;; amdgpu-corpus repo=ROCm/vllm kind=compiled arch=gfx942 opt=O3
	.text
	.amdgcn_target "amdgcn-amd-amdhsa--gfx942"
	.amdhsa_code_object_version 6
	.section	.text._Z25selective_scan_fwd_kernelI32Selective_Scan_fwd_kernel_traitsILi64ELi4ELi1ELb1ELb1ELb1ELb1ELb1EN3c108BFloat16EfS2_EEv13SSMParamsBase,"axG",@progbits,_Z25selective_scan_fwd_kernelI32Selective_Scan_fwd_kernel_traitsILi64ELi4ELi1ELb1ELb1ELb1ELb1ELb1EN3c108BFloat16EfS2_EEv13SSMParamsBase,comdat
	.protected	_Z25selective_scan_fwd_kernelI32Selective_Scan_fwd_kernel_traitsILi64ELi4ELi1ELb1ELb1ELb1ELb1ELb1EN3c108BFloat16EfS2_EEv13SSMParamsBase ; -- Begin function _Z25selective_scan_fwd_kernelI32Selective_Scan_fwd_kernel_traitsILi64ELi4ELi1ELb1ELb1ELb1ELb1ELb1EN3c108BFloat16EfS2_EEv13SSMParamsBase
	.globl	_Z25selective_scan_fwd_kernelI32Selective_Scan_fwd_kernel_traitsILi64ELi4ELi1ELb1ELb1ELb1ELb1ELb1EN3c108BFloat16EfS2_EEv13SSMParamsBase
	.p2align	8
	.type	_Z25selective_scan_fwd_kernelI32Selective_Scan_fwd_kernel_traitsILi64ELi4ELi1ELb1ELb1ELb1ELb1ELb1EN3c108BFloat16EfS2_EEv13SSMParamsBase,@function
_Z25selective_scan_fwd_kernelI32Selective_Scan_fwd_kernel_traitsILi64ELi4ELi1ELb1ELb1ELb1ELb1ELb1EN3c108BFloat16EfS2_EEv13SSMParamsBase: ; @_Z25selective_scan_fwd_kernelI32Selective_Scan_fwd_kernel_traitsILi64ELi4ELi1ELb1ELb1ELb1ELb1ELb1EN3c108BFloat16EfS2_EEv13SSMParamsBase
; %bb.0:
	s_load_dword s37, s[0:1], 0x18
	s_load_dwordx4 s[4:7], s[0:1], 0xe8
	s_load_dwordx8 s[20:27], s[0:1], 0xc8
	s_mov_b32 s34, s3
	s_ashr_i32 s3, s2, 31
	s_lshl_b64 s[8:9], s[2:3], 2
	s_waitcnt lgkmcnt(0)
	s_abs_i32 s36, s37
	v_cvt_f32_u32_e32 v1, s36
	s_add_u32 s28, s26, s8
	s_addc_u32 s29, s27, s9
	s_cmp_eq_u64 s[6:7], 0
	v_rcp_iflag_f32_e32 v1, v1
	s_nop 0
	v_mul_f32_e32 v1, 0x4f7ffffe, v1
	v_cvt_u32_f32_e32 v1, v1
	s_nop 0
	v_readfirstlane_b32 s56, v1
	s_cbranch_scc1 .LBB0_102
; %bb.1:
	s_add_u32 s6, s6, s2
	s_addc_u32 s7, s7, s3
	v_mov_b32_e32 v1, 0
	global_load_ubyte v1, v1, s[6:7]
	s_waitcnt vmcnt(0)
	v_and_b32_e32 v1, 1, v1
	v_cmp_eq_u32_e64 s[38:39], 1, v1
	s_load_dwordx2 s[6:7], s[0:1], 0x20
	s_cmp_eq_u64 s[4:5], 0
	s_cbranch_scc1 .LBB0_3
.LBB0_2:
	s_add_u32 s2, s4, s8
	s_addc_u32 s3, s5, s9
	s_load_dword s2, s[2:3], 0x0
	s_waitcnt lgkmcnt(0)
	s_ashr_i32 s3, s2, 31
.LBB0_3:
	s_waitcnt lgkmcnt(0)
	s_cmp_eq_u64 s[6:7], s[2:3]
	s_cbranch_scc1 .LBB0_101
; %bb.4:
	s_load_dwordx16 s[4:19], s[0:1], 0x88
	s_load_dwordx2 s[26:27], s[28:29], 0x0
	s_mov_b32 s33, 0
	s_mov_b32 s76, 0
	s_waitcnt lgkmcnt(0)
	s_cmp_eq_u64 s[10:11], 0
	s_cbranch_scc1 .LBB0_6
; %bb.5:
	s_ashr_i32 s35, s34, 31
	s_lshl_b64 s[28:29], s[34:35], 2
	s_add_u32 s10, s10, s28
	s_addc_u32 s11, s11, s29
	s_load_dword s76, s[10:11], 0x0
.LBB0_6:
	s_cmp_eq_u64 s[16:17], 0
	s_cbranch_scc1 .LBB0_8
; %bb.7:
	s_ashr_i32 s35, s34, 31
	s_lshl_b64 s[10:11], s[34:35], 2
	s_add_u32 s10, s16, s10
	s_addc_u32 s11, s17, s11
	s_load_dword s33, s[10:11], 0x0
.LBB0_8:
	s_sub_i32 s77, s27, s26
	s_cmp_lt_i32 s77, 1
	s_cbranch_scc1 .LBB0_101
; %bb.9:
	s_sub_i32 s3, 0, s36
	s_mul_i32 s3, s3, s56
	s_mul_hi_u32 s3, s56, s3
	s_abs_i32 s16, s34
	s_add_i32 s56, s56, s3
	s_load_dwordx8 s[40:47], s[0:1], 0x2c
	s_load_dwordx2 s[10:11], s[0:1], 0x7c
	s_load_dwordx4 s[28:31], s[0:1], 0x6c
	s_load_dwordx8 s[48:55], s[0:1], 0x4c
	s_load_dword s78, s[0:1], 0x84
	s_mul_hi_u32 s3, s16, s56
	s_load_dword s79, s[0:1], 0xc
	s_load_dword s17, s[0:1], 0x28
	s_ashr_i32 s0, s34, 31
	s_ashr_i32 s1, s37, 31
	s_xor_b32 s0, s0, s1
	s_mul_i32 s1, s3, s36
	s_sub_i32 s1, s16, s1
	s_add_i32 s16, s3, 1
	s_sub_i32 s27, s1, s36
	s_cmp_ge_u32 s1, s36
	s_cselect_b32 s3, s16, s3
	s_cselect_b32 s1, s27, s1
	s_add_i32 s16, s3, 1
	s_cmp_ge_u32 s1, s36
	s_cselect_b32 s1, s16, s3
	s_xor_b32 s1, s1, s0
	s_waitcnt lgkmcnt(0)
	s_mul_i32 s56, s26, s50
	s_mov_b32 s57, 0
	s_sub_i32 s3, s1, s0
	s_lshl_b64 s[0:1], s[56:57], 1
	s_add_u32 s12, s12, s0
	s_mul_i32 s56, s51, s34
	s_addc_u32 s13, s13, s1
	s_lshl_b64 s[0:1], s[56:57], 1
	s_add_u32 s50, s12, s0
	s_mul_i32 s56, s26, s52
	s_addc_u32 s51, s13, s1
	;; [unrolled: 4-line block ×9, first 2 shown]
	s_lshl_b64 s[0:1], s[56:57], 1
	s_add_u32 s2, s20, s0
	s_mul_i32 s56, s11, s34
	v_mbcnt_lo_u32_b32 v2, -1, 0
	s_addc_u32 s3, s21, s1
	s_lshl_b64 s[0:1], s[56:57], 1
	v_mbcnt_hi_u32_b32 v2, -1, v2
	s_add_u32 s45, s2, s0
	v_lshrrev_b32_e32 v3, 5, v2
	s_addc_u32 s49, s3, s1
	s_add_i32 s0, s77, 0x7ff
	v_and_b32_e32 v3, 2, v3
	s_lshr_b32 s81, s0, 11
	v_add_u32_e32 v42, 64, v2
	v_or_b32_e32 v43, 0x80, v2
	v_add_u32_e32 v44, 0xc0, v2
	v_add_u32_e32 v3, v3, v2
	v_lshl_add_u32 v45, v3, 1, 0
	v_lshrrev_b32_e32 v3, 5, v42
	v_lshrrev_b32_e32 v4, 5, v43
	;; [unrolled: 1-line block ×3, first 2 shown]
	s_bitcmp1_b32 s17, 0
	v_and_b32_e32 v3, 6, v3
	v_and_b32_e32 v4, 6, v4
	;; [unrolled: 1-line block ×3, first 2 shown]
	s_cselect_b64 s[58:59], -1, 0
	s_cmp_gt_i32 s79, 0
	v_add_lshl_u32 v3, v3, v2, 1
	v_add_lshl_u32 v4, v4, v2, 1
	;; [unrolled: 1-line block ×3, first 2 shown]
	s_cselect_b64 s[60:61], -1, 0
	s_add_i32 s0, 0, 0x210
	s_mul_i32 s56, s26, s28
	v_add_u32_e32 v50, s0, v3
	v_add_u32_e32 v51, s0, v4
	;; [unrolled: 1-line block ×3, first 2 shown]
	s_and_b32 s2, s77, 0xff
	s_add_i32 s82, s81, -1
	s_lshl_b64 s[0:1], s[56:57], 1
	s_add_u32 s3, s18, s0
	s_mul_i32 s56, s29, s34
	s_addc_u32 s4, s19, s1
	s_lshl_b64 s[0:1], s[56:57], 1
	s_add_u32 s18, s3, s0
	s_mul_i32 s56, s26, s54
	s_addc_u32 s19, s4, s1
	;; [unrolled: 4-line block ×5, first 2 shown]
	s_lshl_b64 s[0:1], s[56:57], 1
	s_add_u32 s22, s3, s0
	v_add_u32_e32 v46, 0, v3
	s_addc_u32 s23, s4, s1
	v_and_b32_e32 v3, 15, v2
	s_cmp_eq_u32 s2, 0
	v_cmp_eq_u32_e64 s[0:1], 0, v3
	v_cmp_lt_u32_e64 s[2:3], 1, v3
	v_cmp_lt_u32_e64 s[4:5], 3, v3
	;; [unrolled: 1-line block ×3, first 2 shown]
	v_and_b32_e32 v3, 16, v2
	v_add_u32_e32 v47, 0, v4
	v_lshrrev_b32_e32 v6, 3, v2
	v_cmp_ne_u32_e64 s[8:9], 0, v3
	v_add_u32_e32 v3, -1, v2
	v_and_b32_e32 v4, 64, v2
	v_and_b32_e32 v6, 14, v6
	v_cmp_lt_i32_e32 vcc, v3, v4
	v_mov_b32_e32 v1, 0
	v_lshlrev_b32_e32 v11, 2, v0
	v_lshl_add_u32 v6, v2, 2, v6
	v_cmp_eq_u32_e64 s[12:13], 63, v0
	v_cndmask_b32_e32 v3, v3, v2, vcc
	v_cmp_gt_u32_e64 s[14:15], 64, v0
	v_cmp_eq_u32_e64 s[16:17], 0, v0
	v_lshlrev_b32_e32 v0, 1, v2
                                        ; implicit-def: $vgpr12
	v_add_u32_e32 v48, 0, v5
	v_lshl_add_u32 v49, v6, 1, 0
	s_cselect_b64 s[54:55], -1, 0
	v_cmp_lt_u32_e64 s[10:11], 31, v2
	v_lshlrev_b32_e32 v53, 2, v3
	v_lshl_add_u64 v[4:5], s[18:19], 0, v[0:1]
	v_lshl_add_u64 v[6:7], s[20:21], 0, v[0:1]
	;; [unrolled: 1-line block ×3, first 2 shown]
	v_or_b32_e32 v3, 1, v11
	v_or_b32_e32 v10, 2, v11
	;; [unrolled: 1-line block ×3, first 2 shown]
	v_lshlrev_b32_e32 v0, 1, v2
	s_mov_b32 s83, 0x41a00000
	s_mov_b32 s84, 0x3fb8aa3b
	;; [unrolled: 1-line block ×6, first 2 shown]
	v_mov_b32_e32 v55, 0x3ecc95a3
	s_mov_b32 s89, 0x3f317218
	s_mov_b32 s90, 0x33800000
	s_add_i32 s91, 0, 0x428
	s_mov_b32 s92, 0xc2fc0000
	s_movk_i32 s93, 0x7fff
	s_mov_b32 s94, 0x5040100
	s_mov_b32 s95, 0xbfb8aa3b
	;; [unrolled: 1-line block ×4, first 2 shown]
	v_mov_b32_e32 v56, 0x7f800000
	v_mov_b32_e32 v12, 0x3f317218
	;; [unrolled: 1-line block ×5, first 2 shown]
	s_mov_b32 s98, 0
	s_branch .LBB0_11
.LBB0_10:                               ;   in Loop: Header=BB0_11 Depth=1
	s_or_b64 exec, exec, s[18:19]
	s_add_u32 s52, s52, 0x200
	s_addc_u32 s53, s53, 0
	s_add_u32 s50, s50, 0x200
	s_addc_u32 s51, s51, 0
	;; [unrolled: 2-line block ×4, first 2 shown]
	s_add_i32 s98, s98, 1
	s_cmp_lg_u32 s98, s81
	s_cbranch_scc0 .LBB0_101
.LBB0_11:                               ; =>This Loop Header: Depth=1
                                        ;     Child Loop BB0_36 Depth 2
	s_lshl_b32 s62, s98, 8
	s_sub_i32 s34, s77, s62
	v_lshl_add_u64 v[14:15], s[50:51], 0, v[0:1]
	v_cmp_gt_u32_e64 s[18:19], s34, v2
	s_waitcnt lgkmcnt(1)
	v_mov_b32_e32 v16, 0
	s_waitcnt lgkmcnt(0)
	; wave barrier
	s_and_saveexec_b64 s[20:21], s[18:19]
	s_cbranch_execz .LBB0_13
; %bb.12:                               ;   in Loop: Header=BB0_11 Depth=1
	global_load_ushort v16, v[14:15], off
.LBB0_13:                               ;   in Loop: Header=BB0_11 Depth=1
	s_or_b64 exec, exec, s[20:21]
	v_cmp_gt_u32_e64 s[20:21], s34, v42
	v_mov_b32_e32 v17, 0
	v_mov_b32_e32 v18, 0
	s_and_saveexec_b64 s[22:23], s[20:21]
	s_cbranch_execz .LBB0_15
; %bb.14:                               ;   in Loop: Header=BB0_11 Depth=1
	global_load_ushort v18, v[14:15], off offset:128
.LBB0_15:                               ;   in Loop: Header=BB0_11 Depth=1
	s_or_b64 exec, exec, s[22:23]
	v_cmp_gt_u32_e64 s[22:23], s34, v43
	s_and_saveexec_b64 s[24:25], s[22:23]
	s_cbranch_execz .LBB0_17
; %bb.16:                               ;   in Loop: Header=BB0_11 Depth=1
	global_load_ushort v17, v[14:15], off offset:256
.LBB0_17:                               ;   in Loop: Header=BB0_11 Depth=1
	s_or_b64 exec, exec, s[24:25]
	v_cmp_gt_u32_e64 s[24:25], s34, v44
	s_waitcnt lgkmcnt(0)
	v_mov_b32_e32 v13, 0
	v_mov_b32_e32 v19, 0
	s_and_saveexec_b64 s[26:27], s[24:25]
	s_cbranch_execz .LBB0_19
; %bb.18:                               ;   in Loop: Header=BB0_11 Depth=1
	global_load_ushort v19, v[14:15], off offset:384
.LBB0_19:                               ;   in Loop: Header=BB0_11 Depth=1
	s_or_b64 exec, exec, s[26:27]
	s_waitcnt vmcnt(0)
	ds_write_b16 v45, v16
	ds_write_b16 v46, v18 offset:128
	ds_write_b16 v47, v17 offset:256
	;; [unrolled: 1-line block ×3, first 2 shown]
	; wave barrier
	ds_read_b64 v[16:17], v49
	v_lshl_add_u64 v[14:15], s[52:53], 0, v[0:1]
	s_waitcnt lgkmcnt(0)
	; wave barrier
	s_waitcnt lgkmcnt(0)
	s_and_saveexec_b64 s[26:27], s[18:19]
	s_cbranch_execz .LBB0_21
; %bb.20:                               ;   in Loop: Header=BB0_11 Depth=1
	global_load_ushort v13, v[14:15], off
.LBB0_21:                               ;   in Loop: Header=BB0_11 Depth=1
	s_or_b64 exec, exec, s[26:27]
	v_mov_b32_e32 v18, 0
	v_mov_b32_e32 v19, 0
	s_and_saveexec_b64 s[26:27], s[20:21]
	s_cbranch_execnz .LBB0_92
; %bb.22:                               ;   in Loop: Header=BB0_11 Depth=1
	s_or_b64 exec, exec, s[26:27]
	s_and_saveexec_b64 s[26:27], s[22:23]
	s_cbranch_execnz .LBB0_93
.LBB0_23:                               ;   in Loop: Header=BB0_11 Depth=1
	s_or_b64 exec, exec, s[26:27]
	v_mov_b32_e32 v20, 0
	s_and_saveexec_b64 s[26:27], s[24:25]
	s_cbranch_execz .LBB0_25
.LBB0_24:                               ;   in Loop: Header=BB0_11 Depth=1
	global_load_ushort v20, v[14:15], off offset:384
.LBB0_25:                               ;   in Loop: Header=BB0_11 Depth=1
	s_or_b64 exec, exec, s[26:27]
	s_waitcnt vmcnt(0)
	ds_write_b16 v45, v13
	ds_write_b16 v46, v19 offset:128
	ds_write_b16 v47, v18 offset:256
	;; [unrolled: 1-line block ×3, first 2 shown]
	; wave barrier
	ds_read_b64 v[14:15], v49
	s_waitcnt lgkmcnt(0)
	v_lshlrev_b32_e32 v13, 16, v14
	v_add_f32_e32 v60, s33, v13
	v_cmp_ge_f32_e32 vcc, s83, v60
	s_and_b64 s[26:27], s[58:59], vcc
	s_and_saveexec_b64 s[28:29], s[26:27]
	s_cbranch_execz .LBB0_27
; %bb.26:                               ;   in Loop: Header=BB0_11 Depth=1
	v_mul_f32_e32 v13, 0x3fb8aa3b, v60
	v_rndne_f32_e32 v18, v13
	v_sub_f32_e32 v19, v13, v18
	v_fma_f32 v13, v60, s84, -v13
	v_fmac_f32_e32 v13, 0x32a5705f, v60
	v_add_f32_e32 v13, v19, v13
	v_cvt_i32_f32_e32 v18, v18
	v_exp_f32_e32 v13, v13
	v_cmp_ngt_f32_e32 vcc, s85, v60
	v_ldexp_f32 v13, v13, v18
	s_nop 0
	v_cndmask_b32_e32 v13, 0, v13, vcc
	v_cmp_nlt_f32_e32 vcc, s86, v60
	s_nop 1
	v_cndmask_b32_e32 v34, v56, v13, vcc
	v_add_f32_e32 v13, 1.0, v34
	v_add_f32_e32 v18, -1.0, v13
	v_sub_f32_e32 v19, v18, v13
	v_add_f32_e32 v19, 1.0, v19
	v_sub_f32_e32 v18, v34, v18
	v_add_f32_e32 v20, v18, v19
	v_frexp_mant_f32_e32 v21, v13
	v_cvt_f64_f32_e32 v[18:19], v13
	v_frexp_exp_i32_f64_e32 v18, v[18:19]
	v_cmp_gt_f32_e32 vcc, s88, v21
	v_cmp_gt_f32_e64 s[26:27], s90, v34
	s_nop 0
	v_subbrev_co_u32_e32 v26, vcc, 0, v18, vcc
	v_sub_u32_e32 v18, 0, v26
	v_ldexp_f32 v13, v13, v18
	v_ldexp_f32 v18, v20, v18
	v_add_f32_e32 v20, -1.0, v13
	v_add_f32_e32 v19, 1.0, v20
	v_sub_f32_e32 v19, v13, v19
	v_add_f32_e32 v21, v18, v19
	v_add_f32_e32 v19, 1.0, v13
	v_add_f32_e32 v22, -1.0, v19
	v_sub_f32_e32 v13, v13, v22
	v_add_f32_e32 v13, v18, v13
	v_add_f32_e32 v27, v19, v13
	v_rcp_f32_e32 v28, v27
	v_sub_f32_e32 v18, v19, v27
	v_add_f32_e32 v19, v20, v21
	v_add_f32_e32 v13, v13, v18
	v_mul_f32_e32 v30, v19, v28
	v_sub_f32_e32 v18, v20, v19
	v_mul_f32_e32 v20, v27, v30
	v_fma_f32 v22, v30, v27, -v20
	v_fmac_f32_e32 v22, v30, v13
	v_add_f32_e32 v29, v21, v18
	v_add_f32_e32 v18, v20, v22
	v_sub_f32_e32 v21, v19, v18
	v_pk_add_f32 v[24:25], v[18:19], v[20:21] neg_lo:[0,1] neg_hi:[0,1]
	v_mov_b32_e32 v23, v18
	v_pk_add_f32 v[18:19], v[24:25], v[22:23] neg_lo:[0,1] neg_hi:[0,1]
	v_cmp_eq_f32_e32 vcc, s87, v34
	v_add_f32_e32 v19, v29, v19
	v_add_f32_e32 v18, v18, v19
	;; [unrolled: 1-line block ×3, first 2 shown]
	v_mul_f32_e32 v29, v28, v19
	v_mul_f32_e32 v20, v27, v29
	v_fma_f32 v22, v29, v27, -v20
	v_fmac_f32_e32 v22, v29, v13
	v_sub_f32_e32 v13, v21, v19
	v_add_f32_e32 v13, v18, v13
	v_add_f32_e32 v18, v20, v22
	v_sub_f32_e32 v21, v19, v18
	v_pk_add_f32 v[24:25], v[18:19], v[20:21] neg_lo:[0,1] neg_hi:[0,1]
	v_mov_b32_e32 v23, v18
	v_pk_add_f32 v[18:19], v[24:25], v[22:23] neg_lo:[0,1] neg_hi:[0,1]
	s_or_b64 vcc, s[26:27], vcc
	v_add_f32_e32 v13, v13, v19
	v_add_f32_e32 v13, v18, v13
	;; [unrolled: 1-line block ×4, first 2 shown]
	v_sub_f32_e32 v18, v19, v30
	v_mul_f32_e32 v13, v28, v13
	v_sub_f32_e32 v18, v29, v18
	v_add_f32_e32 v20, v18, v13
	v_add_f32_e32 v22, v19, v20
	v_cvt_f32_i32_e32 v18, v26
	v_mul_f32_e32 v23, v22, v22
	v_sub_f32_e32 v19, v22, v19
	v_fmamk_f32 v13, v23, 0x3e9b6dac, v55
	v_sub_f32_e32 v19, v20, v19
	v_fmaak_f32 v13, v23, v13, 0x3f2aaada
	v_ldexp_f32 v24, v19, 1
	v_mul_f32_e32 v19, v22, v23
	v_ldexp_f32 v21, v22, 1
	v_pk_mul_f32 v[22:23], v[18:19], v[12:13]
	s_nop 0
	v_fma_f32 v20, v18, s89, -v22
	v_fmac_f32_e32 v20, 0xb102e308, v18
	v_pk_add_f32 v[18:19], v[22:23], v[20:21]
	s_nop 0
	v_sub_f32_e32 v13, v19, v21
	v_sub_f32_e32 v13, v23, v13
	v_add_f32_e32 v25, v24, v13
	v_mov_b32_e32 v24, v22
	v_pk_add_f32 v[22:23], v[18:19], v[22:23] neg_lo:[0,1] neg_hi:[0,1]
	v_pk_add_f32 v[26:27], v[18:19], v[24:25]
	v_mov_b32_e32 v21, v18
	v_mov_b32_e32 v23, v27
	v_pk_add_f32 v[28:29], v[20:21], v[22:23] neg_lo:[0,1] neg_hi:[0,1]
	v_pk_add_f32 v[20:21], v[20:21], v[22:23]
	v_mov_b32_e32 v24, v25
	v_mov_b32_e32 v22, v21
	v_pk_add_f32 v[30:31], v[22:23], v[18:19] neg_lo:[0,1] neg_hi:[0,1]
	v_mov_b32_e32 v20, v27
	v_mov_b32_e32 v13, v30
	v_pk_add_f32 v[32:33], v[26:27], v[12:13] neg_lo:[0,1] neg_hi:[0,1]
	v_mov_b32_e32 v26, v19
	v_mov_b32_e32 v27, v30
	;; [unrolled: 1-line block ×3, first 2 shown]
	v_pk_add_f32 v[20:21], v[20:21], v[26:27] neg_lo:[0,1] neg_hi:[0,1]
	v_mov_b32_e32 v25, v18
	v_pk_add_f32 v[18:19], v[24:25], v[20:21] neg_lo:[0,1] neg_hi:[0,1]
	v_mov_b32_e32 v32, v28
	v_pk_add_f32 v[20:21], v[32:33], v[18:19]
	s_nop 0
	v_mov_b32_e32 v24, v21
	v_pk_add_f32 v[24:25], v[20:21], v[24:25]
	s_nop 0
	v_pk_add_f32 v[22:23], v[22:23], v[24:25]
	v_mov_b32_e32 v19, v24
	v_mov_b32_e32 v21, v22
	v_pk_add_f32 v[26:27], v[20:21], v[28:29] neg_lo:[0,1] neg_hi:[0,1]
	s_nop 0
	v_sub_f32_e32 v13, v20, v26
	v_pk_add_f32 v[18:19], v[18:19], v[26:27] neg_lo:[0,1] neg_hi:[0,1]
	v_sub_f32_e32 v13, v28, v13
	v_add_f32_e32 v13, v18, v13
	v_add_f32_e32 v13, v13, v19
	;; [unrolled: 1-line block ×3, first 2 shown]
	v_cndmask_b32_e32 v60, v13, v34, vcc
.LBB0_27:                               ;   in Loop: Header=BB0_11 Depth=1
	s_or_b64 exec, exec, s[28:29]
	v_and_b32_e32 v13, 0xffff0000, v14
	v_add_f32_e32 v61, s33, v13
	v_cmp_ge_f32_e32 vcc, s83, v61
	s_and_b64 s[26:27], s[58:59], vcc
	s_and_saveexec_b64 s[28:29], s[26:27]
	s_cbranch_execz .LBB0_29
; %bb.28:                               ;   in Loop: Header=BB0_11 Depth=1
	v_mul_f32_e32 v13, 0x3fb8aa3b, v61
	v_rndne_f32_e32 v14, v13
	v_sub_f32_e32 v18, v13, v14
	v_fma_f32 v13, v61, s84, -v13
	v_fmac_f32_e32 v13, 0x32a5705f, v61
	v_add_f32_e32 v13, v18, v13
	v_cvt_i32_f32_e32 v14, v14
	v_exp_f32_e32 v13, v13
	v_cmp_ngt_f32_e32 vcc, s85, v61
	v_ldexp_f32 v13, v13, v14
	s_nop 0
	v_cndmask_b32_e32 v13, 0, v13, vcc
	v_cmp_nlt_f32_e32 vcc, s86, v61
	s_nop 1
	v_cndmask_b32_e32 v32, v56, v13, vcc
	v_add_f32_e32 v13, 1.0, v32
	v_add_f32_e32 v14, -1.0, v13
	v_sub_f32_e32 v18, v14, v13
	v_add_f32_e32 v18, 1.0, v18
	v_sub_f32_e32 v14, v32, v14
	v_add_f32_e32 v14, v14, v18
	v_frexp_mant_f32_e32 v20, v13
	v_cvt_f64_f32_e32 v[18:19], v13
	v_frexp_exp_i32_f64_e32 v18, v[18:19]
	v_cmp_gt_f32_e32 vcc, s88, v20
	v_cmp_gt_f32_e64 s[26:27], s90, v32
	s_nop 0
	v_subbrev_co_u32_e32 v26, vcc, 0, v18, vcc
	v_sub_u32_e32 v18, 0, v26
	v_ldexp_f32 v13, v13, v18
	v_ldexp_f32 v14, v14, v18
	v_add_f32_e32 v18, -1.0, v13
	v_add_f32_e32 v19, 1.0, v18
	v_sub_f32_e32 v19, v13, v19
	v_add_f32_e32 v20, v14, v19
	v_add_f32_e32 v19, 1.0, v13
	v_add_f32_e32 v21, -1.0, v19
	v_sub_f32_e32 v13, v13, v21
	v_add_f32_e32 v13, v14, v13
	v_add_f32_e32 v14, v19, v13
	v_rcp_f32_e32 v27, v14
	v_sub_f32_e32 v19, v19, v14
	v_add_f32_e32 v13, v13, v19
	v_add_f32_e32 v19, v18, v20
	v_sub_f32_e32 v18, v18, v19
	v_mul_f32_e32 v29, v19, v27
	v_add_f32_e32 v28, v20, v18
	v_mul_f32_e32 v20, v14, v29
	v_fma_f32 v22, v29, v14, -v20
	v_fmac_f32_e32 v22, v29, v13
	v_add_f32_e32 v18, v20, v22
	v_sub_f32_e32 v21, v19, v18
	v_pk_add_f32 v[24:25], v[18:19], v[20:21] neg_lo:[0,1] neg_hi:[0,1]
	v_mov_b32_e32 v23, v18
	v_pk_add_f32 v[18:19], v[24:25], v[22:23] neg_lo:[0,1] neg_hi:[0,1]
	v_cmp_eq_f32_e32 vcc, s87, v32
	v_add_f32_e32 v19, v28, v19
	v_add_f32_e32 v18, v18, v19
	;; [unrolled: 1-line block ×3, first 2 shown]
	v_mul_f32_e32 v28, v27, v19
	v_mul_f32_e32 v20, v14, v28
	v_fma_f32 v22, v28, v14, -v20
	v_fmac_f32_e32 v22, v28, v13
	v_sub_f32_e32 v13, v21, v19
	v_add_f32_e32 v13, v18, v13
	v_add_f32_e32 v18, v20, v22
	v_sub_f32_e32 v21, v19, v18
	v_pk_add_f32 v[24:25], v[18:19], v[20:21] neg_lo:[0,1] neg_hi:[0,1]
	v_mov_b32_e32 v23, v18
	v_pk_add_f32 v[18:19], v[24:25], v[22:23] neg_lo:[0,1] neg_hi:[0,1]
	v_add_f32_e32 v14, v29, v28
	v_add_f32_e32 v13, v13, v19
	;; [unrolled: 1-line block ×4, first 2 shown]
	v_sub_f32_e32 v18, v14, v29
	v_mul_f32_e32 v13, v27, v13
	v_sub_f32_e32 v18, v28, v18
	v_add_f32_e32 v19, v18, v13
	v_add_f32_e32 v20, v14, v19
	v_cvt_f32_i32_e32 v18, v26
	v_mul_f32_e32 v22, v20, v20
	v_fmamk_f32 v13, v22, 0x3e9b6dac, v55
	v_sub_f32_e32 v14, v20, v14
	v_fmaak_f32 v13, v22, v13, 0x3f2aaada
	v_sub_f32_e32 v14, v19, v14
	v_mul_f32_e32 v19, v20, v22
	v_pk_mul_f32 v[22:23], v[18:19], v[12:13]
	v_ldexp_f32 v21, v20, 1
	v_fma_f32 v20, v18, s89, -v22
	v_fmac_f32_e32 v20, 0xb102e308, v18
	v_pk_add_f32 v[18:19], v[22:23], v[20:21]
	v_ldexp_f32 v14, v14, 1
	v_sub_f32_e32 v13, v19, v21
	v_sub_f32_e32 v13, v23, v13
	v_add_f32_e32 v25, v14, v13
	v_mov_b32_e32 v24, v22
	v_pk_add_f32 v[22:23], v[18:19], v[22:23] neg_lo:[0,1] neg_hi:[0,1]
	v_pk_add_f32 v[26:27], v[18:19], v[24:25]
	v_mov_b32_e32 v21, v18
	v_mov_b32_e32 v23, v27
	v_pk_add_f32 v[28:29], v[20:21], v[22:23] neg_lo:[0,1] neg_hi:[0,1]
	v_pk_add_f32 v[20:21], v[20:21], v[22:23]
	s_or_b64 vcc, s[26:27], vcc
	v_mov_b32_e32 v14, v21
	v_pk_add_f32 v[22:23], v[14:15], v[18:19] neg_lo:[0,1] neg_hi:[0,1]
	v_mov_b32_e32 v20, v27
	v_mov_b32_e32 v13, v22
	v_pk_add_f32 v[30:31], v[26:27], v[12:13] neg_lo:[0,1] neg_hi:[0,1]
	v_mov_b32_e32 v26, v19
	v_mov_b32_e32 v27, v22
	;; [unrolled: 1-line block ×3, first 2 shown]
	v_pk_add_f32 v[20:21], v[20:21], v[26:27] neg_lo:[0,1] neg_hi:[0,1]
	v_mov_b32_e32 v22, v25
	v_mov_b32_e32 v23, v18
	v_pk_add_f32 v[18:19], v[22:23], v[20:21] neg_lo:[0,1] neg_hi:[0,1]
	v_mov_b32_e32 v30, v28
	v_pk_add_f32 v[20:21], v[30:31], v[18:19]
	s_nop 0
	v_mov_b32_e32 v22, v21
	v_pk_add_f32 v[22:23], v[20:21], v[22:23]
	s_nop 0
	v_pk_add_f32 v[24:25], v[14:15], v[22:23]
	v_mov_b32_e32 v19, v22
	v_mov_b32_e32 v21, v24
	v_pk_add_f32 v[26:27], v[20:21], v[28:29] neg_lo:[0,1] neg_hi:[0,1]
	s_nop 0
	v_sub_f32_e32 v13, v20, v26
	v_pk_add_f32 v[18:19], v[18:19], v[26:27] neg_lo:[0,1] neg_hi:[0,1]
	v_sub_f32_e32 v13, v28, v13
	v_add_f32_e32 v13, v18, v13
	v_add_f32_e32 v13, v13, v19
	;; [unrolled: 1-line block ×3, first 2 shown]
	v_cndmask_b32_e32 v61, v13, v32, vcc
.LBB0_29:                               ;   in Loop: Header=BB0_11 Depth=1
	s_or_b64 exec, exec, s[28:29]
	v_lshlrev_b32_e32 v13, 16, v15
	v_add_f32_e32 v19, s33, v13
	v_cmp_ge_f32_e32 vcc, s83, v19
	s_and_b64 s[26:27], s[58:59], vcc
	s_and_saveexec_b64 s[28:29], s[26:27]
	s_cbranch_execz .LBB0_31
; %bb.30:                               ;   in Loop: Header=BB0_11 Depth=1
	v_mul_f32_e32 v13, 0x3fb8aa3b, v19
	v_rndne_f32_e32 v14, v13
	v_sub_f32_e32 v18, v13, v14
	v_fma_f32 v13, v19, s84, -v13
	v_fmac_f32_e32 v13, 0x32a5705f, v19
	v_add_f32_e32 v13, v18, v13
	v_cvt_i32_f32_e32 v14, v14
	v_exp_f32_e32 v13, v13
	v_cmp_ngt_f32_e32 vcc, s85, v19
	v_ldexp_f32 v13, v13, v14
	s_nop 0
	v_cndmask_b32_e32 v13, 0, v13, vcc
	v_cmp_nlt_f32_e32 vcc, s86, v19
	s_nop 1
	v_cndmask_b32_e32 v32, v56, v13, vcc
	v_add_f32_e32 v13, 1.0, v32
	v_add_f32_e32 v14, -1.0, v13
	v_sub_f32_e32 v18, v14, v13
	v_add_f32_e32 v18, 1.0, v18
	v_sub_f32_e32 v14, v32, v14
	v_add_f32_e32 v14, v14, v18
	v_frexp_mant_f32_e32 v20, v13
	v_cvt_f64_f32_e32 v[18:19], v13
	v_frexp_exp_i32_f64_e32 v18, v[18:19]
	v_cmp_gt_f32_e32 vcc, s88, v20
	v_cmp_gt_f32_e64 s[26:27], s90, v32
	s_nop 0
	v_subbrev_co_u32_e32 v26, vcc, 0, v18, vcc
	v_sub_u32_e32 v18, 0, v26
	v_ldexp_f32 v13, v13, v18
	v_ldexp_f32 v14, v14, v18
	v_add_f32_e32 v18, -1.0, v13
	v_add_f32_e32 v19, 1.0, v18
	v_sub_f32_e32 v19, v13, v19
	v_add_f32_e32 v20, v14, v19
	v_add_f32_e32 v19, 1.0, v13
	v_add_f32_e32 v21, -1.0, v19
	v_sub_f32_e32 v13, v13, v21
	v_add_f32_e32 v13, v14, v13
	v_add_f32_e32 v14, v19, v13
	v_rcp_f32_e32 v27, v14
	v_sub_f32_e32 v19, v19, v14
	v_add_f32_e32 v13, v13, v19
	v_add_f32_e32 v19, v18, v20
	v_sub_f32_e32 v18, v18, v19
	v_mul_f32_e32 v29, v19, v27
	v_add_f32_e32 v28, v20, v18
	v_mul_f32_e32 v20, v14, v29
	v_fma_f32 v22, v29, v14, -v20
	v_fmac_f32_e32 v22, v29, v13
	v_add_f32_e32 v18, v20, v22
	v_sub_f32_e32 v21, v19, v18
	v_pk_add_f32 v[24:25], v[18:19], v[20:21] neg_lo:[0,1] neg_hi:[0,1]
	v_mov_b32_e32 v23, v18
	v_pk_add_f32 v[18:19], v[24:25], v[22:23] neg_lo:[0,1] neg_hi:[0,1]
	v_cmp_eq_f32_e32 vcc, s87, v32
	v_add_f32_e32 v19, v28, v19
	v_add_f32_e32 v18, v18, v19
	;; [unrolled: 1-line block ×3, first 2 shown]
	v_mul_f32_e32 v28, v27, v19
	v_mul_f32_e32 v20, v14, v28
	v_fma_f32 v22, v28, v14, -v20
	v_fmac_f32_e32 v22, v28, v13
	v_sub_f32_e32 v13, v21, v19
	v_add_f32_e32 v13, v18, v13
	v_add_f32_e32 v18, v20, v22
	v_sub_f32_e32 v21, v19, v18
	v_pk_add_f32 v[24:25], v[18:19], v[20:21] neg_lo:[0,1] neg_hi:[0,1]
	v_mov_b32_e32 v23, v18
	v_pk_add_f32 v[18:19], v[24:25], v[22:23] neg_lo:[0,1] neg_hi:[0,1]
	v_add_f32_e32 v14, v29, v28
	v_add_f32_e32 v13, v13, v19
	;; [unrolled: 1-line block ×4, first 2 shown]
	v_sub_f32_e32 v18, v14, v29
	v_mul_f32_e32 v13, v27, v13
	v_sub_f32_e32 v18, v28, v18
	v_add_f32_e32 v19, v18, v13
	v_add_f32_e32 v20, v14, v19
	v_cvt_f32_i32_e32 v18, v26
	v_mul_f32_e32 v22, v20, v20
	v_fmamk_f32 v13, v22, 0x3e9b6dac, v55
	v_sub_f32_e32 v14, v20, v14
	v_fmaak_f32 v13, v22, v13, 0x3f2aaada
	v_sub_f32_e32 v14, v19, v14
	v_mul_f32_e32 v19, v20, v22
	v_pk_mul_f32 v[22:23], v[18:19], v[12:13]
	v_ldexp_f32 v21, v20, 1
	v_fma_f32 v20, v18, s89, -v22
	v_fmac_f32_e32 v20, 0xb102e308, v18
	v_pk_add_f32 v[18:19], v[22:23], v[20:21]
	v_ldexp_f32 v14, v14, 1
	v_sub_f32_e32 v13, v19, v21
	v_sub_f32_e32 v13, v23, v13
	v_add_f32_e32 v25, v14, v13
	v_mov_b32_e32 v24, v22
	v_pk_add_f32 v[22:23], v[18:19], v[22:23] neg_lo:[0,1] neg_hi:[0,1]
	v_pk_add_f32 v[26:27], v[18:19], v[24:25]
	v_mov_b32_e32 v21, v18
	v_mov_b32_e32 v23, v27
	v_pk_add_f32 v[28:29], v[20:21], v[22:23] neg_lo:[0,1] neg_hi:[0,1]
	v_pk_add_f32 v[20:21], v[20:21], v[22:23]
	s_or_b64 vcc, s[26:27], vcc
	v_mov_b32_e32 v14, v21
	v_pk_add_f32 v[22:23], v[14:15], v[18:19] neg_lo:[0,1] neg_hi:[0,1]
	v_mov_b32_e32 v20, v27
	v_mov_b32_e32 v13, v22
	v_pk_add_f32 v[30:31], v[26:27], v[12:13] neg_lo:[0,1] neg_hi:[0,1]
	v_mov_b32_e32 v26, v19
	v_mov_b32_e32 v27, v22
	;; [unrolled: 1-line block ×3, first 2 shown]
	v_pk_add_f32 v[20:21], v[20:21], v[26:27] neg_lo:[0,1] neg_hi:[0,1]
	v_mov_b32_e32 v22, v25
	v_mov_b32_e32 v23, v18
	v_pk_add_f32 v[18:19], v[22:23], v[20:21] neg_lo:[0,1] neg_hi:[0,1]
	v_mov_b32_e32 v30, v28
	v_pk_add_f32 v[20:21], v[30:31], v[18:19]
	s_nop 0
	v_mov_b32_e32 v22, v21
	v_pk_add_f32 v[22:23], v[20:21], v[22:23]
	s_nop 0
	v_pk_add_f32 v[24:25], v[14:15], v[22:23]
	v_mov_b32_e32 v19, v22
	v_mov_b32_e32 v21, v24
	v_pk_add_f32 v[26:27], v[20:21], v[28:29] neg_lo:[0,1] neg_hi:[0,1]
	s_nop 0
	v_sub_f32_e32 v13, v20, v26
	v_pk_add_f32 v[18:19], v[18:19], v[26:27] neg_lo:[0,1] neg_hi:[0,1]
	v_sub_f32_e32 v13, v28, v13
	v_add_f32_e32 v13, v18, v13
	v_add_f32_e32 v13, v13, v19
	;; [unrolled: 1-line block ×3, first 2 shown]
	v_cndmask_b32_e32 v19, v13, v32, vcc
.LBB0_31:                               ;   in Loop: Header=BB0_11 Depth=1
	s_or_b64 exec, exec, s[28:29]
	v_and_b32_e32 v13, 0xffff0000, v15
	v_add_f32_e32 v18, s33, v13
	v_cmp_ge_f32_e32 vcc, s83, v18
	s_and_b64 s[26:27], s[58:59], vcc
	s_and_saveexec_b64 s[28:29], s[26:27]
	s_cbranch_execz .LBB0_33
; %bb.32:                               ;   in Loop: Header=BB0_11 Depth=1
	v_mul_f32_e32 v13, 0x3fb8aa3b, v18
	v_rndne_f32_e32 v14, v13
	v_sub_f32_e32 v15, v13, v14
	v_fma_f32 v13, v18, s84, -v13
	v_fmac_f32_e32 v13, 0x32a5705f, v18
	v_add_f32_e32 v13, v15, v13
	v_cvt_i32_f32_e32 v14, v14
	v_exp_f32_e32 v13, v13
	v_cmp_ngt_f32_e32 vcc, s85, v18
	v_ldexp_f32 v13, v13, v14
	s_nop 0
	v_cndmask_b32_e32 v13, 0, v13, vcc
	v_cmp_nlt_f32_e32 vcc, s86, v18
	s_nop 1
	v_cndmask_b32_e32 v32, v56, v13, vcc
	v_add_f32_e32 v13, 1.0, v32
	v_add_f32_e32 v14, -1.0, v13
	v_sub_f32_e32 v15, v14, v13
	v_add_f32_e32 v15, 1.0, v15
	v_sub_f32_e32 v14, v32, v14
	v_add_f32_e32 v18, v14, v15
	v_frexp_mant_f32_e32 v20, v13
	v_cvt_f64_f32_e32 v[14:15], v13
	v_frexp_exp_i32_f64_e32 v14, v[14:15]
	v_cmp_gt_f32_e32 vcc, s88, v20
	v_cmp_gt_f32_e64 s[26:27], s90, v32
	s_nop 0
	v_subbrev_co_u32_e32 v26, vcc, 0, v14, vcc
	v_sub_u32_e32 v14, 0, v26
	v_ldexp_f32 v13, v13, v14
	v_ldexp_f32 v14, v18, v14
	v_add_f32_e32 v18, -1.0, v13
	v_add_f32_e32 v15, 1.0, v18
	v_sub_f32_e32 v15, v13, v15
	v_add_f32_e32 v20, v14, v15
	v_add_f32_e32 v15, 1.0, v13
	v_add_f32_e32 v21, -1.0, v15
	v_sub_f32_e32 v13, v13, v21
	v_add_f32_e32 v13, v14, v13
	v_add_f32_e32 v27, v15, v13
	v_rcp_f32_e32 v28, v27
	v_sub_f32_e32 v14, v15, v27
	v_add_f32_e32 v15, v18, v20
	v_add_f32_e32 v13, v13, v14
	v_sub_f32_e32 v14, v18, v15
	v_mul_f32_e32 v29, v15, v28
	v_add_f32_e32 v18, v20, v14
	v_mul_f32_e32 v20, v27, v29
	v_fma_f32 v22, v29, v27, -v20
	v_fmac_f32_e32 v22, v29, v13
	v_add_f32_e32 v14, v20, v22
	v_sub_f32_e32 v21, v15, v14
	v_pk_add_f32 v[24:25], v[14:15], v[20:21] neg_lo:[0,1] neg_hi:[0,1]
	v_mov_b32_e32 v23, v14
	v_pk_add_f32 v[14:15], v[24:25], v[22:23] neg_lo:[0,1] neg_hi:[0,1]
	v_cmp_eq_f32_e32 vcc, s87, v32
	v_add_f32_e32 v15, v18, v15
	v_add_f32_e32 v14, v14, v15
	;; [unrolled: 1-line block ×3, first 2 shown]
	v_mul_f32_e32 v18, v28, v15
	v_mul_f32_e32 v20, v27, v18
	v_fma_f32 v22, v18, v27, -v20
	v_fmac_f32_e32 v22, v18, v13
	v_sub_f32_e32 v13, v21, v15
	v_add_f32_e32 v13, v14, v13
	v_add_f32_e32 v14, v20, v22
	v_sub_f32_e32 v21, v15, v14
	v_pk_add_f32 v[24:25], v[14:15], v[20:21] neg_lo:[0,1] neg_hi:[0,1]
	v_mov_b32_e32 v23, v14
	v_pk_add_f32 v[14:15], v[24:25], v[22:23] neg_lo:[0,1] neg_hi:[0,1]
	s_or_b64 vcc, s[26:27], vcc
	v_add_f32_e32 v13, v13, v15
	v_add_f32_e32 v13, v14, v13
	;; [unrolled: 1-line block ×4, first 2 shown]
	v_sub_f32_e32 v14, v15, v29
	v_mul_f32_e32 v13, v28, v13
	v_sub_f32_e32 v14, v18, v14
	v_add_f32_e32 v18, v14, v13
	v_add_f32_e32 v20, v15, v18
	v_cvt_f32_i32_e32 v14, v26
	v_mul_f32_e32 v22, v20, v20
	v_sub_f32_e32 v15, v20, v15
	v_fmamk_f32 v13, v22, 0x3e9b6dac, v55
	v_sub_f32_e32 v15, v18, v15
	v_fmaak_f32 v13, v22, v13, 0x3f2aaada
	v_ldexp_f32 v18, v15, 1
	v_mul_f32_e32 v15, v20, v22
	v_pk_mul_f32 v[22:23], v[14:15], v[12:13]
	v_ldexp_f32 v21, v20, 1
	v_fma_f32 v20, v14, s89, -v22
	v_fmac_f32_e32 v20, 0xb102e308, v14
	v_pk_add_f32 v[14:15], v[22:23], v[20:21]
	v_mov_b32_e32 v24, v22
	v_sub_f32_e32 v13, v15, v21
	v_sub_f32_e32 v13, v23, v13
	v_add_f32_e32 v25, v18, v13
	v_pk_add_f32 v[22:23], v[14:15], v[22:23] neg_lo:[0,1] neg_hi:[0,1]
	v_pk_add_f32 v[26:27], v[14:15], v[24:25]
	v_mov_b32_e32 v21, v14
	v_mov_b32_e32 v23, v27
	v_pk_add_f32 v[28:29], v[20:21], v[22:23] neg_lo:[0,1] neg_hi:[0,1]
	v_pk_add_f32 v[20:21], v[20:21], v[22:23]
	s_nop 0
	v_mov_b32_e32 v18, v21
	v_pk_add_f32 v[22:23], v[18:19], v[14:15] neg_lo:[0,1] neg_hi:[0,1]
	v_mov_b32_e32 v20, v27
	v_mov_b32_e32 v13, v22
	v_pk_add_f32 v[30:31], v[26:27], v[12:13] neg_lo:[0,1] neg_hi:[0,1]
	v_mov_b32_e32 v26, v15
	v_mov_b32_e32 v27, v22
	;; [unrolled: 1-line block ×3, first 2 shown]
	v_pk_add_f32 v[20:21], v[20:21], v[26:27] neg_lo:[0,1] neg_hi:[0,1]
	v_mov_b32_e32 v22, v25
	v_mov_b32_e32 v23, v14
	v_pk_add_f32 v[14:15], v[22:23], v[20:21] neg_lo:[0,1] neg_hi:[0,1]
	v_mov_b32_e32 v30, v28
	v_pk_add_f32 v[20:21], v[30:31], v[14:15]
	s_nop 0
	v_mov_b32_e32 v22, v21
	v_pk_add_f32 v[22:23], v[20:21], v[22:23]
	s_nop 0
	v_pk_add_f32 v[24:25], v[18:19], v[22:23]
	v_mov_b32_e32 v15, v22
	v_mov_b32_e32 v21, v24
	v_pk_add_f32 v[26:27], v[20:21], v[28:29] neg_lo:[0,1] neg_hi:[0,1]
	s_nop 0
	v_sub_f32_e32 v13, v20, v26
	v_pk_add_f32 v[14:15], v[14:15], v[26:27] neg_lo:[0,1] neg_hi:[0,1]
	v_sub_f32_e32 v13, v28, v13
	v_add_f32_e32 v13, v14, v13
	v_add_f32_e32 v13, v13, v15
	;; [unrolled: 1-line block ×3, first 2 shown]
	v_cndmask_b32_e32 v18, v13, v32, vcc
.LBB0_33:                               ;   in Loop: Header=BB0_11 Depth=1
	s_or_b64 exec, exec, s[28:29]
	v_lshlrev_b32_e32 v24, 16, v17
	v_and_b32_e32 v13, 0xffff0000, v17
	v_and_b32_e32 v25, 0xffff0000, v16
	v_lshlrev_b32_e32 v26, 16, v16
	v_mul_f32_e32 v14, s76, v24
	v_mul_f32_e32 v17, s76, v25
	;; [unrolled: 1-line block ×4, first 2 shown]
	s_and_b64 vcc, exec, s[60:61]
	s_waitcnt lgkmcnt(0)
	; wave barrier
	s_cbranch_vccz .LBB0_75
; %bb.34:                               ;   in Loop: Header=BB0_11 Depth=1
	s_cmp_lg_u32 s98, 0
	s_cselect_b64 s[64:65], -1, 0
	s_cmp_eq_u32 s98, s82
	v_cmp_gt_u32_e32 vcc, s34, v11
	s_cselect_b64 s[66:67], -1, 0
	s_or_b64 s[26:27], s[54:55], vcc
	v_cmp_gt_u32_e32 vcc, s34, v10
	s_mov_b32 s56, 0
	v_cmp_gt_u32_e64 s[28:29], s34, v3
	s_or_b64 s[30:31], s[54:55], vcc
	v_cmp_gt_u32_e32 vcc, s34, v54
	v_mul_f32_e32 v13, v18, v13
	v_lshl_add_u64 v[20:21], s[42:43], 0, v[0:1]
	v_lshl_add_u64 v[22:23], s[46:47], 0, v[0:1]
	v_mul_f32_e32 v62, v19, v24
	v_mul_f32_e32 v63, v61, v25
	;; [unrolled: 1-line block ×3, first 2 shown]
	s_or_b64 s[28:29], s[54:55], s[28:29]
	s_or_b64 s[34:35], s[54:55], vcc
	s_mov_b32 s68, s56
	s_mov_b32 s70, s56
	;; [unrolled: 1-line block ×5, first 2 shown]
	s_branch .LBB0_36
.LBB0_35:                               ;   in Loop: Header=BB0_36 Depth=2
	s_or_b64 exec, exec, s[36:37]
	v_mul_f32_e32 v27, v35, v34
	v_fma_f32 v30, v35, v37, v28
	v_cndmask_b32_e64 v28, v30, v28, s[16:17]
	v_cndmask_b32_e64 v27, v27, v35, s[16:17]
	s_waitcnt lgkmcnt(0)
	v_fmac_f32_e32 v28, v26, v27
	v_fmac_f32_e32 v29, v28, v33
	;; [unrolled: 1-line block ×4, first 2 shown]
	v_and_b32_e32 v27, 0xffff0000, v24
	v_and_b32_e32 v31, 0xffff0000, v25
	v_lshlrev_b32_e32 v26, 16, v24
	v_lshlrev_b32_e32 v30, 16, v25
	v_mov_b32_e32 v33, v36
	s_add_i32 s99, s99, 8
	s_add_i32 s63, s63, -1
	s_add_i32 s72, s72, s78
	s_add_i32 s70, s70, s48
	s_add_i32 s68, s68, s44
	s_add_i32 s56, s56, s41
	v_pk_fma_f32 v[14:15], v[32:33], v[30:31], v[14:15]
	s_cmp_eq_u32 s63, 0
	v_pk_fma_f32 v[16:17], v[28:29], v[26:27], v[16:17]
	s_cbranch_scc1 .LBB0_75
.LBB0_36:                               ;   Parent Loop BB0_11 Depth=1
                                        ; =>  This Inner Loop Header: Depth=2
	s_lshl_b64 s[36:37], s[56:57], 2
	s_add_u32 s36, s40, s36
	s_addc_u32 s37, s80, s37
	global_load_dword v26, v1, s[36:37]
	s_mov_b32 s69, s57
	v_lshl_add_u64 v[24:25], s[68:69], 1, v[20:21]
	v_mov_b32_e32 v27, 0
	v_mov_b32_e32 v28, 0
	s_and_saveexec_b64 s[36:37], s[18:19]
	s_cbranch_execz .LBB0_38
; %bb.37:                               ;   in Loop: Header=BB0_36 Depth=2
	global_load_ushort v28, v[24:25], off
.LBB0_38:                               ;   in Loop: Header=BB0_36 Depth=2
	s_or_b64 exec, exec, s[36:37]
	s_and_saveexec_b64 s[36:37], s[20:21]
	s_cbranch_execz .LBB0_40
; %bb.39:                               ;   in Loop: Header=BB0_36 Depth=2
	global_load_ushort v27, v[24:25], off offset:128
.LBB0_40:                               ;   in Loop: Header=BB0_36 Depth=2
	s_or_b64 exec, exec, s[36:37]
	v_mov_b32_e32 v29, 0
	v_mov_b32_e32 v30, 0
	s_and_saveexec_b64 s[36:37], s[22:23]
	s_cbranch_execz .LBB0_42
; %bb.41:                               ;   in Loop: Header=BB0_36 Depth=2
	global_load_ushort v30, v[24:25], off offset:256
.LBB0_42:                               ;   in Loop: Header=BB0_36 Depth=2
	s_or_b64 exec, exec, s[36:37]
	s_and_saveexec_b64 s[36:37], s[24:25]
	s_cbranch_execz .LBB0_44
; %bb.43:                               ;   in Loop: Header=BB0_36 Depth=2
	global_load_ushort v29, v[24:25], off offset:384
.LBB0_44:                               ;   in Loop: Header=BB0_36 Depth=2
	s_or_b64 exec, exec, s[36:37]
	s_waitcnt vmcnt(0)
	ds_write_b16 v45, v28
	ds_write_b16 v46, v27 offset:128
	ds_write_b16 v47, v30 offset:256
	;; [unrolled: 1-line block ×3, first 2 shown]
	; wave barrier
	ds_read_b64 v[28:29], v49
	s_mov_b32 s71, s57
	v_lshl_add_u64 v[24:25], s[70:71], 1, v[22:23]
	v_mov_b32_e32 v27, 0
	v_mov_b32_e32 v30, 0
	s_and_saveexec_b64 s[36:37], s[18:19]
	s_cbranch_execz .LBB0_46
; %bb.45:                               ;   in Loop: Header=BB0_36 Depth=2
	global_load_ushort v30, v[24:25], off
.LBB0_46:                               ;   in Loop: Header=BB0_36 Depth=2
	s_or_b64 exec, exec, s[36:37]
	s_and_saveexec_b64 s[36:37], s[20:21]
	s_cbranch_execz .LBB0_48
; %bb.47:                               ;   in Loop: Header=BB0_36 Depth=2
	global_load_ushort v27, v[24:25], off offset:128
.LBB0_48:                               ;   in Loop: Header=BB0_36 Depth=2
	s_or_b64 exec, exec, s[36:37]
	v_mov_b32_e32 v31, 0
	v_mov_b32_e32 v32, 0
	s_and_saveexec_b64 s[36:37], s[22:23]
	s_cbranch_execz .LBB0_50
; %bb.49:                               ;   in Loop: Header=BB0_36 Depth=2
	global_load_ushort v32, v[24:25], off offset:256
.LBB0_50:                               ;   in Loop: Header=BB0_36 Depth=2
	s_or_b64 exec, exec, s[36:37]
	s_and_saveexec_b64 s[36:37], s[24:25]
	s_cbranch_execz .LBB0_52
; %bb.51:                               ;   in Loop: Header=BB0_36 Depth=2
	global_load_ushort v31, v[24:25], off offset:384
.LBB0_52:                               ;   in Loop: Header=BB0_36 Depth=2
	s_or_b64 exec, exec, s[36:37]
	s_waitcnt vmcnt(0)
	ds_write_b16 v45, v30 offset:528
	ds_write_b16 v50, v27 offset:128
	;; [unrolled: 1-line block ×4, first 2 shown]
	; wave barrier
	ds_read_b64 v[24:25], v49 offset:528
	s_andn2_b64 vcc, exec, s[64:65]
	s_cbranch_vccnz .LBB0_54
; %bb.53:                               ;   in Loop: Header=BB0_36 Depth=2
	v_mov_b32_e32 v27, s99
	ds_read_b64 v[30:31], v27
	s_waitcnt lgkmcnt(0)
	v_mov_b32_e32 v27, v31
	s_cbranch_execz .LBB0_55
	s_branch .LBB0_58
.LBB0_54:                               ;   in Loop: Header=BB0_36 Depth=2
                                        ; implicit-def: $vgpr30
                                        ; implicit-def: $vgpr27
.LBB0_55:                               ;   in Loop: Header=BB0_36 Depth=2
	s_andn2_b64 vcc, exec, s[38:39]
	v_mov_b32_e32 v27, 0
	s_cbranch_vccnz .LBB0_57
; %bb.56:                               ;   in Loop: Header=BB0_36 Depth=2
	s_mov_b32 s73, s57
	s_lshl_b64 s[36:37], s[72:73], 1
	s_add_u32 s36, s45, s36
	s_addc_u32 s37, s49, s37
	global_load_ushort v27, v1, s[36:37]
	s_waitcnt vmcnt(0)
	v_lshlrev_b32_e32 v27, 16, v27
.LBB0_57:                               ;   in Loop: Header=BB0_36 Depth=2
	v_mov_b32_e32 v30, 1.0
.LBB0_58:                               ;   in Loop: Header=BB0_36 Depth=2
	v_mul_f32_e32 v26, 0x3fb8aa3b, v26
	s_waitcnt lgkmcnt(5)
	v_lshlrev_b32_e32 v31, 16, v28
	v_and_b32_e32 v32, 0xffff0000, v28
	v_mul_f32_e32 v28, v26, v60
	v_cmp_gt_f32_e32 vcc, s92, v28
	v_lshlrev_b32_e32 v33, 16, v29
	v_and_b32_e32 v34, 0xffff0000, v29
	v_cndmask_b32_e32 v28, 0, v57, vcc
	v_fmac_f32_e32 v28, v26, v60
	v_exp_f32_e32 v28, v28
	v_cndmask_b32_e32 v29, 1.0, v58, vcc
	v_pk_mul_f32 v[36:37], v[26:27], v[18:19] op_sel_hi:[0,1]
	v_cmp_gt_f32_e64 s[36:37], s92, v37
	v_mul_f32_e32 v29, v28, v29
	v_mul_f32_e32 v28, v64, v31
	;; [unrolled: 1-line block ×3, first 2 shown]
	v_cmp_gt_f32_e32 vcc, s92, v31
	v_cndmask_b32_e64 v35, 1.0, v29, s[26:27]
	v_cndmask_b32_e64 v28, 0, v28, s[26:27]
	v_cndmask_b32_e32 v31, 0, v57, vcc
	v_fmac_f32_e32 v31, v26, v61
	v_exp_f32_e32 v31, v31
	v_cndmask_b32_e32 v29, 1.0, v58, vcc
	v_mul_f32_e32 v26, v62, v33
	v_cmp_gt_f32_e32 vcc, s92, v36
	v_mul_f32_e32 v31, v31, v29
	v_mul_f32_e32 v29, v63, v32
	v_cndmask_b32_e64 v32, 0, v26, s[30:31]
	v_cndmask_b32_e32 v26, 0, v57, vcc
	v_cndmask_b32_e64 v33, 1.0, v31, s[28:29]
	v_add_f32_e32 v26, v36, v26
	v_cndmask_b32_e64 v31, 0, v57, s[36:37]
	v_exp_f32_e32 v26, v26
	v_add_f32_e32 v31, v37, v31
	v_exp_f32_e32 v31, v31
	v_cndmask_b32_e32 v36, 1.0, v58, vcc
	v_mul_f32_e32 v26, v26, v36
	v_cndmask_b32_e64 v36, 1.0, v58, s[36:37]
	v_cndmask_b32_e64 v29, 0, v29, s[28:29]
	v_mul_f32_e32 v31, v31, v36
	v_mul_f32_e32 v34, v13, v34
	v_cndmask_b32_e64 v39, 1.0, v31, s[30:31]
	v_cndmask_b32_e64 v38, 1.0, v26, s[34:35]
	v_fma_f32 v26, v33, v28, v29
	v_cndmask_b32_e64 v36, 0, v34, s[34:35]
	v_mul_f32_e32 v34, v26, v39
	v_pk_add_f32 v[40:41], v[34:35], v[32:33]
	v_pk_mul_f32 v[66:67], v[34:35], v[32:33]
	v_mov_b32_e32 v37, v38
	v_mov_b32_e32 v41, v67
	v_pk_mul_f32 v[66:67], v[40:41], v[38:39]
	v_pk_fma_f32 v[40:41], v[40:41], v[38:39], v[36:37]
	v_pk_mul_f32 v[66:67], v[66:67], v[36:37]
	s_nop 0
	v_mov_b32_dpp v31, v40 row_shr:1 row_mask:0xf bank_mask:0xf
	v_mov_b32_dpp v26, v67 row_shr:1 row_mask:0xf bank_mask:0xf
	v_mul_f32_e32 v41, v67, v26
	v_fma_f32 v26, v67, v31, v40
	v_cndmask_b32_e64 v37, v26, v40, s[0:1]
	v_cndmask_b32_e64 v26, v26, v40, s[0:1]
	;; [unrolled: 1-line block ×4, first 2 shown]
	v_mov_b32_dpp v41, v26 row_shr:2 row_mask:0xf bank_mask:0xf
	v_mov_b32_dpp v40, v31 row_shr:2 row_mask:0xf bank_mask:0xf
	s_and_saveexec_b64 s[36:37], s[2:3]
; %bb.59:                               ;   in Loop: Header=BB0_36 Depth=2
	v_fmac_f32_e32 v26, v31, v41
	v_mul_f32_e32 v31, v31, v40
	v_mov_b32_e32 v34, v31
	v_mov_b32_e32 v37, v26
; %bb.60:                               ;   in Loop: Header=BB0_36 Depth=2
	s_or_b64 exec, exec, s[36:37]
	v_mov_b32_dpp v40, v31 row_shr:4 row_mask:0xf bank_mask:0xf
	v_mov_b32_dpp v41, v26 row_shr:4 row_mask:0xf bank_mask:0xf
	s_and_saveexec_b64 s[36:37], s[4:5]
; %bb.61:                               ;   in Loop: Header=BB0_36 Depth=2
	v_fmac_f32_e32 v26, v31, v41
	v_mul_f32_e32 v31, v31, v40
	v_mov_b32_e32 v34, v31
	v_mov_b32_e32 v37, v26
; %bb.62:                               ;   in Loop: Header=BB0_36 Depth=2
	s_or_b64 exec, exec, s[36:37]
	;; [unrolled: 10-line block ×3, first 2 shown]
	v_mov_b32_dpp v40, v31 row_bcast:15 row_mask:0xf bank_mask:0xf
	v_mov_b32_dpp v41, v26 row_bcast:15 row_mask:0xf bank_mask:0xf
	s_and_saveexec_b64 s[36:37], s[8:9]
; %bb.65:                               ;   in Loop: Header=BB0_36 Depth=2
	v_fmac_f32_e32 v26, v31, v41
	v_mul_f32_e32 v31, v31, v40
	v_mov_b32_e32 v34, v31
	v_mov_b32_e32 v37, v26
; %bb.66:                               ;   in Loop: Header=BB0_36 Depth=2
	s_or_b64 exec, exec, s[36:37]
	v_mov_b32_dpp v40, v31 row_bcast:31 row_mask:0xf bank_mask:0xf
	v_mov_b32_dpp v41, v26 row_bcast:31 row_mask:0xf bank_mask:0xf
	v_mul_f32_e32 v40, v31, v40
	v_fmac_f32_e32 v26, v31, v41
	v_cndmask_b32_e64 v40, v34, v40, s[10:11]
	v_cndmask_b32_e64 v41, v37, v26, s[10:11]
	s_and_saveexec_b64 s[36:37], s[12:13]
	s_cbranch_execz .LBB0_68
; %bb.67:                               ;   in Loop: Header=BB0_36 Depth=2
	ds_write_b64 v1, v[40:41] offset:1056
.LBB0_68:                               ;   in Loop: Header=BB0_36 Depth=2
	s_or_b64 exec, exec, s[36:37]
	ds_bpermute_b32 v34, v53, v40
	ds_bpermute_b32 v37, v53, v41
	s_waitcnt lgkmcnt(0)
	; wave barrier
	s_waitcnt lgkmcnt(0)
	s_and_saveexec_b64 s[36:37], s[14:15]
	s_cbranch_execz .LBB0_72
; %bb.69:                               ;   in Loop: Header=BB0_36 Depth=2
	ds_read_b64 v[40:41], v1 offset:1056
	s_and_saveexec_b64 s[74:75], s[16:17]
	s_cbranch_execz .LBB0_71
; %bb.70:                               ;   in Loop: Header=BB0_36 Depth=2
	v_mov_b32_e32 v31, v27
	ds_write_b64 v1, v[30:31] offset:1056
.LBB0_71:                               ;   in Loop: Header=BB0_36 Depth=2
	s_or_b64 exec, exec, s[74:75]
	s_waitcnt lgkmcnt(0)
	v_mul_f32_e32 v31, v40, v27
	v_pk_add_f32 v[26:27], v[30:31], v[40:41]
	v_mul_f32_e32 v30, v30, v40
.LBB0_72:                               ;   in Loop: Header=BB0_36 Depth=2
	s_or_b64 exec, exec, s[36:37]
	s_waitcnt lgkmcnt(0)
	; wave barrier
	ds_read_b32 v26, v1 offset:1060
	s_and_saveexec_b64 s[36:37], s[16:17]
	s_cbranch_execz .LBB0_35
; %bb.73:                               ;   in Loop: Header=BB0_36 Depth=2
	v_mov_b32_e32 v31, v27
	v_mov_b32_e32 v40, s99
	s_andn2_b64 vcc, exec, s[66:67]
	ds_write_b64 v40, v[30:31]
	s_cbranch_vccnz .LBB0_35
; %bb.74:                               ;   in Loop: Header=BB0_36 Depth=2
	v_bfe_u32 v30, v27, 16, 1
	s_mov_b32 s73, s57
	v_add3_u32 v30, v27, v30, s93
	s_lshl_b64 s[74:75], s[72:73], 1
	v_lshrrev_b32_e32 v30, 16, v30
	v_cmp_o_f32_e32 vcc, v27, v27
	s_add_u32 s74, s45, s74
	s_addc_u32 s75, s49, s75
	v_cndmask_b32_e32 v27, v59, v30, vcc
	global_store_short v1, v27, s[74:75]
	s_branch .LBB0_35
.LBB0_75:                               ;   in Loop: Header=BB0_11 Depth=1
	v_bfe_u32 v13, v14, 16, 1
	v_bfe_u32 v18, v15, 16, 1
	v_add3_u32 v13, v14, v13, s93
	v_bfe_u32 v19, v16, 16, 1
	v_add3_u32 v18, v15, v18, s93
	v_lshrrev_b32_e32 v13, 16, v13
	v_cmp_o_f32_e32 vcc, v14, v14
	v_bfe_u32 v20, v17, 16, 1
	v_add3_u32 v19, v16, v19, s93
	v_lshrrev_b32_e32 v18, 16, v18
	v_cndmask_b32_e32 v13, v59, v13, vcc
	v_cmp_o_f32_e32 vcc, v15, v15
	v_add3_u32 v20, v17, v20, s93
	v_lshrrev_b32_e32 v21, 16, v19
	v_cndmask_b32_e32 v18, v59, v18, vcc
	v_cmp_o_f32_e32 vcc, v16, v16
	v_lshrrev_b32_e32 v20, 16, v20
	v_perm_b32 v19, v18, v13, s94
	v_cndmask_b32_e32 v13, v59, v21, vcc
	v_cmp_o_f32_e32 vcc, v17, v17
	s_waitcnt lgkmcnt(0)
	; wave barrier
	s_nop 0
	v_cndmask_b32_e32 v18, v59, v20, vcc
	v_perm_b32 v18, v18, v13, s94
	ds_write_b64 v49, v[18:19]
	; wave barrier
	ds_read_u16 v21, v46 offset:128
	ds_read_u16 v20, v47 offset:256
	;; [unrolled: 1-line block ×3, first 2 shown]
	s_mov_b32 s63, s57
	v_lshl_add_u64 v[18:19], s[62:63], 1, v[4:5]
	s_and_saveexec_b64 s[26:27], s[18:19]
	s_cbranch_execnz .LBB0_94
; %bb.76:                               ;   in Loop: Header=BB0_11 Depth=1
	s_or_b64 exec, exec, s[26:27]
	s_and_saveexec_b64 s[26:27], s[20:21]
	s_cbranch_execnz .LBB0_95
.LBB0_77:                               ;   in Loop: Header=BB0_11 Depth=1
	s_or_b64 exec, exec, s[26:27]
	s_and_saveexec_b64 s[26:27], s[22:23]
	s_cbranch_execnz .LBB0_96
.LBB0_78:                               ;   in Loop: Header=BB0_11 Depth=1
	s_or_b64 exec, exec, s[26:27]
	s_and_saveexec_b64 s[26:27], s[24:25]
	s_cbranch_execz .LBB0_80
.LBB0_79:                               ;   in Loop: Header=BB0_11 Depth=1
	s_waitcnt lgkmcnt(0)
	global_store_short v[18:19], v13, off offset:384
.LBB0_80:                               ;   in Loop: Header=BB0_11 Depth=1
	s_or_b64 exec, exec, s[26:27]
	v_lshl_add_u64 v[18:19], s[62:63], 1, v[6:7]
	s_waitcnt lgkmcnt(0)
	v_mov_b32_e32 v13, 0
	v_mov_b32_e32 v20, 0
	s_waitcnt lgkmcnt(0)
	; wave barrier
	s_and_saveexec_b64 s[26:27], s[18:19]
	s_cbranch_execz .LBB0_82
; %bb.81:                               ;   in Loop: Header=BB0_11 Depth=1
	global_load_ushort v20, v[18:19], off
.LBB0_82:                               ;   in Loop: Header=BB0_11 Depth=1
	s_or_b64 exec, exec, s[26:27]
	s_and_saveexec_b64 s[26:27], s[20:21]
	s_cbranch_execz .LBB0_84
; %bb.83:                               ;   in Loop: Header=BB0_11 Depth=1
	global_load_ushort v13, v[18:19], off offset:128
.LBB0_84:                               ;   in Loop: Header=BB0_11 Depth=1
	s_or_b64 exec, exec, s[26:27]
	v_mov_b32_e32 v21, 0
	v_mov_b32_e32 v22, 0
	s_and_saveexec_b64 s[26:27], s[22:23]
	s_cbranch_execz .LBB0_86
; %bb.85:                               ;   in Loop: Header=BB0_11 Depth=1
	global_load_ushort v22, v[18:19], off offset:256
.LBB0_86:                               ;   in Loop: Header=BB0_11 Depth=1
	s_or_b64 exec, exec, s[26:27]
	s_and_saveexec_b64 s[26:27], s[24:25]
	s_cbranch_execz .LBB0_88
; %bb.87:                               ;   in Loop: Header=BB0_11 Depth=1
	global_load_ushort v21, v[18:19], off offset:384
.LBB0_88:                               ;   in Loop: Header=BB0_11 Depth=1
	s_or_b64 exec, exec, s[26:27]
	s_waitcnt vmcnt(0)
	ds_write_b16 v45, v20
	ds_write_b16 v46, v13 offset:128
	ds_write_b16 v47, v22 offset:256
	;; [unrolled: 1-line block ×3, first 2 shown]
	; wave barrier
	ds_read_b64 v[18:19], v49
	s_waitcnt lgkmcnt(0)
	; wave barrier
	s_waitcnt lgkmcnt(0)
	v_and_b32_e32 v13, 0xffff0000, v19
	v_mul_f32_e32 v20, 0xbfb8aa3b, v13
	v_fma_f32 v21, v13, s95, -v20
	v_rndne_f32_e32 v22, v20
	v_fmac_f32_e32 v21, 0xb2a5705f, v13
	v_sub_f32_e32 v20, v20, v22
	v_add_f32_e32 v20, v20, v21
	v_exp_f32_e32 v20, v20
	v_cvt_i32_f32_e32 v21, v22
	v_and_b32_e32 v22, 0xffff0000, v18
	v_lshlrev_b32_e32 v24, 16, v19
	v_mul_f32_e32 v19, 0xbfb8aa3b, v22
	v_lshlrev_b32_e32 v23, 16, v18
	v_ldexp_f32 v18, v20, v21
	v_fma_f32 v20, v22, s95, -v19
	v_rndne_f32_e32 v21, v19
	v_fmac_f32_e32 v20, 0xb2a5705f, v22
	v_sub_f32_e32 v19, v19, v21
	v_add_f32_e32 v19, v19, v20
	v_exp_f32_e32 v20, v19
	v_cvt_i32_f32_e32 v21, v21
	v_cmp_nlt_f32_e32 vcc, s96, v13
	s_nop 1
	v_cndmask_b32_e32 v18, 0, v18, vcc
	v_cmp_ngt_f32_e32 vcc, s97, v13
	s_nop 1
	v_cndmask_b32_e32 v19, v56, v18, vcc
	v_ldexp_f32 v18, v20, v21
	v_mul_f32_e32 v20, 0xbfb8aa3b, v24
	v_rndne_f32_e32 v21, v20
	v_sub_f32_e32 v25, v20, v21
	v_fma_f32 v20, v24, s95, -v20
	v_fmac_f32_e32 v20, 0xb2a5705f, v24
	v_add_f32_e32 v20, v25, v20
	v_exp_f32_e32 v20, v20
	v_cvt_i32_f32_e32 v25, v21
	v_cmp_nlt_f32_e32 vcc, s96, v22
	s_nop 1
	v_cndmask_b32_e32 v18, 0, v18, vcc
	v_cmp_ngt_f32_e32 vcc, s97, v22
	s_nop 1
	v_cndmask_b32_e32 v21, v56, v18, vcc
	v_ldexp_f32 v18, v20, v25
	v_mul_f32_e32 v20, 0xbfb8aa3b, v23
	v_rndne_f32_e32 v25, v20
	v_sub_f32_e32 v26, v20, v25
	v_fma_f32 v20, v23, s95, -v20
	v_fmac_f32_e32 v20, 0xb2a5705f, v23
	v_add_f32_e32 v20, v26, v20
	v_exp_f32_e32 v20, v20
	v_cvt_i32_f32_e32 v25, v25
	v_cmp_nlt_f32_e32 vcc, s96, v24
	v_ldexp_f32 v20, v20, v25
	s_nop 0
	v_cndmask_b32_e32 v18, 0, v18, vcc
	v_cmp_ngt_f32_e32 vcc, s97, v24
	s_nop 1
	v_cndmask_b32_e32 v18, v56, v18, vcc
	v_pk_add_f32 v[18:19], v[18:19], 1.0 op_sel_hi:[1,0]
	v_cmp_nlt_f32_e32 vcc, s96, v23
	v_div_scale_f32 v25, s[26:27], v19, v19, v13
	v_rcp_f32_e32 v26, v25
	v_cndmask_b32_e32 v20, 0, v20, vcc
	v_cmp_ngt_f32_e32 vcc, s97, v23
	v_fma_f32 v27, -v25, v26, 1.0
	s_nop 0
	v_cndmask_b32_e32 v20, v56, v20, vcc
	v_fmac_f32_e32 v26, v27, v26
	v_div_scale_f32 v27, vcc, v13, v19, v13
	v_mul_f32_e32 v28, v27, v26
	v_fma_f32 v29, -v25, v28, v27
	v_fmac_f32_e32 v28, v29, v26
	v_fma_f32 v25, -v25, v28, v27
	v_div_scale_f32 v27, s[26:27], v18, v18, v24
	v_rcp_f32_e32 v29, v27
	v_div_fmas_f32 v25, v25, v26, v28
	v_div_fixup_f32 v19, v25, v19, v13
	v_pk_add_f32 v[20:21], v[20:21], 1.0 op_sel_hi:[1,0]
	v_fma_f32 v13, -v27, v29, 1.0
	v_fmac_f32_e32 v29, v13, v29
	v_div_scale_f32 v13, vcc, v24, v18, v24
	v_mul_f32_e32 v25, v13, v29
	v_fma_f32 v26, -v27, v25, v13
	v_fmac_f32_e32 v25, v26, v29
	v_div_scale_f32 v26, s[26:27], v21, v21, v22
	v_fma_f32 v13, -v27, v25, v13
	v_rcp_f32_e32 v27, v26
	v_div_fmas_f32 v13, v13, v29, v25
	v_div_fixup_f32 v18, v13, v18, v24
	v_pk_mul_f32 v[14:15], v[14:15], v[18:19]
	v_fma_f32 v13, -v26, v27, 1.0
	v_fmac_f32_e32 v27, v13, v27
	v_div_scale_f32 v13, vcc, v22, v21, v22
	v_mul_f32_e32 v24, v13, v27
	v_fma_f32 v25, -v26, v24, v13
	v_fmac_f32_e32 v24, v25, v27
	v_div_scale_f32 v25, s[26:27], v20, v20, v23
	v_fma_f32 v13, -v26, v24, v13
	v_rcp_f32_e32 v26, v25
	v_div_fmas_f32 v13, v13, v27, v24
	v_div_fixup_f32 v21, v13, v21, v22
	v_bfe_u32 v19, v14, 16, 1
	v_fma_f32 v13, -v25, v26, 1.0
	v_fmac_f32_e32 v26, v13, v26
	v_div_scale_f32 v13, vcc, v23, v20, v23
	v_mul_f32_e32 v22, v13, v26
	v_fma_f32 v24, -v25, v22, v13
	v_fmac_f32_e32 v22, v24, v26
	v_fma_f32 v13, -v25, v22, v13
	v_div_fmas_f32 v13, v13, v26, v22
	v_div_fixup_f32 v20, v13, v20, v23
	v_pk_mul_f32 v[16:17], v[16:17], v[20:21]
	v_bfe_u32 v20, v15, 16, 1
	v_bfe_u32 v13, v16, 16, 1
	v_bfe_u32 v18, v17, 16, 1
	v_add3_u32 v13, v16, v13, s93
	v_add3_u32 v18, v17, v18, s93
	v_lshrrev_b32_e32 v13, 16, v13
	v_cmp_o_f32_e32 vcc, v16, v16
	v_add3_u32 v19, v14, v19, s93
	v_lshrrev_b32_e32 v18, 16, v18
	v_cndmask_b32_e32 v13, v59, v13, vcc
	v_cmp_o_f32_e32 vcc, v17, v17
	v_add3_u32 v20, v15, v20, s93
	v_lshrrev_b32_e32 v19, 16, v19
	v_cndmask_b32_e32 v16, v59, v18, vcc
	v_cmp_o_f32_e32 vcc, v14, v14
	v_lshrrev_b32_e32 v20, 16, v20
	v_perm_b32 v16, v16, v13, s94
	v_cndmask_b32_e32 v13, v59, v19, vcc
	v_cmp_o_f32_e32 vcc, v15, v15
	s_nop 1
	v_cndmask_b32_e32 v14, v59, v20, vcc
	v_perm_b32 v17, v14, v13, s94
	ds_write_b64 v49, v[16:17]
	; wave barrier
	ds_read_u16 v17, v46 offset:128
	ds_read_u16 v16, v47 offset:256
	;; [unrolled: 1-line block ×3, first 2 shown]
	v_lshl_add_u64 v[14:15], s[62:63], 1, v[8:9]
	s_and_saveexec_b64 s[26:27], s[18:19]
	s_cbranch_execnz .LBB0_97
; %bb.89:                               ;   in Loop: Header=BB0_11 Depth=1
	s_or_b64 exec, exec, s[26:27]
	s_and_saveexec_b64 s[18:19], s[20:21]
	s_cbranch_execnz .LBB0_98
.LBB0_90:                               ;   in Loop: Header=BB0_11 Depth=1
	s_or_b64 exec, exec, s[18:19]
	s_and_saveexec_b64 s[18:19], s[22:23]
	s_cbranch_execnz .LBB0_99
.LBB0_91:                               ;   in Loop: Header=BB0_11 Depth=1
	s_or_b64 exec, exec, s[18:19]
	s_and_saveexec_b64 s[18:19], s[24:25]
	s_cbranch_execz .LBB0_10
	s_branch .LBB0_100
.LBB0_92:                               ;   in Loop: Header=BB0_11 Depth=1
	global_load_ushort v19, v[14:15], off offset:128
	s_or_b64 exec, exec, s[26:27]
	s_and_saveexec_b64 s[26:27], s[22:23]
	s_cbranch_execz .LBB0_23
.LBB0_93:                               ;   in Loop: Header=BB0_11 Depth=1
	global_load_ushort v18, v[14:15], off offset:256
	s_or_b64 exec, exec, s[26:27]
	v_mov_b32_e32 v20, 0
	s_and_saveexec_b64 s[26:27], s[24:25]
	s_cbranch_execnz .LBB0_24
	s_branch .LBB0_25
.LBB0_94:                               ;   in Loop: Header=BB0_11 Depth=1
	ds_read_u16 v22, v45
	s_waitcnt lgkmcnt(0)
	global_store_short v[18:19], v22, off
	s_or_b64 exec, exec, s[26:27]
	s_and_saveexec_b64 s[26:27], s[20:21]
	s_cbranch_execz .LBB0_77
.LBB0_95:                               ;   in Loop: Header=BB0_11 Depth=1
	s_waitcnt lgkmcnt(2)
	global_store_short v[18:19], v21, off offset:128
	s_or_b64 exec, exec, s[26:27]
	s_and_saveexec_b64 s[26:27], s[22:23]
	s_cbranch_execz .LBB0_78
.LBB0_96:                               ;   in Loop: Header=BB0_11 Depth=1
	s_waitcnt lgkmcnt(1)
	global_store_short v[18:19], v20, off offset:256
	s_or_b64 exec, exec, s[26:27]
	s_and_saveexec_b64 s[26:27], s[24:25]
	s_cbranch_execnz .LBB0_79
	s_branch .LBB0_80
.LBB0_97:                               ;   in Loop: Header=BB0_11 Depth=1
	ds_read_u16 v18, v45
	s_waitcnt lgkmcnt(0)
	global_store_short v[14:15], v18, off
	s_or_b64 exec, exec, s[26:27]
	s_and_saveexec_b64 s[18:19], s[20:21]
	s_cbranch_execz .LBB0_90
.LBB0_98:                               ;   in Loop: Header=BB0_11 Depth=1
	s_waitcnt lgkmcnt(2)
	global_store_short v[14:15], v17, off offset:128
	s_or_b64 exec, exec, s[18:19]
	s_and_saveexec_b64 s[18:19], s[22:23]
	s_cbranch_execz .LBB0_91
.LBB0_99:                               ;   in Loop: Header=BB0_11 Depth=1
	s_waitcnt lgkmcnt(1)
	global_store_short v[14:15], v16, off offset:256
	s_or_b64 exec, exec, s[18:19]
	s_and_saveexec_b64 s[18:19], s[24:25]
	s_cbranch_execz .LBB0_10
.LBB0_100:                              ;   in Loop: Header=BB0_11 Depth=1
	s_waitcnt lgkmcnt(0)
	global_store_short v[14:15], v13, off offset:384
	s_branch .LBB0_10
.LBB0_101:
	s_endpgm
.LBB0_102:
	s_mov_b64 s[38:39], 0
	s_load_dwordx2 s[6:7], s[0:1], 0x20
	s_cmp_eq_u64 s[4:5], 0
	s_cbranch_scc0 .LBB0_2
	s_branch .LBB0_3
	.section	.rodata,"a",@progbits
	.p2align	6, 0x0
	.amdhsa_kernel _Z25selective_scan_fwd_kernelI32Selective_Scan_fwd_kernel_traitsILi64ELi4ELi1ELb1ELb1ELb1ELb1ELb1EN3c108BFloat16EfS2_EEv13SSMParamsBase
		.amdhsa_group_segment_fixed_size 0
		.amdhsa_private_segment_fixed_size 0
		.amdhsa_kernarg_size 248
		.amdhsa_user_sgpr_count 2
		.amdhsa_user_sgpr_dispatch_ptr 0
		.amdhsa_user_sgpr_queue_ptr 0
		.amdhsa_user_sgpr_kernarg_segment_ptr 1
		.amdhsa_user_sgpr_dispatch_id 0
		.amdhsa_user_sgpr_kernarg_preload_length 0
		.amdhsa_user_sgpr_kernarg_preload_offset 0
		.amdhsa_user_sgpr_private_segment_size 0
		.amdhsa_uses_dynamic_stack 0
		.amdhsa_enable_private_segment 0
		.amdhsa_system_sgpr_workgroup_id_x 1
		.amdhsa_system_sgpr_workgroup_id_y 1
		.amdhsa_system_sgpr_workgroup_id_z 0
		.amdhsa_system_sgpr_workgroup_info 0
		.amdhsa_system_vgpr_workitem_id 0
		.amdhsa_next_free_vgpr 68
		.amdhsa_next_free_sgpr 100
		.amdhsa_accum_offset 68
		.amdhsa_reserve_vcc 1
		.amdhsa_float_round_mode_32 0
		.amdhsa_float_round_mode_16_64 0
		.amdhsa_float_denorm_mode_32 3
		.amdhsa_float_denorm_mode_16_64 3
		.amdhsa_dx10_clamp 1
		.amdhsa_ieee_mode 1
		.amdhsa_fp16_overflow 0
		.amdhsa_tg_split 0
		.amdhsa_exception_fp_ieee_invalid_op 0
		.amdhsa_exception_fp_denorm_src 0
		.amdhsa_exception_fp_ieee_div_zero 0
		.amdhsa_exception_fp_ieee_overflow 0
		.amdhsa_exception_fp_ieee_underflow 0
		.amdhsa_exception_fp_ieee_inexact 0
		.amdhsa_exception_int_div_zero 0
	.end_amdhsa_kernel
	.section	.text._Z25selective_scan_fwd_kernelI32Selective_Scan_fwd_kernel_traitsILi64ELi4ELi1ELb1ELb1ELb1ELb1ELb1EN3c108BFloat16EfS2_EEv13SSMParamsBase,"axG",@progbits,_Z25selective_scan_fwd_kernelI32Selective_Scan_fwd_kernel_traitsILi64ELi4ELi1ELb1ELb1ELb1ELb1ELb1EN3c108BFloat16EfS2_EEv13SSMParamsBase,comdat
.Lfunc_end0:
	.size	_Z25selective_scan_fwd_kernelI32Selective_Scan_fwd_kernel_traitsILi64ELi4ELi1ELb1ELb1ELb1ELb1ELb1EN3c108BFloat16EfS2_EEv13SSMParamsBase, .Lfunc_end0-_Z25selective_scan_fwd_kernelI32Selective_Scan_fwd_kernel_traitsILi64ELi4ELi1ELb1ELb1ELb1ELb1ELb1EN3c108BFloat16EfS2_EEv13SSMParamsBase
                                        ; -- End function
	.section	.AMDGPU.csdata,"",@progbits
; Kernel info:
; codeLenInByte = 7444
; NumSgprs: 106
; NumVgprs: 68
; NumAgprs: 0
; TotalNumVgprs: 68
; ScratchSize: 0
; MemoryBound: 0
; FloatMode: 240
; IeeeMode: 1
; LDSByteSize: 0 bytes/workgroup (compile time only)
; SGPRBlocks: 13
; VGPRBlocks: 8
; NumSGPRsForWavesPerEU: 106
; NumVGPRsForWavesPerEU: 68
; AccumOffset: 68
; Occupancy: 7
; WaveLimiterHint : 1
; COMPUTE_PGM_RSRC2:SCRATCH_EN: 0
; COMPUTE_PGM_RSRC2:USER_SGPR: 2
; COMPUTE_PGM_RSRC2:TRAP_HANDLER: 0
; COMPUTE_PGM_RSRC2:TGID_X_EN: 1
; COMPUTE_PGM_RSRC2:TGID_Y_EN: 1
; COMPUTE_PGM_RSRC2:TGID_Z_EN: 0
; COMPUTE_PGM_RSRC2:TIDIG_COMP_CNT: 0
; COMPUTE_PGM_RSRC3_GFX90A:ACCUM_OFFSET: 16
; COMPUTE_PGM_RSRC3_GFX90A:TG_SPLIT: 0
	.section	.text._Z25selective_scan_fwd_kernelI32Selective_Scan_fwd_kernel_traitsILi64ELi4ELi1ELb1ELb1ELb1ELb1ELb0EN3c108BFloat16EfS2_EEv13SSMParamsBase,"axG",@progbits,_Z25selective_scan_fwd_kernelI32Selective_Scan_fwd_kernel_traitsILi64ELi4ELi1ELb1ELb1ELb1ELb1ELb0EN3c108BFloat16EfS2_EEv13SSMParamsBase,comdat
	.protected	_Z25selective_scan_fwd_kernelI32Selective_Scan_fwd_kernel_traitsILi64ELi4ELi1ELb1ELb1ELb1ELb1ELb0EN3c108BFloat16EfS2_EEv13SSMParamsBase ; -- Begin function _Z25selective_scan_fwd_kernelI32Selective_Scan_fwd_kernel_traitsILi64ELi4ELi1ELb1ELb1ELb1ELb1ELb0EN3c108BFloat16EfS2_EEv13SSMParamsBase
	.globl	_Z25selective_scan_fwd_kernelI32Selective_Scan_fwd_kernel_traitsILi64ELi4ELi1ELb1ELb1ELb1ELb1ELb0EN3c108BFloat16EfS2_EEv13SSMParamsBase
	.p2align	8
	.type	_Z25selective_scan_fwd_kernelI32Selective_Scan_fwd_kernel_traitsILi64ELi4ELi1ELb1ELb1ELb1ELb1ELb0EN3c108BFloat16EfS2_EEv13SSMParamsBase,@function
_Z25selective_scan_fwd_kernelI32Selective_Scan_fwd_kernel_traitsILi64ELi4ELi1ELb1ELb1ELb1ELb1ELb0EN3c108BFloat16EfS2_EEv13SSMParamsBase: ; @_Z25selective_scan_fwd_kernelI32Selective_Scan_fwd_kernel_traitsILi64ELi4ELi1ELb1ELb1ELb1ELb1ELb0EN3c108BFloat16EfS2_EEv13SSMParamsBase
; %bb.0:
	s_load_dword s35, s[0:1], 0x18
	s_load_dwordx4 s[4:7], s[0:1], 0xe8
	s_mov_b32 s56, s3
	s_waitcnt lgkmcnt(0)
	s_abs_i32 s34, s35
	v_cvt_f32_u32_e32 v1, s34
	s_cmp_eq_u64 s[6:7], 0
	v_rcp_iflag_f32_e32 v1, v1
	s_nop 0
	v_mul_f32_e32 v1, 0x4f7ffffe, v1
	v_cvt_u32_f32_e32 v1, v1
	s_nop 0
	v_readfirstlane_b32 s20, v1
	s_cbranch_scc1 .LBB1_3
; %bb.1:
	s_ashr_i32 s3, s2, 31
	s_add_u32 s6, s6, s2
	s_addc_u32 s7, s7, s3
	v_mov_b32_e32 v1, 0
	global_load_ubyte v1, v1, s[6:7]
	s_waitcnt vmcnt(0)
	v_and_b32_e32 v1, 1, v1
	v_cmp_eq_u32_e64 s[28:29], 1, v1
	s_load_dwordx2 s[6:7], s[0:1], 0x20
	s_cmp_eq_u64 s[4:5], 0
	s_cbranch_scc1 .LBB1_4
.LBB1_2:
	s_ashr_i32 s3, s2, 31
	s_lshl_b64 s[8:9], s[2:3], 2
	s_add_u32 s4, s4, s8
	s_addc_u32 s5, s5, s9
	s_load_dword s52, s[4:5], 0x0
	s_waitcnt lgkmcnt(0)
	s_ashr_i32 s53, s52, 31
	s_cmp_eq_u64 s[6:7], s[52:53]
	s_cbranch_scc0 .LBB1_5
	s_branch .LBB1_50
.LBB1_3:
	s_mov_b64 s[28:29], 0
	s_load_dwordx2 s[6:7], s[0:1], 0x20
	s_cmp_eq_u64 s[4:5], 0
	s_cbranch_scc0 .LBB1_2
.LBB1_4:
	s_mov_b32 s52, s2
	s_ashr_i32 s53, s52, 31
	s_waitcnt lgkmcnt(0)
	s_cmp_eq_u64 s[6:7], s[52:53]
	s_cbranch_scc1 .LBB1_50
.LBB1_5:
	s_load_dwordx16 s[4:19], s[0:1], 0x88
	s_load_dwordx2 s[30:31], s[0:1], 0x8
	s_mov_b32 s33, 0
	s_mov_b32 s70, 0
	s_waitcnt lgkmcnt(0)
	s_cmp_eq_u64 s[10:11], 0
	s_cbranch_scc1 .LBB1_7
; %bb.6:
	s_ashr_i32 s57, s56, 31
	s_lshl_b64 s[22:23], s[56:57], 2
	s_add_u32 s10, s10, s22
	s_addc_u32 s11, s11, s23
	s_load_dword s70, s[10:11], 0x0
.LBB1_7:
	s_cmp_eq_u64 s[16:17], 0
	s_cbranch_scc1 .LBB1_9
; %bb.8:
	s_ashr_i32 s57, s56, 31
	s_lshl_b64 s[10:11], s[56:57], 2
	s_add_u32 s10, s16, s10
	s_addc_u32 s11, s17, s11
	s_load_dword s33, s[10:11], 0x0
.LBB1_9:
	s_cmp_lt_i32 s30, 1
	s_cbranch_scc1 .LBB1_50
; %bb.10:
	s_sub_i32 s3, 0, s34
	s_mul_i32 s3, s3, s20
	s_mul_hi_u32 s3, s20, s3
	s_load_dwordx8 s[36:43], s[0:1], 0x2c
	s_load_dwordx2 s[16:17], s[0:1], 0x7c
	s_load_dwordx4 s[24:27], s[0:1], 0x6c
	s_load_dwordx8 s[44:51], s[0:1], 0x4c
	s_load_dwordx2 s[10:11], s[0:1], 0xd8
	s_waitcnt lgkmcnt(0)
	s_abs_i32 s39, s56
	s_add_i32 s3, s20, s3
	s_load_dwordx4 s[20:23], s[0:1], 0xc8
	s_load_dword s71, s[0:1], 0x84
	s_mul_hi_u32 s3, s39, s3
	s_load_dword s53, s[0:1], 0x28
	s_ashr_i32 s0, s56, 31
	s_ashr_i32 s1, s35, 31
	s_xor_b32 s0, s0, s1
	s_mul_i32 s1, s3, s34
	s_sub_i32 s1, s39, s1
	s_add_i32 s35, s3, 1
	s_sub_i32 s39, s1, s34
	s_cmp_ge_u32 s1, s34
	s_cselect_b32 s3, s35, s3
	s_cselect_b32 s1, s39, s1
	s_add_i32 s35, s3, 1
	s_cmp_ge_u32 s1, s34
	s_cselect_b32 s1, s35, s3
	s_xor_b32 s1, s1, s0
	s_mul_i32 s34, s46, s2
	s_mov_b32 s35, 0
	s_sub_i32 s3, s1, s0
	s_lshl_b64 s[0:1], s[34:35], 1
	s_add_u32 s12, s12, s0
	s_mul_i32 s34, s47, s56
	s_addc_u32 s13, s13, s1
	s_lshl_b64 s[0:1], s[34:35], 1
	s_add_u32 s46, s12, s0
	s_mul_i32 s34, s48, s2
	s_addc_u32 s47, s13, s1
	;; [unrolled: 4-line block ×9, first 2 shown]
	s_lshl_b64 s[0:1], s[34:35], 1
	s_waitcnt lgkmcnt(0)
	s_add_u32 s3, s20, s0
	s_mul_i32 s34, s17, s56
	s_addc_u32 s4, s21, s1
	s_lshl_b64 s[0:1], s[34:35], 1
	s_add_u32 s41, s3, s0
	s_addc_u32 s45, s4, s1
	s_add_i32 s0, s30, 0x7ff
	s_lshr_b32 s73, s0, 11
	s_bitcmp1_b32 s53, 0
	s_cselect_b64 s[52:53], -1, 0
	s_cmp_gt_i32 s31, 0
	s_mul_i32 s34, s24, s2
	s_cselect_b64 s[54:55], -1, 0
	s_and_b32 s12, s30, 0xff
	s_add_i32 s74, s73, -1
	s_lshl_b64 s[4:5], s[34:35], 1
	s_add_u32 s3, s18, s4
	s_mul_i32 s34, s25, s56
	s_addc_u32 s7, s19, s5
	s_lshl_b64 s[4:5], s[34:35], 1
	s_add_u32 s6, s3, s4
	s_mul_i32 s34, s26, s2
	s_addc_u32 s7, s7, s5
	;; [unrolled: 4-line block ×5, first 2 shown]
	s_lshl_b64 s[2:3], s[34:35], 1
	s_add_u32 s10, s4, s2
	v_mov_b32_e32 v3, 0
	s_addc_u32 s11, s5, s3
	v_lshlrev_b32_e32 v2, 3, v0
	s_cmp_eq_u32 s12, 0
	v_lshlrev_b32_e32 v11, 2, v0
	v_lshl_add_u64 v[4:5], s[6:7], 0, v[2:3]
	v_lshl_add_u64 v[6:7], s[10:11], 0, v[2:3]
	;; [unrolled: 1-line block ×3, first 2 shown]
                                        ; implicit-def: $vgpr2
	v_mbcnt_lo_u32_b32 v13, -1, 0
	v_cmp_gt_u32_e64 s[0:1], 64, v0
	s_cselect_b64 s[50:51], -1, 0
	v_cmp_eq_u32_e64 s[2:3], 63, v0
	v_cmp_eq_u32_e64 s[4:5], 0, v0
	v_or_b32_e32 v1, 1, v11
	v_or_b32_e32 v10, 2, v11
	;; [unrolled: 1-line block ×3, first 2 shown]
	s_mov_b32 s75, 0x41a00000
	s_mov_b32 s76, 0x3fb8aa3b
	;; [unrolled: 1-line block ×6, first 2 shown]
	v_mov_b32_e32 v49, 0x3ecc95a3
	s_mov_b32 s81, 0x3f317218
	s_mov_b32 s82, 0x33800000
	s_add_i32 s83, 0, 0x428
	s_mov_b32 s84, 0xc2fc0000
	s_movk_i32 s85, 0x7fff
	s_mov_b32 s86, 0xbfb8aa3b
	s_mov_b32 s87, 0x42ce8ed0
	;; [unrolled: 1-line block ×3, first 2 shown]
	v_lshlrev_b32_e32 v2, 3, v0
	v_mov_b32_e32 v0, 0x7f800000
	v_mov_b32_e32 v12, 0x3f317218
	v_mbcnt_hi_u32_b32 v50, -1, v13
	v_mov_b32_e32 v51, 0x42800000
	v_mov_b32_e32 v52, 0x1f800000
	;; [unrolled: 1-line block ×4, first 2 shown]
	s_mov_b32 s89, 0
                                        ; implicit-def: $vgpr57
                                        ; implicit-def: $vgpr17
                                        ; implicit-def: $vgpr55
                                        ; implicit-def: $vgpr14
                                        ; implicit-def: $vgpr56
                                        ; implicit-def: $vgpr58
                                        ; implicit-def: $vgpr18_vgpr19
	s_branch .LBB1_12
.LBB1_11:                               ;   in Loop: Header=BB1_12 Depth=1
	s_or_b64 exec, exec, s[6:7]
	v_and_b32_e32 v13, 0xffff0000, v18
	v_mul_f32_e32 v24, 0xbfb8aa3b, v13
	v_fma_f32 v25, v13, s86, -v24
	v_rndne_f32_e32 v26, v24
	v_fmac_f32_e32 v25, 0xb2a5705f, v13
	v_sub_f32_e32 v24, v24, v26
	v_add_f32_e32 v24, v24, v25
	v_exp_f32_e32 v24, v24
	v_cvt_i32_f32_e32 v25, v26
	v_and_b32_e32 v28, 0xffff0000, v19
	v_cmp_nlt_f32_e32 vcc, s87, v13
	v_lshlrev_b32_e32 v30, 16, v18
	v_ldexp_f32 v24, v24, v25
	v_mul_f32_e32 v25, 0xbfb8aa3b, v28
	v_fma_f32 v26, v28, s86, -v25
	v_rndne_f32_e32 v27, v25
	v_fmac_f32_e32 v26, 0xb2a5705f, v28
	v_sub_f32_e32 v25, v25, v27
	v_add_f32_e32 v25, v25, v26
	v_exp_f32_e32 v26, v25
	v_cvt_i32_f32_e32 v27, v27
	v_cndmask_b32_e32 v24, 0, v24, vcc
	v_cmp_ngt_f32_e32 vcc, s88, v13
	v_lshlrev_b32_e32 v29, 16, v19
	s_add_u32 s48, s48, 0x200
	v_cndmask_b32_e32 v25, v0, v24, vcc
	v_ldexp_f32 v24, v26, v27
	v_mul_f32_e32 v26, 0xbfb8aa3b, v30
	v_rndne_f32_e32 v27, v26
	v_sub_f32_e32 v31, v26, v27
	v_fma_f32 v26, v30, s86, -v26
	v_fmac_f32_e32 v26, 0xb2a5705f, v30
	v_add_f32_e32 v26, v31, v26
	v_exp_f32_e32 v26, v26
	v_cvt_i32_f32_e32 v31, v27
	v_cmp_nlt_f32_e32 vcc, s87, v28
	s_addc_u32 s49, s49, 0
	s_add_u32 s46, s46, 0x200
	v_cndmask_b32_e32 v24, 0, v24, vcc
	v_cmp_ngt_f32_e32 vcc, s88, v28
	s_addc_u32 s47, s47, 0
	s_add_u32 s38, s38, 0x200
	v_cndmask_b32_e32 v27, v0, v24, vcc
	v_ldexp_f32 v24, v26, v31
	v_mul_f32_e32 v26, 0xbfb8aa3b, v29
	v_rndne_f32_e32 v31, v26
	v_sub_f32_e32 v32, v26, v31
	v_fma_f32 v26, v29, s86, -v26
	v_fmac_f32_e32 v26, 0xb2a5705f, v29
	v_add_f32_e32 v26, v32, v26
	v_exp_f32_e32 v26, v26
	v_cvt_i32_f32_e32 v31, v31
	v_cmp_nlt_f32_e32 vcc, s87, v30
	s_addc_u32 s39, s39, 0
	s_add_u32 s42, s42, 0x200
	v_cndmask_b32_e32 v24, 0, v24, vcc
	v_cmp_ngt_f32_e32 vcc, s88, v30
	v_ldexp_f32 v26, v26, v31
	s_addc_u32 s43, s43, 0
	v_cndmask_b32_e32 v24, v0, v24, vcc
	v_pk_add_f32 v[24:25], v[24:25], 1.0 op_sel_hi:[1,0]
	v_cmp_nlt_f32_e32 vcc, s87, v29
	v_div_scale_f32 v31, s[6:7], v25, v25, v13
	v_rcp_f32_e32 v32, v31
	v_cndmask_b32_e32 v26, 0, v26, vcc
	v_cmp_ngt_f32_e32 vcc, s88, v29
	s_add_i32 s89, s89, 1
	v_fma_f32 v33, -v31, v32, 1.0
	v_cndmask_b32_e32 v26, v0, v26, vcc
	v_fmac_f32_e32 v32, v33, v32
	v_div_scale_f32 v33, vcc, v13, v25, v13
	v_mul_f32_e32 v34, v33, v32
	v_fma_f32 v35, -v31, v34, v33
	v_fmac_f32_e32 v34, v35, v32
	v_fma_f32 v31, -v31, v34, v33
	v_div_scale_f32 v33, s[6:7], v24, v24, v30
	v_rcp_f32_e32 v35, v33
	v_div_fmas_f32 v31, v31, v32, v34
	v_div_fixup_f32 v25, v31, v25, v13
	v_pk_add_f32 v[26:27], v[26:27], 1.0 op_sel_hi:[1,0]
	v_fma_f32 v13, -v33, v35, 1.0
	v_fmac_f32_e32 v35, v13, v35
	v_div_scale_f32 v13, vcc, v30, v24, v30
	v_mul_f32_e32 v31, v13, v35
	v_fma_f32 v32, -v33, v31, v13
	v_fmac_f32_e32 v31, v32, v35
	v_div_scale_f32 v32, s[6:7], v27, v27, v28
	v_fma_f32 v13, -v33, v31, v13
	v_rcp_f32_e32 v33, v32
	v_div_fmas_f32 v13, v13, v35, v31
	v_div_fixup_f32 v24, v13, v24, v30
	v_pk_mul_f32 v[20:21], v[20:21], v[24:25]
	v_fma_f32 v13, -v32, v33, 1.0
	v_fmac_f32_e32 v33, v13, v33
	v_div_scale_f32 v13, vcc, v28, v27, v28
	v_mul_f32_e32 v30, v13, v33
	v_fma_f32 v31, -v32, v30, v13
	v_fmac_f32_e32 v30, v31, v33
	v_div_scale_f32 v31, s[6:7], v26, v26, v29
	v_fma_f32 v13, -v32, v30, v13
	v_rcp_f32_e32 v32, v31
	v_div_fmas_f32 v13, v13, v33, v30
	v_div_fixup_f32 v27, v13, v27, v28
	v_bfe_u32 v24, v20, 16, 1
	v_fma_f32 v13, -v31, v32, 1.0
	v_fmac_f32_e32 v32, v13, v32
	v_div_scale_f32 v13, vcc, v29, v26, v29
	v_mul_f32_e32 v28, v13, v32
	v_fma_f32 v30, -v31, v28, v13
	v_fmac_f32_e32 v28, v30, v32
	v_fma_f32 v13, -v31, v28, v13
	v_div_fmas_f32 v13, v13, v32, v28
	v_div_fixup_f32 v26, v13, v26, v29
	v_pk_mul_f32 v[22:23], v[22:23], v[26:27]
	v_add3_u32 v24, v20, v24, s85
	v_bfe_u32 v25, v22, 16, 1
	v_add3_u32 v25, v22, v25, s85
	v_bfe_u32 v26, v23, 16, 1
	v_lshrrev_b32_e32 v25, 16, v25
	v_cmp_o_f32_e32 vcc, v22, v22
	v_bfe_u32 v13, v21, 16, 1
	v_and_b32_e32 v24, 0xffff0000, v24
	v_add3_u32 v26, v23, v26, s85
	v_cndmask_b32_e32 v22, v53, v25, vcc
	v_cmp_o_f32_e32 vcc, v20, v20
	v_add3_u32 v13, v21, v13, s85
	v_and_b32_e32 v26, 0xffff0000, v26
	v_cndmask_b32_e32 v20, v54, v24, vcc
	v_cmp_o_f32_e32 vcc, v23, v23
	v_lshrrev_b32_e32 v13, 16, v13
	s_cmp_eq_u32 s89, s73
	v_cndmask_b32_e32 v23, v54, v26, vcc
	v_cmp_o_f32_e32 vcc, v21, v21
	v_or3_b32 v21, 0, v22, v23
	v_lshl_add_u64 v[22:23], s[56:57], 1, v[8:9]
	v_cndmask_b32_e32 v13, v53, v13, vcc
	v_or3_b32 v20, v20, 0, v13
	s_waitcnt lgkmcnt(0)
	; wave barrier
	global_store_dwordx2 v[22:23], v[20:21], off
	s_cbranch_scc1 .LBB1_50
.LBB1_12:                               ; =>This Loop Header: Depth=1
                                        ;     Child Loop BB1_25 Depth 2
	s_waitcnt lgkmcnt(0)
	; wave barrier
	s_and_saveexec_b64 s[6:7], s[0:1]
	s_cbranch_execz .LBB1_14
; %bb.13:                               ;   in Loop: Header=BB1_12 Depth=1
	global_load_dwordx2 v[14:15], v2, s[46:47]
	global_load_dwordx2 v[16:17], v2, s[48:49]
	s_waitcnt vmcnt(1)
	v_lshrrev_b32_e32 v56, 16, v14
	v_lshrrev_b32_e32 v58, 16, v15
	s_waitcnt vmcnt(0)
	v_lshrrev_b32_e32 v55, 16, v16
	v_lshrrev_b32_e32 v57, 16, v17
.LBB1_14:                               ;   in Loop: Header=BB1_12 Depth=1
	s_or_b64 exec, exec, s[6:7]
	v_lshlrev_b32_e32 v13, 16, v16
	v_add_f32_e32 v59, s33, v13
	v_cmp_ge_f32_e32 vcc, s75, v59
	s_and_b64 s[6:7], s[52:53], vcc
	s_and_saveexec_b64 s[8:9], s[6:7]
	s_cbranch_execz .LBB1_16
; %bb.15:                               ;   in Loop: Header=BB1_12 Depth=1
	v_mul_f32_e32 v13, 0x3fb8aa3b, v59
	v_rndne_f32_e32 v20, v13
	v_sub_f32_e32 v21, v13, v20
	v_fma_f32 v13, v59, s76, -v13
	v_fmac_f32_e32 v13, 0x32a5705f, v59
	v_add_f32_e32 v13, v21, v13
	v_cvt_i32_f32_e32 v20, v20
	v_exp_f32_e32 v13, v13
	v_cmp_ngt_f32_e32 vcc, s77, v59
	v_ldexp_f32 v13, v13, v20
	s_nop 0
	v_cndmask_b32_e32 v13, 0, v13, vcc
	v_cmp_nlt_f32_e32 vcc, s78, v59
	s_nop 1
	v_cndmask_b32_e32 v36, v0, v13, vcc
	v_add_f32_e32 v13, 1.0, v36
	v_add_f32_e32 v20, -1.0, v13
	v_sub_f32_e32 v21, v20, v13
	v_add_f32_e32 v21, 1.0, v21
	v_sub_f32_e32 v20, v36, v20
	v_add_f32_e32 v22, v20, v21
	v_frexp_mant_f32_e32 v23, v13
	v_cvt_f64_f32_e32 v[20:21], v13
	v_frexp_exp_i32_f64_e32 v20, v[20:21]
	v_cmp_gt_f32_e32 vcc, s80, v23
	v_cmp_gt_f32_e64 s[6:7], s82, v36
	s_nop 0
	v_subbrev_co_u32_e32 v28, vcc, 0, v20, vcc
	v_sub_u32_e32 v20, 0, v28
	v_ldexp_f32 v13, v13, v20
	v_ldexp_f32 v20, v22, v20
	v_add_f32_e32 v22, -1.0, v13
	v_add_f32_e32 v21, 1.0, v22
	v_sub_f32_e32 v21, v13, v21
	v_add_f32_e32 v23, v20, v21
	v_add_f32_e32 v21, 1.0, v13
	v_add_f32_e32 v24, -1.0, v21
	v_sub_f32_e32 v13, v13, v24
	v_add_f32_e32 v13, v20, v13
	v_add_f32_e32 v29, v21, v13
	v_rcp_f32_e32 v30, v29
	v_sub_f32_e32 v20, v21, v29
	v_add_f32_e32 v21, v22, v23
	v_add_f32_e32 v13, v13, v20
	v_mul_f32_e32 v32, v21, v30
	v_sub_f32_e32 v20, v22, v21
	v_mul_f32_e32 v22, v29, v32
	v_fma_f32 v24, v32, v29, -v22
	v_fmac_f32_e32 v24, v32, v13
	v_add_f32_e32 v31, v23, v20
	v_add_f32_e32 v20, v22, v24
	v_sub_f32_e32 v23, v21, v20
	v_pk_add_f32 v[26:27], v[20:21], v[22:23] neg_lo:[0,1] neg_hi:[0,1]
	v_mov_b32_e32 v25, v20
	v_pk_add_f32 v[20:21], v[26:27], v[24:25] neg_lo:[0,1] neg_hi:[0,1]
	v_cmp_eq_f32_e32 vcc, s79, v36
	v_add_f32_e32 v21, v31, v21
	v_add_f32_e32 v20, v20, v21
	;; [unrolled: 1-line block ×3, first 2 shown]
	v_mul_f32_e32 v31, v30, v21
	v_mul_f32_e32 v22, v29, v31
	v_fma_f32 v24, v31, v29, -v22
	v_fmac_f32_e32 v24, v31, v13
	v_sub_f32_e32 v13, v23, v21
	v_add_f32_e32 v13, v20, v13
	v_add_f32_e32 v20, v22, v24
	v_sub_f32_e32 v23, v21, v20
	v_pk_add_f32 v[26:27], v[20:21], v[22:23] neg_lo:[0,1] neg_hi:[0,1]
	v_mov_b32_e32 v25, v20
	v_pk_add_f32 v[20:21], v[26:27], v[24:25] neg_lo:[0,1] neg_hi:[0,1]
	s_or_b64 vcc, s[6:7], vcc
	v_add_f32_e32 v13, v13, v21
	v_add_f32_e32 v13, v20, v13
	;; [unrolled: 1-line block ×4, first 2 shown]
	v_sub_f32_e32 v20, v21, v32
	v_mul_f32_e32 v13, v30, v13
	v_sub_f32_e32 v20, v31, v20
	v_add_f32_e32 v22, v20, v13
	v_add_f32_e32 v24, v21, v22
	v_cvt_f32_i32_e32 v20, v28
	v_mul_f32_e32 v25, v24, v24
	v_sub_f32_e32 v21, v24, v21
	v_fmamk_f32 v13, v25, 0x3e9b6dac, v49
	v_sub_f32_e32 v21, v22, v21
	v_fmaak_f32 v13, v25, v13, 0x3f2aaada
	v_ldexp_f32 v26, v21, 1
	v_mul_f32_e32 v21, v24, v25
	v_ldexp_f32 v23, v24, 1
	v_pk_mul_f32 v[24:25], v[20:21], v[12:13]
	s_nop 0
	v_fma_f32 v22, v20, s81, -v24
	v_fmac_f32_e32 v22, 0xb102e308, v20
	v_pk_add_f32 v[20:21], v[24:25], v[22:23]
	s_nop 0
	v_sub_f32_e32 v13, v21, v23
	v_sub_f32_e32 v13, v25, v13
	v_add_f32_e32 v27, v26, v13
	v_mov_b32_e32 v26, v24
	v_pk_add_f32 v[24:25], v[20:21], v[24:25] neg_lo:[0,1] neg_hi:[0,1]
	v_pk_add_f32 v[28:29], v[20:21], v[26:27]
	v_mov_b32_e32 v23, v20
	v_mov_b32_e32 v25, v29
	v_pk_add_f32 v[30:31], v[22:23], v[24:25] neg_lo:[0,1] neg_hi:[0,1]
	v_pk_add_f32 v[22:23], v[22:23], v[24:25]
	v_mov_b32_e32 v26, v27
	v_mov_b32_e32 v24, v23
	v_pk_add_f32 v[32:33], v[24:25], v[20:21] neg_lo:[0,1] neg_hi:[0,1]
	v_mov_b32_e32 v22, v29
	v_mov_b32_e32 v13, v32
	v_pk_add_f32 v[34:35], v[28:29], v[12:13] neg_lo:[0,1] neg_hi:[0,1]
	v_mov_b32_e32 v28, v21
	v_mov_b32_e32 v29, v32
	;; [unrolled: 1-line block ×3, first 2 shown]
	v_pk_add_f32 v[22:23], v[22:23], v[28:29] neg_lo:[0,1] neg_hi:[0,1]
	v_mov_b32_e32 v27, v20
	v_pk_add_f32 v[20:21], v[26:27], v[22:23] neg_lo:[0,1] neg_hi:[0,1]
	v_mov_b32_e32 v34, v30
	v_pk_add_f32 v[22:23], v[34:35], v[20:21]
	s_nop 0
	v_mov_b32_e32 v26, v23
	v_pk_add_f32 v[26:27], v[22:23], v[26:27]
	s_nop 0
	v_pk_add_f32 v[24:25], v[24:25], v[26:27]
	v_mov_b32_e32 v21, v26
	v_mov_b32_e32 v23, v24
	v_pk_add_f32 v[28:29], v[22:23], v[30:31] neg_lo:[0,1] neg_hi:[0,1]
	s_nop 0
	v_sub_f32_e32 v13, v22, v28
	v_pk_add_f32 v[20:21], v[20:21], v[28:29] neg_lo:[0,1] neg_hi:[0,1]
	v_sub_f32_e32 v13, v30, v13
	v_add_f32_e32 v13, v20, v13
	v_add_f32_e32 v13, v13, v21
	;; [unrolled: 1-line block ×3, first 2 shown]
	v_cndmask_b32_e32 v59, v13, v36, vcc
.LBB1_16:                               ;   in Loop: Header=BB1_12 Depth=1
	s_or_b64 exec, exec, s[8:9]
	v_lshlrev_b32_e32 v13, 16, v55
	v_add_f32_e32 v60, s33, v13
	v_cmp_ge_f32_e32 vcc, s75, v60
	s_and_b64 s[6:7], s[52:53], vcc
	s_and_saveexec_b64 s[8:9], s[6:7]
	s_cbranch_execz .LBB1_18
; %bb.17:                               ;   in Loop: Header=BB1_12 Depth=1
	v_mul_f32_e32 v13, 0x3fb8aa3b, v60
	v_rndne_f32_e32 v20, v13
	v_sub_f32_e32 v21, v13, v20
	v_fma_f32 v13, v60, s76, -v13
	v_fmac_f32_e32 v13, 0x32a5705f, v60
	v_add_f32_e32 v13, v21, v13
	v_cvt_i32_f32_e32 v20, v20
	v_exp_f32_e32 v13, v13
	v_cmp_ngt_f32_e32 vcc, s77, v60
	v_ldexp_f32 v13, v13, v20
	s_nop 0
	v_cndmask_b32_e32 v13, 0, v13, vcc
	v_cmp_nlt_f32_e32 vcc, s78, v60
	s_nop 1
	v_cndmask_b32_e32 v36, v0, v13, vcc
	v_add_f32_e32 v13, 1.0, v36
	v_add_f32_e32 v20, -1.0, v13
	v_sub_f32_e32 v21, v20, v13
	v_add_f32_e32 v21, 1.0, v21
	v_sub_f32_e32 v20, v36, v20
	v_add_f32_e32 v22, v20, v21
	v_frexp_mant_f32_e32 v23, v13
	v_cvt_f64_f32_e32 v[20:21], v13
	v_frexp_exp_i32_f64_e32 v20, v[20:21]
	v_cmp_gt_f32_e32 vcc, s80, v23
	v_cmp_gt_f32_e64 s[6:7], s82, v36
	s_nop 0
	v_subbrev_co_u32_e32 v28, vcc, 0, v20, vcc
	v_sub_u32_e32 v20, 0, v28
	v_ldexp_f32 v13, v13, v20
	v_ldexp_f32 v20, v22, v20
	v_add_f32_e32 v22, -1.0, v13
	v_add_f32_e32 v21, 1.0, v22
	v_sub_f32_e32 v21, v13, v21
	v_add_f32_e32 v23, v20, v21
	v_add_f32_e32 v21, 1.0, v13
	v_add_f32_e32 v24, -1.0, v21
	v_sub_f32_e32 v13, v13, v24
	v_add_f32_e32 v13, v20, v13
	v_add_f32_e32 v29, v21, v13
	v_rcp_f32_e32 v30, v29
	v_sub_f32_e32 v20, v21, v29
	v_add_f32_e32 v21, v22, v23
	v_add_f32_e32 v13, v13, v20
	v_mul_f32_e32 v32, v21, v30
	v_sub_f32_e32 v20, v22, v21
	v_mul_f32_e32 v22, v29, v32
	v_fma_f32 v24, v32, v29, -v22
	v_fmac_f32_e32 v24, v32, v13
	v_add_f32_e32 v31, v23, v20
	v_add_f32_e32 v20, v22, v24
	v_sub_f32_e32 v23, v21, v20
	v_pk_add_f32 v[26:27], v[20:21], v[22:23] neg_lo:[0,1] neg_hi:[0,1]
	v_mov_b32_e32 v25, v20
	v_pk_add_f32 v[20:21], v[26:27], v[24:25] neg_lo:[0,1] neg_hi:[0,1]
	v_cmp_eq_f32_e32 vcc, s79, v36
	v_add_f32_e32 v21, v31, v21
	v_add_f32_e32 v20, v20, v21
	;; [unrolled: 1-line block ×3, first 2 shown]
	v_mul_f32_e32 v31, v30, v21
	v_mul_f32_e32 v22, v29, v31
	v_fma_f32 v24, v31, v29, -v22
	v_fmac_f32_e32 v24, v31, v13
	v_sub_f32_e32 v13, v23, v21
	v_add_f32_e32 v13, v20, v13
	v_add_f32_e32 v20, v22, v24
	v_sub_f32_e32 v23, v21, v20
	v_pk_add_f32 v[26:27], v[20:21], v[22:23] neg_lo:[0,1] neg_hi:[0,1]
	v_mov_b32_e32 v25, v20
	v_pk_add_f32 v[20:21], v[26:27], v[24:25] neg_lo:[0,1] neg_hi:[0,1]
	s_or_b64 vcc, s[6:7], vcc
	v_add_f32_e32 v13, v13, v21
	v_add_f32_e32 v13, v20, v13
	;; [unrolled: 1-line block ×4, first 2 shown]
	v_sub_f32_e32 v20, v21, v32
	v_mul_f32_e32 v13, v30, v13
	v_sub_f32_e32 v20, v31, v20
	v_add_f32_e32 v22, v20, v13
	v_add_f32_e32 v24, v21, v22
	v_cvt_f32_i32_e32 v20, v28
	v_mul_f32_e32 v25, v24, v24
	v_sub_f32_e32 v21, v24, v21
	v_fmamk_f32 v13, v25, 0x3e9b6dac, v49
	v_sub_f32_e32 v21, v22, v21
	v_fmaak_f32 v13, v25, v13, 0x3f2aaada
	v_ldexp_f32 v26, v21, 1
	v_mul_f32_e32 v21, v24, v25
	v_ldexp_f32 v23, v24, 1
	v_pk_mul_f32 v[24:25], v[20:21], v[12:13]
	s_nop 0
	v_fma_f32 v22, v20, s81, -v24
	v_fmac_f32_e32 v22, 0xb102e308, v20
	v_pk_add_f32 v[20:21], v[24:25], v[22:23]
	s_nop 0
	v_sub_f32_e32 v13, v21, v23
	v_sub_f32_e32 v13, v25, v13
	v_add_f32_e32 v27, v26, v13
	v_mov_b32_e32 v26, v24
	v_pk_add_f32 v[24:25], v[20:21], v[24:25] neg_lo:[0,1] neg_hi:[0,1]
	v_pk_add_f32 v[28:29], v[20:21], v[26:27]
	v_mov_b32_e32 v23, v20
	v_mov_b32_e32 v25, v29
	v_pk_add_f32 v[30:31], v[22:23], v[24:25] neg_lo:[0,1] neg_hi:[0,1]
	v_pk_add_f32 v[22:23], v[22:23], v[24:25]
	v_mov_b32_e32 v26, v27
	v_mov_b32_e32 v24, v23
	v_pk_add_f32 v[32:33], v[24:25], v[20:21] neg_lo:[0,1] neg_hi:[0,1]
	v_mov_b32_e32 v22, v29
	v_mov_b32_e32 v13, v32
	v_pk_add_f32 v[34:35], v[28:29], v[12:13] neg_lo:[0,1] neg_hi:[0,1]
	v_mov_b32_e32 v28, v21
	v_mov_b32_e32 v29, v32
	;; [unrolled: 1-line block ×3, first 2 shown]
	v_pk_add_f32 v[22:23], v[22:23], v[28:29] neg_lo:[0,1] neg_hi:[0,1]
	v_mov_b32_e32 v27, v20
	v_pk_add_f32 v[20:21], v[26:27], v[22:23] neg_lo:[0,1] neg_hi:[0,1]
	v_mov_b32_e32 v34, v30
	v_pk_add_f32 v[22:23], v[34:35], v[20:21]
	s_nop 0
	v_mov_b32_e32 v26, v23
	v_pk_add_f32 v[26:27], v[22:23], v[26:27]
	s_nop 0
	v_pk_add_f32 v[24:25], v[24:25], v[26:27]
	v_mov_b32_e32 v21, v26
	v_mov_b32_e32 v23, v24
	v_pk_add_f32 v[28:29], v[22:23], v[30:31] neg_lo:[0,1] neg_hi:[0,1]
	s_nop 0
	v_sub_f32_e32 v13, v22, v28
	v_pk_add_f32 v[20:21], v[20:21], v[28:29] neg_lo:[0,1] neg_hi:[0,1]
	v_sub_f32_e32 v13, v30, v13
	v_add_f32_e32 v13, v20, v13
	v_add_f32_e32 v13, v13, v21
	;; [unrolled: 1-line block ×3, first 2 shown]
	v_cndmask_b32_e32 v60, v13, v36, vcc
.LBB1_18:                               ;   in Loop: Header=BB1_12 Depth=1
	s_or_b64 exec, exec, s[8:9]
	v_lshlrev_b32_e32 v13, 16, v17
	v_add_f32_e32 v25, s33, v13
	v_cmp_ge_f32_e32 vcc, s75, v25
	s_and_b64 s[6:7], s[52:53], vcc
	s_and_saveexec_b64 s[8:9], s[6:7]
	s_cbranch_execz .LBB1_20
; %bb.19:                               ;   in Loop: Header=BB1_12 Depth=1
	v_mul_f32_e32 v13, 0x3fb8aa3b, v25
	v_rndne_f32_e32 v20, v13
	v_sub_f32_e32 v21, v13, v20
	v_fma_f32 v13, v25, s76, -v13
	v_fmac_f32_e32 v13, 0x32a5705f, v25
	v_add_f32_e32 v13, v21, v13
	v_cvt_i32_f32_e32 v20, v20
	v_exp_f32_e32 v13, v13
	v_cmp_ngt_f32_e32 vcc, s77, v25
	v_ldexp_f32 v13, v13, v20
	s_nop 0
	v_cndmask_b32_e32 v13, 0, v13, vcc
	v_cmp_nlt_f32_e32 vcc, s78, v25
	s_nop 1
	v_cndmask_b32_e32 v36, v0, v13, vcc
	v_add_f32_e32 v13, 1.0, v36
	v_add_f32_e32 v20, -1.0, v13
	v_sub_f32_e32 v21, v20, v13
	v_add_f32_e32 v21, 1.0, v21
	v_sub_f32_e32 v20, v36, v20
	v_add_f32_e32 v22, v20, v21
	v_frexp_mant_f32_e32 v23, v13
	v_cvt_f64_f32_e32 v[20:21], v13
	v_frexp_exp_i32_f64_e32 v20, v[20:21]
	v_cmp_gt_f32_e32 vcc, s80, v23
	v_cmp_gt_f32_e64 s[6:7], s82, v36
	s_nop 0
	v_subbrev_co_u32_e32 v28, vcc, 0, v20, vcc
	v_sub_u32_e32 v20, 0, v28
	v_ldexp_f32 v13, v13, v20
	v_ldexp_f32 v20, v22, v20
	v_add_f32_e32 v22, -1.0, v13
	v_add_f32_e32 v21, 1.0, v22
	v_sub_f32_e32 v21, v13, v21
	v_add_f32_e32 v23, v20, v21
	v_add_f32_e32 v21, 1.0, v13
	v_add_f32_e32 v24, -1.0, v21
	v_sub_f32_e32 v13, v13, v24
	v_add_f32_e32 v13, v20, v13
	v_add_f32_e32 v29, v21, v13
	v_rcp_f32_e32 v30, v29
	v_sub_f32_e32 v20, v21, v29
	v_add_f32_e32 v21, v22, v23
	v_add_f32_e32 v13, v13, v20
	v_mul_f32_e32 v32, v21, v30
	v_sub_f32_e32 v20, v22, v21
	v_mul_f32_e32 v22, v29, v32
	v_fma_f32 v24, v32, v29, -v22
	v_fmac_f32_e32 v24, v32, v13
	v_add_f32_e32 v31, v23, v20
	v_add_f32_e32 v20, v22, v24
	v_sub_f32_e32 v23, v21, v20
	v_pk_add_f32 v[26:27], v[20:21], v[22:23] neg_lo:[0,1] neg_hi:[0,1]
	v_mov_b32_e32 v25, v20
	v_pk_add_f32 v[20:21], v[26:27], v[24:25] neg_lo:[0,1] neg_hi:[0,1]
	v_cmp_eq_f32_e32 vcc, s79, v36
	v_add_f32_e32 v21, v31, v21
	v_add_f32_e32 v20, v20, v21
	v_add_f32_e32 v21, v23, v20
	v_mul_f32_e32 v31, v30, v21
	v_mul_f32_e32 v22, v29, v31
	v_fma_f32 v24, v31, v29, -v22
	v_fmac_f32_e32 v24, v31, v13
	v_sub_f32_e32 v13, v23, v21
	v_add_f32_e32 v13, v20, v13
	v_add_f32_e32 v20, v22, v24
	v_sub_f32_e32 v23, v21, v20
	v_pk_add_f32 v[26:27], v[20:21], v[22:23] neg_lo:[0,1] neg_hi:[0,1]
	v_mov_b32_e32 v25, v20
	v_pk_add_f32 v[20:21], v[26:27], v[24:25] neg_lo:[0,1] neg_hi:[0,1]
	s_or_b64 vcc, s[6:7], vcc
	v_add_f32_e32 v13, v13, v21
	v_add_f32_e32 v13, v20, v13
	;; [unrolled: 1-line block ×4, first 2 shown]
	v_sub_f32_e32 v20, v21, v32
	v_mul_f32_e32 v13, v30, v13
	v_sub_f32_e32 v20, v31, v20
	v_add_f32_e32 v22, v20, v13
	v_add_f32_e32 v24, v21, v22
	v_cvt_f32_i32_e32 v20, v28
	v_mul_f32_e32 v25, v24, v24
	v_sub_f32_e32 v21, v24, v21
	v_fmamk_f32 v13, v25, 0x3e9b6dac, v49
	v_sub_f32_e32 v21, v22, v21
	v_fmaak_f32 v13, v25, v13, 0x3f2aaada
	v_ldexp_f32 v26, v21, 1
	v_mul_f32_e32 v21, v24, v25
	v_ldexp_f32 v23, v24, 1
	v_pk_mul_f32 v[24:25], v[20:21], v[12:13]
	s_nop 0
	v_fma_f32 v22, v20, s81, -v24
	v_fmac_f32_e32 v22, 0xb102e308, v20
	v_pk_add_f32 v[20:21], v[24:25], v[22:23]
	s_nop 0
	v_sub_f32_e32 v13, v21, v23
	v_sub_f32_e32 v13, v25, v13
	v_add_f32_e32 v27, v26, v13
	v_mov_b32_e32 v26, v24
	v_pk_add_f32 v[24:25], v[20:21], v[24:25] neg_lo:[0,1] neg_hi:[0,1]
	v_pk_add_f32 v[28:29], v[20:21], v[26:27]
	v_mov_b32_e32 v23, v20
	v_mov_b32_e32 v25, v29
	v_pk_add_f32 v[30:31], v[22:23], v[24:25] neg_lo:[0,1] neg_hi:[0,1]
	v_pk_add_f32 v[22:23], v[22:23], v[24:25]
	v_mov_b32_e32 v26, v27
	v_mov_b32_e32 v24, v23
	v_pk_add_f32 v[32:33], v[24:25], v[20:21] neg_lo:[0,1] neg_hi:[0,1]
	v_mov_b32_e32 v22, v29
	v_mov_b32_e32 v13, v32
	v_pk_add_f32 v[34:35], v[28:29], v[12:13] neg_lo:[0,1] neg_hi:[0,1]
	v_mov_b32_e32 v28, v21
	v_mov_b32_e32 v29, v32
	;; [unrolled: 1-line block ×3, first 2 shown]
	v_pk_add_f32 v[22:23], v[22:23], v[28:29] neg_lo:[0,1] neg_hi:[0,1]
	v_mov_b32_e32 v27, v20
	v_pk_add_f32 v[20:21], v[26:27], v[22:23] neg_lo:[0,1] neg_hi:[0,1]
	v_mov_b32_e32 v34, v30
	v_pk_add_f32 v[22:23], v[34:35], v[20:21]
	s_nop 0
	v_mov_b32_e32 v26, v23
	v_pk_add_f32 v[26:27], v[22:23], v[26:27]
	s_nop 0
	v_pk_add_f32 v[24:25], v[24:25], v[26:27]
	v_mov_b32_e32 v21, v26
	v_mov_b32_e32 v23, v24
	v_pk_add_f32 v[28:29], v[22:23], v[30:31] neg_lo:[0,1] neg_hi:[0,1]
	s_nop 0
	v_sub_f32_e32 v13, v22, v28
	v_pk_add_f32 v[20:21], v[20:21], v[28:29] neg_lo:[0,1] neg_hi:[0,1]
	v_sub_f32_e32 v13, v30, v13
	v_add_f32_e32 v13, v20, v13
	v_add_f32_e32 v13, v13, v21
	;; [unrolled: 1-line block ×3, first 2 shown]
	v_cndmask_b32_e32 v25, v13, v36, vcc
.LBB1_20:                               ;   in Loop: Header=BB1_12 Depth=1
	s_or_b64 exec, exec, s[8:9]
	v_lshlrev_b32_e32 v13, 16, v57
	v_add_f32_e32 v24, s33, v13
	v_cmp_ge_f32_e32 vcc, s75, v24
	s_and_b64 s[6:7], s[52:53], vcc
	s_and_saveexec_b64 s[8:9], s[6:7]
	s_cbranch_execz .LBB1_22
; %bb.21:                               ;   in Loop: Header=BB1_12 Depth=1
	v_mul_f32_e32 v13, 0x3fb8aa3b, v24
	v_rndne_f32_e32 v20, v13
	v_sub_f32_e32 v21, v13, v20
	v_fma_f32 v13, v24, s76, -v13
	v_fmac_f32_e32 v13, 0x32a5705f, v24
	v_add_f32_e32 v13, v21, v13
	v_cvt_i32_f32_e32 v20, v20
	v_exp_f32_e32 v13, v13
	v_cmp_ngt_f32_e32 vcc, s77, v24
	v_ldexp_f32 v13, v13, v20
	s_nop 0
	v_cndmask_b32_e32 v13, 0, v13, vcc
	v_cmp_nlt_f32_e32 vcc, s78, v24
	s_nop 1
	v_cndmask_b32_e32 v36, v0, v13, vcc
	v_add_f32_e32 v13, 1.0, v36
	v_add_f32_e32 v20, -1.0, v13
	v_sub_f32_e32 v21, v20, v13
	v_add_f32_e32 v21, 1.0, v21
	v_sub_f32_e32 v20, v36, v20
	v_add_f32_e32 v22, v20, v21
	v_frexp_mant_f32_e32 v23, v13
	v_cvt_f64_f32_e32 v[20:21], v13
	v_frexp_exp_i32_f64_e32 v20, v[20:21]
	v_cmp_gt_f32_e32 vcc, s80, v23
	v_cmp_gt_f32_e64 s[6:7], s82, v36
	s_nop 0
	v_subbrev_co_u32_e32 v24, vcc, 0, v20, vcc
	v_sub_u32_e32 v20, 0, v24
	v_ldexp_f32 v13, v13, v20
	v_ldexp_f32 v20, v22, v20
	v_add_f32_e32 v22, -1.0, v13
	v_add_f32_e32 v21, 1.0, v22
	v_sub_f32_e32 v21, v13, v21
	v_add_f32_e32 v23, v20, v21
	v_add_f32_e32 v21, 1.0, v13
	v_add_f32_e32 v26, -1.0, v21
	v_sub_f32_e32 v13, v13, v26
	v_add_f32_e32 v13, v20, v13
	v_add_f32_e32 v30, v21, v13
	v_rcp_f32_e32 v31, v30
	v_sub_f32_e32 v20, v21, v30
	v_add_f32_e32 v21, v22, v23
	v_add_f32_e32 v13, v13, v20
	v_mul_f32_e32 v33, v21, v31
	v_sub_f32_e32 v20, v22, v21
	v_mul_f32_e32 v22, v30, v33
	v_fma_f32 v26, v33, v30, -v22
	v_fmac_f32_e32 v26, v33, v13
	v_add_f32_e32 v32, v23, v20
	v_add_f32_e32 v20, v22, v26
	v_sub_f32_e32 v23, v21, v20
	v_pk_add_f32 v[28:29], v[20:21], v[22:23] neg_lo:[0,1] neg_hi:[0,1]
	v_mov_b32_e32 v27, v20
	v_pk_add_f32 v[20:21], v[28:29], v[26:27] neg_lo:[0,1] neg_hi:[0,1]
	v_cmp_eq_f32_e32 vcc, s79, v36
	v_add_f32_e32 v21, v32, v21
	v_add_f32_e32 v20, v20, v21
	v_add_f32_e32 v21, v23, v20
	v_mul_f32_e32 v32, v31, v21
	v_mul_f32_e32 v22, v30, v32
	v_fma_f32 v26, v32, v30, -v22
	v_fmac_f32_e32 v26, v32, v13
	v_sub_f32_e32 v13, v23, v21
	v_add_f32_e32 v13, v20, v13
	v_add_f32_e32 v20, v22, v26
	v_sub_f32_e32 v23, v21, v20
	v_pk_add_f32 v[28:29], v[20:21], v[22:23] neg_lo:[0,1] neg_hi:[0,1]
	v_mov_b32_e32 v27, v20
	v_pk_add_f32 v[20:21], v[28:29], v[26:27] neg_lo:[0,1] neg_hi:[0,1]
	s_or_b64 vcc, s[6:7], vcc
	v_add_f32_e32 v13, v13, v21
	v_add_f32_e32 v13, v20, v13
	;; [unrolled: 1-line block ×4, first 2 shown]
	v_sub_f32_e32 v20, v21, v33
	v_mul_f32_e32 v13, v31, v13
	v_sub_f32_e32 v20, v32, v20
	v_add_f32_e32 v22, v20, v13
	v_add_f32_e32 v26, v21, v22
	v_cvt_f32_i32_e32 v20, v24
	v_mul_f32_e32 v27, v26, v26
	v_sub_f32_e32 v21, v26, v21
	v_fmamk_f32 v13, v27, 0x3e9b6dac, v49
	v_sub_f32_e32 v21, v22, v21
	v_fmaak_f32 v13, v27, v13, 0x3f2aaada
	v_ldexp_f32 v24, v21, 1
	v_mul_f32_e32 v21, v26, v27
	v_ldexp_f32 v23, v26, 1
	v_pk_mul_f32 v[26:27], v[20:21], v[12:13]
	s_nop 0
	v_fma_f32 v22, v20, s81, -v26
	v_fmac_f32_e32 v22, 0xb102e308, v20
	v_pk_add_f32 v[20:21], v[26:27], v[22:23]
	v_mov_b32_e32 v28, v26
	v_sub_f32_e32 v13, v21, v23
	v_sub_f32_e32 v13, v27, v13
	v_add_f32_e32 v29, v24, v13
	v_pk_add_f32 v[26:27], v[20:21], v[26:27] neg_lo:[0,1] neg_hi:[0,1]
	v_pk_add_f32 v[30:31], v[20:21], v[28:29]
	v_mov_b32_e32 v23, v20
	v_mov_b32_e32 v27, v31
	v_pk_add_f32 v[32:33], v[22:23], v[26:27] neg_lo:[0,1] neg_hi:[0,1]
	v_pk_add_f32 v[22:23], v[22:23], v[26:27]
	s_nop 0
	v_mov_b32_e32 v24, v23
	v_pk_add_f32 v[26:27], v[24:25], v[20:21] neg_lo:[0,1] neg_hi:[0,1]
	v_mov_b32_e32 v22, v31
	v_mov_b32_e32 v13, v26
	v_pk_add_f32 v[34:35], v[30:31], v[12:13] neg_lo:[0,1] neg_hi:[0,1]
	v_mov_b32_e32 v30, v21
	v_mov_b32_e32 v31, v26
	;; [unrolled: 1-line block ×3, first 2 shown]
	v_pk_add_f32 v[22:23], v[22:23], v[30:31] neg_lo:[0,1] neg_hi:[0,1]
	v_mov_b32_e32 v26, v29
	v_mov_b32_e32 v27, v20
	v_pk_add_f32 v[20:21], v[26:27], v[22:23] neg_lo:[0,1] neg_hi:[0,1]
	v_mov_b32_e32 v34, v32
	v_pk_add_f32 v[22:23], v[34:35], v[20:21]
	s_nop 0
	v_mov_b32_e32 v26, v23
	v_pk_add_f32 v[26:27], v[22:23], v[26:27]
	s_nop 0
	v_pk_add_f32 v[28:29], v[24:25], v[26:27]
	v_mov_b32_e32 v21, v26
	v_mov_b32_e32 v23, v28
	v_pk_add_f32 v[30:31], v[22:23], v[32:33] neg_lo:[0,1] neg_hi:[0,1]
	s_nop 0
	v_sub_f32_e32 v13, v22, v30
	v_pk_add_f32 v[20:21], v[20:21], v[30:31] neg_lo:[0,1] neg_hi:[0,1]
	v_sub_f32_e32 v13, v32, v13
	v_add_f32_e32 v13, v20, v13
	v_add_f32_e32 v13, v13, v21
	;; [unrolled: 1-line block ×3, first 2 shown]
	v_cndmask_b32_e32 v24, v13, v36, vcc
.LBB1_22:                               ;   in Loop: Header=BB1_12 Depth=1
	s_or_b64 exec, exec, s[8:9]
	v_lshlrev_b32_e32 v26, 16, v15
	v_lshlrev_b32_e32 v13, 16, v58
	;; [unrolled: 1-line block ×4, first 2 shown]
	v_mul_f32_e32 v22, s70, v26
	v_mul_f32_e32 v20, s70, v27
	;; [unrolled: 1-line block ×3, first 2 shown]
	s_lshl_b32 s56, s89, 8
	v_mul_f32_e32 v23, s70, v13
	s_and_b64 vcc, exec, s[54:55]
	s_waitcnt lgkmcnt(0)
	; wave barrier
	s_cbranch_vccz .LBB1_48
; %bb.23:                               ;   in Loop: Header=BB1_12 Depth=1
	v_and_b32_e32 v30, 15, v50
	v_cmp_eq_u32_e64 s[6:7], 0, v30
	v_cmp_lt_u32_e64 s[8:9], 1, v30
	v_cmp_lt_u32_e64 s[10:11], 3, v30
	;; [unrolled: 1-line block ×3, first 2 shown]
	v_and_b32_e32 v30, 16, v50
	s_sub_i32 s24, s30, s56
	v_cmp_ne_u32_e64 s[14:15], 0, v30
	v_add_u32_e32 v30, -1, v50
	v_and_b32_e32 v31, 64, v50
	s_cmp_lg_u32 s89, 0
	v_cmp_lt_i32_e32 vcc, v30, v31
	s_cselect_b64 s[58:59], -1, 0
	s_cmp_eq_u32 s89, s74
	v_cndmask_b32_e32 v30, v30, v50, vcc
	v_cmp_gt_u32_e32 vcc, s24, v11
	s_cselect_b64 s[60:61], -1, 0
	s_or_b64 s[18:19], s[50:51], vcc
	v_cmp_gt_u32_e32 vcc, s24, v10
	s_mov_b32 s34, 0
	v_cmp_gt_u32_e64 s[20:21], s24, v1
	s_or_b64 s[22:23], s[50:51], vcc
	v_cmp_gt_u32_e32 vcc, s24, v48
	v_mul_f32_e32 v13, v24, v13
	v_mul_f32_e32 v61, v25, v26
	;; [unrolled: 1-line block ×4, first 2 shown]
	v_lshl_add_u64 v[26:27], s[38:39], 0, v[2:3]
	v_lshl_add_u64 v[28:29], s[42:43], 0, v[2:3]
	v_cmp_lt_u32_e64 s[16:17], 31, v50
	v_lshlrev_b32_e32 v64, 2, v30
	s_or_b64 s[20:21], s[50:51], s[20:21]
	s_or_b64 s[24:25], s[50:51], vcc
	s_mov_b32 s62, s34
	s_mov_b32 s64, s34
	;; [unrolled: 1-line block ×5, first 2 shown]
	s_branch .LBB1_25
.LBB1_24:                               ;   in Loop: Header=BB1_25 Depth=2
	s_or_b64 exec, exec, s[26:27]
	v_mul_f32_e32 v33, v41, v40
	v_fma_f32 v36, v41, v43, v35
	v_cndmask_b32_e64 v35, v36, v35, s[4:5]
	v_cndmask_b32_e64 v33, v33, v41, s[4:5]
	s_waitcnt lgkmcnt(0)
	v_fmac_f32_e32 v35, v32, v33
	v_fmac_f32_e32 v34, v35, v39
	;; [unrolled: 1-line block ×4, first 2 shown]
	s_waitcnt vmcnt(0)
	v_alignbit_b32 v32, v31, v30, 16
	v_and_b32_e32 v32, 0xffff0000, v32
	v_and_b32_e32 v36, 0xffff0000, v30
	;; [unrolled: 1-line block ×3, first 2 shown]
	v_lshlrev_b32_e32 v37, 16, v30
	v_mov_b32_e32 v39, v42
	s_add_i32 s90, s90, 8
	s_add_i32 s57, s57, -1
	s_add_i32 s66, s66, s71
	s_add_i32 s64, s64, s44
	;; [unrolled: 1-line block ×4, first 2 shown]
	v_pk_fma_f32 v[22:23], v[38:39], v[32:33], v[22:23]
	s_cmp_eq_u32 s57, 0
	v_pk_fma_f32 v[20:21], v[34:35], v[36:37], v[20:21]
	s_cbranch_scc1 .LBB1_48
.LBB1_25:                               ;   Parent Loop BB1_12 Depth=1
                                        ; =>  This Inner Loop Header: Depth=2
	s_lshl_b64 s[26:27], s[34:35], 2
	s_mov_b32 s63, s35
	s_add_u32 s26, s36, s26
	v_lshl_add_u64 v[30:31], s[62:63], 1, v[26:27]
	s_mov_b32 s65, s35
	s_addc_u32 s27, s72, s27
	global_load_dwordx2 v[34:35], v[30:31], off
	v_lshl_add_u64 v[30:31], s[64:65], 1, v[28:29]
	global_load_dword v32, v3, s[26:27]
	s_andn2_b64 vcc, exec, s[58:59]
	global_load_dwordx2 v[30:31], v[30:31], off
	s_cbranch_vccnz .LBB1_27
; %bb.26:                               ;   in Loop: Header=BB1_25 Depth=2
	v_mov_b32_e32 v33, s90
	ds_read_b64 v[36:37], v33
	s_waitcnt lgkmcnt(0)
	v_mov_b32_e32 v33, v37
	s_cbranch_execz .LBB1_28
	s_branch .LBB1_31
.LBB1_27:                               ;   in Loop: Header=BB1_25 Depth=2
                                        ; implicit-def: $vgpr36
                                        ; implicit-def: $vgpr33
.LBB1_28:                               ;   in Loop: Header=BB1_25 Depth=2
	s_andn2_b64 vcc, exec, s[28:29]
	v_mov_b32_e32 v33, 0
	s_cbranch_vccnz .LBB1_30
; %bb.29:                               ;   in Loop: Header=BB1_25 Depth=2
	s_mov_b32 s67, s35
	s_lshl_b64 s[26:27], s[66:67], 1
	s_add_u32 s26, s41, s26
	s_addc_u32 s27, s45, s27
	global_load_ushort v33, v3, s[26:27]
	s_waitcnt vmcnt(0)
	v_lshlrev_b32_e32 v33, 16, v33
.LBB1_30:                               ;   in Loop: Header=BB1_25 Depth=2
	v_mov_b32_e32 v36, 1.0
.LBB1_31:                               ;   in Loop: Header=BB1_25 Depth=2
	s_waitcnt vmcnt(1)
	v_mul_f32_e32 v32, 0x3fb8aa3b, v32
	v_mul_f32_e32 v39, v32, v59
	v_lshlrev_b32_e32 v38, 16, v34
	v_cmp_gt_f32_e32 vcc, s84, v39
	v_and_b32_e32 v37, 0xffff0000, v34
	v_alignbit_b32 v34, v35, v34, 16
	v_cndmask_b32_e32 v39, 0, v51, vcc
	v_and_b32_e32 v44, 0xffff0000, v35
	v_mul_f32_e32 v35, v63, v38
	v_mul_f32_e32 v38, v32, v60
	v_fmac_f32_e32 v39, v32, v59
	v_and_b32_e32 v40, 0xffff0000, v34
	v_cndmask_b32_e32 v34, 1.0, v52, vcc
	v_cmp_gt_f32_e32 vcc, s84, v38
	v_exp_f32_e32 v39, v39
	v_pk_mul_f32 v[42:43], v[32:33], v[24:25] op_sel_hi:[0,1]
	v_cndmask_b32_e32 v38, 0, v51, vcc
	v_fmac_f32_e32 v38, v32, v60
	v_exp_f32_e32 v38, v38
	v_mul_f32_e32 v34, v39, v34
	v_cndmask_b32_e64 v41, 1.0, v34, s[18:19]
	v_cndmask_b32_e32 v34, 1.0, v52, vcc
	v_cmp_gt_f32_e32 vcc, s84, v42
	v_mul_f32_e32 v39, v38, v34
	v_mul_f32_e32 v34, v62, v37
	;; [unrolled: 1-line block ×3, first 2 shown]
	v_cndmask_b32_e32 v32, 0, v51, vcc
	v_cmp_gt_f32_e64 s[26:27], s84, v43
	v_cndmask_b32_e64 v38, 0, v37, s[22:23]
	v_add_f32_e32 v32, v42, v32
	v_cndmask_b32_e64 v37, 0, v51, s[26:27]
	v_exp_f32_e32 v32, v32
	v_add_f32_e32 v37, v43, v37
	v_exp_f32_e32 v37, v37
	v_cndmask_b32_e32 v40, 1.0, v52, vcc
	v_mul_f32_e32 v32, v32, v40
	v_cndmask_b32_e64 v40, 1.0, v52, s[26:27]
	v_cndmask_b32_e64 v35, 0, v35, s[18:19]
	v_cndmask_b32_e64 v34, 0, v34, s[20:21]
	v_cndmask_b32_e64 v39, 1.0, v39, s[20:21]
	v_mul_f32_e32 v37, v37, v40
	v_mul_f32_e32 v40, v13, v44
	v_cndmask_b32_e64 v45, 1.0, v37, s[22:23]
	v_cndmask_b32_e64 v44, 1.0, v32, s[24:25]
	v_fma_f32 v32, v39, v35, v34
	v_cndmask_b32_e64 v42, 0, v40, s[24:25]
	v_mul_f32_e32 v40, v32, v45
	v_pk_add_f32 v[46:47], v[40:41], v[38:39]
	v_pk_mul_f32 v[66:67], v[40:41], v[38:39]
	v_mov_b32_e32 v43, v44
	v_mov_b32_e32 v47, v67
	v_pk_mul_f32 v[66:67], v[46:47], v[44:45]
	v_pk_fma_f32 v[46:47], v[46:47], v[44:45], v[42:43]
	v_pk_mul_f32 v[66:67], v[66:67], v[42:43]
	s_nop 0
	v_mov_b32_dpp v37, v46 row_shr:1 row_mask:0xf bank_mask:0xf
	v_mov_b32_dpp v32, v67 row_shr:1 row_mask:0xf bank_mask:0xf
	v_mul_f32_e32 v47, v67, v32
	v_fma_f32 v32, v67, v37, v46
	v_cndmask_b32_e64 v43, v32, v46, s[6:7]
	v_cndmask_b32_e64 v32, v32, v46, s[6:7]
	;; [unrolled: 1-line block ×4, first 2 shown]
	v_mov_b32_dpp v47, v32 row_shr:2 row_mask:0xf bank_mask:0xf
	v_mov_b32_dpp v46, v37 row_shr:2 row_mask:0xf bank_mask:0xf
	s_and_saveexec_b64 s[26:27], s[8:9]
; %bb.32:                               ;   in Loop: Header=BB1_25 Depth=2
	v_fmac_f32_e32 v32, v37, v47
	v_mul_f32_e32 v37, v37, v46
	v_mov_b32_e32 v40, v37
	v_mov_b32_e32 v43, v32
; %bb.33:                               ;   in Loop: Header=BB1_25 Depth=2
	s_or_b64 exec, exec, s[26:27]
	v_mov_b32_dpp v46, v37 row_shr:4 row_mask:0xf bank_mask:0xf
	v_mov_b32_dpp v47, v32 row_shr:4 row_mask:0xf bank_mask:0xf
	s_and_saveexec_b64 s[26:27], s[10:11]
; %bb.34:                               ;   in Loop: Header=BB1_25 Depth=2
	v_fmac_f32_e32 v32, v37, v47
	v_mul_f32_e32 v37, v37, v46
	v_mov_b32_e32 v40, v37
	v_mov_b32_e32 v43, v32
; %bb.35:                               ;   in Loop: Header=BB1_25 Depth=2
	s_or_b64 exec, exec, s[26:27]
	;; [unrolled: 10-line block ×3, first 2 shown]
	v_mov_b32_dpp v46, v37 row_bcast:15 row_mask:0xf bank_mask:0xf
	v_mov_b32_dpp v47, v32 row_bcast:15 row_mask:0xf bank_mask:0xf
	s_and_saveexec_b64 s[26:27], s[14:15]
; %bb.38:                               ;   in Loop: Header=BB1_25 Depth=2
	v_fmac_f32_e32 v32, v37, v47
	v_mul_f32_e32 v37, v37, v46
	v_mov_b32_e32 v40, v37
	v_mov_b32_e32 v43, v32
; %bb.39:                               ;   in Loop: Header=BB1_25 Depth=2
	s_or_b64 exec, exec, s[26:27]
	v_mov_b32_dpp v46, v37 row_bcast:31 row_mask:0xf bank_mask:0xf
	v_mov_b32_dpp v47, v32 row_bcast:31 row_mask:0xf bank_mask:0xf
	v_mul_f32_e32 v46, v37, v46
	v_fmac_f32_e32 v32, v37, v47
	v_cndmask_b32_e64 v46, v40, v46, s[16:17]
	v_cndmask_b32_e64 v47, v43, v32, s[16:17]
	s_and_saveexec_b64 s[26:27], s[2:3]
	s_cbranch_execz .LBB1_41
; %bb.40:                               ;   in Loop: Header=BB1_25 Depth=2
	ds_write_b64 v3, v[46:47] offset:1056
.LBB1_41:                               ;   in Loop: Header=BB1_25 Depth=2
	s_or_b64 exec, exec, s[26:27]
	ds_bpermute_b32 v40, v64, v46
	ds_bpermute_b32 v43, v64, v47
	s_waitcnt lgkmcnt(0)
	; wave barrier
	s_waitcnt lgkmcnt(0)
	s_and_saveexec_b64 s[26:27], s[0:1]
	s_cbranch_execz .LBB1_45
; %bb.42:                               ;   in Loop: Header=BB1_25 Depth=2
	ds_read_b64 v[46:47], v3 offset:1056
	s_and_saveexec_b64 s[68:69], s[4:5]
	s_cbranch_execz .LBB1_44
; %bb.43:                               ;   in Loop: Header=BB1_25 Depth=2
	v_mov_b32_e32 v37, v33
	ds_write_b64 v3, v[36:37] offset:1056
.LBB1_44:                               ;   in Loop: Header=BB1_25 Depth=2
	s_or_b64 exec, exec, s[68:69]
	s_waitcnt lgkmcnt(0)
	v_mul_f32_e32 v37, v46, v33
	v_pk_add_f32 v[32:33], v[36:37], v[46:47]
	v_mul_f32_e32 v36, v36, v46
.LBB1_45:                               ;   in Loop: Header=BB1_25 Depth=2
	s_or_b64 exec, exec, s[26:27]
	s_waitcnt lgkmcnt(0)
	; wave barrier
	ds_read_b32 v32, v3 offset:1060
	s_and_saveexec_b64 s[26:27], s[4:5]
	s_cbranch_execz .LBB1_24
; %bb.46:                               ;   in Loop: Header=BB1_25 Depth=2
	v_mov_b32_e32 v37, v33
	v_mov_b32_e32 v46, s90
	s_andn2_b64 vcc, exec, s[60:61]
	ds_write_b64 v46, v[36:37]
	s_cbranch_vccnz .LBB1_24
; %bb.47:                               ;   in Loop: Header=BB1_25 Depth=2
	v_bfe_u32 v36, v33, 16, 1
	s_mov_b32 s67, s35
	v_add3_u32 v36, v33, v36, s85
	s_lshl_b64 s[68:69], s[66:67], 1
	v_lshrrev_b32_e32 v36, 16, v36
	v_cmp_o_f32_e32 vcc, v33, v33
	s_add_u32 s68, s41, s68
	s_addc_u32 s69, s45, s69
	v_cndmask_b32_e32 v33, v53, v36, vcc
	global_store_short v3, v33, s[68:69]
	s_branch .LBB1_24
.LBB1_48:                               ;   in Loop: Header=BB1_12 Depth=1
	v_bfe_u32 v26, v23, 16, 1
	v_bfe_u32 v25, v22, 16, 1
	v_add3_u32 v26, v23, v26, s85
	v_bfe_u32 v24, v20, 16, 1
	v_add3_u32 v25, v22, v25, s85
	v_and_b32_e32 v26, 0xffff0000, v26
	v_cmp_o_f32_e32 vcc, v23, v23
	v_bfe_u32 v13, v21, 16, 1
	v_add3_u32 v24, v20, v24, s85
	v_lshrrev_b32_e32 v25, 16, v25
	v_cndmask_b32_e32 v26, v54, v26, vcc
	v_cmp_o_f32_e32 vcc, v22, v22
	v_add3_u32 v13, v21, v13, s85
	v_and_b32_e32 v24, 0xffff0000, v24
	v_cndmask_b32_e32 v25, v53, v25, vcc
	v_cmp_o_f32_e32 vcc, v20, v20
	v_lshrrev_b32_e32 v13, 16, v13
	s_mov_b32 s57, s35
	v_cndmask_b32_e32 v24, v54, v24, vcc
	v_cmp_o_f32_e32 vcc, v21, v21
	v_or3_b32 v25, 0, v25, v26
	v_lshl_add_u64 v[26:27], s[56:57], 1, v[4:5]
	v_cndmask_b32_e32 v13, v53, v13, vcc
	v_or_b32_e32 v13, v24, v13
	v_or3_b32 v24, v13, 0, 0
	s_waitcnt lgkmcnt(0)
	; wave barrier
	global_store_dwordx2 v[26:27], v[24:25], off
	s_waitcnt lgkmcnt(0)
	; wave barrier
	s_and_saveexec_b64 s[6:7], s[0:1]
	s_cbranch_execz .LBB1_11
; %bb.49:                               ;   in Loop: Header=BB1_12 Depth=1
	v_lshl_add_u64 v[18:19], s[56:57], 1, v[6:7]
	global_load_dwordx2 v[18:19], v[18:19], off
	s_waitcnt vmcnt(0)
	v_alignbit_b32 v18, v18, v18, 16
	s_branch .LBB1_11
.LBB1_50:
	s_endpgm
	.section	.rodata,"a",@progbits
	.p2align	6, 0x0
	.amdhsa_kernel _Z25selective_scan_fwd_kernelI32Selective_Scan_fwd_kernel_traitsILi64ELi4ELi1ELb1ELb1ELb1ELb1ELb0EN3c108BFloat16EfS2_EEv13SSMParamsBase
		.amdhsa_group_segment_fixed_size 0
		.amdhsa_private_segment_fixed_size 0
		.amdhsa_kernarg_size 248
		.amdhsa_user_sgpr_count 2
		.amdhsa_user_sgpr_dispatch_ptr 0
		.amdhsa_user_sgpr_queue_ptr 0
		.amdhsa_user_sgpr_kernarg_segment_ptr 1
		.amdhsa_user_sgpr_dispatch_id 0
		.amdhsa_user_sgpr_kernarg_preload_length 0
		.amdhsa_user_sgpr_kernarg_preload_offset 0
		.amdhsa_user_sgpr_private_segment_size 0
		.amdhsa_uses_dynamic_stack 0
		.amdhsa_enable_private_segment 0
		.amdhsa_system_sgpr_workgroup_id_x 1
		.amdhsa_system_sgpr_workgroup_id_y 1
		.amdhsa_system_sgpr_workgroup_id_z 0
		.amdhsa_system_sgpr_workgroup_info 0
		.amdhsa_system_vgpr_workitem_id 0
		.amdhsa_next_free_vgpr 68
		.amdhsa_next_free_sgpr 91
		.amdhsa_accum_offset 68
		.amdhsa_reserve_vcc 1
		.amdhsa_float_round_mode_32 0
		.amdhsa_float_round_mode_16_64 0
		.amdhsa_float_denorm_mode_32 3
		.amdhsa_float_denorm_mode_16_64 3
		.amdhsa_dx10_clamp 1
		.amdhsa_ieee_mode 1
		.amdhsa_fp16_overflow 0
		.amdhsa_tg_split 0
		.amdhsa_exception_fp_ieee_invalid_op 0
		.amdhsa_exception_fp_denorm_src 0
		.amdhsa_exception_fp_ieee_div_zero 0
		.amdhsa_exception_fp_ieee_overflow 0
		.amdhsa_exception_fp_ieee_underflow 0
		.amdhsa_exception_fp_ieee_inexact 0
		.amdhsa_exception_int_div_zero 0
	.end_amdhsa_kernel
	.section	.text._Z25selective_scan_fwd_kernelI32Selective_Scan_fwd_kernel_traitsILi64ELi4ELi1ELb1ELb1ELb1ELb1ELb0EN3c108BFloat16EfS2_EEv13SSMParamsBase,"axG",@progbits,_Z25selective_scan_fwd_kernelI32Selective_Scan_fwd_kernel_traitsILi64ELi4ELi1ELb1ELb1ELb1ELb1ELb0EN3c108BFloat16EfS2_EEv13SSMParamsBase,comdat
.Lfunc_end1:
	.size	_Z25selective_scan_fwd_kernelI32Selective_Scan_fwd_kernel_traitsILi64ELi4ELi1ELb1ELb1ELb1ELb1ELb0EN3c108BFloat16EfS2_EEv13SSMParamsBase, .Lfunc_end1-_Z25selective_scan_fwd_kernelI32Selective_Scan_fwd_kernel_traitsILi64ELi4ELi1ELb1ELb1ELb1ELb1ELb0EN3c108BFloat16EfS2_EEv13SSMParamsBase
                                        ; -- End function
	.section	.AMDGPU.csdata,"",@progbits
; Kernel info:
; codeLenInByte = 6284
; NumSgprs: 97
; NumVgprs: 68
; NumAgprs: 0
; TotalNumVgprs: 68
; ScratchSize: 0
; MemoryBound: 0
; FloatMode: 240
; IeeeMode: 1
; LDSByteSize: 0 bytes/workgroup (compile time only)
; SGPRBlocks: 12
; VGPRBlocks: 8
; NumSGPRsForWavesPerEU: 97
; NumVGPRsForWavesPerEU: 68
; AccumOffset: 68
; Occupancy: 7
; WaveLimiterHint : 0
; COMPUTE_PGM_RSRC2:SCRATCH_EN: 0
; COMPUTE_PGM_RSRC2:USER_SGPR: 2
; COMPUTE_PGM_RSRC2:TRAP_HANDLER: 0
; COMPUTE_PGM_RSRC2:TGID_X_EN: 1
; COMPUTE_PGM_RSRC2:TGID_Y_EN: 1
; COMPUTE_PGM_RSRC2:TGID_Z_EN: 0
; COMPUTE_PGM_RSRC2:TIDIG_COMP_CNT: 0
; COMPUTE_PGM_RSRC3_GFX90A:ACCUM_OFFSET: 16
; COMPUTE_PGM_RSRC3_GFX90A:TG_SPLIT: 0
	.section	.text._Z25selective_scan_fwd_kernelI32Selective_Scan_fwd_kernel_traitsILi64ELi4ELi1ELb1ELb1ELb1ELb0ELb1EN3c108BFloat16EfS2_EEv13SSMParamsBase,"axG",@progbits,_Z25selective_scan_fwd_kernelI32Selective_Scan_fwd_kernel_traitsILi64ELi4ELi1ELb1ELb1ELb1ELb0ELb1EN3c108BFloat16EfS2_EEv13SSMParamsBase,comdat
	.protected	_Z25selective_scan_fwd_kernelI32Selective_Scan_fwd_kernel_traitsILi64ELi4ELi1ELb1ELb1ELb1ELb0ELb1EN3c108BFloat16EfS2_EEv13SSMParamsBase ; -- Begin function _Z25selective_scan_fwd_kernelI32Selective_Scan_fwd_kernel_traitsILi64ELi4ELi1ELb1ELb1ELb1ELb0ELb1EN3c108BFloat16EfS2_EEv13SSMParamsBase
	.globl	_Z25selective_scan_fwd_kernelI32Selective_Scan_fwd_kernel_traitsILi64ELi4ELi1ELb1ELb1ELb1ELb0ELb1EN3c108BFloat16EfS2_EEv13SSMParamsBase
	.p2align	8
	.type	_Z25selective_scan_fwd_kernelI32Selective_Scan_fwd_kernel_traitsILi64ELi4ELi1ELb1ELb1ELb1ELb0ELb1EN3c108BFloat16EfS2_EEv13SSMParamsBase,@function
_Z25selective_scan_fwd_kernelI32Selective_Scan_fwd_kernel_traitsILi64ELi4ELi1ELb1ELb1ELb1ELb0ELb1EN3c108BFloat16EfS2_EEv13SSMParamsBase: ; @_Z25selective_scan_fwd_kernelI32Selective_Scan_fwd_kernel_traitsILi64ELi4ELi1ELb1ELb1ELb1ELb0ELb1EN3c108BFloat16EfS2_EEv13SSMParamsBase
; %bb.0:
	s_load_dword s27, s[0:1], 0x18
	s_load_dwordx4 s[4:7], s[0:1], 0xe0
	s_load_dwordx2 s[10:11], s[0:1], 0xf0
	s_mov_b32 s20, s3
	s_ashr_i32 s3, s2, 31
	s_waitcnt lgkmcnt(0)
	s_abs_i32 s26, s27
	v_cvt_f32_u32_e32 v1, s26
	s_lshl_b64 s[8:9], s[2:3], 2
	s_add_u32 s24, s4, s8
	s_addc_u32 s25, s5, s9
	v_rcp_iflag_f32_e32 v1, v1
	s_cmp_eq_u64 s[10:11], 0
	v_mul_f32_e32 v1, 0x4f7ffffe, v1
	v_cvt_u32_f32_e32 v1, v1
	s_nop 0
	v_readfirstlane_b32 s28, v1
	s_cbranch_scc1 .LBB2_86
; %bb.1:
	s_add_u32 s4, s10, s2
	s_addc_u32 s5, s11, s3
	v_mov_b32_e32 v1, 0
	global_load_ubyte v1, v1, s[4:5]
	s_waitcnt vmcnt(0)
	v_and_b32_e32 v1, 1, v1
	v_cmp_eq_u32_e64 s[52:53], 1, v1
	s_load_dwordx2 s[4:5], s[0:1], 0x20
	s_cmp_eq_u64 s[6:7], 0
	s_cbranch_scc1 .LBB2_3
.LBB2_2:
	s_add_u32 s2, s6, s8
	s_addc_u32 s3, s7, s9
	s_load_dword s2, s[2:3], 0x0
	s_waitcnt lgkmcnt(0)
	s_ashr_i32 s3, s2, 31
.LBB2_3:
	s_waitcnt lgkmcnt(0)
	s_cmp_eq_u64 s[4:5], s[2:3]
	s_cbranch_scc1 .LBB2_85
; %bb.4:
	s_load_dwordx16 s[4:19], s[0:1], 0x88
	s_load_dwordx2 s[22:23], s[24:25], 0x0
	s_mov_b32 s33, 0
	s_mov_b32 s78, 0
	s_waitcnt lgkmcnt(0)
	s_cmp_eq_u64 s[10:11], 0
	s_cbranch_scc1 .LBB2_6
; %bb.5:
	s_ashr_i32 s21, s20, 31
	s_lshl_b64 s[24:25], s[20:21], 2
	s_add_u32 s10, s10, s24
	s_addc_u32 s11, s11, s25
	s_load_dword s78, s[10:11], 0x0
.LBB2_6:
	s_cmp_eq_u64 s[16:17], 0
	s_cbranch_scc1 .LBB2_8
; %bb.7:
	s_ashr_i32 s21, s20, 31
	s_lshl_b64 s[10:11], s[20:21], 2
	s_add_u32 s10, s16, s10
	s_addc_u32 s11, s17, s11
	s_load_dword s33, s[10:11], 0x0
.LBB2_8:
	s_sub_i32 s79, s23, s22
	s_cmp_lt_i32 s79, 1
	s_cbranch_scc1 .LBB2_85
; %bb.9:
	s_sub_i32 s3, 0, s26
	s_mul_i32 s3, s3, s28
	s_mul_hi_u32 s3, s28, s3
	s_load_dwordx8 s[40:47], s[0:1], 0x2c
	s_load_dwordx2 s[16:17], s[0:1], 0x5c
	s_load_dwordx4 s[48:51], s[0:1], 0x4c
	s_abs_i32 s21, s20
	s_add_i32 s28, s28, s3
	s_load_dwordx4 s[36:39], s[0:1], 0x7c
	s_load_dwordx2 s[10:11], s[0:1], 0x6c
	s_load_dwordx2 s[24:25], s[0:1], 0xc8
	s_mul_hi_u32 s3, s21, s28
	s_waitcnt lgkmcnt(0)
	s_load_dword s39, s[0:1], 0xc
	s_load_dword s23, s[0:1], 0x28
	s_ashr_i32 s0, s20, 31
	s_ashr_i32 s1, s27, 31
	s_xor_b32 s0, s0, s1
	s_mul_i32 s1, s3, s26
	s_sub_i32 s1, s21, s1
	s_add_i32 s21, s3, 1
	s_sub_i32 s27, s1, s26
	s_cmp_ge_u32 s1, s26
	s_cselect_b32 s3, s21, s3
	s_cselect_b32 s1, s27, s1
	s_add_i32 s21, s3, 1
	s_cmp_ge_u32 s1, s26
	s_cselect_b32 s1, s21, s3
	s_xor_b32 s1, s1, s0
	s_mul_i32 s54, s22, s50
	s_mov_b32 s55, 0
	s_sub_i32 s3, s1, s0
	s_lshl_b64 s[0:1], s[54:55], 1
	s_add_u32 s12, s12, s0
	s_mul_i32 s54, s51, s20
	s_addc_u32 s13, s13, s1
	s_lshl_b64 s[0:1], s[54:55], 1
	s_add_u32 s50, s12, s0
	s_mul_i32 s54, s22, s16
	s_addc_u32 s51, s13, s1
	;; [unrolled: 4-line block ×9, first 2 shown]
	s_lshl_b64 s[0:1], s[54:55], 1
	s_add_u32 s2, s24, s0
	s_mul_i32 s54, s37, s20
	v_mbcnt_lo_u32_b32 v2, -1, 0
	s_addc_u32 s3, s25, s1
	s_lshl_b64 s[0:1], s[54:55], 1
	v_mbcnt_hi_u32_b32 v2, -1, v2
	s_add_u32 s45, s2, s0
	v_lshrrev_b32_e32 v3, 5, v2
	s_addc_u32 s49, s3, s1
	s_add_i32 s0, s79, 0x7ff
	v_and_b32_e32 v3, 2, v3
	s_lshr_b32 s81, s0, 11
	v_add_u32_e32 v38, 64, v2
	v_or_b32_e32 v39, 0x80, v2
	v_add_u32_e32 v40, 0xc0, v2
	v_add_u32_e32 v3, v3, v2
	v_lshl_add_u32 v41, v3, 1, 0
	v_lshrrev_b32_e32 v3, 5, v38
	v_lshrrev_b32_e32 v4, 5, v39
	;; [unrolled: 1-line block ×3, first 2 shown]
	s_waitcnt lgkmcnt(0)
	s_bitcmp1_b32 s23, 0
	v_and_b32_e32 v3, 6, v3
	v_and_b32_e32 v4, 6, v4
	;; [unrolled: 1-line block ×3, first 2 shown]
	s_cselect_b64 s[58:59], -1, 0
	s_cmp_gt_i32 s39, 0
	v_add_lshl_u32 v3, v3, v2, 1
	v_add_lshl_u32 v4, v4, v2, 1
	;; [unrolled: 1-line block ×3, first 2 shown]
	s_cselect_b64 s[60:61], -1, 0
	s_add_i32 s0, 0, 0x210
	s_mul_i32 s54, s22, s10
	v_add_u32_e32 v46, s0, v3
	v_add_u32_e32 v47, s0, v4
	;; [unrolled: 1-line block ×3, first 2 shown]
	s_and_b32 s2, s79, 0xff
	s_add_i32 s82, s81, -1
	s_lshl_b64 s[0:1], s[54:55], 1
	s_add_u32 s3, s18, s0
	s_mul_i32 s54, s11, s20
	s_addc_u32 s4, s19, s1
	s_lshl_b64 s[0:1], s[54:55], 1
	s_add_u32 s18, s3, s0
	v_add_u32_e32 v42, 0, v3
	s_addc_u32 s19, s4, s1
	v_and_b32_e32 v3, 15, v2
	s_cmp_eq_u32 s2, 0
	v_cmp_eq_u32_e64 s[0:1], 0, v3
	v_cmp_lt_u32_e64 s[2:3], 1, v3
	v_cmp_lt_u32_e64 s[4:5], 3, v3
	;; [unrolled: 1-line block ×3, first 2 shown]
	v_and_b32_e32 v3, 16, v2
	v_add_u32_e32 v43, 0, v4
	v_lshrrev_b32_e32 v6, 3, v2
	v_cmp_ne_u32_e64 s[8:9], 0, v3
	v_add_u32_e32 v3, -1, v2
	v_and_b32_e32 v4, 64, v2
	v_and_b32_e32 v6, 14, v6
	v_cmp_lt_i32_e32 vcc, v3, v4
	v_mov_b32_e32 v1, 0
	v_lshlrev_b32_e32 v7, 2, v0
	v_lshl_add_u32 v6, v2, 2, v6
	v_cmp_eq_u32_e64 s[12:13], 63, v0
	v_cndmask_b32_e32 v3, v3, v2, vcc
	v_cmp_gt_u32_e64 s[14:15], 64, v0
	v_cmp_eq_u32_e64 s[16:17], 0, v0
	v_lshlrev_b32_e32 v0, 1, v2
                                        ; implicit-def: $vgpr8
	v_add_u32_e32 v44, 0, v5
	v_lshl_add_u32 v45, v6, 1, 0
	s_cselect_b64 s[62:63], -1, 0
	v_cmp_lt_u32_e64 s[10:11], 31, v2
	v_lshlrev_b32_e32 v49, 2, v3
	v_lshl_add_u64 v[4:5], s[18:19], 0, v[0:1]
	v_or_b32_e32 v3, 1, v7
	v_or_b32_e32 v6, 2, v7
	;; [unrolled: 1-line block ×3, first 2 shown]
	v_lshlrev_b32_e32 v0, 1, v2
	s_mov_b32 s83, 0x41a00000
	s_mov_b32 s84, 0x3fb8aa3b
	;; [unrolled: 1-line block ×6, first 2 shown]
	v_mov_b32_e32 v51, 0x3ecc95a3
	s_mov_b32 s89, 0x3f317218
	s_mov_b32 s90, 0x33800000
	s_add_i32 s91, 0, 0x428
	s_mov_b32 s92, 0xc2fc0000
	s_movk_i32 s93, 0x7fff
	s_mov_b32 s94, 0x5040100
	v_mov_b32_e32 v52, 0x7f800000
	v_mov_b32_e32 v8, 0x3f317218
	;; [unrolled: 1-line block ×5, first 2 shown]
	s_mov_b32 s95, 0
	s_branch .LBB2_11
.LBB2_10:                               ;   in Loop: Header=BB2_11 Depth=1
	s_or_b64 exec, exec, s[18:19]
	s_add_u32 s56, s56, 0x200
	s_addc_u32 s57, s57, 0
	s_add_u32 s50, s50, 0x200
	s_addc_u32 s51, s51, 0
	;; [unrolled: 2-line block ×4, first 2 shown]
	s_add_i32 s95, s95, 1
	s_cmp_eq_u32 s95, s81
	s_cbranch_scc1 .LBB2_85
.LBB2_11:                               ; =>This Loop Header: Depth=1
                                        ;     Child Loop BB2_36 Depth 2
	s_lshl_b32 s64, s95, 8
	s_sub_i32 s34, s79, s64
	v_lshl_add_u64 v[10:11], s[50:51], 0, v[0:1]
	v_cmp_gt_u32_e64 s[18:19], s34, v2
	s_waitcnt lgkmcnt(1)
	v_mov_b32_e32 v12, 0
	s_waitcnt lgkmcnt(0)
	; wave barrier
	s_and_saveexec_b64 s[20:21], s[18:19]
	s_cbranch_execz .LBB2_13
; %bb.12:                               ;   in Loop: Header=BB2_11 Depth=1
	global_load_ushort v12, v[10:11], off
.LBB2_13:                               ;   in Loop: Header=BB2_11 Depth=1
	s_or_b64 exec, exec, s[20:21]
	v_cmp_gt_u32_e64 s[20:21], s34, v38
	v_mov_b32_e32 v13, 0
	v_mov_b32_e32 v14, 0
	s_and_saveexec_b64 s[22:23], s[20:21]
	s_cbranch_execz .LBB2_15
; %bb.14:                               ;   in Loop: Header=BB2_11 Depth=1
	global_load_ushort v14, v[10:11], off offset:128
.LBB2_15:                               ;   in Loop: Header=BB2_11 Depth=1
	s_or_b64 exec, exec, s[22:23]
	v_cmp_gt_u32_e64 s[22:23], s34, v39
	s_and_saveexec_b64 s[24:25], s[22:23]
	s_cbranch_execz .LBB2_17
; %bb.16:                               ;   in Loop: Header=BB2_11 Depth=1
	global_load_ushort v13, v[10:11], off offset:256
.LBB2_17:                               ;   in Loop: Header=BB2_11 Depth=1
	s_or_b64 exec, exec, s[24:25]
	v_cmp_gt_u32_e64 s[24:25], s34, v40
	s_waitcnt lgkmcnt(0)
	v_mov_b32_e32 v9, 0
	v_mov_b32_e32 v15, 0
	s_and_saveexec_b64 s[26:27], s[24:25]
	s_cbranch_execz .LBB2_19
; %bb.18:                               ;   in Loop: Header=BB2_11 Depth=1
	global_load_ushort v15, v[10:11], off offset:384
.LBB2_19:                               ;   in Loop: Header=BB2_11 Depth=1
	s_or_b64 exec, exec, s[26:27]
	s_waitcnt vmcnt(0)
	ds_write_b16 v41, v12
	ds_write_b16 v42, v14 offset:128
	ds_write_b16 v43, v13 offset:256
	;; [unrolled: 1-line block ×3, first 2 shown]
	; wave barrier
	ds_read_b64 v[12:13], v45
	v_lshl_add_u64 v[10:11], s[56:57], 0, v[0:1]
	s_waitcnt lgkmcnt(0)
	; wave barrier
	s_waitcnt lgkmcnt(0)
	s_and_saveexec_b64 s[26:27], s[18:19]
	s_cbranch_execz .LBB2_21
; %bb.20:                               ;   in Loop: Header=BB2_11 Depth=1
	global_load_ushort v9, v[10:11], off
.LBB2_21:                               ;   in Loop: Header=BB2_11 Depth=1
	s_or_b64 exec, exec, s[26:27]
	v_mov_b32_e32 v14, 0
	v_mov_b32_e32 v15, 0
	s_and_saveexec_b64 s[26:27], s[20:21]
	s_cbranch_execnz .LBB2_79
; %bb.22:                               ;   in Loop: Header=BB2_11 Depth=1
	s_or_b64 exec, exec, s[26:27]
	s_and_saveexec_b64 s[26:27], s[22:23]
	s_cbranch_execnz .LBB2_80
.LBB2_23:                               ;   in Loop: Header=BB2_11 Depth=1
	s_or_b64 exec, exec, s[26:27]
	v_mov_b32_e32 v16, 0
	s_and_saveexec_b64 s[26:27], s[24:25]
	s_cbranch_execz .LBB2_25
.LBB2_24:                               ;   in Loop: Header=BB2_11 Depth=1
	global_load_ushort v16, v[10:11], off offset:384
.LBB2_25:                               ;   in Loop: Header=BB2_11 Depth=1
	s_or_b64 exec, exec, s[26:27]
	s_waitcnt vmcnt(0)
	ds_write_b16 v41, v9
	ds_write_b16 v42, v15 offset:128
	ds_write_b16 v43, v14 offset:256
	;; [unrolled: 1-line block ×3, first 2 shown]
	; wave barrier
	ds_read_b64 v[14:15], v45
	s_waitcnt lgkmcnt(0)
	v_lshlrev_b32_e32 v9, 16, v14
	v_add_f32_e32 v56, s33, v9
	v_cmp_ge_f32_e32 vcc, s83, v56
	s_and_b64 s[26:27], s[58:59], vcc
	s_and_saveexec_b64 s[28:29], s[26:27]
	s_cbranch_execz .LBB2_27
; %bb.26:                               ;   in Loop: Header=BB2_11 Depth=1
	v_mul_f32_e32 v9, 0x3fb8aa3b, v56
	v_rndne_f32_e32 v10, v9
	v_sub_f32_e32 v11, v9, v10
	v_fma_f32 v9, v56, s84, -v9
	v_fmac_f32_e32 v9, 0x32a5705f, v56
	v_add_f32_e32 v9, v11, v9
	v_cvt_i32_f32_e32 v10, v10
	v_exp_f32_e32 v9, v9
	v_cmp_ngt_f32_e32 vcc, s85, v56
	v_ldexp_f32 v9, v9, v10
	s_nop 0
	v_cndmask_b32_e32 v9, 0, v9, vcc
	v_cmp_nlt_f32_e32 vcc, s86, v56
	s_nop 1
	v_cndmask_b32_e32 v30, v52, v9, vcc
	v_add_f32_e32 v9, 1.0, v30
	v_add_f32_e32 v10, -1.0, v9
	v_sub_f32_e32 v11, v10, v9
	v_add_f32_e32 v11, 1.0, v11
	v_sub_f32_e32 v10, v30, v10
	v_add_f32_e32 v16, v10, v11
	v_frexp_mant_f32_e32 v17, v9
	v_cvt_f64_f32_e32 v[10:11], v9
	v_frexp_exp_i32_f64_e32 v10, v[10:11]
	v_cmp_gt_f32_e32 vcc, s88, v17
	v_cmp_gt_f32_e64 s[26:27], s90, v30
	s_nop 0
	v_subbrev_co_u32_e32 v22, vcc, 0, v10, vcc
	v_sub_u32_e32 v10, 0, v22
	v_ldexp_f32 v9, v9, v10
	v_ldexp_f32 v10, v16, v10
	v_add_f32_e32 v16, -1.0, v9
	v_add_f32_e32 v11, 1.0, v16
	v_sub_f32_e32 v11, v9, v11
	v_add_f32_e32 v17, v10, v11
	v_add_f32_e32 v11, 1.0, v9
	v_add_f32_e32 v18, -1.0, v11
	v_sub_f32_e32 v9, v9, v18
	v_add_f32_e32 v9, v10, v9
	v_add_f32_e32 v23, v11, v9
	v_rcp_f32_e32 v24, v23
	v_sub_f32_e32 v10, v11, v23
	v_add_f32_e32 v11, v16, v17
	v_add_f32_e32 v9, v9, v10
	v_mul_f32_e32 v26, v11, v24
	v_sub_f32_e32 v10, v16, v11
	v_mul_f32_e32 v16, v23, v26
	v_fma_f32 v18, v26, v23, -v16
	v_fmac_f32_e32 v18, v26, v9
	v_add_f32_e32 v25, v17, v10
	v_add_f32_e32 v10, v16, v18
	v_sub_f32_e32 v17, v11, v10
	v_pk_add_f32 v[20:21], v[10:11], v[16:17] neg_lo:[0,1] neg_hi:[0,1]
	v_mov_b32_e32 v19, v10
	v_pk_add_f32 v[10:11], v[20:21], v[18:19] neg_lo:[0,1] neg_hi:[0,1]
	v_cmp_eq_f32_e32 vcc, s87, v30
	v_add_f32_e32 v11, v25, v11
	v_add_f32_e32 v10, v10, v11
	;; [unrolled: 1-line block ×3, first 2 shown]
	v_mul_f32_e32 v25, v24, v11
	v_mul_f32_e32 v16, v23, v25
	v_fma_f32 v18, v25, v23, -v16
	v_fmac_f32_e32 v18, v25, v9
	v_sub_f32_e32 v9, v17, v11
	v_add_f32_e32 v9, v10, v9
	v_add_f32_e32 v10, v16, v18
	v_sub_f32_e32 v17, v11, v10
	v_pk_add_f32 v[20:21], v[10:11], v[16:17] neg_lo:[0,1] neg_hi:[0,1]
	v_mov_b32_e32 v19, v10
	v_pk_add_f32 v[10:11], v[20:21], v[18:19] neg_lo:[0,1] neg_hi:[0,1]
	s_or_b64 vcc, s[26:27], vcc
	v_add_f32_e32 v9, v9, v11
	v_add_f32_e32 v9, v10, v9
	;; [unrolled: 1-line block ×4, first 2 shown]
	v_sub_f32_e32 v10, v11, v26
	v_mul_f32_e32 v9, v24, v9
	v_sub_f32_e32 v10, v25, v10
	v_add_f32_e32 v16, v10, v9
	v_add_f32_e32 v18, v11, v16
	v_cvt_f32_i32_e32 v10, v22
	v_mul_f32_e32 v19, v18, v18
	v_sub_f32_e32 v11, v18, v11
	v_fmamk_f32 v9, v19, 0x3e9b6dac, v51
	v_sub_f32_e32 v11, v16, v11
	v_fmaak_f32 v9, v19, v9, 0x3f2aaada
	v_ldexp_f32 v20, v11, 1
	v_mul_f32_e32 v11, v18, v19
	v_ldexp_f32 v17, v18, 1
	v_pk_mul_f32 v[18:19], v[10:11], v[8:9]
	s_nop 0
	v_fma_f32 v16, v10, s89, -v18
	v_fmac_f32_e32 v16, 0xb102e308, v10
	v_pk_add_f32 v[10:11], v[18:19], v[16:17]
	s_nop 0
	v_sub_f32_e32 v9, v11, v17
	v_sub_f32_e32 v9, v19, v9
	v_add_f32_e32 v21, v20, v9
	v_mov_b32_e32 v20, v18
	v_pk_add_f32 v[18:19], v[10:11], v[18:19] neg_lo:[0,1] neg_hi:[0,1]
	v_pk_add_f32 v[22:23], v[10:11], v[20:21]
	v_mov_b32_e32 v17, v10
	v_mov_b32_e32 v19, v23
	v_pk_add_f32 v[24:25], v[16:17], v[18:19] neg_lo:[0,1] neg_hi:[0,1]
	v_pk_add_f32 v[16:17], v[16:17], v[18:19]
	v_mov_b32_e32 v20, v21
	v_mov_b32_e32 v18, v17
	v_pk_add_f32 v[26:27], v[18:19], v[10:11] neg_lo:[0,1] neg_hi:[0,1]
	v_mov_b32_e32 v16, v23
	v_mov_b32_e32 v9, v26
	v_pk_add_f32 v[28:29], v[22:23], v[8:9] neg_lo:[0,1] neg_hi:[0,1]
	v_mov_b32_e32 v22, v11
	v_mov_b32_e32 v23, v26
	;; [unrolled: 1-line block ×3, first 2 shown]
	v_pk_add_f32 v[16:17], v[16:17], v[22:23] neg_lo:[0,1] neg_hi:[0,1]
	v_mov_b32_e32 v21, v10
	v_pk_add_f32 v[10:11], v[20:21], v[16:17] neg_lo:[0,1] neg_hi:[0,1]
	v_mov_b32_e32 v28, v24
	v_pk_add_f32 v[16:17], v[28:29], v[10:11]
	s_nop 0
	v_mov_b32_e32 v20, v17
	v_pk_add_f32 v[20:21], v[16:17], v[20:21]
	s_nop 0
	v_pk_add_f32 v[18:19], v[18:19], v[20:21]
	v_mov_b32_e32 v11, v20
	v_mov_b32_e32 v17, v18
	v_pk_add_f32 v[22:23], v[16:17], v[24:25] neg_lo:[0,1] neg_hi:[0,1]
	s_nop 0
	v_sub_f32_e32 v9, v16, v22
	v_pk_add_f32 v[10:11], v[10:11], v[22:23] neg_lo:[0,1] neg_hi:[0,1]
	v_sub_f32_e32 v9, v24, v9
	v_add_f32_e32 v9, v10, v9
	v_add_f32_e32 v9, v9, v11
	;; [unrolled: 1-line block ×3, first 2 shown]
	v_cndmask_b32_e32 v56, v9, v30, vcc
.LBB2_27:                               ;   in Loop: Header=BB2_11 Depth=1
	s_or_b64 exec, exec, s[28:29]
	v_and_b32_e32 v9, 0xffff0000, v14
	v_add_f32_e32 v57, s33, v9
	v_cmp_ge_f32_e32 vcc, s83, v57
	s_and_b64 s[26:27], s[58:59], vcc
	s_and_saveexec_b64 s[28:29], s[26:27]
	s_cbranch_execz .LBB2_29
; %bb.28:                               ;   in Loop: Header=BB2_11 Depth=1
	v_mul_f32_e32 v9, 0x3fb8aa3b, v57
	v_rndne_f32_e32 v10, v9
	v_sub_f32_e32 v11, v9, v10
	v_fma_f32 v9, v57, s84, -v9
	v_fmac_f32_e32 v9, 0x32a5705f, v57
	v_add_f32_e32 v9, v11, v9
	v_cvt_i32_f32_e32 v10, v10
	v_exp_f32_e32 v9, v9
	v_cmp_ngt_f32_e32 vcc, s85, v57
	v_ldexp_f32 v9, v9, v10
	s_nop 0
	v_cndmask_b32_e32 v9, 0, v9, vcc
	v_cmp_nlt_f32_e32 vcc, s86, v57
	s_nop 1
	v_cndmask_b32_e32 v28, v52, v9, vcc
	v_add_f32_e32 v9, 1.0, v28
	v_add_f32_e32 v10, -1.0, v9
	v_sub_f32_e32 v11, v10, v9
	v_add_f32_e32 v11, 1.0, v11
	v_sub_f32_e32 v10, v28, v10
	v_add_f32_e32 v14, v10, v11
	v_frexp_mant_f32_e32 v16, v9
	v_cvt_f64_f32_e32 v[10:11], v9
	v_frexp_exp_i32_f64_e32 v10, v[10:11]
	v_cmp_gt_f32_e32 vcc, s88, v16
	v_cmp_gt_f32_e64 s[26:27], s90, v28
	s_nop 0
	v_subbrev_co_u32_e32 v22, vcc, 0, v10, vcc
	v_sub_u32_e32 v10, 0, v22
	v_ldexp_f32 v9, v9, v10
	v_ldexp_f32 v10, v14, v10
	v_add_f32_e32 v14, -1.0, v9
	v_add_f32_e32 v11, 1.0, v14
	v_sub_f32_e32 v11, v9, v11
	v_add_f32_e32 v16, v10, v11
	v_add_f32_e32 v11, 1.0, v9
	v_add_f32_e32 v17, -1.0, v11
	v_sub_f32_e32 v9, v9, v17
	v_add_f32_e32 v9, v10, v9
	v_add_f32_e32 v23, v11, v9
	v_rcp_f32_e32 v24, v23
	v_sub_f32_e32 v10, v11, v23
	v_add_f32_e32 v11, v14, v16
	v_add_f32_e32 v9, v9, v10
	v_sub_f32_e32 v10, v14, v11
	v_mul_f32_e32 v25, v11, v24
	v_add_f32_e32 v14, v16, v10
	v_mul_f32_e32 v16, v23, v25
	v_fma_f32 v18, v25, v23, -v16
	v_fmac_f32_e32 v18, v25, v9
	v_add_f32_e32 v10, v16, v18
	v_sub_f32_e32 v17, v11, v10
	v_pk_add_f32 v[20:21], v[10:11], v[16:17] neg_lo:[0,1] neg_hi:[0,1]
	v_mov_b32_e32 v19, v10
	v_pk_add_f32 v[10:11], v[20:21], v[18:19] neg_lo:[0,1] neg_hi:[0,1]
	v_cmp_eq_f32_e32 vcc, s87, v28
	v_add_f32_e32 v11, v14, v11
	v_add_f32_e32 v10, v10, v11
	;; [unrolled: 1-line block ×3, first 2 shown]
	v_mul_f32_e32 v14, v24, v11
	v_mul_f32_e32 v16, v23, v14
	v_fma_f32 v18, v14, v23, -v16
	v_fmac_f32_e32 v18, v14, v9
	v_sub_f32_e32 v9, v17, v11
	v_add_f32_e32 v9, v10, v9
	v_add_f32_e32 v10, v16, v18
	v_sub_f32_e32 v17, v11, v10
	v_pk_add_f32 v[20:21], v[10:11], v[16:17] neg_lo:[0,1] neg_hi:[0,1]
	v_mov_b32_e32 v19, v10
	v_pk_add_f32 v[10:11], v[20:21], v[18:19] neg_lo:[0,1] neg_hi:[0,1]
	s_or_b64 vcc, s[26:27], vcc
	v_add_f32_e32 v9, v9, v11
	v_add_f32_e32 v9, v10, v9
	;; [unrolled: 1-line block ×4, first 2 shown]
	v_sub_f32_e32 v10, v11, v25
	v_mul_f32_e32 v9, v24, v9
	v_sub_f32_e32 v10, v14, v10
	v_add_f32_e32 v14, v10, v9
	v_add_f32_e32 v16, v11, v14
	v_cvt_f32_i32_e32 v10, v22
	v_mul_f32_e32 v18, v16, v16
	v_sub_f32_e32 v11, v16, v11
	v_fmamk_f32 v9, v18, 0x3e9b6dac, v51
	v_sub_f32_e32 v11, v14, v11
	v_fmaak_f32 v9, v18, v9, 0x3f2aaada
	v_ldexp_f32 v14, v11, 1
	v_mul_f32_e32 v11, v16, v18
	v_pk_mul_f32 v[18:19], v[10:11], v[8:9]
	v_ldexp_f32 v17, v16, 1
	v_fma_f32 v16, v10, s89, -v18
	v_fmac_f32_e32 v16, 0xb102e308, v10
	v_pk_add_f32 v[10:11], v[18:19], v[16:17]
	v_mov_b32_e32 v20, v18
	v_sub_f32_e32 v9, v11, v17
	v_sub_f32_e32 v9, v19, v9
	v_add_f32_e32 v21, v14, v9
	v_pk_add_f32 v[18:19], v[10:11], v[18:19] neg_lo:[0,1] neg_hi:[0,1]
	v_pk_add_f32 v[22:23], v[10:11], v[20:21]
	v_mov_b32_e32 v17, v10
	v_mov_b32_e32 v19, v23
	v_pk_add_f32 v[24:25], v[16:17], v[18:19] neg_lo:[0,1] neg_hi:[0,1]
	v_pk_add_f32 v[16:17], v[16:17], v[18:19]
	s_nop 0
	v_mov_b32_e32 v14, v17
	v_pk_add_f32 v[18:19], v[14:15], v[10:11] neg_lo:[0,1] neg_hi:[0,1]
	v_mov_b32_e32 v16, v23
	v_mov_b32_e32 v9, v18
	v_pk_add_f32 v[26:27], v[22:23], v[8:9] neg_lo:[0,1] neg_hi:[0,1]
	v_mov_b32_e32 v22, v11
	v_mov_b32_e32 v23, v18
	;; [unrolled: 1-line block ×3, first 2 shown]
	v_pk_add_f32 v[16:17], v[16:17], v[22:23] neg_lo:[0,1] neg_hi:[0,1]
	v_mov_b32_e32 v18, v21
	v_mov_b32_e32 v19, v10
	v_pk_add_f32 v[10:11], v[18:19], v[16:17] neg_lo:[0,1] neg_hi:[0,1]
	v_mov_b32_e32 v26, v24
	v_pk_add_f32 v[16:17], v[26:27], v[10:11]
	s_nop 0
	v_mov_b32_e32 v18, v17
	v_pk_add_f32 v[18:19], v[16:17], v[18:19]
	s_nop 0
	v_pk_add_f32 v[20:21], v[14:15], v[18:19]
	v_mov_b32_e32 v11, v18
	v_mov_b32_e32 v17, v20
	v_pk_add_f32 v[22:23], v[16:17], v[24:25] neg_lo:[0,1] neg_hi:[0,1]
	s_nop 0
	v_sub_f32_e32 v9, v16, v22
	v_pk_add_f32 v[10:11], v[10:11], v[22:23] neg_lo:[0,1] neg_hi:[0,1]
	v_sub_f32_e32 v9, v24, v9
	v_add_f32_e32 v9, v10, v9
	v_add_f32_e32 v9, v9, v11
	v_add_f32_e32 v9, v20, v9
	v_cndmask_b32_e32 v57, v9, v28, vcc
.LBB2_29:                               ;   in Loop: Header=BB2_11 Depth=1
	s_or_b64 exec, exec, s[28:29]
	v_lshlrev_b32_e32 v9, 16, v15
	v_add_f32_e32 v11, s33, v9
	v_cmp_ge_f32_e32 vcc, s83, v11
	s_and_b64 s[26:27], s[58:59], vcc
	s_and_saveexec_b64 s[28:29], s[26:27]
	s_cbranch_execz .LBB2_31
; %bb.30:                               ;   in Loop: Header=BB2_11 Depth=1
	v_mul_f32_e32 v9, 0x3fb8aa3b, v11
	v_rndne_f32_e32 v10, v9
	v_sub_f32_e32 v14, v9, v10
	v_fma_f32 v9, v11, s84, -v9
	v_fmac_f32_e32 v9, 0x32a5705f, v11
	v_add_f32_e32 v9, v14, v9
	v_cvt_i32_f32_e32 v10, v10
	v_exp_f32_e32 v9, v9
	v_cmp_ngt_f32_e32 vcc, s85, v11
	v_ldexp_f32 v9, v9, v10
	s_nop 0
	v_cndmask_b32_e32 v9, 0, v9, vcc
	v_cmp_nlt_f32_e32 vcc, s86, v11
	s_nop 1
	v_cndmask_b32_e32 v28, v52, v9, vcc
	v_add_f32_e32 v9, 1.0, v28
	v_add_f32_e32 v10, -1.0, v9
	v_sub_f32_e32 v11, v10, v9
	v_add_f32_e32 v11, 1.0, v11
	v_sub_f32_e32 v10, v28, v10
	v_add_f32_e32 v14, v10, v11
	v_frexp_mant_f32_e32 v16, v9
	v_cvt_f64_f32_e32 v[10:11], v9
	v_frexp_exp_i32_f64_e32 v10, v[10:11]
	v_cmp_gt_f32_e32 vcc, s88, v16
	v_cmp_gt_f32_e64 s[26:27], s90, v28
	s_nop 0
	v_subbrev_co_u32_e32 v22, vcc, 0, v10, vcc
	v_sub_u32_e32 v10, 0, v22
	v_ldexp_f32 v9, v9, v10
	v_ldexp_f32 v10, v14, v10
	v_add_f32_e32 v14, -1.0, v9
	v_add_f32_e32 v11, 1.0, v14
	v_sub_f32_e32 v11, v9, v11
	v_add_f32_e32 v16, v10, v11
	v_add_f32_e32 v11, 1.0, v9
	v_add_f32_e32 v17, -1.0, v11
	v_sub_f32_e32 v9, v9, v17
	v_add_f32_e32 v9, v10, v9
	v_add_f32_e32 v23, v11, v9
	v_rcp_f32_e32 v24, v23
	v_sub_f32_e32 v10, v11, v23
	v_add_f32_e32 v11, v14, v16
	v_add_f32_e32 v9, v9, v10
	v_sub_f32_e32 v10, v14, v11
	v_mul_f32_e32 v25, v11, v24
	v_add_f32_e32 v14, v16, v10
	v_mul_f32_e32 v16, v23, v25
	v_fma_f32 v18, v25, v23, -v16
	v_fmac_f32_e32 v18, v25, v9
	v_add_f32_e32 v10, v16, v18
	v_sub_f32_e32 v17, v11, v10
	v_pk_add_f32 v[20:21], v[10:11], v[16:17] neg_lo:[0,1] neg_hi:[0,1]
	v_mov_b32_e32 v19, v10
	v_pk_add_f32 v[10:11], v[20:21], v[18:19] neg_lo:[0,1] neg_hi:[0,1]
	v_cmp_eq_f32_e32 vcc, s87, v28
	v_add_f32_e32 v11, v14, v11
	v_add_f32_e32 v10, v10, v11
	;; [unrolled: 1-line block ×3, first 2 shown]
	v_mul_f32_e32 v14, v24, v11
	v_mul_f32_e32 v16, v23, v14
	v_fma_f32 v18, v14, v23, -v16
	v_fmac_f32_e32 v18, v14, v9
	v_sub_f32_e32 v9, v17, v11
	v_add_f32_e32 v9, v10, v9
	v_add_f32_e32 v10, v16, v18
	v_sub_f32_e32 v17, v11, v10
	v_pk_add_f32 v[20:21], v[10:11], v[16:17] neg_lo:[0,1] neg_hi:[0,1]
	v_mov_b32_e32 v19, v10
	v_pk_add_f32 v[10:11], v[20:21], v[18:19] neg_lo:[0,1] neg_hi:[0,1]
	s_or_b64 vcc, s[26:27], vcc
	v_add_f32_e32 v9, v9, v11
	v_add_f32_e32 v9, v10, v9
	v_add_f32_e32 v11, v25, v14
	v_add_f32_e32 v9, v17, v9
	v_sub_f32_e32 v10, v11, v25
	v_mul_f32_e32 v9, v24, v9
	v_sub_f32_e32 v10, v14, v10
	v_add_f32_e32 v14, v10, v9
	v_add_f32_e32 v16, v11, v14
	v_cvt_f32_i32_e32 v10, v22
	v_mul_f32_e32 v18, v16, v16
	v_sub_f32_e32 v11, v16, v11
	v_fmamk_f32 v9, v18, 0x3e9b6dac, v51
	v_sub_f32_e32 v11, v14, v11
	v_fmaak_f32 v9, v18, v9, 0x3f2aaada
	v_ldexp_f32 v14, v11, 1
	v_mul_f32_e32 v11, v16, v18
	v_pk_mul_f32 v[18:19], v[10:11], v[8:9]
	v_ldexp_f32 v17, v16, 1
	v_fma_f32 v16, v10, s89, -v18
	v_fmac_f32_e32 v16, 0xb102e308, v10
	v_pk_add_f32 v[10:11], v[18:19], v[16:17]
	v_mov_b32_e32 v20, v18
	v_sub_f32_e32 v9, v11, v17
	v_sub_f32_e32 v9, v19, v9
	v_add_f32_e32 v21, v14, v9
	v_pk_add_f32 v[18:19], v[10:11], v[18:19] neg_lo:[0,1] neg_hi:[0,1]
	v_pk_add_f32 v[22:23], v[10:11], v[20:21]
	v_mov_b32_e32 v17, v10
	v_mov_b32_e32 v19, v23
	v_pk_add_f32 v[24:25], v[16:17], v[18:19] neg_lo:[0,1] neg_hi:[0,1]
	v_pk_add_f32 v[16:17], v[16:17], v[18:19]
	s_nop 0
	v_mov_b32_e32 v14, v17
	v_pk_add_f32 v[18:19], v[14:15], v[10:11] neg_lo:[0,1] neg_hi:[0,1]
	v_mov_b32_e32 v16, v23
	v_mov_b32_e32 v9, v18
	v_pk_add_f32 v[26:27], v[22:23], v[8:9] neg_lo:[0,1] neg_hi:[0,1]
	v_mov_b32_e32 v22, v11
	v_mov_b32_e32 v23, v18
	;; [unrolled: 1-line block ×3, first 2 shown]
	v_pk_add_f32 v[16:17], v[16:17], v[22:23] neg_lo:[0,1] neg_hi:[0,1]
	v_mov_b32_e32 v18, v21
	v_mov_b32_e32 v19, v10
	v_pk_add_f32 v[10:11], v[18:19], v[16:17] neg_lo:[0,1] neg_hi:[0,1]
	v_mov_b32_e32 v26, v24
	v_pk_add_f32 v[16:17], v[26:27], v[10:11]
	s_nop 0
	v_mov_b32_e32 v18, v17
	v_pk_add_f32 v[18:19], v[16:17], v[18:19]
	s_nop 0
	v_pk_add_f32 v[20:21], v[14:15], v[18:19]
	v_mov_b32_e32 v11, v18
	v_mov_b32_e32 v17, v20
	v_pk_add_f32 v[22:23], v[16:17], v[24:25] neg_lo:[0,1] neg_hi:[0,1]
	s_nop 0
	v_sub_f32_e32 v9, v16, v22
	v_pk_add_f32 v[10:11], v[10:11], v[22:23] neg_lo:[0,1] neg_hi:[0,1]
	v_sub_f32_e32 v9, v24, v9
	v_add_f32_e32 v9, v10, v9
	v_add_f32_e32 v9, v9, v11
	;; [unrolled: 1-line block ×3, first 2 shown]
	v_cndmask_b32_e32 v11, v9, v28, vcc
.LBB2_31:                               ;   in Loop: Header=BB2_11 Depth=1
	s_or_b64 exec, exec, s[28:29]
	v_and_b32_e32 v9, 0xffff0000, v15
	v_add_f32_e32 v10, s33, v9
	v_cmp_ge_f32_e32 vcc, s83, v10
	s_and_b64 s[26:27], s[58:59], vcc
	s_and_saveexec_b64 s[28:29], s[26:27]
	s_cbranch_execz .LBB2_33
; %bb.32:                               ;   in Loop: Header=BB2_11 Depth=1
	v_mul_f32_e32 v9, 0x3fb8aa3b, v10
	v_rndne_f32_e32 v14, v9
	v_sub_f32_e32 v15, v9, v14
	v_fma_f32 v9, v10, s84, -v9
	v_fmac_f32_e32 v9, 0x32a5705f, v10
	v_add_f32_e32 v9, v15, v9
	v_cvt_i32_f32_e32 v14, v14
	v_exp_f32_e32 v9, v9
	v_cmp_ngt_f32_e32 vcc, s85, v10
	v_ldexp_f32 v9, v9, v14
	s_nop 0
	v_cndmask_b32_e32 v9, 0, v9, vcc
	v_cmp_nlt_f32_e32 vcc, s86, v10
	s_nop 1
	v_cndmask_b32_e32 v28, v52, v9, vcc
	v_add_f32_e32 v9, 1.0, v28
	v_add_f32_e32 v10, -1.0, v9
	v_sub_f32_e32 v14, v10, v9
	v_add_f32_e32 v14, 1.0, v14
	v_sub_f32_e32 v10, v28, v10
	v_add_f32_e32 v10, v10, v14
	v_frexp_mant_f32_e32 v16, v9
	v_cvt_f64_f32_e32 v[14:15], v9
	v_frexp_exp_i32_f64_e32 v14, v[14:15]
	v_cmp_gt_f32_e32 vcc, s88, v16
	v_cmp_gt_f32_e64 s[26:27], s90, v28
	s_nop 0
	v_subbrev_co_u32_e32 v22, vcc, 0, v14, vcc
	v_sub_u32_e32 v14, 0, v22
	v_ldexp_f32 v9, v9, v14
	v_ldexp_f32 v10, v10, v14
	v_add_f32_e32 v14, -1.0, v9
	v_add_f32_e32 v15, 1.0, v14
	v_sub_f32_e32 v15, v9, v15
	v_add_f32_e32 v16, v10, v15
	v_add_f32_e32 v15, 1.0, v9
	v_add_f32_e32 v17, -1.0, v15
	v_sub_f32_e32 v9, v9, v17
	v_add_f32_e32 v9, v10, v9
	v_add_f32_e32 v10, v15, v9
	v_rcp_f32_e32 v23, v10
	v_sub_f32_e32 v15, v15, v10
	v_add_f32_e32 v9, v9, v15
	v_add_f32_e32 v15, v14, v16
	v_sub_f32_e32 v14, v14, v15
	v_mul_f32_e32 v25, v15, v23
	v_add_f32_e32 v24, v16, v14
	v_mul_f32_e32 v16, v10, v25
	v_fma_f32 v18, v25, v10, -v16
	v_fmac_f32_e32 v18, v25, v9
	v_add_f32_e32 v14, v16, v18
	v_sub_f32_e32 v17, v15, v14
	v_pk_add_f32 v[20:21], v[14:15], v[16:17] neg_lo:[0,1] neg_hi:[0,1]
	v_mov_b32_e32 v19, v14
	v_pk_add_f32 v[14:15], v[20:21], v[18:19] neg_lo:[0,1] neg_hi:[0,1]
	v_cmp_eq_f32_e32 vcc, s87, v28
	v_add_f32_e32 v15, v24, v15
	v_add_f32_e32 v14, v14, v15
	;; [unrolled: 1-line block ×3, first 2 shown]
	v_mul_f32_e32 v24, v23, v15
	v_mul_f32_e32 v16, v10, v24
	v_fma_f32 v18, v24, v10, -v16
	v_fmac_f32_e32 v18, v24, v9
	v_sub_f32_e32 v9, v17, v15
	v_add_f32_e32 v9, v14, v9
	v_add_f32_e32 v14, v16, v18
	v_sub_f32_e32 v17, v15, v14
	v_pk_add_f32 v[20:21], v[14:15], v[16:17] neg_lo:[0,1] neg_hi:[0,1]
	v_mov_b32_e32 v19, v14
	v_pk_add_f32 v[14:15], v[20:21], v[18:19] neg_lo:[0,1] neg_hi:[0,1]
	v_add_f32_e32 v10, v25, v24
	v_add_f32_e32 v9, v9, v15
	v_add_f32_e32 v9, v14, v9
	v_add_f32_e32 v9, v17, v9
	v_sub_f32_e32 v14, v10, v25
	v_mul_f32_e32 v9, v23, v9
	v_sub_f32_e32 v14, v24, v14
	v_add_f32_e32 v15, v14, v9
	v_add_f32_e32 v16, v10, v15
	v_cvt_f32_i32_e32 v14, v22
	v_mul_f32_e32 v18, v16, v16
	v_fmamk_f32 v9, v18, 0x3e9b6dac, v51
	v_sub_f32_e32 v10, v16, v10
	v_fmaak_f32 v9, v18, v9, 0x3f2aaada
	v_sub_f32_e32 v10, v15, v10
	v_mul_f32_e32 v15, v16, v18
	v_pk_mul_f32 v[18:19], v[14:15], v[8:9]
	v_ldexp_f32 v17, v16, 1
	v_fma_f32 v16, v14, s89, -v18
	v_fmac_f32_e32 v16, 0xb102e308, v14
	v_pk_add_f32 v[14:15], v[18:19], v[16:17]
	v_ldexp_f32 v10, v10, 1
	v_sub_f32_e32 v9, v15, v17
	v_sub_f32_e32 v9, v19, v9
	v_add_f32_e32 v21, v10, v9
	v_mov_b32_e32 v20, v18
	v_pk_add_f32 v[18:19], v[14:15], v[18:19] neg_lo:[0,1] neg_hi:[0,1]
	v_pk_add_f32 v[22:23], v[14:15], v[20:21]
	v_mov_b32_e32 v17, v14
	v_mov_b32_e32 v19, v23
	v_pk_add_f32 v[24:25], v[16:17], v[18:19] neg_lo:[0,1] neg_hi:[0,1]
	v_pk_add_f32 v[16:17], v[16:17], v[18:19]
	s_or_b64 vcc, s[26:27], vcc
	v_mov_b32_e32 v10, v17
	v_pk_add_f32 v[18:19], v[10:11], v[14:15] neg_lo:[0,1] neg_hi:[0,1]
	v_mov_b32_e32 v16, v23
	v_mov_b32_e32 v9, v18
	v_pk_add_f32 v[26:27], v[22:23], v[8:9] neg_lo:[0,1] neg_hi:[0,1]
	v_mov_b32_e32 v22, v15
	v_mov_b32_e32 v23, v18
	;; [unrolled: 1-line block ×3, first 2 shown]
	v_pk_add_f32 v[16:17], v[16:17], v[22:23] neg_lo:[0,1] neg_hi:[0,1]
	v_mov_b32_e32 v18, v21
	v_mov_b32_e32 v19, v14
	v_pk_add_f32 v[14:15], v[18:19], v[16:17] neg_lo:[0,1] neg_hi:[0,1]
	v_mov_b32_e32 v26, v24
	v_pk_add_f32 v[16:17], v[26:27], v[14:15]
	s_nop 0
	v_mov_b32_e32 v18, v17
	v_pk_add_f32 v[18:19], v[16:17], v[18:19]
	s_nop 0
	v_pk_add_f32 v[20:21], v[10:11], v[18:19]
	v_mov_b32_e32 v15, v18
	v_mov_b32_e32 v17, v20
	v_pk_add_f32 v[22:23], v[16:17], v[24:25] neg_lo:[0,1] neg_hi:[0,1]
	s_nop 0
	v_sub_f32_e32 v9, v16, v22
	v_pk_add_f32 v[14:15], v[14:15], v[22:23] neg_lo:[0,1] neg_hi:[0,1]
	v_sub_f32_e32 v9, v24, v9
	v_add_f32_e32 v9, v14, v9
	v_add_f32_e32 v9, v9, v15
	v_add_f32_e32 v9, v20, v9
	v_cndmask_b32_e32 v10, v9, v28, vcc
.LBB2_33:                               ;   in Loop: Header=BB2_11 Depth=1
	s_or_b64 exec, exec, s[28:29]
	v_lshlrev_b32_e32 v20, 16, v13
	v_and_b32_e32 v9, 0xffff0000, v13
	v_and_b32_e32 v21, 0xffff0000, v12
	v_lshlrev_b32_e32 v22, 16, v12
	v_mul_f32_e32 v14, s78, v20
	v_mul_f32_e32 v13, s78, v21
	;; [unrolled: 1-line block ×4, first 2 shown]
	s_and_b64 vcc, exec, s[60:61]
	s_waitcnt lgkmcnt(0)
	; wave barrier
	s_cbranch_vccz .LBB2_75
; %bb.34:                               ;   in Loop: Header=BB2_11 Depth=1
	s_cmp_lg_u32 s95, 0
	s_cselect_b64 s[66:67], -1, 0
	s_cmp_eq_u32 s95, s82
	v_cmp_gt_u32_e32 vcc, s34, v7
	s_cselect_b64 s[68:69], -1, 0
	s_or_b64 s[26:27], s[62:63], vcc
	v_cmp_gt_u32_e32 vcc, s34, v6
	s_mov_b32 s54, 0
	v_cmp_gt_u32_e64 s[28:29], s34, v3
	s_or_b64 s[30:31], s[62:63], vcc
	v_cmp_gt_u32_e32 vcc, s34, v50
	v_mul_f32_e32 v9, v10, v9
	v_lshl_add_u64 v[16:17], s[42:43], 0, v[0:1]
	v_lshl_add_u64 v[18:19], s[46:47], 0, v[0:1]
	v_mul_f32_e32 v58, v11, v20
	v_mul_f32_e32 v59, v57, v21
	v_mul_f32_e32 v60, v56, v22
	s_or_b64 s[28:29], s[62:63], s[28:29]
	s_or_b64 s[34:35], s[62:63], vcc
	s_mov_b32 s70, s54
	s_mov_b32 s72, s54
	;; [unrolled: 1-line block ×5, first 2 shown]
	s_branch .LBB2_36
.LBB2_35:                               ;   in Loop: Header=BB2_36 Depth=2
	s_or_b64 exec, exec, s[36:37]
	v_mul_f32_e32 v23, v31, v30
	v_fma_f32 v26, v31, v33, v24
	v_cndmask_b32_e64 v24, v26, v24, s[16:17]
	v_cndmask_b32_e64 v23, v23, v31, s[16:17]
	s_waitcnt lgkmcnt(0)
	v_fmac_f32_e32 v24, v22, v23
	v_fmac_f32_e32 v25, v24, v29
	;; [unrolled: 1-line block ×4, first 2 shown]
	v_and_b32_e32 v23, 0xffff0000, v20
	v_and_b32_e32 v27, 0xffff0000, v21
	v_lshlrev_b32_e32 v22, 16, v20
	v_lshlrev_b32_e32 v26, 16, v21
	v_mov_b32_e32 v29, v32
	s_add_i32 s96, s96, 8
	s_add_i32 s65, s65, -1
	s_add_i32 s74, s74, s38
	s_add_i32 s72, s72, s48
	;; [unrolled: 1-line block ×4, first 2 shown]
	v_pk_fma_f32 v[14:15], v[28:29], v[26:27], v[14:15]
	s_cmp_eq_u32 s65, 0
	v_pk_fma_f32 v[12:13], v[24:25], v[22:23], v[12:13]
	s_cbranch_scc1 .LBB2_75
.LBB2_36:                               ;   Parent Loop BB2_11 Depth=1
                                        ; =>  This Inner Loop Header: Depth=2
	s_lshl_b64 s[36:37], s[54:55], 2
	s_add_u32 s36, s40, s36
	s_addc_u32 s37, s80, s37
	global_load_dword v22, v1, s[36:37]
	s_mov_b32 s71, s55
	v_lshl_add_u64 v[20:21], s[70:71], 1, v[16:17]
	v_mov_b32_e32 v23, 0
	v_mov_b32_e32 v24, 0
	s_and_saveexec_b64 s[36:37], s[18:19]
	s_cbranch_execz .LBB2_38
; %bb.37:                               ;   in Loop: Header=BB2_36 Depth=2
	global_load_ushort v24, v[20:21], off
.LBB2_38:                               ;   in Loop: Header=BB2_36 Depth=2
	s_or_b64 exec, exec, s[36:37]
	s_and_saveexec_b64 s[36:37], s[20:21]
	s_cbranch_execz .LBB2_40
; %bb.39:                               ;   in Loop: Header=BB2_36 Depth=2
	global_load_ushort v23, v[20:21], off offset:128
.LBB2_40:                               ;   in Loop: Header=BB2_36 Depth=2
	s_or_b64 exec, exec, s[36:37]
	v_mov_b32_e32 v25, 0
	v_mov_b32_e32 v26, 0
	s_and_saveexec_b64 s[36:37], s[22:23]
	s_cbranch_execz .LBB2_42
; %bb.41:                               ;   in Loop: Header=BB2_36 Depth=2
	global_load_ushort v26, v[20:21], off offset:256
.LBB2_42:                               ;   in Loop: Header=BB2_36 Depth=2
	s_or_b64 exec, exec, s[36:37]
	s_and_saveexec_b64 s[36:37], s[24:25]
	s_cbranch_execz .LBB2_44
; %bb.43:                               ;   in Loop: Header=BB2_36 Depth=2
	global_load_ushort v25, v[20:21], off offset:384
.LBB2_44:                               ;   in Loop: Header=BB2_36 Depth=2
	s_or_b64 exec, exec, s[36:37]
	s_waitcnt vmcnt(0)
	ds_write_b16 v41, v24
	ds_write_b16 v42, v23 offset:128
	ds_write_b16 v43, v26 offset:256
	;; [unrolled: 1-line block ×3, first 2 shown]
	; wave barrier
	ds_read_b64 v[24:25], v45
	s_mov_b32 s73, s55
	v_lshl_add_u64 v[20:21], s[72:73], 1, v[18:19]
	v_mov_b32_e32 v23, 0
	v_mov_b32_e32 v26, 0
	s_and_saveexec_b64 s[36:37], s[18:19]
	s_cbranch_execz .LBB2_46
; %bb.45:                               ;   in Loop: Header=BB2_36 Depth=2
	global_load_ushort v26, v[20:21], off
.LBB2_46:                               ;   in Loop: Header=BB2_36 Depth=2
	s_or_b64 exec, exec, s[36:37]
	s_and_saveexec_b64 s[36:37], s[20:21]
	s_cbranch_execz .LBB2_48
; %bb.47:                               ;   in Loop: Header=BB2_36 Depth=2
	global_load_ushort v23, v[20:21], off offset:128
.LBB2_48:                               ;   in Loop: Header=BB2_36 Depth=2
	s_or_b64 exec, exec, s[36:37]
	v_mov_b32_e32 v27, 0
	v_mov_b32_e32 v28, 0
	s_and_saveexec_b64 s[36:37], s[22:23]
	s_cbranch_execz .LBB2_50
; %bb.49:                               ;   in Loop: Header=BB2_36 Depth=2
	global_load_ushort v28, v[20:21], off offset:256
.LBB2_50:                               ;   in Loop: Header=BB2_36 Depth=2
	s_or_b64 exec, exec, s[36:37]
	s_and_saveexec_b64 s[36:37], s[24:25]
	s_cbranch_execz .LBB2_52
; %bb.51:                               ;   in Loop: Header=BB2_36 Depth=2
	global_load_ushort v27, v[20:21], off offset:384
.LBB2_52:                               ;   in Loop: Header=BB2_36 Depth=2
	s_or_b64 exec, exec, s[36:37]
	s_waitcnt vmcnt(0)
	ds_write_b16 v41, v26 offset:528
	ds_write_b16 v46, v23 offset:128
	ds_write_b16 v47, v28 offset:256
	ds_write_b16 v48, v27 offset:384
	; wave barrier
	ds_read_b64 v[20:21], v45 offset:528
	s_andn2_b64 vcc, exec, s[66:67]
	s_cbranch_vccnz .LBB2_54
; %bb.53:                               ;   in Loop: Header=BB2_36 Depth=2
	v_mov_b32_e32 v23, s96
	ds_read_b64 v[26:27], v23
	s_waitcnt lgkmcnt(0)
	v_mov_b32_e32 v23, v27
	s_cbranch_execz .LBB2_55
	s_branch .LBB2_58
.LBB2_54:                               ;   in Loop: Header=BB2_36 Depth=2
                                        ; implicit-def: $vgpr26
                                        ; implicit-def: $vgpr23
.LBB2_55:                               ;   in Loop: Header=BB2_36 Depth=2
	s_andn2_b64 vcc, exec, s[52:53]
	v_mov_b32_e32 v23, 0
	s_cbranch_vccnz .LBB2_57
; %bb.56:                               ;   in Loop: Header=BB2_36 Depth=2
	s_mov_b32 s75, s55
	s_lshl_b64 s[36:37], s[74:75], 1
	s_add_u32 s36, s45, s36
	s_addc_u32 s37, s49, s37
	global_load_ushort v23, v1, s[36:37]
	s_waitcnt vmcnt(0)
	v_lshlrev_b32_e32 v23, 16, v23
.LBB2_57:                               ;   in Loop: Header=BB2_36 Depth=2
	v_mov_b32_e32 v26, 1.0
.LBB2_58:                               ;   in Loop: Header=BB2_36 Depth=2
	v_mul_f32_e32 v22, 0x3fb8aa3b, v22
	s_waitcnt lgkmcnt(5)
	v_lshlrev_b32_e32 v27, 16, v24
	v_and_b32_e32 v28, 0xffff0000, v24
	v_mul_f32_e32 v24, v22, v56
	v_cmp_gt_f32_e32 vcc, s92, v24
	v_lshlrev_b32_e32 v29, 16, v25
	v_and_b32_e32 v30, 0xffff0000, v25
	v_cndmask_b32_e32 v24, 0, v53, vcc
	v_fmac_f32_e32 v24, v22, v56
	v_exp_f32_e32 v24, v24
	v_cndmask_b32_e32 v25, 1.0, v54, vcc
	v_pk_mul_f32 v[32:33], v[22:23], v[10:11] op_sel_hi:[0,1]
	v_cmp_gt_f32_e64 s[36:37], s92, v33
	v_mul_f32_e32 v25, v24, v25
	v_mul_f32_e32 v24, v60, v27
	;; [unrolled: 1-line block ×3, first 2 shown]
	v_cmp_gt_f32_e32 vcc, s92, v27
	v_cndmask_b32_e64 v31, 1.0, v25, s[26:27]
	v_cndmask_b32_e64 v24, 0, v24, s[26:27]
	v_cndmask_b32_e32 v27, 0, v53, vcc
	v_fmac_f32_e32 v27, v22, v57
	v_exp_f32_e32 v27, v27
	v_cndmask_b32_e32 v25, 1.0, v54, vcc
	v_mul_f32_e32 v22, v58, v29
	v_cmp_gt_f32_e32 vcc, s92, v32
	v_mul_f32_e32 v27, v27, v25
	v_mul_f32_e32 v25, v59, v28
	v_cndmask_b32_e64 v28, 0, v22, s[30:31]
	v_cndmask_b32_e32 v22, 0, v53, vcc
	v_cndmask_b32_e64 v29, 1.0, v27, s[28:29]
	v_add_f32_e32 v22, v32, v22
	v_cndmask_b32_e64 v27, 0, v53, s[36:37]
	v_exp_f32_e32 v22, v22
	v_add_f32_e32 v27, v33, v27
	v_exp_f32_e32 v27, v27
	v_cndmask_b32_e32 v32, 1.0, v54, vcc
	v_mul_f32_e32 v22, v22, v32
	v_cndmask_b32_e64 v32, 1.0, v54, s[36:37]
	v_cndmask_b32_e64 v25, 0, v25, s[28:29]
	v_mul_f32_e32 v27, v27, v32
	v_mul_f32_e32 v30, v9, v30
	v_cndmask_b32_e64 v35, 1.0, v27, s[30:31]
	v_cndmask_b32_e64 v34, 1.0, v22, s[34:35]
	v_fma_f32 v22, v29, v24, v25
	v_cndmask_b32_e64 v32, 0, v30, s[34:35]
	v_mul_f32_e32 v30, v22, v35
	v_pk_add_f32 v[36:37], v[30:31], v[28:29]
	v_pk_mul_f32 v[62:63], v[30:31], v[28:29]
	v_mov_b32_e32 v33, v34
	v_mov_b32_e32 v37, v63
	v_pk_mul_f32 v[62:63], v[36:37], v[34:35]
	v_pk_fma_f32 v[36:37], v[36:37], v[34:35], v[32:33]
	v_pk_mul_f32 v[62:63], v[62:63], v[32:33]
	s_nop 0
	v_mov_b32_dpp v27, v36 row_shr:1 row_mask:0xf bank_mask:0xf
	v_mov_b32_dpp v22, v63 row_shr:1 row_mask:0xf bank_mask:0xf
	v_mul_f32_e32 v37, v63, v22
	v_fma_f32 v22, v63, v27, v36
	v_cndmask_b32_e64 v33, v22, v36, s[0:1]
	v_cndmask_b32_e64 v22, v22, v36, s[0:1]
	;; [unrolled: 1-line block ×4, first 2 shown]
	v_mov_b32_dpp v37, v22 row_shr:2 row_mask:0xf bank_mask:0xf
	v_mov_b32_dpp v36, v27 row_shr:2 row_mask:0xf bank_mask:0xf
	s_and_saveexec_b64 s[36:37], s[2:3]
; %bb.59:                               ;   in Loop: Header=BB2_36 Depth=2
	v_fmac_f32_e32 v22, v27, v37
	v_mul_f32_e32 v27, v27, v36
	v_mov_b32_e32 v30, v27
	v_mov_b32_e32 v33, v22
; %bb.60:                               ;   in Loop: Header=BB2_36 Depth=2
	s_or_b64 exec, exec, s[36:37]
	v_mov_b32_dpp v36, v27 row_shr:4 row_mask:0xf bank_mask:0xf
	v_mov_b32_dpp v37, v22 row_shr:4 row_mask:0xf bank_mask:0xf
	s_and_saveexec_b64 s[36:37], s[4:5]
; %bb.61:                               ;   in Loop: Header=BB2_36 Depth=2
	v_fmac_f32_e32 v22, v27, v37
	v_mul_f32_e32 v27, v27, v36
	v_mov_b32_e32 v30, v27
	v_mov_b32_e32 v33, v22
; %bb.62:                               ;   in Loop: Header=BB2_36 Depth=2
	s_or_b64 exec, exec, s[36:37]
	;; [unrolled: 10-line block ×3, first 2 shown]
	v_mov_b32_dpp v36, v27 row_bcast:15 row_mask:0xf bank_mask:0xf
	v_mov_b32_dpp v37, v22 row_bcast:15 row_mask:0xf bank_mask:0xf
	s_and_saveexec_b64 s[36:37], s[8:9]
; %bb.65:                               ;   in Loop: Header=BB2_36 Depth=2
	v_fmac_f32_e32 v22, v27, v37
	v_mul_f32_e32 v27, v27, v36
	v_mov_b32_e32 v30, v27
	v_mov_b32_e32 v33, v22
; %bb.66:                               ;   in Loop: Header=BB2_36 Depth=2
	s_or_b64 exec, exec, s[36:37]
	v_mov_b32_dpp v36, v27 row_bcast:31 row_mask:0xf bank_mask:0xf
	v_mov_b32_dpp v37, v22 row_bcast:31 row_mask:0xf bank_mask:0xf
	v_mul_f32_e32 v36, v27, v36
	v_fmac_f32_e32 v22, v27, v37
	v_cndmask_b32_e64 v36, v30, v36, s[10:11]
	v_cndmask_b32_e64 v37, v33, v22, s[10:11]
	s_and_saveexec_b64 s[36:37], s[12:13]
	s_cbranch_execz .LBB2_68
; %bb.67:                               ;   in Loop: Header=BB2_36 Depth=2
	ds_write_b64 v1, v[36:37] offset:1056
.LBB2_68:                               ;   in Loop: Header=BB2_36 Depth=2
	s_or_b64 exec, exec, s[36:37]
	ds_bpermute_b32 v30, v49, v36
	ds_bpermute_b32 v33, v49, v37
	s_waitcnt lgkmcnt(0)
	; wave barrier
	s_waitcnt lgkmcnt(0)
	s_and_saveexec_b64 s[36:37], s[14:15]
	s_cbranch_execz .LBB2_72
; %bb.69:                               ;   in Loop: Header=BB2_36 Depth=2
	ds_read_b64 v[36:37], v1 offset:1056
	s_and_saveexec_b64 s[76:77], s[16:17]
	s_cbranch_execz .LBB2_71
; %bb.70:                               ;   in Loop: Header=BB2_36 Depth=2
	v_mov_b32_e32 v27, v23
	ds_write_b64 v1, v[26:27] offset:1056
.LBB2_71:                               ;   in Loop: Header=BB2_36 Depth=2
	s_or_b64 exec, exec, s[76:77]
	s_waitcnt lgkmcnt(0)
	v_mul_f32_e32 v27, v36, v23
	v_pk_add_f32 v[22:23], v[26:27], v[36:37]
	v_mul_f32_e32 v26, v26, v36
.LBB2_72:                               ;   in Loop: Header=BB2_36 Depth=2
	s_or_b64 exec, exec, s[36:37]
	s_waitcnt lgkmcnt(0)
	; wave barrier
	ds_read_b32 v22, v1 offset:1060
	s_and_saveexec_b64 s[36:37], s[16:17]
	s_cbranch_execz .LBB2_35
; %bb.73:                               ;   in Loop: Header=BB2_36 Depth=2
	v_mov_b32_e32 v27, v23
	v_mov_b32_e32 v36, s96
	s_andn2_b64 vcc, exec, s[68:69]
	ds_write_b64 v36, v[26:27]
	s_cbranch_vccnz .LBB2_35
; %bb.74:                               ;   in Loop: Header=BB2_36 Depth=2
	v_bfe_u32 v26, v23, 16, 1
	s_mov_b32 s75, s55
	v_add3_u32 v26, v23, v26, s93
	s_lshl_b64 s[76:77], s[74:75], 1
	v_lshrrev_b32_e32 v26, 16, v26
	v_cmp_o_f32_e32 vcc, v23, v23
	s_add_u32 s76, s45, s76
	s_addc_u32 s77, s49, s77
	v_cndmask_b32_e32 v23, v55, v26, vcc
	global_store_short v1, v23, s[76:77]
	s_branch .LBB2_35
.LBB2_75:                               ;   in Loop: Header=BB2_11 Depth=1
	v_bfe_u32 v9, v14, 16, 1
	v_bfe_u32 v10, v15, 16, 1
	v_add3_u32 v9, v14, v9, s93
	v_bfe_u32 v11, v12, 16, 1
	v_add3_u32 v10, v15, v10, s93
	v_lshrrev_b32_e32 v9, 16, v9
	v_cmp_o_f32_e32 vcc, v14, v14
	v_bfe_u32 v16, v13, 16, 1
	v_add3_u32 v11, v12, v11, s93
	v_lshrrev_b32_e32 v10, 16, v10
	v_cndmask_b32_e32 v9, v55, v9, vcc
	v_cmp_o_f32_e32 vcc, v15, v15
	v_add3_u32 v16, v13, v16, s93
	v_lshrrev_b32_e32 v17, 16, v11
	v_cndmask_b32_e32 v10, v55, v10, vcc
	v_cmp_o_f32_e32 vcc, v12, v12
	v_lshrrev_b32_e32 v16, 16, v16
	v_perm_b32 v11, v10, v9, s94
	v_cndmask_b32_e32 v9, v55, v17, vcc
	v_cmp_o_f32_e32 vcc, v13, v13
	s_waitcnt lgkmcnt(0)
	; wave barrier
	s_nop 0
	v_cndmask_b32_e32 v10, v55, v16, vcc
	v_perm_b32 v10, v10, v9, s94
	ds_write_b64 v45, v[10:11]
	; wave barrier
	ds_read_u16 v13, v42 offset:128
	ds_read_u16 v12, v43 offset:256
	;; [unrolled: 1-line block ×3, first 2 shown]
	s_mov_b32 s65, s55
	v_lshl_add_u64 v[10:11], s[64:65], 1, v[4:5]
	s_and_saveexec_b64 s[26:27], s[18:19]
	s_cbranch_execnz .LBB2_81
; %bb.76:                               ;   in Loop: Header=BB2_11 Depth=1
	s_or_b64 exec, exec, s[26:27]
	s_and_saveexec_b64 s[18:19], s[20:21]
	s_cbranch_execnz .LBB2_82
.LBB2_77:                               ;   in Loop: Header=BB2_11 Depth=1
	s_or_b64 exec, exec, s[18:19]
	s_and_saveexec_b64 s[18:19], s[22:23]
	s_cbranch_execnz .LBB2_83
.LBB2_78:                               ;   in Loop: Header=BB2_11 Depth=1
	s_or_b64 exec, exec, s[18:19]
	s_and_saveexec_b64 s[18:19], s[24:25]
	s_cbranch_execz .LBB2_10
	s_branch .LBB2_84
.LBB2_79:                               ;   in Loop: Header=BB2_11 Depth=1
	global_load_ushort v15, v[10:11], off offset:128
	s_or_b64 exec, exec, s[26:27]
	s_and_saveexec_b64 s[26:27], s[22:23]
	s_cbranch_execz .LBB2_23
.LBB2_80:                               ;   in Loop: Header=BB2_11 Depth=1
	global_load_ushort v14, v[10:11], off offset:256
	s_or_b64 exec, exec, s[26:27]
	v_mov_b32_e32 v16, 0
	s_and_saveexec_b64 s[26:27], s[24:25]
	s_cbranch_execnz .LBB2_24
	s_branch .LBB2_25
.LBB2_81:                               ;   in Loop: Header=BB2_11 Depth=1
	ds_read_u16 v14, v41
	s_waitcnt lgkmcnt(0)
	global_store_short v[10:11], v14, off
	s_or_b64 exec, exec, s[26:27]
	s_and_saveexec_b64 s[18:19], s[20:21]
	s_cbranch_execz .LBB2_77
.LBB2_82:                               ;   in Loop: Header=BB2_11 Depth=1
	s_waitcnt lgkmcnt(2)
	global_store_short v[10:11], v13, off offset:128
	s_or_b64 exec, exec, s[18:19]
	s_and_saveexec_b64 s[18:19], s[22:23]
	s_cbranch_execz .LBB2_78
.LBB2_83:                               ;   in Loop: Header=BB2_11 Depth=1
	s_waitcnt lgkmcnt(1)
	global_store_short v[10:11], v12, off offset:256
	s_or_b64 exec, exec, s[18:19]
	s_and_saveexec_b64 s[18:19], s[24:25]
	s_cbranch_execz .LBB2_10
.LBB2_84:                               ;   in Loop: Header=BB2_11 Depth=1
	s_waitcnt lgkmcnt(0)
	global_store_short v[10:11], v9, off offset:384
	s_branch .LBB2_10
.LBB2_85:
	s_endpgm
.LBB2_86:
	s_mov_b64 s[52:53], 0
	s_load_dwordx2 s[4:5], s[0:1], 0x20
	s_cmp_eq_u64 s[6:7], 0
	s_cbranch_scc0 .LBB2_2
	s_branch .LBB2_3
	.section	.rodata,"a",@progbits
	.p2align	6, 0x0
	.amdhsa_kernel _Z25selective_scan_fwd_kernelI32Selective_Scan_fwd_kernel_traitsILi64ELi4ELi1ELb1ELb1ELb1ELb0ELb1EN3c108BFloat16EfS2_EEv13SSMParamsBase
		.amdhsa_group_segment_fixed_size 0
		.amdhsa_private_segment_fixed_size 0
		.amdhsa_kernarg_size 248
		.amdhsa_user_sgpr_count 2
		.amdhsa_user_sgpr_dispatch_ptr 0
		.amdhsa_user_sgpr_queue_ptr 0
		.amdhsa_user_sgpr_kernarg_segment_ptr 1
		.amdhsa_user_sgpr_dispatch_id 0
		.amdhsa_user_sgpr_kernarg_preload_length 0
		.amdhsa_user_sgpr_kernarg_preload_offset 0
		.amdhsa_user_sgpr_private_segment_size 0
		.amdhsa_uses_dynamic_stack 0
		.amdhsa_enable_private_segment 0
		.amdhsa_system_sgpr_workgroup_id_x 1
		.amdhsa_system_sgpr_workgroup_id_y 1
		.amdhsa_system_sgpr_workgroup_id_z 0
		.amdhsa_system_sgpr_workgroup_info 0
		.amdhsa_system_vgpr_workitem_id 0
		.amdhsa_next_free_vgpr 64
		.amdhsa_next_free_sgpr 97
		.amdhsa_accum_offset 64
		.amdhsa_reserve_vcc 1
		.amdhsa_float_round_mode_32 0
		.amdhsa_float_round_mode_16_64 0
		.amdhsa_float_denorm_mode_32 3
		.amdhsa_float_denorm_mode_16_64 3
		.amdhsa_dx10_clamp 1
		.amdhsa_ieee_mode 1
		.amdhsa_fp16_overflow 0
		.amdhsa_tg_split 0
		.amdhsa_exception_fp_ieee_invalid_op 0
		.amdhsa_exception_fp_denorm_src 0
		.amdhsa_exception_fp_ieee_div_zero 0
		.amdhsa_exception_fp_ieee_overflow 0
		.amdhsa_exception_fp_ieee_underflow 0
		.amdhsa_exception_fp_ieee_inexact 0
		.amdhsa_exception_int_div_zero 0
	.end_amdhsa_kernel
	.section	.text._Z25selective_scan_fwd_kernelI32Selective_Scan_fwd_kernel_traitsILi64ELi4ELi1ELb1ELb1ELb1ELb0ELb1EN3c108BFloat16EfS2_EEv13SSMParamsBase,"axG",@progbits,_Z25selective_scan_fwd_kernelI32Selective_Scan_fwd_kernel_traitsILi64ELi4ELi1ELb1ELb1ELb1ELb0ELb1EN3c108BFloat16EfS2_EEv13SSMParamsBase,comdat
.Lfunc_end2:
	.size	_Z25selective_scan_fwd_kernelI32Selective_Scan_fwd_kernel_traitsILi64ELi4ELi1ELb1ELb1ELb1ELb0ELb1EN3c108BFloat16EfS2_EEv13SSMParamsBase, .Lfunc_end2-_Z25selective_scan_fwd_kernelI32Selective_Scan_fwd_kernel_traitsILi64ELi4ELi1ELb1ELb1ELb1ELb0ELb1EN3c108BFloat16EfS2_EEv13SSMParamsBase
                                        ; -- End function
	.section	.AMDGPU.csdata,"",@progbits
; Kernel info:
; codeLenInByte = 6228
; NumSgprs: 103
; NumVgprs: 64
; NumAgprs: 0
; TotalNumVgprs: 64
; ScratchSize: 0
; MemoryBound: 0
; FloatMode: 240
; IeeeMode: 1
; LDSByteSize: 0 bytes/workgroup (compile time only)
; SGPRBlocks: 12
; VGPRBlocks: 7
; NumSGPRsForWavesPerEU: 103
; NumVGPRsForWavesPerEU: 64
; AccumOffset: 64
; Occupancy: 7
; WaveLimiterHint : 1
; COMPUTE_PGM_RSRC2:SCRATCH_EN: 0
; COMPUTE_PGM_RSRC2:USER_SGPR: 2
; COMPUTE_PGM_RSRC2:TRAP_HANDLER: 0
; COMPUTE_PGM_RSRC2:TGID_X_EN: 1
; COMPUTE_PGM_RSRC2:TGID_Y_EN: 1
; COMPUTE_PGM_RSRC2:TGID_Z_EN: 0
; COMPUTE_PGM_RSRC2:TIDIG_COMP_CNT: 0
; COMPUTE_PGM_RSRC3_GFX90A:ACCUM_OFFSET: 15
; COMPUTE_PGM_RSRC3_GFX90A:TG_SPLIT: 0
	.section	.text._Z25selective_scan_fwd_kernelI32Selective_Scan_fwd_kernel_traitsILi64ELi4ELi1ELb1ELb1ELb1ELb0ELb0EN3c108BFloat16EfS2_EEv13SSMParamsBase,"axG",@progbits,_Z25selective_scan_fwd_kernelI32Selective_Scan_fwd_kernel_traitsILi64ELi4ELi1ELb1ELb1ELb1ELb0ELb0EN3c108BFloat16EfS2_EEv13SSMParamsBase,comdat
	.protected	_Z25selective_scan_fwd_kernelI32Selective_Scan_fwd_kernel_traitsILi64ELi4ELi1ELb1ELb1ELb1ELb0ELb0EN3c108BFloat16EfS2_EEv13SSMParamsBase ; -- Begin function _Z25selective_scan_fwd_kernelI32Selective_Scan_fwd_kernel_traitsILi64ELi4ELi1ELb1ELb1ELb1ELb0ELb0EN3c108BFloat16EfS2_EEv13SSMParamsBase
	.globl	_Z25selective_scan_fwd_kernelI32Selective_Scan_fwd_kernel_traitsILi64ELi4ELi1ELb1ELb1ELb1ELb0ELb0EN3c108BFloat16EfS2_EEv13SSMParamsBase
	.p2align	8
	.type	_Z25selective_scan_fwd_kernelI32Selective_Scan_fwd_kernel_traitsILi64ELi4ELi1ELb1ELb1ELb1ELb0ELb0EN3c108BFloat16EfS2_EEv13SSMParamsBase,@function
_Z25selective_scan_fwd_kernelI32Selective_Scan_fwd_kernel_traitsILi64ELi4ELi1ELb1ELb1ELb1ELb0ELb0EN3c108BFloat16EfS2_EEv13SSMParamsBase: ; @_Z25selective_scan_fwd_kernelI32Selective_Scan_fwd_kernel_traitsILi64ELi4ELi1ELb1ELb1ELb1ELb0ELb0EN3c108BFloat16EfS2_EEv13SSMParamsBase
; %bb.0:
	s_load_dword s25, s[0:1], 0x18
	s_load_dwordx4 s[4:7], s[0:1], 0xe8
	s_mov_b32 s20, s3
	s_waitcnt lgkmcnt(0)
	s_abs_i32 s24, s25
	v_cvt_f32_u32_e32 v1, s24
	s_cmp_eq_u64 s[6:7], 0
	v_rcp_iflag_f32_e32 v1, v1
	s_nop 0
	v_mul_f32_e32 v1, 0x4f7ffffe, v1
	v_cvt_u32_f32_e32 v1, v1
	s_nop 0
	v_readfirstlane_b32 s26, v1
	s_cbranch_scc1 .LBB3_3
; %bb.1:
	s_ashr_i32 s3, s2, 31
	s_add_u32 s6, s6, s2
	s_addc_u32 s7, s7, s3
	v_mov_b32_e32 v1, 0
	global_load_ubyte v1, v1, s[6:7]
	s_waitcnt vmcnt(0)
	v_and_b32_e32 v1, 1, v1
	v_cmp_eq_u32_e64 s[34:35], 1, v1
	s_load_dwordx2 s[6:7], s[0:1], 0x20
	s_cmp_eq_u64 s[4:5], 0
	s_cbranch_scc1 .LBB3_4
.LBB3_2:
	s_ashr_i32 s3, s2, 31
	s_lshl_b64 s[8:9], s[2:3], 2
	s_add_u32 s4, s4, s8
	s_addc_u32 s5, s5, s9
	s_load_dword s22, s[4:5], 0x0
	s_waitcnt lgkmcnt(0)
	s_ashr_i32 s23, s22, 31
	s_cmp_eq_u64 s[6:7], s[22:23]
	s_cbranch_scc0 .LBB3_5
	s_branch .LBB3_48
.LBB3_3:
	s_mov_b64 s[34:35], 0
	s_load_dwordx2 s[6:7], s[0:1], 0x20
	s_cmp_eq_u64 s[4:5], 0
	s_cbranch_scc0 .LBB3_2
.LBB3_4:
	s_mov_b32 s22, s2
	s_ashr_i32 s23, s22, 31
	s_waitcnt lgkmcnt(0)
	s_cmp_eq_u64 s[6:7], s[22:23]
	s_cbranch_scc1 .LBB3_48
.LBB3_5:
	s_load_dwordx16 s[4:19], s[0:1], 0x88
	s_load_dwordx2 s[48:49], s[0:1], 0x8
	s_mov_b32 s33, 0
	s_mov_b32 s72, 0
	s_waitcnt lgkmcnt(0)
	s_cmp_eq_u64 s[10:11], 0
	s_cbranch_scc1 .LBB3_7
; %bb.6:
	s_ashr_i32 s21, s20, 31
	s_lshl_b64 s[28:29], s[20:21], 2
	s_add_u32 s10, s10, s28
	s_addc_u32 s11, s11, s29
	s_load_dword s72, s[10:11], 0x0
.LBB3_7:
	s_cmp_eq_u64 s[16:17], 0
	s_cbranch_scc1 .LBB3_9
; %bb.8:
	s_ashr_i32 s21, s20, 31
	s_lshl_b64 s[10:11], s[20:21], 2
	s_add_u32 s10, s16, s10
	s_addc_u32 s11, s17, s11
	s_load_dword s33, s[10:11], 0x0
.LBB3_9:
	s_cmp_lt_i32 s48, 1
	s_cbranch_scc1 .LBB3_48
; %bb.10:
	s_sub_i32 s3, 0, s24
	s_mul_i32 s3, s3, s26
	s_mul_hi_u32 s3, s26, s3
	s_abs_i32 s21, s20
	s_add_i32 s3, s26, s3
	s_load_dwordx8 s[36:43], s[0:1], 0x2c
	s_load_dwordx2 s[16:17], s[0:1], 0x5c
	s_load_dwordx4 s[28:31], s[0:1], 0x4c
	s_load_dwordx4 s[44:47], s[0:1], 0x7c
	s_load_dwordx2 s[10:11], s[0:1], 0x6c
	s_load_dwordx2 s[26:27], s[0:1], 0xc8
	s_mul_hi_u32 s3, s21, s3
	s_load_dword s23, s[0:1], 0x28
	s_ashr_i32 s0, s20, 31
	s_ashr_i32 s1, s25, 31
	s_xor_b32 s0, s0, s1
	s_mul_i32 s1, s3, s24
	s_sub_i32 s1, s21, s1
	s_add_i32 s21, s3, 1
	s_sub_i32 s25, s1, s24
	s_cmp_ge_u32 s1, s24
	s_cselect_b32 s3, s21, s3
	s_cselect_b32 s1, s25, s1
	s_add_i32 s21, s3, 1
	s_cmp_ge_u32 s1, s24
	s_cselect_b32 s1, s21, s3
	s_xor_b32 s1, s1, s0
	s_waitcnt lgkmcnt(0)
	s_mul_i32 s50, s30, s2
	s_mov_b32 s51, 0
	s_sub_i32 s3, s1, s0
	s_lshl_b64 s[0:1], s[50:51], 1
	s_add_u32 s12, s12, s0
	s_mul_i32 s50, s31, s20
	s_addc_u32 s13, s13, s1
	s_lshl_b64 s[0:1], s[50:51], 1
	s_add_u32 s30, s12, s0
	s_mul_i32 s50, s16, s2
	s_addc_u32 s31, s13, s1
	;; [unrolled: 4-line block ×10, first 2 shown]
	s_lshl_b64 s[0:1], s[50:51], 1
	s_add_u32 s29, s3, s0
	s_addc_u32 s41, s4, s1
	s_add_i32 s0, s48, 0x7ff
	s_lshr_b32 s73, s0, 11
	s_bitcmp1_b32 s23, 0
	s_cselect_b64 s[44:45], -1, 0
	s_cmp_gt_i32 s49, 0
	s_mul_i32 s50, s10, s2
	s_cselect_b64 s[54:55], -1, 0
	s_and_b32 s4, s48, 0xff
	s_add_i32 s74, s73, -1
	s_lshl_b64 s[2:3], s[50:51], 1
	s_add_u32 s5, s18, s2
	s_mul_i32 s50, s11, s20
	s_addc_u32 s7, s19, s3
	s_lshl_b64 s[2:3], s[50:51], 1
	s_add_u32 s6, s5, s2
	v_mov_b32_e32 v3, 0
	s_addc_u32 s7, s7, s3
	v_lshlrev_b32_e32 v2, 3, v0
	s_cmp_eq_u32 s4, 0
	v_lshlrev_b32_e32 v7, 2, v0
	v_lshl_add_u64 v[4:5], s[6:7], 0, v[2:3]
                                        ; implicit-def: $vgpr2
	v_mbcnt_lo_u32_b32 v9, -1, 0
	v_cmp_gt_u32_e64 s[0:1], 64, v0
	s_cselect_b64 s[56:57], -1, 0
	v_cmp_eq_u32_e64 s[2:3], 63, v0
	v_cmp_eq_u32_e64 s[4:5], 0, v0
	v_or_b32_e32 v1, 1, v7
	v_or_b32_e32 v6, 2, v7
	;; [unrolled: 1-line block ×3, first 2 shown]
	s_mov_b32 s75, 0x41a00000
	s_mov_b32 s76, 0x3fb8aa3b
	;; [unrolled: 1-line block ×6, first 2 shown]
	v_mov_b32_e32 v43, 0x3ecc95a3
	s_mov_b32 s81, 0x3f317218
	s_mov_b32 s82, 0x33800000
	s_add_i32 s83, 0, 0x428
	s_mov_b32 s84, 0xc2fc0000
	s_movk_i32 s85, 0x7fff
	v_lshlrev_b32_e32 v2, 3, v0
	v_mov_b32_e32 v0, 0x7f800000
	v_mov_b32_e32 v8, 0x3f317218
	v_mbcnt_hi_u32_b32 v44, -1, v9
	v_mov_b32_e32 v45, 0x42800000
	v_mov_b32_e32 v46, 0x1f800000
	v_mov_b32_e32 v47, 0x7fc0
	v_mov_b32_e32 v48, 0x7fc00000
	s_mov_b32 s86, 0
                                        ; implicit-def: $vgpr51
                                        ; implicit-def: $vgpr13
                                        ; implicit-def: $vgpr49
                                        ; implicit-def: $vgpr10
                                        ; implicit-def: $vgpr50
                                        ; implicit-def: $vgpr52
	s_branch .LBB3_12
.LBB3_11:                               ;   in Loop: Header=BB3_12 Depth=1
	s_add_u32 s52, s52, 0x200
	v_bfe_u32 v20, v19, 16, 1
	s_addc_u32 s53, s53, 0
	v_bfe_u32 v15, v18, 16, 1
	v_add3_u32 v20, v19, v20, s85
	s_add_u32 s30, s30, 0x200
	v_bfe_u32 v14, v17, 16, 1
	v_add3_u32 v15, v18, v15, s85
	v_and_b32_e32 v20, 0xffff0000, v20
	v_cmp_o_f32_e32 vcc, v19, v19
	s_addc_u32 s31, s31, 0
	v_bfe_u32 v9, v16, 16, 1
	v_add3_u32 v14, v17, v14, s85
	v_lshrrev_b32_e32 v15, 16, v15
	v_cndmask_b32_e32 v19, v48, v20, vcc
	v_cmp_o_f32_e32 vcc, v18, v18
	v_add3_u32 v9, v16, v9, s85
	v_and_b32_e32 v14, 0xffff0000, v14
	v_cndmask_b32_e32 v15, v47, v15, vcc
	v_cmp_o_f32_e32 vcc, v17, v17
	s_add_u32 s38, s38, 0x200
	v_lshrrev_b32_e32 v9, 16, v9
	v_cndmask_b32_e32 v14, v48, v14, vcc
	v_cmp_o_f32_e32 vcc, v16, v16
	s_addc_u32 s39, s39, 0
	s_add_u32 s42, s42, 0x200
	v_cndmask_b32_e32 v9, v47, v9, vcc
	s_mov_b32 s59, s51
	v_or_b32_e32 v9, v14, v9
	s_addc_u32 s43, s43, 0
	s_add_i32 s86, s86, 1
	v_or3_b32 v15, 0, v15, v19
	v_or3_b32 v14, v9, 0, 0
	v_lshl_add_u64 v[16:17], s[58:59], 1, v[4:5]
	s_cmp_eq_u32 s86, s73
	s_waitcnt lgkmcnt(0)
	; wave barrier
	global_store_dwordx2 v[16:17], v[14:15], off
	s_cbranch_scc1 .LBB3_48
.LBB3_12:                               ; =>This Loop Header: Depth=1
                                        ;     Child Loop BB3_25 Depth 2
	s_waitcnt lgkmcnt(0)
	; wave barrier
	s_and_saveexec_b64 s[6:7], s[0:1]
	s_cbranch_execz .LBB3_14
; %bb.13:                               ;   in Loop: Header=BB3_12 Depth=1
	global_load_dwordx2 v[10:11], v2, s[30:31]
	global_load_dwordx2 v[12:13], v2, s[52:53]
	s_waitcnt vmcnt(1)
	v_lshrrev_b32_e32 v50, 16, v10
	v_lshrrev_b32_e32 v52, 16, v11
	s_waitcnt vmcnt(0)
	v_lshrrev_b32_e32 v49, 16, v12
	v_lshrrev_b32_e32 v51, 16, v13
.LBB3_14:                               ;   in Loop: Header=BB3_12 Depth=1
	s_or_b64 exec, exec, s[6:7]
	v_lshlrev_b32_e32 v9, 16, v12
	v_add_f32_e32 v53, s33, v9
	v_cmp_ge_f32_e32 vcc, s75, v53
	s_and_b64 s[6:7], s[44:45], vcc
	s_and_saveexec_b64 s[8:9], s[6:7]
	s_cbranch_execz .LBB3_16
; %bb.15:                               ;   in Loop: Header=BB3_12 Depth=1
	v_mul_f32_e32 v9, 0x3fb8aa3b, v53
	v_rndne_f32_e32 v14, v9
	v_sub_f32_e32 v15, v9, v14
	v_fma_f32 v9, v53, s76, -v9
	v_fmac_f32_e32 v9, 0x32a5705f, v53
	v_add_f32_e32 v9, v15, v9
	v_cvt_i32_f32_e32 v14, v14
	v_exp_f32_e32 v9, v9
	v_cmp_ngt_f32_e32 vcc, s77, v53
	v_ldexp_f32 v9, v9, v14
	s_nop 0
	v_cndmask_b32_e32 v9, 0, v9, vcc
	v_cmp_nlt_f32_e32 vcc, s78, v53
	s_nop 1
	v_cndmask_b32_e32 v30, v0, v9, vcc
	v_add_f32_e32 v9, 1.0, v30
	v_add_f32_e32 v14, -1.0, v9
	v_sub_f32_e32 v15, v14, v9
	v_add_f32_e32 v15, 1.0, v15
	v_sub_f32_e32 v14, v30, v14
	v_add_f32_e32 v16, v14, v15
	v_frexp_mant_f32_e32 v17, v9
	v_cvt_f64_f32_e32 v[14:15], v9
	v_frexp_exp_i32_f64_e32 v14, v[14:15]
	v_cmp_gt_f32_e32 vcc, s80, v17
	v_cmp_gt_f32_e64 s[6:7], s82, v30
	s_nop 0
	v_subbrev_co_u32_e32 v22, vcc, 0, v14, vcc
	v_sub_u32_e32 v14, 0, v22
	v_ldexp_f32 v9, v9, v14
	v_ldexp_f32 v14, v16, v14
	v_add_f32_e32 v16, -1.0, v9
	v_add_f32_e32 v15, 1.0, v16
	v_sub_f32_e32 v15, v9, v15
	v_add_f32_e32 v17, v14, v15
	v_add_f32_e32 v15, 1.0, v9
	v_add_f32_e32 v18, -1.0, v15
	v_sub_f32_e32 v9, v9, v18
	v_add_f32_e32 v9, v14, v9
	v_add_f32_e32 v23, v15, v9
	v_rcp_f32_e32 v24, v23
	v_sub_f32_e32 v14, v15, v23
	v_add_f32_e32 v15, v16, v17
	v_add_f32_e32 v9, v9, v14
	v_mul_f32_e32 v26, v15, v24
	v_sub_f32_e32 v14, v16, v15
	v_mul_f32_e32 v16, v23, v26
	v_fma_f32 v18, v26, v23, -v16
	v_fmac_f32_e32 v18, v26, v9
	v_add_f32_e32 v25, v17, v14
	v_add_f32_e32 v14, v16, v18
	v_sub_f32_e32 v17, v15, v14
	v_pk_add_f32 v[20:21], v[14:15], v[16:17] neg_lo:[0,1] neg_hi:[0,1]
	v_mov_b32_e32 v19, v14
	v_pk_add_f32 v[14:15], v[20:21], v[18:19] neg_lo:[0,1] neg_hi:[0,1]
	v_cmp_eq_f32_e32 vcc, s79, v30
	v_add_f32_e32 v15, v25, v15
	v_add_f32_e32 v14, v14, v15
	;; [unrolled: 1-line block ×3, first 2 shown]
	v_mul_f32_e32 v25, v24, v15
	v_mul_f32_e32 v16, v23, v25
	v_fma_f32 v18, v25, v23, -v16
	v_fmac_f32_e32 v18, v25, v9
	v_sub_f32_e32 v9, v17, v15
	v_add_f32_e32 v9, v14, v9
	v_add_f32_e32 v14, v16, v18
	v_sub_f32_e32 v17, v15, v14
	v_pk_add_f32 v[20:21], v[14:15], v[16:17] neg_lo:[0,1] neg_hi:[0,1]
	v_mov_b32_e32 v19, v14
	v_pk_add_f32 v[14:15], v[20:21], v[18:19] neg_lo:[0,1] neg_hi:[0,1]
	s_or_b64 vcc, s[6:7], vcc
	v_add_f32_e32 v9, v9, v15
	v_add_f32_e32 v9, v14, v9
	;; [unrolled: 1-line block ×4, first 2 shown]
	v_sub_f32_e32 v14, v15, v26
	v_mul_f32_e32 v9, v24, v9
	v_sub_f32_e32 v14, v25, v14
	v_add_f32_e32 v16, v14, v9
	v_add_f32_e32 v18, v15, v16
	v_cvt_f32_i32_e32 v14, v22
	v_mul_f32_e32 v19, v18, v18
	v_sub_f32_e32 v15, v18, v15
	v_fmamk_f32 v9, v19, 0x3e9b6dac, v43
	v_sub_f32_e32 v15, v16, v15
	v_fmaak_f32 v9, v19, v9, 0x3f2aaada
	v_ldexp_f32 v20, v15, 1
	v_mul_f32_e32 v15, v18, v19
	v_ldexp_f32 v17, v18, 1
	v_pk_mul_f32 v[18:19], v[14:15], v[8:9]
	s_nop 0
	v_fma_f32 v16, v14, s81, -v18
	v_fmac_f32_e32 v16, 0xb102e308, v14
	v_pk_add_f32 v[14:15], v[18:19], v[16:17]
	s_nop 0
	v_sub_f32_e32 v9, v15, v17
	v_sub_f32_e32 v9, v19, v9
	v_add_f32_e32 v21, v20, v9
	v_mov_b32_e32 v20, v18
	v_pk_add_f32 v[18:19], v[14:15], v[18:19] neg_lo:[0,1] neg_hi:[0,1]
	v_pk_add_f32 v[22:23], v[14:15], v[20:21]
	v_mov_b32_e32 v17, v14
	v_mov_b32_e32 v19, v23
	v_pk_add_f32 v[24:25], v[16:17], v[18:19] neg_lo:[0,1] neg_hi:[0,1]
	v_pk_add_f32 v[16:17], v[16:17], v[18:19]
	v_mov_b32_e32 v20, v21
	v_mov_b32_e32 v18, v17
	v_pk_add_f32 v[26:27], v[18:19], v[14:15] neg_lo:[0,1] neg_hi:[0,1]
	v_mov_b32_e32 v16, v23
	v_mov_b32_e32 v9, v26
	v_pk_add_f32 v[28:29], v[22:23], v[8:9] neg_lo:[0,1] neg_hi:[0,1]
	v_mov_b32_e32 v22, v15
	v_mov_b32_e32 v23, v26
	;; [unrolled: 1-line block ×3, first 2 shown]
	v_pk_add_f32 v[16:17], v[16:17], v[22:23] neg_lo:[0,1] neg_hi:[0,1]
	v_mov_b32_e32 v21, v14
	v_pk_add_f32 v[14:15], v[20:21], v[16:17] neg_lo:[0,1] neg_hi:[0,1]
	v_mov_b32_e32 v28, v24
	v_pk_add_f32 v[16:17], v[28:29], v[14:15]
	s_nop 0
	v_mov_b32_e32 v20, v17
	v_pk_add_f32 v[20:21], v[16:17], v[20:21]
	s_nop 0
	v_pk_add_f32 v[18:19], v[18:19], v[20:21]
	v_mov_b32_e32 v15, v20
	v_mov_b32_e32 v17, v18
	v_pk_add_f32 v[22:23], v[16:17], v[24:25] neg_lo:[0,1] neg_hi:[0,1]
	s_nop 0
	v_sub_f32_e32 v9, v16, v22
	v_pk_add_f32 v[14:15], v[14:15], v[22:23] neg_lo:[0,1] neg_hi:[0,1]
	v_sub_f32_e32 v9, v24, v9
	v_add_f32_e32 v9, v14, v9
	v_add_f32_e32 v9, v9, v15
	;; [unrolled: 1-line block ×3, first 2 shown]
	v_cndmask_b32_e32 v53, v9, v30, vcc
.LBB3_16:                               ;   in Loop: Header=BB3_12 Depth=1
	s_or_b64 exec, exec, s[8:9]
	v_lshlrev_b32_e32 v9, 16, v49
	v_add_f32_e32 v54, s33, v9
	v_cmp_ge_f32_e32 vcc, s75, v54
	s_and_b64 s[6:7], s[44:45], vcc
	s_and_saveexec_b64 s[8:9], s[6:7]
	s_cbranch_execz .LBB3_18
; %bb.17:                               ;   in Loop: Header=BB3_12 Depth=1
	v_mul_f32_e32 v9, 0x3fb8aa3b, v54
	v_rndne_f32_e32 v14, v9
	v_sub_f32_e32 v15, v9, v14
	v_fma_f32 v9, v54, s76, -v9
	v_fmac_f32_e32 v9, 0x32a5705f, v54
	v_add_f32_e32 v9, v15, v9
	v_cvt_i32_f32_e32 v14, v14
	v_exp_f32_e32 v9, v9
	v_cmp_ngt_f32_e32 vcc, s77, v54
	v_ldexp_f32 v9, v9, v14
	s_nop 0
	v_cndmask_b32_e32 v9, 0, v9, vcc
	v_cmp_nlt_f32_e32 vcc, s78, v54
	s_nop 1
	v_cndmask_b32_e32 v30, v0, v9, vcc
	v_add_f32_e32 v9, 1.0, v30
	v_add_f32_e32 v14, -1.0, v9
	v_sub_f32_e32 v15, v14, v9
	v_add_f32_e32 v15, 1.0, v15
	v_sub_f32_e32 v14, v30, v14
	v_add_f32_e32 v16, v14, v15
	v_frexp_mant_f32_e32 v17, v9
	v_cvt_f64_f32_e32 v[14:15], v9
	v_frexp_exp_i32_f64_e32 v14, v[14:15]
	v_cmp_gt_f32_e32 vcc, s80, v17
	v_cmp_gt_f32_e64 s[6:7], s82, v30
	s_nop 0
	v_subbrev_co_u32_e32 v22, vcc, 0, v14, vcc
	v_sub_u32_e32 v14, 0, v22
	v_ldexp_f32 v9, v9, v14
	v_ldexp_f32 v14, v16, v14
	v_add_f32_e32 v16, -1.0, v9
	v_add_f32_e32 v15, 1.0, v16
	v_sub_f32_e32 v15, v9, v15
	v_add_f32_e32 v17, v14, v15
	v_add_f32_e32 v15, 1.0, v9
	v_add_f32_e32 v18, -1.0, v15
	v_sub_f32_e32 v9, v9, v18
	v_add_f32_e32 v9, v14, v9
	v_add_f32_e32 v23, v15, v9
	v_rcp_f32_e32 v24, v23
	v_sub_f32_e32 v14, v15, v23
	v_add_f32_e32 v15, v16, v17
	v_add_f32_e32 v9, v9, v14
	v_mul_f32_e32 v26, v15, v24
	v_sub_f32_e32 v14, v16, v15
	v_mul_f32_e32 v16, v23, v26
	v_fma_f32 v18, v26, v23, -v16
	v_fmac_f32_e32 v18, v26, v9
	v_add_f32_e32 v25, v17, v14
	v_add_f32_e32 v14, v16, v18
	v_sub_f32_e32 v17, v15, v14
	v_pk_add_f32 v[20:21], v[14:15], v[16:17] neg_lo:[0,1] neg_hi:[0,1]
	v_mov_b32_e32 v19, v14
	v_pk_add_f32 v[14:15], v[20:21], v[18:19] neg_lo:[0,1] neg_hi:[0,1]
	v_cmp_eq_f32_e32 vcc, s79, v30
	v_add_f32_e32 v15, v25, v15
	v_add_f32_e32 v14, v14, v15
	;; [unrolled: 1-line block ×3, first 2 shown]
	v_mul_f32_e32 v25, v24, v15
	v_mul_f32_e32 v16, v23, v25
	v_fma_f32 v18, v25, v23, -v16
	v_fmac_f32_e32 v18, v25, v9
	v_sub_f32_e32 v9, v17, v15
	v_add_f32_e32 v9, v14, v9
	v_add_f32_e32 v14, v16, v18
	v_sub_f32_e32 v17, v15, v14
	v_pk_add_f32 v[20:21], v[14:15], v[16:17] neg_lo:[0,1] neg_hi:[0,1]
	v_mov_b32_e32 v19, v14
	v_pk_add_f32 v[14:15], v[20:21], v[18:19] neg_lo:[0,1] neg_hi:[0,1]
	s_or_b64 vcc, s[6:7], vcc
	v_add_f32_e32 v9, v9, v15
	v_add_f32_e32 v9, v14, v9
	;; [unrolled: 1-line block ×4, first 2 shown]
	v_sub_f32_e32 v14, v15, v26
	v_mul_f32_e32 v9, v24, v9
	v_sub_f32_e32 v14, v25, v14
	v_add_f32_e32 v16, v14, v9
	v_add_f32_e32 v18, v15, v16
	v_cvt_f32_i32_e32 v14, v22
	v_mul_f32_e32 v19, v18, v18
	v_sub_f32_e32 v15, v18, v15
	v_fmamk_f32 v9, v19, 0x3e9b6dac, v43
	v_sub_f32_e32 v15, v16, v15
	v_fmaak_f32 v9, v19, v9, 0x3f2aaada
	v_ldexp_f32 v20, v15, 1
	v_mul_f32_e32 v15, v18, v19
	v_ldexp_f32 v17, v18, 1
	v_pk_mul_f32 v[18:19], v[14:15], v[8:9]
	s_nop 0
	v_fma_f32 v16, v14, s81, -v18
	v_fmac_f32_e32 v16, 0xb102e308, v14
	v_pk_add_f32 v[14:15], v[18:19], v[16:17]
	s_nop 0
	v_sub_f32_e32 v9, v15, v17
	v_sub_f32_e32 v9, v19, v9
	v_add_f32_e32 v21, v20, v9
	v_mov_b32_e32 v20, v18
	v_pk_add_f32 v[18:19], v[14:15], v[18:19] neg_lo:[0,1] neg_hi:[0,1]
	v_pk_add_f32 v[22:23], v[14:15], v[20:21]
	v_mov_b32_e32 v17, v14
	v_mov_b32_e32 v19, v23
	v_pk_add_f32 v[24:25], v[16:17], v[18:19] neg_lo:[0,1] neg_hi:[0,1]
	v_pk_add_f32 v[16:17], v[16:17], v[18:19]
	v_mov_b32_e32 v20, v21
	v_mov_b32_e32 v18, v17
	v_pk_add_f32 v[26:27], v[18:19], v[14:15] neg_lo:[0,1] neg_hi:[0,1]
	v_mov_b32_e32 v16, v23
	v_mov_b32_e32 v9, v26
	v_pk_add_f32 v[28:29], v[22:23], v[8:9] neg_lo:[0,1] neg_hi:[0,1]
	v_mov_b32_e32 v22, v15
	v_mov_b32_e32 v23, v26
	;; [unrolled: 1-line block ×3, first 2 shown]
	v_pk_add_f32 v[16:17], v[16:17], v[22:23] neg_lo:[0,1] neg_hi:[0,1]
	v_mov_b32_e32 v21, v14
	v_pk_add_f32 v[14:15], v[20:21], v[16:17] neg_lo:[0,1] neg_hi:[0,1]
	v_mov_b32_e32 v28, v24
	v_pk_add_f32 v[16:17], v[28:29], v[14:15]
	s_nop 0
	v_mov_b32_e32 v20, v17
	v_pk_add_f32 v[20:21], v[16:17], v[20:21]
	s_nop 0
	v_pk_add_f32 v[18:19], v[18:19], v[20:21]
	v_mov_b32_e32 v15, v20
	v_mov_b32_e32 v17, v18
	v_pk_add_f32 v[22:23], v[16:17], v[24:25] neg_lo:[0,1] neg_hi:[0,1]
	s_nop 0
	v_sub_f32_e32 v9, v16, v22
	v_pk_add_f32 v[14:15], v[14:15], v[22:23] neg_lo:[0,1] neg_hi:[0,1]
	v_sub_f32_e32 v9, v24, v9
	v_add_f32_e32 v9, v14, v9
	v_add_f32_e32 v9, v9, v15
	;; [unrolled: 1-line block ×3, first 2 shown]
	v_cndmask_b32_e32 v54, v9, v30, vcc
.LBB3_18:                               ;   in Loop: Header=BB3_12 Depth=1
	s_or_b64 exec, exec, s[8:9]
	v_lshlrev_b32_e32 v9, 16, v13
	v_add_f32_e32 v15, s33, v9
	v_cmp_ge_f32_e32 vcc, s75, v15
	s_and_b64 s[6:7], s[44:45], vcc
	s_and_saveexec_b64 s[8:9], s[6:7]
	s_cbranch_execz .LBB3_20
; %bb.19:                               ;   in Loop: Header=BB3_12 Depth=1
	v_mul_f32_e32 v9, 0x3fb8aa3b, v15
	v_rndne_f32_e32 v14, v9
	v_sub_f32_e32 v16, v9, v14
	v_fma_f32 v9, v15, s76, -v9
	v_fmac_f32_e32 v9, 0x32a5705f, v15
	v_add_f32_e32 v9, v16, v9
	v_cvt_i32_f32_e32 v14, v14
	v_exp_f32_e32 v9, v9
	v_cmp_ngt_f32_e32 vcc, s77, v15
	v_ldexp_f32 v9, v9, v14
	s_nop 0
	v_cndmask_b32_e32 v9, 0, v9, vcc
	v_cmp_nlt_f32_e32 vcc, s78, v15
	s_nop 1
	v_cndmask_b32_e32 v30, v0, v9, vcc
	v_add_f32_e32 v9, 1.0, v30
	v_add_f32_e32 v14, -1.0, v9
	v_sub_f32_e32 v15, v14, v9
	v_add_f32_e32 v15, 1.0, v15
	v_sub_f32_e32 v14, v30, v14
	v_add_f32_e32 v16, v14, v15
	v_frexp_mant_f32_e32 v17, v9
	v_cvt_f64_f32_e32 v[14:15], v9
	v_frexp_exp_i32_f64_e32 v14, v[14:15]
	v_cmp_gt_f32_e32 vcc, s80, v17
	v_cmp_gt_f32_e64 s[6:7], s82, v30
	s_nop 0
	v_subbrev_co_u32_e32 v22, vcc, 0, v14, vcc
	v_sub_u32_e32 v14, 0, v22
	v_ldexp_f32 v9, v9, v14
	v_ldexp_f32 v14, v16, v14
	v_add_f32_e32 v16, -1.0, v9
	v_add_f32_e32 v15, 1.0, v16
	v_sub_f32_e32 v15, v9, v15
	v_add_f32_e32 v17, v14, v15
	v_add_f32_e32 v15, 1.0, v9
	v_add_f32_e32 v18, -1.0, v15
	v_sub_f32_e32 v9, v9, v18
	v_add_f32_e32 v9, v14, v9
	v_add_f32_e32 v23, v15, v9
	v_rcp_f32_e32 v24, v23
	v_sub_f32_e32 v14, v15, v23
	v_add_f32_e32 v15, v16, v17
	v_add_f32_e32 v9, v9, v14
	v_mul_f32_e32 v26, v15, v24
	v_sub_f32_e32 v14, v16, v15
	v_mul_f32_e32 v16, v23, v26
	v_fma_f32 v18, v26, v23, -v16
	v_fmac_f32_e32 v18, v26, v9
	v_add_f32_e32 v25, v17, v14
	v_add_f32_e32 v14, v16, v18
	v_sub_f32_e32 v17, v15, v14
	v_pk_add_f32 v[20:21], v[14:15], v[16:17] neg_lo:[0,1] neg_hi:[0,1]
	v_mov_b32_e32 v19, v14
	v_pk_add_f32 v[14:15], v[20:21], v[18:19] neg_lo:[0,1] neg_hi:[0,1]
	v_cmp_eq_f32_e32 vcc, s79, v30
	v_add_f32_e32 v15, v25, v15
	v_add_f32_e32 v14, v14, v15
	;; [unrolled: 1-line block ×3, first 2 shown]
	v_mul_f32_e32 v25, v24, v15
	v_mul_f32_e32 v16, v23, v25
	v_fma_f32 v18, v25, v23, -v16
	v_fmac_f32_e32 v18, v25, v9
	v_sub_f32_e32 v9, v17, v15
	v_add_f32_e32 v9, v14, v9
	v_add_f32_e32 v14, v16, v18
	v_sub_f32_e32 v17, v15, v14
	v_pk_add_f32 v[20:21], v[14:15], v[16:17] neg_lo:[0,1] neg_hi:[0,1]
	v_mov_b32_e32 v19, v14
	v_pk_add_f32 v[14:15], v[20:21], v[18:19] neg_lo:[0,1] neg_hi:[0,1]
	s_or_b64 vcc, s[6:7], vcc
	v_add_f32_e32 v9, v9, v15
	v_add_f32_e32 v9, v14, v9
	;; [unrolled: 1-line block ×4, first 2 shown]
	v_sub_f32_e32 v14, v15, v26
	v_mul_f32_e32 v9, v24, v9
	v_sub_f32_e32 v14, v25, v14
	v_add_f32_e32 v16, v14, v9
	v_add_f32_e32 v18, v15, v16
	v_cvt_f32_i32_e32 v14, v22
	v_mul_f32_e32 v19, v18, v18
	v_sub_f32_e32 v15, v18, v15
	v_fmamk_f32 v9, v19, 0x3e9b6dac, v43
	v_sub_f32_e32 v15, v16, v15
	v_fmaak_f32 v9, v19, v9, 0x3f2aaada
	v_ldexp_f32 v20, v15, 1
	v_mul_f32_e32 v15, v18, v19
	v_ldexp_f32 v17, v18, 1
	v_pk_mul_f32 v[18:19], v[14:15], v[8:9]
	s_nop 0
	v_fma_f32 v16, v14, s81, -v18
	v_fmac_f32_e32 v16, 0xb102e308, v14
	v_pk_add_f32 v[14:15], v[18:19], v[16:17]
	s_nop 0
	v_sub_f32_e32 v9, v15, v17
	v_sub_f32_e32 v9, v19, v9
	v_add_f32_e32 v21, v20, v9
	v_mov_b32_e32 v20, v18
	v_pk_add_f32 v[18:19], v[14:15], v[18:19] neg_lo:[0,1] neg_hi:[0,1]
	v_pk_add_f32 v[22:23], v[14:15], v[20:21]
	v_mov_b32_e32 v17, v14
	v_mov_b32_e32 v19, v23
	v_pk_add_f32 v[24:25], v[16:17], v[18:19] neg_lo:[0,1] neg_hi:[0,1]
	v_pk_add_f32 v[16:17], v[16:17], v[18:19]
	v_mov_b32_e32 v20, v21
	v_mov_b32_e32 v18, v17
	v_pk_add_f32 v[26:27], v[18:19], v[14:15] neg_lo:[0,1] neg_hi:[0,1]
	v_mov_b32_e32 v16, v23
	v_mov_b32_e32 v9, v26
	v_pk_add_f32 v[28:29], v[22:23], v[8:9] neg_lo:[0,1] neg_hi:[0,1]
	v_mov_b32_e32 v22, v15
	v_mov_b32_e32 v23, v26
	;; [unrolled: 1-line block ×3, first 2 shown]
	v_pk_add_f32 v[16:17], v[16:17], v[22:23] neg_lo:[0,1] neg_hi:[0,1]
	v_mov_b32_e32 v21, v14
	v_pk_add_f32 v[14:15], v[20:21], v[16:17] neg_lo:[0,1] neg_hi:[0,1]
	v_mov_b32_e32 v28, v24
	v_pk_add_f32 v[16:17], v[28:29], v[14:15]
	s_nop 0
	v_mov_b32_e32 v20, v17
	v_pk_add_f32 v[20:21], v[16:17], v[20:21]
	s_nop 0
	v_pk_add_f32 v[18:19], v[18:19], v[20:21]
	v_mov_b32_e32 v15, v20
	v_mov_b32_e32 v17, v18
	v_pk_add_f32 v[22:23], v[16:17], v[24:25] neg_lo:[0,1] neg_hi:[0,1]
	s_nop 0
	v_sub_f32_e32 v9, v16, v22
	v_pk_add_f32 v[14:15], v[14:15], v[22:23] neg_lo:[0,1] neg_hi:[0,1]
	v_sub_f32_e32 v9, v24, v9
	v_add_f32_e32 v9, v14, v9
	v_add_f32_e32 v9, v9, v15
	;; [unrolled: 1-line block ×3, first 2 shown]
	v_cndmask_b32_e32 v15, v9, v30, vcc
.LBB3_20:                               ;   in Loop: Header=BB3_12 Depth=1
	s_or_b64 exec, exec, s[8:9]
	v_lshlrev_b32_e32 v9, 16, v51
	v_add_f32_e32 v14, s33, v9
	v_cmp_ge_f32_e32 vcc, s75, v14
	s_and_b64 s[6:7], s[44:45], vcc
	s_and_saveexec_b64 s[8:9], s[6:7]
	s_cbranch_execz .LBB3_22
; %bb.21:                               ;   in Loop: Header=BB3_12 Depth=1
	v_mul_f32_e32 v9, 0x3fb8aa3b, v14
	v_rndne_f32_e32 v16, v9
	v_sub_f32_e32 v17, v9, v16
	v_fma_f32 v9, v14, s76, -v9
	v_fmac_f32_e32 v9, 0x32a5705f, v14
	v_add_f32_e32 v9, v17, v9
	v_cvt_i32_f32_e32 v16, v16
	v_exp_f32_e32 v9, v9
	v_cmp_ngt_f32_e32 vcc, s77, v14
	v_ldexp_f32 v9, v9, v16
	s_nop 0
	v_cndmask_b32_e32 v9, 0, v9, vcc
	v_cmp_nlt_f32_e32 vcc, s78, v14
	s_nop 1
	v_cndmask_b32_e32 v30, v0, v9, vcc
	v_add_f32_e32 v9, 1.0, v30
	v_add_f32_e32 v14, -1.0, v9
	v_sub_f32_e32 v16, v14, v9
	v_add_f32_e32 v16, 1.0, v16
	v_sub_f32_e32 v14, v30, v14
	v_add_f32_e32 v14, v14, v16
	v_frexp_mant_f32_e32 v18, v9
	v_cvt_f64_f32_e32 v[16:17], v9
	v_frexp_exp_i32_f64_e32 v16, v[16:17]
	v_cmp_gt_f32_e32 vcc, s80, v18
	v_cmp_gt_f32_e64 s[6:7], s82, v30
	s_nop 0
	v_subbrev_co_u32_e32 v24, vcc, 0, v16, vcc
	v_sub_u32_e32 v16, 0, v24
	v_ldexp_f32 v9, v9, v16
	v_ldexp_f32 v14, v14, v16
	v_add_f32_e32 v16, -1.0, v9
	v_add_f32_e32 v17, 1.0, v16
	v_sub_f32_e32 v17, v9, v17
	v_add_f32_e32 v18, v14, v17
	v_add_f32_e32 v17, 1.0, v9
	v_add_f32_e32 v19, -1.0, v17
	v_sub_f32_e32 v9, v9, v19
	v_add_f32_e32 v9, v14, v9
	v_add_f32_e32 v14, v17, v9
	v_rcp_f32_e32 v25, v14
	v_sub_f32_e32 v17, v17, v14
	v_add_f32_e32 v9, v9, v17
	v_add_f32_e32 v17, v16, v18
	v_sub_f32_e32 v16, v16, v17
	v_mul_f32_e32 v27, v17, v25
	v_add_f32_e32 v26, v18, v16
	v_mul_f32_e32 v18, v14, v27
	v_fma_f32 v20, v27, v14, -v18
	v_fmac_f32_e32 v20, v27, v9
	v_add_f32_e32 v16, v18, v20
	v_sub_f32_e32 v19, v17, v16
	v_pk_add_f32 v[22:23], v[16:17], v[18:19] neg_lo:[0,1] neg_hi:[0,1]
	v_mov_b32_e32 v21, v16
	v_pk_add_f32 v[16:17], v[22:23], v[20:21] neg_lo:[0,1] neg_hi:[0,1]
	v_cmp_eq_f32_e32 vcc, s79, v30
	v_add_f32_e32 v17, v26, v17
	v_add_f32_e32 v16, v16, v17
	;; [unrolled: 1-line block ×3, first 2 shown]
	v_mul_f32_e32 v26, v25, v17
	v_mul_f32_e32 v18, v14, v26
	v_fma_f32 v20, v26, v14, -v18
	v_fmac_f32_e32 v20, v26, v9
	v_sub_f32_e32 v9, v19, v17
	v_add_f32_e32 v9, v16, v9
	v_add_f32_e32 v16, v18, v20
	v_sub_f32_e32 v19, v17, v16
	v_pk_add_f32 v[22:23], v[16:17], v[18:19] neg_lo:[0,1] neg_hi:[0,1]
	v_mov_b32_e32 v21, v16
	v_pk_add_f32 v[16:17], v[22:23], v[20:21] neg_lo:[0,1] neg_hi:[0,1]
	v_add_f32_e32 v14, v27, v26
	v_add_f32_e32 v9, v9, v17
	;; [unrolled: 1-line block ×4, first 2 shown]
	v_sub_f32_e32 v16, v14, v27
	v_mul_f32_e32 v9, v25, v9
	v_sub_f32_e32 v16, v26, v16
	v_add_f32_e32 v17, v16, v9
	v_add_f32_e32 v18, v14, v17
	v_cvt_f32_i32_e32 v16, v24
	v_mul_f32_e32 v20, v18, v18
	v_fmamk_f32 v9, v20, 0x3e9b6dac, v43
	v_sub_f32_e32 v14, v18, v14
	v_fmaak_f32 v9, v20, v9, 0x3f2aaada
	v_sub_f32_e32 v14, v17, v14
	v_mul_f32_e32 v17, v18, v20
	v_pk_mul_f32 v[20:21], v[16:17], v[8:9]
	v_ldexp_f32 v19, v18, 1
	v_fma_f32 v18, v16, s81, -v20
	v_fmac_f32_e32 v18, 0xb102e308, v16
	v_pk_add_f32 v[16:17], v[20:21], v[18:19]
	v_ldexp_f32 v14, v14, 1
	v_sub_f32_e32 v9, v17, v19
	v_sub_f32_e32 v9, v21, v9
	v_add_f32_e32 v23, v14, v9
	v_mov_b32_e32 v22, v20
	v_pk_add_f32 v[20:21], v[16:17], v[20:21] neg_lo:[0,1] neg_hi:[0,1]
	v_pk_add_f32 v[24:25], v[16:17], v[22:23]
	v_mov_b32_e32 v19, v16
	v_mov_b32_e32 v21, v25
	v_pk_add_f32 v[26:27], v[18:19], v[20:21] neg_lo:[0,1] neg_hi:[0,1]
	v_pk_add_f32 v[18:19], v[18:19], v[20:21]
	s_or_b64 vcc, s[6:7], vcc
	v_mov_b32_e32 v14, v19
	v_pk_add_f32 v[20:21], v[14:15], v[16:17] neg_lo:[0,1] neg_hi:[0,1]
	v_mov_b32_e32 v18, v25
	v_mov_b32_e32 v9, v20
	v_pk_add_f32 v[28:29], v[24:25], v[8:9] neg_lo:[0,1] neg_hi:[0,1]
	v_mov_b32_e32 v24, v17
	v_mov_b32_e32 v25, v20
	v_mov_b32_e32 v27, v19
	v_pk_add_f32 v[18:19], v[18:19], v[24:25] neg_lo:[0,1] neg_hi:[0,1]
	v_mov_b32_e32 v20, v23
	v_mov_b32_e32 v21, v16
	v_pk_add_f32 v[16:17], v[20:21], v[18:19] neg_lo:[0,1] neg_hi:[0,1]
	v_mov_b32_e32 v28, v26
	v_pk_add_f32 v[18:19], v[28:29], v[16:17]
	s_nop 0
	v_mov_b32_e32 v20, v19
	v_pk_add_f32 v[20:21], v[18:19], v[20:21]
	s_nop 0
	v_pk_add_f32 v[22:23], v[14:15], v[20:21]
	v_mov_b32_e32 v17, v20
	v_mov_b32_e32 v19, v22
	v_pk_add_f32 v[24:25], v[18:19], v[26:27] neg_lo:[0,1] neg_hi:[0,1]
	s_nop 0
	v_sub_f32_e32 v9, v18, v24
	v_pk_add_f32 v[16:17], v[16:17], v[24:25] neg_lo:[0,1] neg_hi:[0,1]
	v_sub_f32_e32 v9, v26, v9
	v_add_f32_e32 v9, v16, v9
	v_add_f32_e32 v9, v9, v17
	;; [unrolled: 1-line block ×3, first 2 shown]
	v_cndmask_b32_e32 v14, v9, v30, vcc
.LBB3_22:                               ;   in Loop: Header=BB3_12 Depth=1
	s_or_b64 exec, exec, s[8:9]
	v_lshlrev_b32_e32 v20, 16, v11
	v_lshlrev_b32_e32 v9, 16, v52
	v_lshlrev_b32_e32 v21, 16, v50
	v_lshlrev_b32_e32 v22, 16, v10
	v_mul_f32_e32 v18, s72, v20
	v_mul_f32_e32 v17, s72, v21
	;; [unrolled: 1-line block ×3, first 2 shown]
	s_lshl_b32 s58, s86, 8
	v_mul_f32_e32 v19, s72, v9
	s_and_b64 vcc, exec, s[54:55]
	s_waitcnt lgkmcnt(0)
	; wave barrier
	s_cbranch_vccz .LBB3_11
; %bb.23:                               ;   in Loop: Header=BB3_12 Depth=1
	v_and_b32_e32 v24, 15, v44
	v_cmp_eq_u32_e64 s[6:7], 0, v24
	v_cmp_lt_u32_e64 s[8:9], 1, v24
	v_cmp_lt_u32_e64 s[10:11], 3, v24
	;; [unrolled: 1-line block ×3, first 2 shown]
	v_and_b32_e32 v24, 16, v44
	s_sub_i32 s24, s48, s58
	v_cmp_ne_u32_e64 s[14:15], 0, v24
	v_add_u32_e32 v24, -1, v44
	v_and_b32_e32 v25, 64, v44
	s_cmp_lg_u32 s86, 0
	v_cmp_lt_i32_e32 vcc, v24, v25
	s_cselect_b64 s[60:61], -1, 0
	s_cmp_eq_u32 s86, s74
	v_cndmask_b32_e32 v24, v24, v44, vcc
	v_cmp_gt_u32_e32 vcc, s24, v7
	s_cselect_b64 s[62:63], -1, 0
	s_or_b64 s[18:19], s[56:57], vcc
	v_cmp_gt_u32_e32 vcc, s24, v6
	s_mov_b32 s50, 0
	v_cmp_gt_u32_e64 s[20:21], s24, v1
	s_or_b64 s[22:23], s[56:57], vcc
	v_cmp_gt_u32_e32 vcc, s24, v42
	v_mul_f32_e32 v9, v14, v9
	v_mul_f32_e32 v55, v15, v20
	;; [unrolled: 1-line block ×4, first 2 shown]
	v_lshl_add_u64 v[20:21], s[38:39], 0, v[2:3]
	v_lshl_add_u64 v[22:23], s[42:43], 0, v[2:3]
	v_cmp_lt_u32_e64 s[16:17], 31, v44
	v_lshlrev_b32_e32 v58, 2, v24
	s_or_b64 s[20:21], s[56:57], s[20:21]
	s_or_b64 s[24:25], s[56:57], vcc
	s_mov_b32 s64, s50
	s_mov_b32 s66, s50
	;; [unrolled: 1-line block ×5, first 2 shown]
	s_branch .LBB3_25
.LBB3_24:                               ;   in Loop: Header=BB3_25 Depth=2
	s_or_b64 exec, exec, s[26:27]
	v_mul_f32_e32 v27, v35, v34
	v_fma_f32 v30, v35, v37, v32
	v_cndmask_b32_e64 v32, v30, v32, s[4:5]
	v_cndmask_b32_e64 v27, v27, v35, s[4:5]
	s_waitcnt lgkmcnt(0)
	v_fmac_f32_e32 v32, v26, v27
	v_fmac_f32_e32 v33, v32, v29
	;; [unrolled: 1-line block ×4, first 2 shown]
	s_waitcnt vmcnt(0)
	v_and_b32_e32 v27, 0xffff0000, v24
	v_lshlrev_b32_e32 v26, 16, v24
	v_alignbit_b32 v24, v25, v24, 16
	v_and_b32_e32 v24, 0xffff0000, v24
	v_and_b32_e32 v25, 0xffff0000, v25
	v_mov_b32_e32 v29, v36
	s_add_i32 s87, s87, 8
	s_add_i32 s59, s59, -1
	s_add_i32 s68, s68, s46
	s_add_i32 s66, s66, s28
	;; [unrolled: 1-line block ×4, first 2 shown]
	v_pk_fma_f32 v[16:17], v[32:33], v[26:27], v[16:17]
	s_cmp_eq_u32 s59, 0
	v_pk_fma_f32 v[18:19], v[28:29], v[24:25], v[18:19]
	s_cbranch_scc1 .LBB3_11
.LBB3_25:                               ;   Parent Loop BB3_12 Depth=1
                                        ; =>  This Inner Loop Header: Depth=2
	s_lshl_b64 s[26:27], s[50:51], 2
	s_mov_b32 s65, s51
	s_add_u32 s26, s36, s26
	v_lshl_add_u64 v[24:25], s[64:65], 1, v[20:21]
	s_mov_b32 s67, s51
	s_addc_u32 s27, s47, s27
	global_load_dwordx2 v[28:29], v[24:25], off
	v_lshl_add_u64 v[24:25], s[66:67], 1, v[22:23]
	global_load_dword v26, v3, s[26:27]
	s_andn2_b64 vcc, exec, s[60:61]
	global_load_dwordx2 v[24:25], v[24:25], off
	s_cbranch_vccnz .LBB3_27
; %bb.26:                               ;   in Loop: Header=BB3_25 Depth=2
	v_mov_b32_e32 v27, s87
	ds_read_b64 v[30:31], v27
	s_waitcnt lgkmcnt(0)
	v_mov_b32_e32 v27, v31
	s_cbranch_execz .LBB3_28
	s_branch .LBB3_31
.LBB3_27:                               ;   in Loop: Header=BB3_25 Depth=2
                                        ; implicit-def: $vgpr30
                                        ; implicit-def: $vgpr27
.LBB3_28:                               ;   in Loop: Header=BB3_25 Depth=2
	s_andn2_b64 vcc, exec, s[34:35]
	v_mov_b32_e32 v27, 0
	s_cbranch_vccnz .LBB3_30
; %bb.29:                               ;   in Loop: Header=BB3_25 Depth=2
	s_mov_b32 s69, s51
	s_lshl_b64 s[26:27], s[68:69], 1
	s_add_u32 s26, s29, s26
	s_addc_u32 s27, s41, s27
	global_load_ushort v27, v3, s[26:27]
	s_waitcnt vmcnt(0)
	v_lshlrev_b32_e32 v27, 16, v27
.LBB3_30:                               ;   in Loop: Header=BB3_25 Depth=2
	v_mov_b32_e32 v30, 1.0
.LBB3_31:                               ;   in Loop: Header=BB3_25 Depth=2
	s_waitcnt vmcnt(1)
	v_mul_f32_e32 v26, 0x3fb8aa3b, v26
	v_mul_f32_e32 v33, v26, v53
	v_cmp_gt_f32_e32 vcc, s84, v33
	v_and_b32_e32 v31, 0xffff0000, v28
	v_lshlrev_b32_e32 v32, 16, v28
	v_cndmask_b32_e32 v33, 0, v45, vcc
	v_fmac_f32_e32 v33, v26, v53
	v_exp_f32_e32 v33, v33
	v_alignbit_b32 v28, v29, v28, 16
	v_and_b32_e32 v34, 0xffff0000, v29
	v_cndmask_b32_e32 v29, 1.0, v46, vcc
	v_mul_f32_e32 v29, v33, v29
	v_mul_f32_e32 v33, v26, v54
	v_cmp_gt_f32_e32 vcc, s84, v33
	v_pk_mul_f32 v[36:37], v[26:27], v[14:15] op_sel_hi:[0,1]
	v_cndmask_b32_e64 v35, 1.0, v29, s[18:19]
	v_cndmask_b32_e32 v33, 0, v45, vcc
	v_fmac_f32_e32 v33, v26, v54
	v_exp_f32_e32 v33, v33
	v_cndmask_b32_e32 v29, 1.0, v46, vcc
	v_cmp_gt_f32_e32 vcc, s84, v36
	v_mul_f32_e32 v31, v56, v31
	v_cmp_gt_f32_e64 s[26:27], s84, v37
	v_cndmask_b32_e32 v26, 0, v45, vcc
	v_mul_f32_e32 v29, v33, v29
	v_cndmask_b32_e64 v33, 0, v31, s[20:21]
	v_add_f32_e32 v26, v36, v26
	v_cndmask_b32_e64 v31, 0, v45, s[26:27]
	v_exp_f32_e32 v26, v26
	v_add_f32_e32 v31, v37, v31
	v_exp_f32_e32 v31, v31
	v_cndmask_b32_e32 v36, 1.0, v46, vcc
	v_mul_f32_e32 v32, v57, v32
	v_mul_f32_e32 v26, v26, v36
	v_cndmask_b32_e64 v36, 1.0, v46, s[26:27]
	v_and_b32_e32 v28, 0xffff0000, v28
	v_cndmask_b32_e64 v32, 0, v32, s[18:19]
	v_cndmask_b32_e64 v29, 1.0, v29, s[20:21]
	v_mul_f32_e32 v31, v31, v36
	v_mul_f32_e32 v28, v55, v28
	;; [unrolled: 1-line block ×3, first 2 shown]
	v_cndmask_b32_e64 v39, 1.0, v31, s[22:23]
	v_cndmask_b32_e64 v38, 1.0, v26, s[24:25]
	v_fma_f32 v26, v29, v32, v33
	v_cndmask_b32_e64 v28, 0, v28, s[22:23]
	v_cndmask_b32_e64 v36, 0, v34, s[24:25]
	v_mul_f32_e32 v34, v26, v39
	v_pk_add_f32 v[40:41], v[34:35], v[28:29]
	v_pk_mul_f32 v[60:61], v[34:35], v[28:29]
	v_mov_b32_e32 v37, v38
	v_mov_b32_e32 v41, v61
	v_pk_mul_f32 v[60:61], v[40:41], v[38:39]
	v_pk_fma_f32 v[40:41], v[40:41], v[38:39], v[36:37]
	v_pk_mul_f32 v[60:61], v[60:61], v[36:37]
	s_nop 0
	v_mov_b32_dpp v31, v40 row_shr:1 row_mask:0xf bank_mask:0xf
	v_mov_b32_dpp v26, v61 row_shr:1 row_mask:0xf bank_mask:0xf
	v_mul_f32_e32 v41, v61, v26
	v_fma_f32 v26, v61, v31, v40
	v_cndmask_b32_e64 v37, v26, v40, s[6:7]
	v_cndmask_b32_e64 v26, v26, v40, s[6:7]
	;; [unrolled: 1-line block ×4, first 2 shown]
	v_mov_b32_dpp v41, v26 row_shr:2 row_mask:0xf bank_mask:0xf
	v_mov_b32_dpp v40, v31 row_shr:2 row_mask:0xf bank_mask:0xf
	s_and_saveexec_b64 s[26:27], s[8:9]
; %bb.32:                               ;   in Loop: Header=BB3_25 Depth=2
	v_fmac_f32_e32 v26, v31, v41
	v_mul_f32_e32 v31, v31, v40
	v_mov_b32_e32 v34, v31
	v_mov_b32_e32 v37, v26
; %bb.33:                               ;   in Loop: Header=BB3_25 Depth=2
	s_or_b64 exec, exec, s[26:27]
	v_mov_b32_dpp v40, v31 row_shr:4 row_mask:0xf bank_mask:0xf
	v_mov_b32_dpp v41, v26 row_shr:4 row_mask:0xf bank_mask:0xf
	s_and_saveexec_b64 s[26:27], s[10:11]
; %bb.34:                               ;   in Loop: Header=BB3_25 Depth=2
	v_fmac_f32_e32 v26, v31, v41
	v_mul_f32_e32 v31, v31, v40
	v_mov_b32_e32 v34, v31
	v_mov_b32_e32 v37, v26
; %bb.35:                               ;   in Loop: Header=BB3_25 Depth=2
	s_or_b64 exec, exec, s[26:27]
	v_mov_b32_dpp v40, v31 row_shr:8 row_mask:0xf bank_mask:0xf
	v_mov_b32_dpp v41, v26 row_shr:8 row_mask:0xf bank_mask:0xf
	s_and_saveexec_b64 s[26:27], s[12:13]
; %bb.36:                               ;   in Loop: Header=BB3_25 Depth=2
	v_fmac_f32_e32 v26, v31, v41
	v_mul_f32_e32 v31, v31, v40
	v_mov_b32_e32 v34, v31
	v_mov_b32_e32 v37, v26
; %bb.37:                               ;   in Loop: Header=BB3_25 Depth=2
	s_or_b64 exec, exec, s[26:27]
	v_mov_b32_dpp v40, v31 row_bcast:15 row_mask:0xf bank_mask:0xf
	v_mov_b32_dpp v41, v26 row_bcast:15 row_mask:0xf bank_mask:0xf
	s_and_saveexec_b64 s[26:27], s[14:15]
; %bb.38:                               ;   in Loop: Header=BB3_25 Depth=2
	v_fmac_f32_e32 v26, v31, v41
	v_mul_f32_e32 v31, v31, v40
	v_mov_b32_e32 v34, v31
	v_mov_b32_e32 v37, v26
; %bb.39:                               ;   in Loop: Header=BB3_25 Depth=2
	s_or_b64 exec, exec, s[26:27]
	v_mov_b32_dpp v40, v31 row_bcast:31 row_mask:0xf bank_mask:0xf
	v_mov_b32_dpp v41, v26 row_bcast:31 row_mask:0xf bank_mask:0xf
	v_mul_f32_e32 v40, v31, v40
	v_fmac_f32_e32 v26, v31, v41
	v_cndmask_b32_e64 v40, v34, v40, s[16:17]
	v_cndmask_b32_e64 v41, v37, v26, s[16:17]
	s_and_saveexec_b64 s[26:27], s[2:3]
	s_cbranch_execz .LBB3_41
; %bb.40:                               ;   in Loop: Header=BB3_25 Depth=2
	ds_write_b64 v3, v[40:41] offset:1056
.LBB3_41:                               ;   in Loop: Header=BB3_25 Depth=2
	s_or_b64 exec, exec, s[26:27]
	ds_bpermute_b32 v34, v58, v40
	ds_bpermute_b32 v37, v58, v41
	s_waitcnt lgkmcnt(0)
	; wave barrier
	s_waitcnt lgkmcnt(0)
	s_and_saveexec_b64 s[26:27], s[0:1]
	s_cbranch_execz .LBB3_45
; %bb.42:                               ;   in Loop: Header=BB3_25 Depth=2
	ds_read_b64 v[40:41], v3 offset:1056
	s_and_saveexec_b64 s[70:71], s[4:5]
	s_cbranch_execz .LBB3_44
; %bb.43:                               ;   in Loop: Header=BB3_25 Depth=2
	v_mov_b32_e32 v31, v27
	ds_write_b64 v3, v[30:31] offset:1056
.LBB3_44:                               ;   in Loop: Header=BB3_25 Depth=2
	s_or_b64 exec, exec, s[70:71]
	s_waitcnt lgkmcnt(0)
	v_mul_f32_e32 v31, v40, v27
	v_pk_add_f32 v[26:27], v[30:31], v[40:41]
	v_mul_f32_e32 v30, v30, v40
.LBB3_45:                               ;   in Loop: Header=BB3_25 Depth=2
	s_or_b64 exec, exec, s[26:27]
	s_waitcnt lgkmcnt(0)
	; wave barrier
	ds_read_b32 v26, v3 offset:1060
	s_and_saveexec_b64 s[26:27], s[4:5]
	s_cbranch_execz .LBB3_24
; %bb.46:                               ;   in Loop: Header=BB3_25 Depth=2
	v_mov_b32_e32 v31, v27
	v_mov_b32_e32 v40, s87
	s_andn2_b64 vcc, exec, s[62:63]
	ds_write_b64 v40, v[30:31]
	s_cbranch_vccnz .LBB3_24
; %bb.47:                               ;   in Loop: Header=BB3_25 Depth=2
	v_bfe_u32 v30, v27, 16, 1
	s_mov_b32 s69, s51
	v_add3_u32 v30, v27, v30, s85
	s_lshl_b64 s[70:71], s[68:69], 1
	v_lshrrev_b32_e32 v30, 16, v30
	v_cmp_o_f32_e32 vcc, v27, v27
	s_add_u32 s70, s29, s70
	s_addc_u32 s71, s41, s71
	v_cndmask_b32_e32 v27, v47, v30, vcc
	global_store_short v3, v27, s[70:71]
	s_branch .LBB3_24
.LBB3_48:
	s_endpgm
	.section	.rodata,"a",@progbits
	.p2align	6, 0x0
	.amdhsa_kernel _Z25selective_scan_fwd_kernelI32Selective_Scan_fwd_kernel_traitsILi64ELi4ELi1ELb1ELb1ELb1ELb0ELb0EN3c108BFloat16EfS2_EEv13SSMParamsBase
		.amdhsa_group_segment_fixed_size 0
		.amdhsa_private_segment_fixed_size 0
		.amdhsa_kernarg_size 248
		.amdhsa_user_sgpr_count 2
		.amdhsa_user_sgpr_dispatch_ptr 0
		.amdhsa_user_sgpr_queue_ptr 0
		.amdhsa_user_sgpr_kernarg_segment_ptr 1
		.amdhsa_user_sgpr_dispatch_id 0
		.amdhsa_user_sgpr_kernarg_preload_length 0
		.amdhsa_user_sgpr_kernarg_preload_offset 0
		.amdhsa_user_sgpr_private_segment_size 0
		.amdhsa_uses_dynamic_stack 0
		.amdhsa_enable_private_segment 0
		.amdhsa_system_sgpr_workgroup_id_x 1
		.amdhsa_system_sgpr_workgroup_id_y 1
		.amdhsa_system_sgpr_workgroup_id_z 0
		.amdhsa_system_sgpr_workgroup_info 0
		.amdhsa_system_vgpr_workitem_id 0
		.amdhsa_next_free_vgpr 62
		.amdhsa_next_free_sgpr 88
		.amdhsa_accum_offset 64
		.amdhsa_reserve_vcc 1
		.amdhsa_float_round_mode_32 0
		.amdhsa_float_round_mode_16_64 0
		.amdhsa_float_denorm_mode_32 3
		.amdhsa_float_denorm_mode_16_64 3
		.amdhsa_dx10_clamp 1
		.amdhsa_ieee_mode 1
		.amdhsa_fp16_overflow 0
		.amdhsa_tg_split 0
		.amdhsa_exception_fp_ieee_invalid_op 0
		.amdhsa_exception_fp_denorm_src 0
		.amdhsa_exception_fp_ieee_div_zero 0
		.amdhsa_exception_fp_ieee_overflow 0
		.amdhsa_exception_fp_ieee_underflow 0
		.amdhsa_exception_fp_ieee_inexact 0
		.amdhsa_exception_int_div_zero 0
	.end_amdhsa_kernel
	.section	.text._Z25selective_scan_fwd_kernelI32Selective_Scan_fwd_kernel_traitsILi64ELi4ELi1ELb1ELb1ELb1ELb0ELb0EN3c108BFloat16EfS2_EEv13SSMParamsBase,"axG",@progbits,_Z25selective_scan_fwd_kernelI32Selective_Scan_fwd_kernel_traitsILi64ELi4ELi1ELb1ELb1ELb1ELb0ELb0EN3c108BFloat16EfS2_EEv13SSMParamsBase,comdat
.Lfunc_end3:
	.size	_Z25selective_scan_fwd_kernelI32Selective_Scan_fwd_kernel_traitsILi64ELi4ELi1ELb1ELb1ELb1ELb0ELb0EN3c108BFloat16EfS2_EEv13SSMParamsBase, .Lfunc_end3-_Z25selective_scan_fwd_kernelI32Selective_Scan_fwd_kernel_traitsILi64ELi4ELi1ELb1ELb1ELb1ELb0ELb0EN3c108BFloat16EfS2_EEv13SSMParamsBase
                                        ; -- End function
	.section	.AMDGPU.csdata,"",@progbits
; Kernel info:
; codeLenInByte = 5340
; NumSgprs: 94
; NumVgprs: 62
; NumAgprs: 0
; TotalNumVgprs: 62
; ScratchSize: 0
; MemoryBound: 0
; FloatMode: 240
; IeeeMode: 1
; LDSByteSize: 0 bytes/workgroup (compile time only)
; SGPRBlocks: 11
; VGPRBlocks: 7
; NumSGPRsForWavesPerEU: 94
; NumVGPRsForWavesPerEU: 62
; AccumOffset: 64
; Occupancy: 8
; WaveLimiterHint : 0
; COMPUTE_PGM_RSRC2:SCRATCH_EN: 0
; COMPUTE_PGM_RSRC2:USER_SGPR: 2
; COMPUTE_PGM_RSRC2:TRAP_HANDLER: 0
; COMPUTE_PGM_RSRC2:TGID_X_EN: 1
; COMPUTE_PGM_RSRC2:TGID_Y_EN: 1
; COMPUTE_PGM_RSRC2:TGID_Z_EN: 0
; COMPUTE_PGM_RSRC2:TIDIG_COMP_CNT: 0
; COMPUTE_PGM_RSRC3_GFX90A:ACCUM_OFFSET: 15
; COMPUTE_PGM_RSRC3_GFX90A:TG_SPLIT: 0
	.section	.text._Z25selective_scan_fwd_kernelI32Selective_Scan_fwd_kernel_traitsILi64ELi4ELi1ELb0ELb1ELb1ELb1ELb1EN3c108BFloat16EfS2_EEv13SSMParamsBase,"axG",@progbits,_Z25selective_scan_fwd_kernelI32Selective_Scan_fwd_kernel_traitsILi64ELi4ELi1ELb0ELb1ELb1ELb1ELb1EN3c108BFloat16EfS2_EEv13SSMParamsBase,comdat
	.protected	_Z25selective_scan_fwd_kernelI32Selective_Scan_fwd_kernel_traitsILi64ELi4ELi1ELb0ELb1ELb1ELb1ELb1EN3c108BFloat16EfS2_EEv13SSMParamsBase ; -- Begin function _Z25selective_scan_fwd_kernelI32Selective_Scan_fwd_kernel_traitsILi64ELi4ELi1ELb0ELb1ELb1ELb1ELb1EN3c108BFloat16EfS2_EEv13SSMParamsBase
	.globl	_Z25selective_scan_fwd_kernelI32Selective_Scan_fwd_kernel_traitsILi64ELi4ELi1ELb0ELb1ELb1ELb1ELb1EN3c108BFloat16EfS2_EEv13SSMParamsBase
	.p2align	8
	.type	_Z25selective_scan_fwd_kernelI32Selective_Scan_fwd_kernel_traitsILi64ELi4ELi1ELb0ELb1ELb1ELb1ELb1EN3c108BFloat16EfS2_EEv13SSMParamsBase,@function
_Z25selective_scan_fwd_kernelI32Selective_Scan_fwd_kernel_traitsILi64ELi4ELi1ELb0ELb1ELb1ELb1ELb1EN3c108BFloat16EfS2_EEv13SSMParamsBase: ; @_Z25selective_scan_fwd_kernelI32Selective_Scan_fwd_kernel_traitsILi64ELi4ELi1ELb0ELb1ELb1ELb1ELb1EN3c108BFloat16EfS2_EEv13SSMParamsBase
; %bb.0:
	s_load_dword s37, s[0:1], 0x18
	s_load_dwordx4 s[4:7], s[0:1], 0xe8
	s_load_dwordx8 s[20:27], s[0:1], 0xc8
	s_mov_b32 s34, s3
	s_ashr_i32 s3, s2, 31
	s_lshl_b64 s[8:9], s[2:3], 2
	s_waitcnt lgkmcnt(0)
	s_abs_i32 s36, s37
	v_cvt_f32_u32_e32 v1, s36
	s_add_u32 s28, s26, s8
	s_addc_u32 s29, s27, s9
	s_cmp_eq_u64 s[6:7], 0
	v_rcp_iflag_f32_e32 v1, v1
	s_nop 0
	v_mul_f32_e32 v1, 0x4f7ffffe, v1
	v_cvt_u32_f32_e32 v1, v1
	s_nop 0
	v_readfirstlane_b32 s56, v1
	s_cbranch_scc1 .LBB4_102
; %bb.1:
	s_add_u32 s6, s6, s2
	s_addc_u32 s7, s7, s3
	v_mov_b32_e32 v1, 0
	global_load_ubyte v1, v1, s[6:7]
	s_waitcnt vmcnt(0)
	v_and_b32_e32 v1, 1, v1
	v_cmp_eq_u32_e64 s[38:39], 1, v1
	s_load_dwordx2 s[6:7], s[0:1], 0x20
	s_cmp_eq_u64 s[4:5], 0
	s_cbranch_scc1 .LBB4_3
.LBB4_2:
	s_add_u32 s2, s4, s8
	s_addc_u32 s3, s5, s9
	s_load_dword s2, s[2:3], 0x0
	s_waitcnt lgkmcnt(0)
	s_ashr_i32 s3, s2, 31
.LBB4_3:
	s_waitcnt lgkmcnt(0)
	s_cmp_eq_u64 s[6:7], s[2:3]
	s_cbranch_scc1 .LBB4_101
; %bb.4:
	s_load_dwordx16 s[4:19], s[0:1], 0x88
	s_load_dwordx2 s[26:27], s[28:29], 0x0
	s_mov_b32 s33, 0
	s_mov_b32 s76, 0
	s_waitcnt lgkmcnt(0)
	s_cmp_eq_u64 s[10:11], 0
	s_cbranch_scc1 .LBB4_6
; %bb.5:
	s_ashr_i32 s35, s34, 31
	s_lshl_b64 s[28:29], s[34:35], 2
	s_add_u32 s10, s10, s28
	s_addc_u32 s11, s11, s29
	s_load_dword s76, s[10:11], 0x0
.LBB4_6:
	s_cmp_eq_u64 s[16:17], 0
	s_cbranch_scc1 .LBB4_8
; %bb.7:
	s_ashr_i32 s35, s34, 31
	s_lshl_b64 s[10:11], s[34:35], 2
	s_add_u32 s10, s16, s10
	s_addc_u32 s11, s17, s11
	s_load_dword s33, s[10:11], 0x0
.LBB4_8:
	s_sub_i32 s77, s27, s26
	s_cmp_lt_i32 s77, 1
	s_cbranch_scc1 .LBB4_101
; %bb.9:
	s_sub_i32 s3, 0, s36
	s_mul_i32 s3, s3, s56
	s_mul_hi_u32 s3, s56, s3
	s_abs_i32 s16, s34
	s_add_i32 s56, s56, s3
	s_load_dwordx8 s[40:47], s[0:1], 0x2c
	s_load_dwordx2 s[10:11], s[0:1], 0x7c
	s_load_dwordx4 s[28:31], s[0:1], 0x6c
	s_load_dwordx8 s[48:55], s[0:1], 0x4c
	s_load_dword s78, s[0:1], 0x84
	s_mul_hi_u32 s3, s16, s56
	s_load_dword s79, s[0:1], 0xc
	s_load_dword s17, s[0:1], 0x28
	s_ashr_i32 s0, s34, 31
	s_ashr_i32 s1, s37, 31
	s_xor_b32 s0, s0, s1
	s_mul_i32 s1, s3, s36
	s_sub_i32 s1, s16, s1
	s_add_i32 s16, s3, 1
	s_sub_i32 s27, s1, s36
	s_cmp_ge_u32 s1, s36
	s_cselect_b32 s3, s16, s3
	s_cselect_b32 s1, s27, s1
	s_add_i32 s16, s3, 1
	s_cmp_ge_u32 s1, s36
	s_cselect_b32 s1, s16, s3
	s_xor_b32 s1, s1, s0
	s_waitcnt lgkmcnt(0)
	s_mul_i32 s56, s26, s50
	s_mov_b32 s57, 0
	s_sub_i32 s3, s1, s0
	s_lshl_b64 s[0:1], s[56:57], 1
	s_add_u32 s12, s12, s0
	s_mul_i32 s56, s51, s34
	s_addc_u32 s13, s13, s1
	s_lshl_b64 s[0:1], s[56:57], 1
	s_add_u32 s50, s12, s0
	s_mul_i32 s56, s26, s52
	s_addc_u32 s51, s13, s1
	;; [unrolled: 4-line block ×9, first 2 shown]
	s_lshl_b64 s[0:1], s[56:57], 1
	s_add_u32 s2, s20, s0
	s_mul_i32 s56, s11, s34
	v_mbcnt_lo_u32_b32 v2, -1, 0
	s_addc_u32 s3, s21, s1
	s_lshl_b64 s[0:1], s[56:57], 1
	v_mbcnt_hi_u32_b32 v2, -1, v2
	s_add_u32 s45, s2, s0
	v_lshrrev_b32_e32 v3, 5, v2
	s_addc_u32 s49, s3, s1
	s_add_i32 s0, s77, 0x7ff
	v_and_b32_e32 v3, 2, v3
	s_lshr_b32 s81, s0, 11
	v_add_u32_e32 v42, 64, v2
	v_or_b32_e32 v43, 0x80, v2
	v_add_u32_e32 v44, 0xc0, v2
	v_add_u32_e32 v3, v3, v2
	v_lshl_add_u32 v45, v3, 1, 0
	v_lshrrev_b32_e32 v3, 5, v42
	v_lshrrev_b32_e32 v4, 5, v43
	;; [unrolled: 1-line block ×3, first 2 shown]
	s_bitcmp1_b32 s17, 0
	v_and_b32_e32 v3, 6, v3
	v_and_b32_e32 v4, 6, v4
	;; [unrolled: 1-line block ×3, first 2 shown]
	s_cselect_b64 s[58:59], -1, 0
	s_cmp_gt_i32 s79, 0
	v_add_lshl_u32 v3, v3, v2, 1
	v_add_lshl_u32 v4, v4, v2, 1
	;; [unrolled: 1-line block ×3, first 2 shown]
	s_cselect_b64 s[60:61], -1, 0
	s_add_i32 s0, 0, 0x210
	s_mul_i32 s56, s26, s28
	v_add_u32_e32 v50, s0, v3
	v_add_u32_e32 v51, s0, v4
	;; [unrolled: 1-line block ×3, first 2 shown]
	s_and_b32 s2, s77, 0xff
	s_add_i32 s82, s81, -1
	s_lshl_b64 s[0:1], s[56:57], 1
	s_add_u32 s3, s18, s0
	s_mul_i32 s56, s29, s34
	s_addc_u32 s4, s19, s1
	s_lshl_b64 s[0:1], s[56:57], 1
	s_add_u32 s18, s3, s0
	s_mul_i32 s56, s26, s54
	s_addc_u32 s19, s4, s1
	;; [unrolled: 4-line block ×5, first 2 shown]
	s_lshl_b64 s[0:1], s[56:57], 1
	s_add_u32 s22, s3, s0
	v_add_u32_e32 v46, 0, v3
	s_addc_u32 s23, s4, s1
	v_and_b32_e32 v3, 15, v2
	s_cmp_eq_u32 s2, 0
	v_cmp_eq_u32_e64 s[0:1], 0, v3
	v_cmp_lt_u32_e64 s[2:3], 1, v3
	v_cmp_lt_u32_e64 s[4:5], 3, v3
	;; [unrolled: 1-line block ×3, first 2 shown]
	v_and_b32_e32 v3, 16, v2
	v_add_u32_e32 v47, 0, v4
	v_lshrrev_b32_e32 v6, 3, v2
	v_cmp_ne_u32_e64 s[8:9], 0, v3
	v_add_u32_e32 v3, -1, v2
	v_and_b32_e32 v4, 64, v2
	v_and_b32_e32 v6, 14, v6
	v_cmp_lt_i32_e32 vcc, v3, v4
	v_mov_b32_e32 v1, 0
	v_lshlrev_b32_e32 v11, 2, v0
	v_lshl_add_u32 v6, v2, 2, v6
	v_cmp_eq_u32_e64 s[12:13], 63, v0
	v_cndmask_b32_e32 v3, v3, v2, vcc
	v_cmp_gt_u32_e64 s[14:15], 64, v0
	v_cmp_eq_u32_e64 s[16:17], 0, v0
	v_lshlrev_b32_e32 v0, 1, v2
                                        ; implicit-def: $vgpr12
	v_add_u32_e32 v48, 0, v5
	v_lshl_add_u32 v49, v6, 1, 0
	s_cselect_b64 s[54:55], -1, 0
	v_cmp_lt_u32_e64 s[10:11], 31, v2
	v_lshlrev_b32_e32 v53, 2, v3
	v_lshl_add_u64 v[4:5], s[18:19], 0, v[0:1]
	v_lshl_add_u64 v[6:7], s[20:21], 0, v[0:1]
	;; [unrolled: 1-line block ×3, first 2 shown]
	v_or_b32_e32 v3, 1, v11
	v_or_b32_e32 v10, 2, v11
	;; [unrolled: 1-line block ×3, first 2 shown]
	v_lshlrev_b32_e32 v0, 1, v2
	s_mov_b32 s83, 0x41a00000
	s_mov_b32 s84, 0x3fb8aa3b
	;; [unrolled: 1-line block ×6, first 2 shown]
	v_mov_b32_e32 v55, 0x3ecc95a3
	s_mov_b32 s89, 0x3f317218
	s_mov_b32 s90, 0x33800000
	s_add_i32 s91, 0, 0x428
	s_mov_b32 s92, 0xc2fc0000
	s_movk_i32 s93, 0x7fff
	s_mov_b32 s94, 0x5040100
	s_mov_b32 s95, 0xbfb8aa3b
	;; [unrolled: 1-line block ×4, first 2 shown]
	v_mov_b32_e32 v56, 0x7f800000
	v_mov_b32_e32 v12, 0x3f317218
	;; [unrolled: 1-line block ×5, first 2 shown]
	s_mov_b32 s98, 0
	s_branch .LBB4_11
.LBB4_10:                               ;   in Loop: Header=BB4_11 Depth=1
	s_or_b64 exec, exec, s[18:19]
	s_add_u32 s52, s52, 0x200
	s_addc_u32 s53, s53, 0
	s_add_u32 s50, s50, 0x200
	s_addc_u32 s51, s51, 0
	;; [unrolled: 2-line block ×4, first 2 shown]
	s_add_i32 s98, s98, 1
	s_cmp_lg_u32 s98, s81
	s_cbranch_scc0 .LBB4_101
.LBB4_11:                               ; =>This Loop Header: Depth=1
                                        ;     Child Loop BB4_36 Depth 2
	s_lshl_b32 s62, s98, 8
	s_sub_i32 s34, s77, s62
	v_lshl_add_u64 v[14:15], s[50:51], 0, v[0:1]
	v_cmp_gt_u32_e64 s[18:19], s34, v2
	s_waitcnt lgkmcnt(1)
	v_mov_b32_e32 v16, 0
	s_waitcnt lgkmcnt(0)
	; wave barrier
	s_and_saveexec_b64 s[20:21], s[18:19]
	s_cbranch_execz .LBB4_13
; %bb.12:                               ;   in Loop: Header=BB4_11 Depth=1
	global_load_ushort v16, v[14:15], off
.LBB4_13:                               ;   in Loop: Header=BB4_11 Depth=1
	s_or_b64 exec, exec, s[20:21]
	v_cmp_gt_u32_e64 s[20:21], s34, v42
	v_mov_b32_e32 v17, 0
	v_mov_b32_e32 v18, 0
	s_and_saveexec_b64 s[22:23], s[20:21]
	s_cbranch_execz .LBB4_15
; %bb.14:                               ;   in Loop: Header=BB4_11 Depth=1
	global_load_ushort v18, v[14:15], off offset:128
.LBB4_15:                               ;   in Loop: Header=BB4_11 Depth=1
	s_or_b64 exec, exec, s[22:23]
	v_cmp_gt_u32_e64 s[22:23], s34, v43
	s_and_saveexec_b64 s[24:25], s[22:23]
	s_cbranch_execz .LBB4_17
; %bb.16:                               ;   in Loop: Header=BB4_11 Depth=1
	global_load_ushort v17, v[14:15], off offset:256
.LBB4_17:                               ;   in Loop: Header=BB4_11 Depth=1
	s_or_b64 exec, exec, s[24:25]
	v_cmp_gt_u32_e64 s[24:25], s34, v44
	s_waitcnt lgkmcnt(0)
	v_mov_b32_e32 v13, 0
	v_mov_b32_e32 v19, 0
	s_and_saveexec_b64 s[26:27], s[24:25]
	s_cbranch_execz .LBB4_19
; %bb.18:                               ;   in Loop: Header=BB4_11 Depth=1
	global_load_ushort v19, v[14:15], off offset:384
.LBB4_19:                               ;   in Loop: Header=BB4_11 Depth=1
	s_or_b64 exec, exec, s[26:27]
	s_waitcnt vmcnt(0)
	ds_write_b16 v45, v16
	ds_write_b16 v46, v18 offset:128
	ds_write_b16 v47, v17 offset:256
	;; [unrolled: 1-line block ×3, first 2 shown]
	; wave barrier
	ds_read_b64 v[16:17], v49
	v_lshl_add_u64 v[14:15], s[52:53], 0, v[0:1]
	s_waitcnt lgkmcnt(0)
	; wave barrier
	s_waitcnt lgkmcnt(0)
	s_and_saveexec_b64 s[26:27], s[18:19]
	s_cbranch_execz .LBB4_21
; %bb.20:                               ;   in Loop: Header=BB4_11 Depth=1
	global_load_ushort v13, v[14:15], off
.LBB4_21:                               ;   in Loop: Header=BB4_11 Depth=1
	s_or_b64 exec, exec, s[26:27]
	v_mov_b32_e32 v18, 0
	v_mov_b32_e32 v19, 0
	s_and_saveexec_b64 s[26:27], s[20:21]
	s_cbranch_execnz .LBB4_92
; %bb.22:                               ;   in Loop: Header=BB4_11 Depth=1
	s_or_b64 exec, exec, s[26:27]
	s_and_saveexec_b64 s[26:27], s[22:23]
	s_cbranch_execnz .LBB4_93
.LBB4_23:                               ;   in Loop: Header=BB4_11 Depth=1
	s_or_b64 exec, exec, s[26:27]
	v_mov_b32_e32 v20, 0
	s_and_saveexec_b64 s[26:27], s[24:25]
	s_cbranch_execz .LBB4_25
.LBB4_24:                               ;   in Loop: Header=BB4_11 Depth=1
	global_load_ushort v20, v[14:15], off offset:384
.LBB4_25:                               ;   in Loop: Header=BB4_11 Depth=1
	s_or_b64 exec, exec, s[26:27]
	s_waitcnt vmcnt(0)
	ds_write_b16 v45, v13
	ds_write_b16 v46, v19 offset:128
	ds_write_b16 v47, v18 offset:256
	;; [unrolled: 1-line block ×3, first 2 shown]
	; wave barrier
	ds_read_b64 v[14:15], v49
	s_waitcnt lgkmcnt(0)
	v_lshlrev_b32_e32 v13, 16, v14
	v_add_f32_e32 v60, s33, v13
	v_cmp_ge_f32_e32 vcc, s83, v60
	s_and_b64 s[26:27], s[58:59], vcc
	s_and_saveexec_b64 s[28:29], s[26:27]
	s_cbranch_execz .LBB4_27
; %bb.26:                               ;   in Loop: Header=BB4_11 Depth=1
	v_mul_f32_e32 v13, 0x3fb8aa3b, v60
	v_rndne_f32_e32 v18, v13
	v_sub_f32_e32 v19, v13, v18
	v_fma_f32 v13, v60, s84, -v13
	v_fmac_f32_e32 v13, 0x32a5705f, v60
	v_add_f32_e32 v13, v19, v13
	v_cvt_i32_f32_e32 v18, v18
	v_exp_f32_e32 v13, v13
	v_cmp_ngt_f32_e32 vcc, s85, v60
	v_ldexp_f32 v13, v13, v18
	s_nop 0
	v_cndmask_b32_e32 v13, 0, v13, vcc
	v_cmp_nlt_f32_e32 vcc, s86, v60
	s_nop 1
	v_cndmask_b32_e32 v34, v56, v13, vcc
	v_add_f32_e32 v13, 1.0, v34
	v_add_f32_e32 v18, -1.0, v13
	v_sub_f32_e32 v19, v18, v13
	v_add_f32_e32 v19, 1.0, v19
	v_sub_f32_e32 v18, v34, v18
	v_add_f32_e32 v20, v18, v19
	v_frexp_mant_f32_e32 v21, v13
	v_cvt_f64_f32_e32 v[18:19], v13
	v_frexp_exp_i32_f64_e32 v18, v[18:19]
	v_cmp_gt_f32_e32 vcc, s88, v21
	v_cmp_gt_f32_e64 s[26:27], s90, v34
	s_nop 0
	v_subbrev_co_u32_e32 v26, vcc, 0, v18, vcc
	v_sub_u32_e32 v18, 0, v26
	v_ldexp_f32 v13, v13, v18
	v_ldexp_f32 v18, v20, v18
	v_add_f32_e32 v20, -1.0, v13
	v_add_f32_e32 v19, 1.0, v20
	v_sub_f32_e32 v19, v13, v19
	v_add_f32_e32 v21, v18, v19
	v_add_f32_e32 v19, 1.0, v13
	v_add_f32_e32 v22, -1.0, v19
	v_sub_f32_e32 v13, v13, v22
	v_add_f32_e32 v13, v18, v13
	v_add_f32_e32 v27, v19, v13
	v_rcp_f32_e32 v28, v27
	v_sub_f32_e32 v18, v19, v27
	v_add_f32_e32 v19, v20, v21
	v_add_f32_e32 v13, v13, v18
	v_mul_f32_e32 v30, v19, v28
	v_sub_f32_e32 v18, v20, v19
	v_mul_f32_e32 v20, v27, v30
	v_fma_f32 v22, v30, v27, -v20
	v_fmac_f32_e32 v22, v30, v13
	v_add_f32_e32 v29, v21, v18
	v_add_f32_e32 v18, v20, v22
	v_sub_f32_e32 v21, v19, v18
	v_pk_add_f32 v[24:25], v[18:19], v[20:21] neg_lo:[0,1] neg_hi:[0,1]
	v_mov_b32_e32 v23, v18
	v_pk_add_f32 v[18:19], v[24:25], v[22:23] neg_lo:[0,1] neg_hi:[0,1]
	v_cmp_eq_f32_e32 vcc, s87, v34
	v_add_f32_e32 v19, v29, v19
	v_add_f32_e32 v18, v18, v19
	;; [unrolled: 1-line block ×3, first 2 shown]
	v_mul_f32_e32 v29, v28, v19
	v_mul_f32_e32 v20, v27, v29
	v_fma_f32 v22, v29, v27, -v20
	v_fmac_f32_e32 v22, v29, v13
	v_sub_f32_e32 v13, v21, v19
	v_add_f32_e32 v13, v18, v13
	v_add_f32_e32 v18, v20, v22
	v_sub_f32_e32 v21, v19, v18
	v_pk_add_f32 v[24:25], v[18:19], v[20:21] neg_lo:[0,1] neg_hi:[0,1]
	v_mov_b32_e32 v23, v18
	v_pk_add_f32 v[18:19], v[24:25], v[22:23] neg_lo:[0,1] neg_hi:[0,1]
	s_or_b64 vcc, s[26:27], vcc
	v_add_f32_e32 v13, v13, v19
	v_add_f32_e32 v13, v18, v13
	;; [unrolled: 1-line block ×4, first 2 shown]
	v_sub_f32_e32 v18, v19, v30
	v_mul_f32_e32 v13, v28, v13
	v_sub_f32_e32 v18, v29, v18
	v_add_f32_e32 v20, v18, v13
	v_add_f32_e32 v22, v19, v20
	v_cvt_f32_i32_e32 v18, v26
	v_mul_f32_e32 v23, v22, v22
	v_sub_f32_e32 v19, v22, v19
	v_fmamk_f32 v13, v23, 0x3e9b6dac, v55
	v_sub_f32_e32 v19, v20, v19
	v_fmaak_f32 v13, v23, v13, 0x3f2aaada
	v_ldexp_f32 v24, v19, 1
	v_mul_f32_e32 v19, v22, v23
	v_ldexp_f32 v21, v22, 1
	v_pk_mul_f32 v[22:23], v[18:19], v[12:13]
	s_nop 0
	v_fma_f32 v20, v18, s89, -v22
	v_fmac_f32_e32 v20, 0xb102e308, v18
	v_pk_add_f32 v[18:19], v[22:23], v[20:21]
	s_nop 0
	v_sub_f32_e32 v13, v19, v21
	v_sub_f32_e32 v13, v23, v13
	v_add_f32_e32 v25, v24, v13
	v_mov_b32_e32 v24, v22
	v_pk_add_f32 v[22:23], v[18:19], v[22:23] neg_lo:[0,1] neg_hi:[0,1]
	v_pk_add_f32 v[26:27], v[18:19], v[24:25]
	v_mov_b32_e32 v21, v18
	v_mov_b32_e32 v23, v27
	v_pk_add_f32 v[28:29], v[20:21], v[22:23] neg_lo:[0,1] neg_hi:[0,1]
	v_pk_add_f32 v[20:21], v[20:21], v[22:23]
	v_mov_b32_e32 v24, v25
	v_mov_b32_e32 v22, v21
	v_pk_add_f32 v[30:31], v[22:23], v[18:19] neg_lo:[0,1] neg_hi:[0,1]
	v_mov_b32_e32 v20, v27
	v_mov_b32_e32 v13, v30
	v_pk_add_f32 v[32:33], v[26:27], v[12:13] neg_lo:[0,1] neg_hi:[0,1]
	v_mov_b32_e32 v26, v19
	v_mov_b32_e32 v27, v30
	;; [unrolled: 1-line block ×3, first 2 shown]
	v_pk_add_f32 v[20:21], v[20:21], v[26:27] neg_lo:[0,1] neg_hi:[0,1]
	v_mov_b32_e32 v25, v18
	v_pk_add_f32 v[18:19], v[24:25], v[20:21] neg_lo:[0,1] neg_hi:[0,1]
	v_mov_b32_e32 v32, v28
	v_pk_add_f32 v[20:21], v[32:33], v[18:19]
	s_nop 0
	v_mov_b32_e32 v24, v21
	v_pk_add_f32 v[24:25], v[20:21], v[24:25]
	s_nop 0
	v_pk_add_f32 v[22:23], v[22:23], v[24:25]
	v_mov_b32_e32 v19, v24
	v_mov_b32_e32 v21, v22
	v_pk_add_f32 v[26:27], v[20:21], v[28:29] neg_lo:[0,1] neg_hi:[0,1]
	s_nop 0
	v_sub_f32_e32 v13, v20, v26
	v_pk_add_f32 v[18:19], v[18:19], v[26:27] neg_lo:[0,1] neg_hi:[0,1]
	v_sub_f32_e32 v13, v28, v13
	v_add_f32_e32 v13, v18, v13
	v_add_f32_e32 v13, v13, v19
	;; [unrolled: 1-line block ×3, first 2 shown]
	v_cndmask_b32_e32 v60, v13, v34, vcc
.LBB4_27:                               ;   in Loop: Header=BB4_11 Depth=1
	s_or_b64 exec, exec, s[28:29]
	v_and_b32_e32 v13, 0xffff0000, v14
	v_add_f32_e32 v61, s33, v13
	v_cmp_ge_f32_e32 vcc, s83, v61
	s_and_b64 s[26:27], s[58:59], vcc
	s_and_saveexec_b64 s[28:29], s[26:27]
	s_cbranch_execz .LBB4_29
; %bb.28:                               ;   in Loop: Header=BB4_11 Depth=1
	v_mul_f32_e32 v13, 0x3fb8aa3b, v61
	v_rndne_f32_e32 v14, v13
	v_sub_f32_e32 v18, v13, v14
	v_fma_f32 v13, v61, s84, -v13
	v_fmac_f32_e32 v13, 0x32a5705f, v61
	v_add_f32_e32 v13, v18, v13
	v_cvt_i32_f32_e32 v14, v14
	v_exp_f32_e32 v13, v13
	v_cmp_ngt_f32_e32 vcc, s85, v61
	v_ldexp_f32 v13, v13, v14
	s_nop 0
	v_cndmask_b32_e32 v13, 0, v13, vcc
	v_cmp_nlt_f32_e32 vcc, s86, v61
	s_nop 1
	v_cndmask_b32_e32 v32, v56, v13, vcc
	v_add_f32_e32 v13, 1.0, v32
	v_add_f32_e32 v14, -1.0, v13
	v_sub_f32_e32 v18, v14, v13
	v_add_f32_e32 v18, 1.0, v18
	v_sub_f32_e32 v14, v32, v14
	v_add_f32_e32 v14, v14, v18
	v_frexp_mant_f32_e32 v20, v13
	v_cvt_f64_f32_e32 v[18:19], v13
	v_frexp_exp_i32_f64_e32 v18, v[18:19]
	v_cmp_gt_f32_e32 vcc, s88, v20
	v_cmp_gt_f32_e64 s[26:27], s90, v32
	s_nop 0
	v_subbrev_co_u32_e32 v26, vcc, 0, v18, vcc
	v_sub_u32_e32 v18, 0, v26
	v_ldexp_f32 v13, v13, v18
	v_ldexp_f32 v14, v14, v18
	v_add_f32_e32 v18, -1.0, v13
	v_add_f32_e32 v19, 1.0, v18
	v_sub_f32_e32 v19, v13, v19
	v_add_f32_e32 v20, v14, v19
	v_add_f32_e32 v19, 1.0, v13
	v_add_f32_e32 v21, -1.0, v19
	v_sub_f32_e32 v13, v13, v21
	v_add_f32_e32 v13, v14, v13
	v_add_f32_e32 v14, v19, v13
	v_rcp_f32_e32 v27, v14
	v_sub_f32_e32 v19, v19, v14
	v_add_f32_e32 v13, v13, v19
	v_add_f32_e32 v19, v18, v20
	v_sub_f32_e32 v18, v18, v19
	v_mul_f32_e32 v29, v19, v27
	v_add_f32_e32 v28, v20, v18
	v_mul_f32_e32 v20, v14, v29
	v_fma_f32 v22, v29, v14, -v20
	v_fmac_f32_e32 v22, v29, v13
	v_add_f32_e32 v18, v20, v22
	v_sub_f32_e32 v21, v19, v18
	v_pk_add_f32 v[24:25], v[18:19], v[20:21] neg_lo:[0,1] neg_hi:[0,1]
	v_mov_b32_e32 v23, v18
	v_pk_add_f32 v[18:19], v[24:25], v[22:23] neg_lo:[0,1] neg_hi:[0,1]
	v_cmp_eq_f32_e32 vcc, s87, v32
	v_add_f32_e32 v19, v28, v19
	v_add_f32_e32 v18, v18, v19
	;; [unrolled: 1-line block ×3, first 2 shown]
	v_mul_f32_e32 v28, v27, v19
	v_mul_f32_e32 v20, v14, v28
	v_fma_f32 v22, v28, v14, -v20
	v_fmac_f32_e32 v22, v28, v13
	v_sub_f32_e32 v13, v21, v19
	v_add_f32_e32 v13, v18, v13
	v_add_f32_e32 v18, v20, v22
	v_sub_f32_e32 v21, v19, v18
	v_pk_add_f32 v[24:25], v[18:19], v[20:21] neg_lo:[0,1] neg_hi:[0,1]
	v_mov_b32_e32 v23, v18
	v_pk_add_f32 v[18:19], v[24:25], v[22:23] neg_lo:[0,1] neg_hi:[0,1]
	v_add_f32_e32 v14, v29, v28
	v_add_f32_e32 v13, v13, v19
	;; [unrolled: 1-line block ×4, first 2 shown]
	v_sub_f32_e32 v18, v14, v29
	v_mul_f32_e32 v13, v27, v13
	v_sub_f32_e32 v18, v28, v18
	v_add_f32_e32 v19, v18, v13
	v_add_f32_e32 v20, v14, v19
	v_cvt_f32_i32_e32 v18, v26
	v_mul_f32_e32 v22, v20, v20
	v_fmamk_f32 v13, v22, 0x3e9b6dac, v55
	v_sub_f32_e32 v14, v20, v14
	v_fmaak_f32 v13, v22, v13, 0x3f2aaada
	v_sub_f32_e32 v14, v19, v14
	v_mul_f32_e32 v19, v20, v22
	v_pk_mul_f32 v[22:23], v[18:19], v[12:13]
	v_ldexp_f32 v21, v20, 1
	v_fma_f32 v20, v18, s89, -v22
	v_fmac_f32_e32 v20, 0xb102e308, v18
	v_pk_add_f32 v[18:19], v[22:23], v[20:21]
	v_ldexp_f32 v14, v14, 1
	v_sub_f32_e32 v13, v19, v21
	v_sub_f32_e32 v13, v23, v13
	v_add_f32_e32 v25, v14, v13
	v_mov_b32_e32 v24, v22
	v_pk_add_f32 v[22:23], v[18:19], v[22:23] neg_lo:[0,1] neg_hi:[0,1]
	v_pk_add_f32 v[26:27], v[18:19], v[24:25]
	v_mov_b32_e32 v21, v18
	v_mov_b32_e32 v23, v27
	v_pk_add_f32 v[28:29], v[20:21], v[22:23] neg_lo:[0,1] neg_hi:[0,1]
	v_pk_add_f32 v[20:21], v[20:21], v[22:23]
	s_or_b64 vcc, s[26:27], vcc
	v_mov_b32_e32 v14, v21
	v_pk_add_f32 v[22:23], v[14:15], v[18:19] neg_lo:[0,1] neg_hi:[0,1]
	v_mov_b32_e32 v20, v27
	v_mov_b32_e32 v13, v22
	v_pk_add_f32 v[30:31], v[26:27], v[12:13] neg_lo:[0,1] neg_hi:[0,1]
	v_mov_b32_e32 v26, v19
	v_mov_b32_e32 v27, v22
	;; [unrolled: 1-line block ×3, first 2 shown]
	v_pk_add_f32 v[20:21], v[20:21], v[26:27] neg_lo:[0,1] neg_hi:[0,1]
	v_mov_b32_e32 v22, v25
	v_mov_b32_e32 v23, v18
	v_pk_add_f32 v[18:19], v[22:23], v[20:21] neg_lo:[0,1] neg_hi:[0,1]
	v_mov_b32_e32 v30, v28
	v_pk_add_f32 v[20:21], v[30:31], v[18:19]
	s_nop 0
	v_mov_b32_e32 v22, v21
	v_pk_add_f32 v[22:23], v[20:21], v[22:23]
	s_nop 0
	v_pk_add_f32 v[24:25], v[14:15], v[22:23]
	v_mov_b32_e32 v19, v22
	v_mov_b32_e32 v21, v24
	v_pk_add_f32 v[26:27], v[20:21], v[28:29] neg_lo:[0,1] neg_hi:[0,1]
	s_nop 0
	v_sub_f32_e32 v13, v20, v26
	v_pk_add_f32 v[18:19], v[18:19], v[26:27] neg_lo:[0,1] neg_hi:[0,1]
	v_sub_f32_e32 v13, v28, v13
	v_add_f32_e32 v13, v18, v13
	v_add_f32_e32 v13, v13, v19
	;; [unrolled: 1-line block ×3, first 2 shown]
	v_cndmask_b32_e32 v61, v13, v32, vcc
.LBB4_29:                               ;   in Loop: Header=BB4_11 Depth=1
	s_or_b64 exec, exec, s[28:29]
	v_lshlrev_b32_e32 v13, 16, v15
	v_add_f32_e32 v19, s33, v13
	v_cmp_ge_f32_e32 vcc, s83, v19
	s_and_b64 s[26:27], s[58:59], vcc
	s_and_saveexec_b64 s[28:29], s[26:27]
	s_cbranch_execz .LBB4_31
; %bb.30:                               ;   in Loop: Header=BB4_11 Depth=1
	v_mul_f32_e32 v13, 0x3fb8aa3b, v19
	v_rndne_f32_e32 v14, v13
	v_sub_f32_e32 v18, v13, v14
	v_fma_f32 v13, v19, s84, -v13
	v_fmac_f32_e32 v13, 0x32a5705f, v19
	v_add_f32_e32 v13, v18, v13
	v_cvt_i32_f32_e32 v14, v14
	v_exp_f32_e32 v13, v13
	v_cmp_ngt_f32_e32 vcc, s85, v19
	v_ldexp_f32 v13, v13, v14
	s_nop 0
	v_cndmask_b32_e32 v13, 0, v13, vcc
	v_cmp_nlt_f32_e32 vcc, s86, v19
	s_nop 1
	v_cndmask_b32_e32 v32, v56, v13, vcc
	v_add_f32_e32 v13, 1.0, v32
	v_add_f32_e32 v14, -1.0, v13
	v_sub_f32_e32 v18, v14, v13
	v_add_f32_e32 v18, 1.0, v18
	v_sub_f32_e32 v14, v32, v14
	v_add_f32_e32 v14, v14, v18
	v_frexp_mant_f32_e32 v20, v13
	v_cvt_f64_f32_e32 v[18:19], v13
	v_frexp_exp_i32_f64_e32 v18, v[18:19]
	v_cmp_gt_f32_e32 vcc, s88, v20
	v_cmp_gt_f32_e64 s[26:27], s90, v32
	s_nop 0
	v_subbrev_co_u32_e32 v26, vcc, 0, v18, vcc
	v_sub_u32_e32 v18, 0, v26
	v_ldexp_f32 v13, v13, v18
	v_ldexp_f32 v14, v14, v18
	v_add_f32_e32 v18, -1.0, v13
	v_add_f32_e32 v19, 1.0, v18
	v_sub_f32_e32 v19, v13, v19
	v_add_f32_e32 v20, v14, v19
	v_add_f32_e32 v19, 1.0, v13
	v_add_f32_e32 v21, -1.0, v19
	v_sub_f32_e32 v13, v13, v21
	v_add_f32_e32 v13, v14, v13
	v_add_f32_e32 v14, v19, v13
	v_rcp_f32_e32 v27, v14
	v_sub_f32_e32 v19, v19, v14
	v_add_f32_e32 v13, v13, v19
	v_add_f32_e32 v19, v18, v20
	v_sub_f32_e32 v18, v18, v19
	v_mul_f32_e32 v29, v19, v27
	v_add_f32_e32 v28, v20, v18
	v_mul_f32_e32 v20, v14, v29
	v_fma_f32 v22, v29, v14, -v20
	v_fmac_f32_e32 v22, v29, v13
	v_add_f32_e32 v18, v20, v22
	v_sub_f32_e32 v21, v19, v18
	v_pk_add_f32 v[24:25], v[18:19], v[20:21] neg_lo:[0,1] neg_hi:[0,1]
	v_mov_b32_e32 v23, v18
	v_pk_add_f32 v[18:19], v[24:25], v[22:23] neg_lo:[0,1] neg_hi:[0,1]
	v_cmp_eq_f32_e32 vcc, s87, v32
	v_add_f32_e32 v19, v28, v19
	v_add_f32_e32 v18, v18, v19
	;; [unrolled: 1-line block ×3, first 2 shown]
	v_mul_f32_e32 v28, v27, v19
	v_mul_f32_e32 v20, v14, v28
	v_fma_f32 v22, v28, v14, -v20
	v_fmac_f32_e32 v22, v28, v13
	v_sub_f32_e32 v13, v21, v19
	v_add_f32_e32 v13, v18, v13
	v_add_f32_e32 v18, v20, v22
	v_sub_f32_e32 v21, v19, v18
	v_pk_add_f32 v[24:25], v[18:19], v[20:21] neg_lo:[0,1] neg_hi:[0,1]
	v_mov_b32_e32 v23, v18
	v_pk_add_f32 v[18:19], v[24:25], v[22:23] neg_lo:[0,1] neg_hi:[0,1]
	v_add_f32_e32 v14, v29, v28
	v_add_f32_e32 v13, v13, v19
	;; [unrolled: 1-line block ×4, first 2 shown]
	v_sub_f32_e32 v18, v14, v29
	v_mul_f32_e32 v13, v27, v13
	v_sub_f32_e32 v18, v28, v18
	v_add_f32_e32 v19, v18, v13
	v_add_f32_e32 v20, v14, v19
	v_cvt_f32_i32_e32 v18, v26
	v_mul_f32_e32 v22, v20, v20
	v_fmamk_f32 v13, v22, 0x3e9b6dac, v55
	v_sub_f32_e32 v14, v20, v14
	v_fmaak_f32 v13, v22, v13, 0x3f2aaada
	v_sub_f32_e32 v14, v19, v14
	v_mul_f32_e32 v19, v20, v22
	v_pk_mul_f32 v[22:23], v[18:19], v[12:13]
	v_ldexp_f32 v21, v20, 1
	v_fma_f32 v20, v18, s89, -v22
	v_fmac_f32_e32 v20, 0xb102e308, v18
	v_pk_add_f32 v[18:19], v[22:23], v[20:21]
	v_ldexp_f32 v14, v14, 1
	v_sub_f32_e32 v13, v19, v21
	v_sub_f32_e32 v13, v23, v13
	v_add_f32_e32 v25, v14, v13
	v_mov_b32_e32 v24, v22
	v_pk_add_f32 v[22:23], v[18:19], v[22:23] neg_lo:[0,1] neg_hi:[0,1]
	v_pk_add_f32 v[26:27], v[18:19], v[24:25]
	v_mov_b32_e32 v21, v18
	v_mov_b32_e32 v23, v27
	v_pk_add_f32 v[28:29], v[20:21], v[22:23] neg_lo:[0,1] neg_hi:[0,1]
	v_pk_add_f32 v[20:21], v[20:21], v[22:23]
	s_or_b64 vcc, s[26:27], vcc
	v_mov_b32_e32 v14, v21
	v_pk_add_f32 v[22:23], v[14:15], v[18:19] neg_lo:[0,1] neg_hi:[0,1]
	v_mov_b32_e32 v20, v27
	v_mov_b32_e32 v13, v22
	v_pk_add_f32 v[30:31], v[26:27], v[12:13] neg_lo:[0,1] neg_hi:[0,1]
	v_mov_b32_e32 v26, v19
	v_mov_b32_e32 v27, v22
	v_mov_b32_e32 v29, v21
	v_pk_add_f32 v[20:21], v[20:21], v[26:27] neg_lo:[0,1] neg_hi:[0,1]
	v_mov_b32_e32 v22, v25
	v_mov_b32_e32 v23, v18
	v_pk_add_f32 v[18:19], v[22:23], v[20:21] neg_lo:[0,1] neg_hi:[0,1]
	v_mov_b32_e32 v30, v28
	v_pk_add_f32 v[20:21], v[30:31], v[18:19]
	s_nop 0
	v_mov_b32_e32 v22, v21
	v_pk_add_f32 v[22:23], v[20:21], v[22:23]
	s_nop 0
	v_pk_add_f32 v[24:25], v[14:15], v[22:23]
	v_mov_b32_e32 v19, v22
	v_mov_b32_e32 v21, v24
	v_pk_add_f32 v[26:27], v[20:21], v[28:29] neg_lo:[0,1] neg_hi:[0,1]
	s_nop 0
	v_sub_f32_e32 v13, v20, v26
	v_pk_add_f32 v[18:19], v[18:19], v[26:27] neg_lo:[0,1] neg_hi:[0,1]
	v_sub_f32_e32 v13, v28, v13
	v_add_f32_e32 v13, v18, v13
	v_add_f32_e32 v13, v13, v19
	;; [unrolled: 1-line block ×3, first 2 shown]
	v_cndmask_b32_e32 v19, v13, v32, vcc
.LBB4_31:                               ;   in Loop: Header=BB4_11 Depth=1
	s_or_b64 exec, exec, s[28:29]
	v_and_b32_e32 v13, 0xffff0000, v15
	v_add_f32_e32 v18, s33, v13
	v_cmp_ge_f32_e32 vcc, s83, v18
	s_and_b64 s[26:27], s[58:59], vcc
	s_and_saveexec_b64 s[28:29], s[26:27]
	s_cbranch_execz .LBB4_33
; %bb.32:                               ;   in Loop: Header=BB4_11 Depth=1
	v_mul_f32_e32 v13, 0x3fb8aa3b, v18
	v_rndne_f32_e32 v14, v13
	v_sub_f32_e32 v15, v13, v14
	v_fma_f32 v13, v18, s84, -v13
	v_fmac_f32_e32 v13, 0x32a5705f, v18
	v_add_f32_e32 v13, v15, v13
	v_cvt_i32_f32_e32 v14, v14
	v_exp_f32_e32 v13, v13
	v_cmp_ngt_f32_e32 vcc, s85, v18
	v_ldexp_f32 v13, v13, v14
	s_nop 0
	v_cndmask_b32_e32 v13, 0, v13, vcc
	v_cmp_nlt_f32_e32 vcc, s86, v18
	s_nop 1
	v_cndmask_b32_e32 v32, v56, v13, vcc
	v_add_f32_e32 v13, 1.0, v32
	v_add_f32_e32 v14, -1.0, v13
	v_sub_f32_e32 v15, v14, v13
	v_add_f32_e32 v15, 1.0, v15
	v_sub_f32_e32 v14, v32, v14
	v_add_f32_e32 v18, v14, v15
	v_frexp_mant_f32_e32 v20, v13
	v_cvt_f64_f32_e32 v[14:15], v13
	v_frexp_exp_i32_f64_e32 v14, v[14:15]
	v_cmp_gt_f32_e32 vcc, s88, v20
	v_cmp_gt_f32_e64 s[26:27], s90, v32
	s_nop 0
	v_subbrev_co_u32_e32 v26, vcc, 0, v14, vcc
	v_sub_u32_e32 v14, 0, v26
	v_ldexp_f32 v13, v13, v14
	v_ldexp_f32 v14, v18, v14
	v_add_f32_e32 v18, -1.0, v13
	v_add_f32_e32 v15, 1.0, v18
	v_sub_f32_e32 v15, v13, v15
	v_add_f32_e32 v20, v14, v15
	v_add_f32_e32 v15, 1.0, v13
	v_add_f32_e32 v21, -1.0, v15
	v_sub_f32_e32 v13, v13, v21
	v_add_f32_e32 v13, v14, v13
	v_add_f32_e32 v27, v15, v13
	v_rcp_f32_e32 v28, v27
	v_sub_f32_e32 v14, v15, v27
	v_add_f32_e32 v15, v18, v20
	v_add_f32_e32 v13, v13, v14
	v_sub_f32_e32 v14, v18, v15
	v_mul_f32_e32 v29, v15, v28
	v_add_f32_e32 v18, v20, v14
	v_mul_f32_e32 v20, v27, v29
	v_fma_f32 v22, v29, v27, -v20
	v_fmac_f32_e32 v22, v29, v13
	v_add_f32_e32 v14, v20, v22
	v_sub_f32_e32 v21, v15, v14
	v_pk_add_f32 v[24:25], v[14:15], v[20:21] neg_lo:[0,1] neg_hi:[0,1]
	v_mov_b32_e32 v23, v14
	v_pk_add_f32 v[14:15], v[24:25], v[22:23] neg_lo:[0,1] neg_hi:[0,1]
	v_cmp_eq_f32_e32 vcc, s87, v32
	v_add_f32_e32 v15, v18, v15
	v_add_f32_e32 v14, v14, v15
	;; [unrolled: 1-line block ×3, first 2 shown]
	v_mul_f32_e32 v18, v28, v15
	v_mul_f32_e32 v20, v27, v18
	v_fma_f32 v22, v18, v27, -v20
	v_fmac_f32_e32 v22, v18, v13
	v_sub_f32_e32 v13, v21, v15
	v_add_f32_e32 v13, v14, v13
	v_add_f32_e32 v14, v20, v22
	v_sub_f32_e32 v21, v15, v14
	v_pk_add_f32 v[24:25], v[14:15], v[20:21] neg_lo:[0,1] neg_hi:[0,1]
	v_mov_b32_e32 v23, v14
	v_pk_add_f32 v[14:15], v[24:25], v[22:23] neg_lo:[0,1] neg_hi:[0,1]
	s_or_b64 vcc, s[26:27], vcc
	v_add_f32_e32 v13, v13, v15
	v_add_f32_e32 v13, v14, v13
	;; [unrolled: 1-line block ×4, first 2 shown]
	v_sub_f32_e32 v14, v15, v29
	v_mul_f32_e32 v13, v28, v13
	v_sub_f32_e32 v14, v18, v14
	v_add_f32_e32 v18, v14, v13
	v_add_f32_e32 v20, v15, v18
	v_cvt_f32_i32_e32 v14, v26
	v_mul_f32_e32 v22, v20, v20
	v_sub_f32_e32 v15, v20, v15
	v_fmamk_f32 v13, v22, 0x3e9b6dac, v55
	v_sub_f32_e32 v15, v18, v15
	v_fmaak_f32 v13, v22, v13, 0x3f2aaada
	v_ldexp_f32 v18, v15, 1
	v_mul_f32_e32 v15, v20, v22
	v_pk_mul_f32 v[22:23], v[14:15], v[12:13]
	v_ldexp_f32 v21, v20, 1
	v_fma_f32 v20, v14, s89, -v22
	v_fmac_f32_e32 v20, 0xb102e308, v14
	v_pk_add_f32 v[14:15], v[22:23], v[20:21]
	v_mov_b32_e32 v24, v22
	v_sub_f32_e32 v13, v15, v21
	v_sub_f32_e32 v13, v23, v13
	v_add_f32_e32 v25, v18, v13
	v_pk_add_f32 v[22:23], v[14:15], v[22:23] neg_lo:[0,1] neg_hi:[0,1]
	v_pk_add_f32 v[26:27], v[14:15], v[24:25]
	v_mov_b32_e32 v21, v14
	v_mov_b32_e32 v23, v27
	v_pk_add_f32 v[28:29], v[20:21], v[22:23] neg_lo:[0,1] neg_hi:[0,1]
	v_pk_add_f32 v[20:21], v[20:21], v[22:23]
	s_nop 0
	v_mov_b32_e32 v18, v21
	v_pk_add_f32 v[22:23], v[18:19], v[14:15] neg_lo:[0,1] neg_hi:[0,1]
	v_mov_b32_e32 v20, v27
	v_mov_b32_e32 v13, v22
	v_pk_add_f32 v[30:31], v[26:27], v[12:13] neg_lo:[0,1] neg_hi:[0,1]
	v_mov_b32_e32 v26, v15
	v_mov_b32_e32 v27, v22
	;; [unrolled: 1-line block ×3, first 2 shown]
	v_pk_add_f32 v[20:21], v[20:21], v[26:27] neg_lo:[0,1] neg_hi:[0,1]
	v_mov_b32_e32 v22, v25
	v_mov_b32_e32 v23, v14
	v_pk_add_f32 v[14:15], v[22:23], v[20:21] neg_lo:[0,1] neg_hi:[0,1]
	v_mov_b32_e32 v30, v28
	v_pk_add_f32 v[20:21], v[30:31], v[14:15]
	s_nop 0
	v_mov_b32_e32 v22, v21
	v_pk_add_f32 v[22:23], v[20:21], v[22:23]
	s_nop 0
	v_pk_add_f32 v[24:25], v[18:19], v[22:23]
	v_mov_b32_e32 v15, v22
	v_mov_b32_e32 v21, v24
	v_pk_add_f32 v[26:27], v[20:21], v[28:29] neg_lo:[0,1] neg_hi:[0,1]
	s_nop 0
	v_sub_f32_e32 v13, v20, v26
	v_pk_add_f32 v[14:15], v[14:15], v[26:27] neg_lo:[0,1] neg_hi:[0,1]
	v_sub_f32_e32 v13, v28, v13
	v_add_f32_e32 v13, v14, v13
	v_add_f32_e32 v13, v13, v15
	;; [unrolled: 1-line block ×3, first 2 shown]
	v_cndmask_b32_e32 v18, v13, v32, vcc
.LBB4_33:                               ;   in Loop: Header=BB4_11 Depth=1
	s_or_b64 exec, exec, s[28:29]
	v_lshlrev_b32_e32 v24, 16, v17
	v_and_b32_e32 v13, 0xffff0000, v17
	v_and_b32_e32 v25, 0xffff0000, v16
	v_lshlrev_b32_e32 v26, 16, v16
	v_mul_f32_e32 v14, s76, v24
	v_mul_f32_e32 v17, s76, v25
	;; [unrolled: 1-line block ×4, first 2 shown]
	s_and_b64 vcc, exec, s[60:61]
	s_waitcnt lgkmcnt(0)
	; wave barrier
	s_cbranch_vccz .LBB4_75
; %bb.34:                               ;   in Loop: Header=BB4_11 Depth=1
	s_cmp_lg_u32 s98, 0
	s_cselect_b64 s[64:65], -1, 0
	s_cmp_eq_u32 s98, s82
	v_cmp_gt_u32_e32 vcc, s34, v11
	s_cselect_b64 s[66:67], -1, 0
	s_or_b64 s[26:27], s[54:55], vcc
	v_cmp_gt_u32_e32 vcc, s34, v10
	s_mov_b32 s56, 0
	v_cmp_gt_u32_e64 s[28:29], s34, v3
	s_or_b64 s[30:31], s[54:55], vcc
	v_cmp_gt_u32_e32 vcc, s34, v54
	v_mul_f32_e32 v13, v18, v13
	v_lshl_add_u64 v[20:21], s[42:43], 0, v[0:1]
	v_lshl_add_u64 v[22:23], s[46:47], 0, v[0:1]
	v_mul_f32_e32 v62, v19, v24
	v_mul_f32_e32 v63, v61, v25
	;; [unrolled: 1-line block ×3, first 2 shown]
	s_or_b64 s[28:29], s[54:55], s[28:29]
	s_or_b64 s[34:35], s[54:55], vcc
	s_mov_b32 s68, s56
	s_mov_b32 s70, s56
	;; [unrolled: 1-line block ×5, first 2 shown]
	s_branch .LBB4_36
.LBB4_35:                               ;   in Loop: Header=BB4_36 Depth=2
	s_or_b64 exec, exec, s[36:37]
	v_mul_f32_e32 v27, v35, v34
	v_fma_f32 v30, v35, v37, v28
	v_cndmask_b32_e64 v28, v30, v28, s[16:17]
	v_cndmask_b32_e64 v27, v27, v35, s[16:17]
	s_waitcnt lgkmcnt(0)
	v_fmac_f32_e32 v28, v26, v27
	v_fmac_f32_e32 v29, v28, v33
	;; [unrolled: 1-line block ×4, first 2 shown]
	v_and_b32_e32 v27, 0xffff0000, v24
	v_and_b32_e32 v31, 0xffff0000, v25
	v_lshlrev_b32_e32 v26, 16, v24
	v_lshlrev_b32_e32 v30, 16, v25
	v_mov_b32_e32 v33, v36
	s_add_i32 s99, s99, 8
	s_add_i32 s63, s63, -1
	s_add_i32 s72, s72, s78
	s_add_i32 s70, s70, s48
	;; [unrolled: 1-line block ×4, first 2 shown]
	v_pk_fma_f32 v[14:15], v[32:33], v[30:31], v[14:15]
	s_cmp_eq_u32 s63, 0
	v_pk_fma_f32 v[16:17], v[28:29], v[26:27], v[16:17]
	s_cbranch_scc1 .LBB4_75
.LBB4_36:                               ;   Parent Loop BB4_11 Depth=1
                                        ; =>  This Inner Loop Header: Depth=2
	s_lshl_b64 s[36:37], s[56:57], 2
	s_add_u32 s36, s40, s36
	s_addc_u32 s37, s80, s37
	global_load_dword v26, v1, s[36:37]
	s_mov_b32 s69, s57
	v_lshl_add_u64 v[24:25], s[68:69], 1, v[20:21]
	v_mov_b32_e32 v27, 0
	v_mov_b32_e32 v28, 0
	s_and_saveexec_b64 s[36:37], s[18:19]
	s_cbranch_execz .LBB4_38
; %bb.37:                               ;   in Loop: Header=BB4_36 Depth=2
	global_load_ushort v28, v[24:25], off
.LBB4_38:                               ;   in Loop: Header=BB4_36 Depth=2
	s_or_b64 exec, exec, s[36:37]
	s_and_saveexec_b64 s[36:37], s[20:21]
	s_cbranch_execz .LBB4_40
; %bb.39:                               ;   in Loop: Header=BB4_36 Depth=2
	global_load_ushort v27, v[24:25], off offset:128
.LBB4_40:                               ;   in Loop: Header=BB4_36 Depth=2
	s_or_b64 exec, exec, s[36:37]
	v_mov_b32_e32 v29, 0
	v_mov_b32_e32 v30, 0
	s_and_saveexec_b64 s[36:37], s[22:23]
	s_cbranch_execz .LBB4_42
; %bb.41:                               ;   in Loop: Header=BB4_36 Depth=2
	global_load_ushort v30, v[24:25], off offset:256
.LBB4_42:                               ;   in Loop: Header=BB4_36 Depth=2
	s_or_b64 exec, exec, s[36:37]
	s_and_saveexec_b64 s[36:37], s[24:25]
	s_cbranch_execz .LBB4_44
; %bb.43:                               ;   in Loop: Header=BB4_36 Depth=2
	global_load_ushort v29, v[24:25], off offset:384
.LBB4_44:                               ;   in Loop: Header=BB4_36 Depth=2
	s_or_b64 exec, exec, s[36:37]
	s_waitcnt vmcnt(0)
	ds_write_b16 v45, v28
	ds_write_b16 v46, v27 offset:128
	ds_write_b16 v47, v30 offset:256
	;; [unrolled: 1-line block ×3, first 2 shown]
	; wave barrier
	ds_read_b64 v[28:29], v49
	s_mov_b32 s71, s57
	v_lshl_add_u64 v[24:25], s[70:71], 1, v[22:23]
	v_mov_b32_e32 v27, 0
	v_mov_b32_e32 v30, 0
	s_and_saveexec_b64 s[36:37], s[18:19]
	s_cbranch_execz .LBB4_46
; %bb.45:                               ;   in Loop: Header=BB4_36 Depth=2
	global_load_ushort v30, v[24:25], off
.LBB4_46:                               ;   in Loop: Header=BB4_36 Depth=2
	s_or_b64 exec, exec, s[36:37]
	s_and_saveexec_b64 s[36:37], s[20:21]
	s_cbranch_execz .LBB4_48
; %bb.47:                               ;   in Loop: Header=BB4_36 Depth=2
	global_load_ushort v27, v[24:25], off offset:128
.LBB4_48:                               ;   in Loop: Header=BB4_36 Depth=2
	s_or_b64 exec, exec, s[36:37]
	v_mov_b32_e32 v31, 0
	v_mov_b32_e32 v32, 0
	s_and_saveexec_b64 s[36:37], s[22:23]
	s_cbranch_execz .LBB4_50
; %bb.49:                               ;   in Loop: Header=BB4_36 Depth=2
	global_load_ushort v32, v[24:25], off offset:256
.LBB4_50:                               ;   in Loop: Header=BB4_36 Depth=2
	s_or_b64 exec, exec, s[36:37]
	s_and_saveexec_b64 s[36:37], s[24:25]
	s_cbranch_execz .LBB4_52
; %bb.51:                               ;   in Loop: Header=BB4_36 Depth=2
	global_load_ushort v31, v[24:25], off offset:384
.LBB4_52:                               ;   in Loop: Header=BB4_36 Depth=2
	s_or_b64 exec, exec, s[36:37]
	s_waitcnt vmcnt(0)
	ds_write_b16 v45, v30 offset:528
	ds_write_b16 v50, v27 offset:128
	;; [unrolled: 1-line block ×4, first 2 shown]
	; wave barrier
	ds_read_b64 v[24:25], v49 offset:528
	s_andn2_b64 vcc, exec, s[64:65]
	s_cbranch_vccnz .LBB4_54
; %bb.53:                               ;   in Loop: Header=BB4_36 Depth=2
	v_mov_b32_e32 v27, s99
	ds_read_b64 v[30:31], v27
	s_waitcnt lgkmcnt(0)
	v_mov_b32_e32 v27, v31
	s_cbranch_execz .LBB4_55
	s_branch .LBB4_58
.LBB4_54:                               ;   in Loop: Header=BB4_36 Depth=2
                                        ; implicit-def: $vgpr30
                                        ; implicit-def: $vgpr27
.LBB4_55:                               ;   in Loop: Header=BB4_36 Depth=2
	s_andn2_b64 vcc, exec, s[38:39]
	v_mov_b32_e32 v27, 0
	s_cbranch_vccnz .LBB4_57
; %bb.56:                               ;   in Loop: Header=BB4_36 Depth=2
	s_mov_b32 s73, s57
	s_lshl_b64 s[36:37], s[72:73], 1
	s_add_u32 s36, s45, s36
	s_addc_u32 s37, s49, s37
	global_load_ushort v27, v1, s[36:37]
	s_waitcnt vmcnt(0)
	v_lshlrev_b32_e32 v27, 16, v27
.LBB4_57:                               ;   in Loop: Header=BB4_36 Depth=2
	v_mov_b32_e32 v30, 1.0
.LBB4_58:                               ;   in Loop: Header=BB4_36 Depth=2
	v_mul_f32_e32 v26, 0x3fb8aa3b, v26
	s_waitcnt lgkmcnt(5)
	v_lshlrev_b32_e32 v31, 16, v28
	v_and_b32_e32 v32, 0xffff0000, v28
	v_mul_f32_e32 v28, v26, v60
	v_cmp_gt_f32_e32 vcc, s92, v28
	v_lshlrev_b32_e32 v33, 16, v29
	v_and_b32_e32 v34, 0xffff0000, v29
	v_cndmask_b32_e32 v28, 0, v57, vcc
	v_fmac_f32_e32 v28, v26, v60
	v_exp_f32_e32 v28, v28
	v_cndmask_b32_e32 v29, 1.0, v58, vcc
	v_pk_mul_f32 v[36:37], v[26:27], v[18:19] op_sel_hi:[0,1]
	v_cmp_gt_f32_e64 s[36:37], s92, v37
	v_mul_f32_e32 v29, v28, v29
	v_mul_f32_e32 v28, v64, v31
	;; [unrolled: 1-line block ×3, first 2 shown]
	v_cmp_gt_f32_e32 vcc, s92, v31
	v_cndmask_b32_e64 v35, 1.0, v29, s[26:27]
	v_cndmask_b32_e64 v28, 0, v28, s[26:27]
	v_cndmask_b32_e32 v31, 0, v57, vcc
	v_fmac_f32_e32 v31, v26, v61
	v_exp_f32_e32 v31, v31
	v_cndmask_b32_e32 v29, 1.0, v58, vcc
	v_mul_f32_e32 v26, v62, v33
	v_cmp_gt_f32_e32 vcc, s92, v36
	v_mul_f32_e32 v31, v31, v29
	v_mul_f32_e32 v29, v63, v32
	v_cndmask_b32_e64 v32, 0, v26, s[30:31]
	v_cndmask_b32_e32 v26, 0, v57, vcc
	v_cndmask_b32_e64 v33, 1.0, v31, s[28:29]
	v_add_f32_e32 v26, v36, v26
	v_cndmask_b32_e64 v31, 0, v57, s[36:37]
	v_exp_f32_e32 v26, v26
	v_add_f32_e32 v31, v37, v31
	v_exp_f32_e32 v31, v31
	v_cndmask_b32_e32 v36, 1.0, v58, vcc
	v_mul_f32_e32 v26, v26, v36
	v_cndmask_b32_e64 v36, 1.0, v58, s[36:37]
	v_cndmask_b32_e64 v29, 0, v29, s[28:29]
	v_mul_f32_e32 v31, v31, v36
	v_mul_f32_e32 v34, v13, v34
	v_cndmask_b32_e64 v39, 1.0, v31, s[30:31]
	v_cndmask_b32_e64 v38, 1.0, v26, s[34:35]
	v_fma_f32 v26, v33, v28, v29
	v_cndmask_b32_e64 v36, 0, v34, s[34:35]
	v_mul_f32_e32 v34, v26, v39
	v_pk_add_f32 v[40:41], v[34:35], v[32:33]
	v_pk_mul_f32 v[66:67], v[34:35], v[32:33]
	v_mov_b32_e32 v37, v38
	v_mov_b32_e32 v41, v67
	v_pk_mul_f32 v[66:67], v[40:41], v[38:39]
	v_pk_fma_f32 v[40:41], v[40:41], v[38:39], v[36:37]
	v_pk_mul_f32 v[66:67], v[66:67], v[36:37]
	s_nop 0
	v_mov_b32_dpp v31, v40 row_shr:1 row_mask:0xf bank_mask:0xf
	v_mov_b32_dpp v26, v67 row_shr:1 row_mask:0xf bank_mask:0xf
	v_mul_f32_e32 v41, v67, v26
	v_fma_f32 v26, v67, v31, v40
	v_cndmask_b32_e64 v37, v26, v40, s[0:1]
	v_cndmask_b32_e64 v26, v26, v40, s[0:1]
	;; [unrolled: 1-line block ×4, first 2 shown]
	v_mov_b32_dpp v41, v26 row_shr:2 row_mask:0xf bank_mask:0xf
	v_mov_b32_dpp v40, v31 row_shr:2 row_mask:0xf bank_mask:0xf
	s_and_saveexec_b64 s[36:37], s[2:3]
; %bb.59:                               ;   in Loop: Header=BB4_36 Depth=2
	v_fmac_f32_e32 v26, v31, v41
	v_mul_f32_e32 v31, v31, v40
	v_mov_b32_e32 v34, v31
	v_mov_b32_e32 v37, v26
; %bb.60:                               ;   in Loop: Header=BB4_36 Depth=2
	s_or_b64 exec, exec, s[36:37]
	v_mov_b32_dpp v40, v31 row_shr:4 row_mask:0xf bank_mask:0xf
	v_mov_b32_dpp v41, v26 row_shr:4 row_mask:0xf bank_mask:0xf
	s_and_saveexec_b64 s[36:37], s[4:5]
; %bb.61:                               ;   in Loop: Header=BB4_36 Depth=2
	v_fmac_f32_e32 v26, v31, v41
	v_mul_f32_e32 v31, v31, v40
	v_mov_b32_e32 v34, v31
	v_mov_b32_e32 v37, v26
; %bb.62:                               ;   in Loop: Header=BB4_36 Depth=2
	s_or_b64 exec, exec, s[36:37]
	v_mov_b32_dpp v40, v31 row_shr:8 row_mask:0xf bank_mask:0xf
	v_mov_b32_dpp v41, v26 row_shr:8 row_mask:0xf bank_mask:0xf
	s_and_saveexec_b64 s[36:37], s[6:7]
; %bb.63:                               ;   in Loop: Header=BB4_36 Depth=2
	v_fmac_f32_e32 v26, v31, v41
	v_mul_f32_e32 v31, v31, v40
	v_mov_b32_e32 v34, v31
	v_mov_b32_e32 v37, v26
; %bb.64:                               ;   in Loop: Header=BB4_36 Depth=2
	s_or_b64 exec, exec, s[36:37]
	v_mov_b32_dpp v40, v31 row_bcast:15 row_mask:0xf bank_mask:0xf
	v_mov_b32_dpp v41, v26 row_bcast:15 row_mask:0xf bank_mask:0xf
	s_and_saveexec_b64 s[36:37], s[8:9]
; %bb.65:                               ;   in Loop: Header=BB4_36 Depth=2
	v_fmac_f32_e32 v26, v31, v41
	v_mul_f32_e32 v31, v31, v40
	v_mov_b32_e32 v34, v31
	v_mov_b32_e32 v37, v26
; %bb.66:                               ;   in Loop: Header=BB4_36 Depth=2
	s_or_b64 exec, exec, s[36:37]
	v_mov_b32_dpp v40, v31 row_bcast:31 row_mask:0xf bank_mask:0xf
	v_mov_b32_dpp v41, v26 row_bcast:31 row_mask:0xf bank_mask:0xf
	v_mul_f32_e32 v40, v31, v40
	v_fmac_f32_e32 v26, v31, v41
	v_cndmask_b32_e64 v40, v34, v40, s[10:11]
	v_cndmask_b32_e64 v41, v37, v26, s[10:11]
	s_and_saveexec_b64 s[36:37], s[12:13]
	s_cbranch_execz .LBB4_68
; %bb.67:                               ;   in Loop: Header=BB4_36 Depth=2
	ds_write_b64 v1, v[40:41] offset:1056
.LBB4_68:                               ;   in Loop: Header=BB4_36 Depth=2
	s_or_b64 exec, exec, s[36:37]
	ds_bpermute_b32 v34, v53, v40
	ds_bpermute_b32 v37, v53, v41
	s_waitcnt lgkmcnt(0)
	; wave barrier
	s_waitcnt lgkmcnt(0)
	s_and_saveexec_b64 s[36:37], s[14:15]
	s_cbranch_execz .LBB4_72
; %bb.69:                               ;   in Loop: Header=BB4_36 Depth=2
	ds_read_b64 v[40:41], v1 offset:1056
	s_and_saveexec_b64 s[74:75], s[16:17]
	s_cbranch_execz .LBB4_71
; %bb.70:                               ;   in Loop: Header=BB4_36 Depth=2
	v_mov_b32_e32 v31, v27
	ds_write_b64 v1, v[30:31] offset:1056
.LBB4_71:                               ;   in Loop: Header=BB4_36 Depth=2
	s_or_b64 exec, exec, s[74:75]
	s_waitcnt lgkmcnt(0)
	v_mul_f32_e32 v31, v40, v27
	v_pk_add_f32 v[26:27], v[30:31], v[40:41]
	v_mul_f32_e32 v30, v30, v40
.LBB4_72:                               ;   in Loop: Header=BB4_36 Depth=2
	s_or_b64 exec, exec, s[36:37]
	s_waitcnt lgkmcnt(0)
	; wave barrier
	ds_read_b32 v26, v1 offset:1060
	s_and_saveexec_b64 s[36:37], s[16:17]
	s_cbranch_execz .LBB4_35
; %bb.73:                               ;   in Loop: Header=BB4_36 Depth=2
	v_mov_b32_e32 v31, v27
	v_mov_b32_e32 v40, s99
	s_andn2_b64 vcc, exec, s[66:67]
	ds_write_b64 v40, v[30:31]
	s_cbranch_vccnz .LBB4_35
; %bb.74:                               ;   in Loop: Header=BB4_36 Depth=2
	v_bfe_u32 v30, v27, 16, 1
	s_mov_b32 s73, s57
	v_add3_u32 v30, v27, v30, s93
	s_lshl_b64 s[74:75], s[72:73], 1
	v_lshrrev_b32_e32 v30, 16, v30
	v_cmp_o_f32_e32 vcc, v27, v27
	s_add_u32 s74, s45, s74
	s_addc_u32 s75, s49, s75
	v_cndmask_b32_e32 v27, v59, v30, vcc
	global_store_short v1, v27, s[74:75]
	s_branch .LBB4_35
.LBB4_75:                               ;   in Loop: Header=BB4_11 Depth=1
	v_bfe_u32 v13, v14, 16, 1
	v_bfe_u32 v18, v15, 16, 1
	v_add3_u32 v13, v14, v13, s93
	v_bfe_u32 v19, v16, 16, 1
	v_add3_u32 v18, v15, v18, s93
	v_lshrrev_b32_e32 v13, 16, v13
	v_cmp_o_f32_e32 vcc, v14, v14
	v_bfe_u32 v20, v17, 16, 1
	v_add3_u32 v19, v16, v19, s93
	v_lshrrev_b32_e32 v18, 16, v18
	v_cndmask_b32_e32 v13, v59, v13, vcc
	v_cmp_o_f32_e32 vcc, v15, v15
	v_add3_u32 v20, v17, v20, s93
	v_lshrrev_b32_e32 v21, 16, v19
	v_cndmask_b32_e32 v18, v59, v18, vcc
	v_cmp_o_f32_e32 vcc, v16, v16
	v_lshrrev_b32_e32 v20, 16, v20
	v_perm_b32 v19, v18, v13, s94
	v_cndmask_b32_e32 v13, v59, v21, vcc
	v_cmp_o_f32_e32 vcc, v17, v17
	s_waitcnt lgkmcnt(0)
	; wave barrier
	s_nop 0
	v_cndmask_b32_e32 v18, v59, v20, vcc
	v_perm_b32 v18, v18, v13, s94
	ds_write_b64 v49, v[18:19]
	; wave barrier
	ds_read_u16 v21, v46 offset:128
	ds_read_u16 v20, v47 offset:256
	;; [unrolled: 1-line block ×3, first 2 shown]
	s_mov_b32 s63, s57
	v_lshl_add_u64 v[18:19], s[62:63], 1, v[4:5]
	s_and_saveexec_b64 s[26:27], s[18:19]
	s_cbranch_execnz .LBB4_94
; %bb.76:                               ;   in Loop: Header=BB4_11 Depth=1
	s_or_b64 exec, exec, s[26:27]
	s_and_saveexec_b64 s[26:27], s[20:21]
	s_cbranch_execnz .LBB4_95
.LBB4_77:                               ;   in Loop: Header=BB4_11 Depth=1
	s_or_b64 exec, exec, s[26:27]
	s_and_saveexec_b64 s[26:27], s[22:23]
	s_cbranch_execnz .LBB4_96
.LBB4_78:                               ;   in Loop: Header=BB4_11 Depth=1
	s_or_b64 exec, exec, s[26:27]
	s_and_saveexec_b64 s[26:27], s[24:25]
	s_cbranch_execz .LBB4_80
.LBB4_79:                               ;   in Loop: Header=BB4_11 Depth=1
	s_waitcnt lgkmcnt(0)
	global_store_short v[18:19], v13, off offset:384
.LBB4_80:                               ;   in Loop: Header=BB4_11 Depth=1
	s_or_b64 exec, exec, s[26:27]
	v_lshl_add_u64 v[18:19], s[62:63], 1, v[6:7]
	s_waitcnt lgkmcnt(0)
	v_mov_b32_e32 v13, 0
	v_mov_b32_e32 v20, 0
	s_waitcnt lgkmcnt(0)
	; wave barrier
	s_and_saveexec_b64 s[26:27], s[18:19]
	s_cbranch_execz .LBB4_82
; %bb.81:                               ;   in Loop: Header=BB4_11 Depth=1
	global_load_ushort v20, v[18:19], off
.LBB4_82:                               ;   in Loop: Header=BB4_11 Depth=1
	s_or_b64 exec, exec, s[26:27]
	s_and_saveexec_b64 s[26:27], s[20:21]
	s_cbranch_execz .LBB4_84
; %bb.83:                               ;   in Loop: Header=BB4_11 Depth=1
	global_load_ushort v13, v[18:19], off offset:128
.LBB4_84:                               ;   in Loop: Header=BB4_11 Depth=1
	s_or_b64 exec, exec, s[26:27]
	v_mov_b32_e32 v21, 0
	v_mov_b32_e32 v22, 0
	s_and_saveexec_b64 s[26:27], s[22:23]
	s_cbranch_execz .LBB4_86
; %bb.85:                               ;   in Loop: Header=BB4_11 Depth=1
	global_load_ushort v22, v[18:19], off offset:256
.LBB4_86:                               ;   in Loop: Header=BB4_11 Depth=1
	s_or_b64 exec, exec, s[26:27]
	s_and_saveexec_b64 s[26:27], s[24:25]
	s_cbranch_execz .LBB4_88
; %bb.87:                               ;   in Loop: Header=BB4_11 Depth=1
	global_load_ushort v21, v[18:19], off offset:384
.LBB4_88:                               ;   in Loop: Header=BB4_11 Depth=1
	s_or_b64 exec, exec, s[26:27]
	s_waitcnt vmcnt(0)
	ds_write_b16 v45, v20
	ds_write_b16 v46, v13 offset:128
	ds_write_b16 v47, v22 offset:256
	ds_write_b16 v48, v21 offset:384
	; wave barrier
	ds_read_b64 v[18:19], v49
	s_waitcnt lgkmcnt(0)
	; wave barrier
	s_waitcnt lgkmcnt(0)
	v_and_b32_e32 v13, 0xffff0000, v19
	v_mul_f32_e32 v20, 0xbfb8aa3b, v13
	v_fma_f32 v21, v13, s95, -v20
	v_rndne_f32_e32 v22, v20
	v_fmac_f32_e32 v21, 0xb2a5705f, v13
	v_sub_f32_e32 v20, v20, v22
	v_add_f32_e32 v20, v20, v21
	v_exp_f32_e32 v20, v20
	v_cvt_i32_f32_e32 v21, v22
	v_and_b32_e32 v22, 0xffff0000, v18
	v_lshlrev_b32_e32 v24, 16, v19
	v_mul_f32_e32 v19, 0xbfb8aa3b, v22
	v_lshlrev_b32_e32 v23, 16, v18
	v_ldexp_f32 v18, v20, v21
	v_fma_f32 v20, v22, s95, -v19
	v_rndne_f32_e32 v21, v19
	v_fmac_f32_e32 v20, 0xb2a5705f, v22
	v_sub_f32_e32 v19, v19, v21
	v_add_f32_e32 v19, v19, v20
	v_exp_f32_e32 v20, v19
	v_cvt_i32_f32_e32 v21, v21
	v_cmp_nlt_f32_e32 vcc, s96, v13
	s_nop 1
	v_cndmask_b32_e32 v18, 0, v18, vcc
	v_cmp_ngt_f32_e32 vcc, s97, v13
	s_nop 1
	v_cndmask_b32_e32 v19, v56, v18, vcc
	v_ldexp_f32 v18, v20, v21
	v_mul_f32_e32 v20, 0xbfb8aa3b, v24
	v_rndne_f32_e32 v21, v20
	v_sub_f32_e32 v25, v20, v21
	v_fma_f32 v20, v24, s95, -v20
	v_fmac_f32_e32 v20, 0xb2a5705f, v24
	v_add_f32_e32 v20, v25, v20
	v_exp_f32_e32 v20, v20
	v_cvt_i32_f32_e32 v25, v21
	v_cmp_nlt_f32_e32 vcc, s96, v22
	s_nop 1
	v_cndmask_b32_e32 v18, 0, v18, vcc
	v_cmp_ngt_f32_e32 vcc, s97, v22
	s_nop 1
	v_cndmask_b32_e32 v21, v56, v18, vcc
	v_ldexp_f32 v18, v20, v25
	v_mul_f32_e32 v20, 0xbfb8aa3b, v23
	v_rndne_f32_e32 v25, v20
	v_sub_f32_e32 v26, v20, v25
	v_fma_f32 v20, v23, s95, -v20
	v_fmac_f32_e32 v20, 0xb2a5705f, v23
	v_add_f32_e32 v20, v26, v20
	v_exp_f32_e32 v20, v20
	v_cvt_i32_f32_e32 v25, v25
	v_cmp_nlt_f32_e32 vcc, s96, v24
	v_ldexp_f32 v20, v20, v25
	s_nop 0
	v_cndmask_b32_e32 v18, 0, v18, vcc
	v_cmp_ngt_f32_e32 vcc, s97, v24
	s_nop 1
	v_cndmask_b32_e32 v18, v56, v18, vcc
	v_pk_add_f32 v[18:19], v[18:19], 1.0 op_sel_hi:[1,0]
	v_cmp_nlt_f32_e32 vcc, s96, v23
	v_div_scale_f32 v25, s[26:27], v19, v19, v13
	v_rcp_f32_e32 v26, v25
	v_cndmask_b32_e32 v20, 0, v20, vcc
	v_cmp_ngt_f32_e32 vcc, s97, v23
	v_fma_f32 v27, -v25, v26, 1.0
	s_nop 0
	v_cndmask_b32_e32 v20, v56, v20, vcc
	v_fmac_f32_e32 v26, v27, v26
	v_div_scale_f32 v27, vcc, v13, v19, v13
	v_mul_f32_e32 v28, v27, v26
	v_fma_f32 v29, -v25, v28, v27
	v_fmac_f32_e32 v28, v29, v26
	v_fma_f32 v25, -v25, v28, v27
	v_div_scale_f32 v27, s[26:27], v18, v18, v24
	v_rcp_f32_e32 v29, v27
	v_div_fmas_f32 v25, v25, v26, v28
	v_div_fixup_f32 v19, v25, v19, v13
	v_pk_add_f32 v[20:21], v[20:21], 1.0 op_sel_hi:[1,0]
	v_fma_f32 v13, -v27, v29, 1.0
	v_fmac_f32_e32 v29, v13, v29
	v_div_scale_f32 v13, vcc, v24, v18, v24
	v_mul_f32_e32 v25, v13, v29
	v_fma_f32 v26, -v27, v25, v13
	v_fmac_f32_e32 v25, v26, v29
	v_div_scale_f32 v26, s[26:27], v21, v21, v22
	v_fma_f32 v13, -v27, v25, v13
	v_rcp_f32_e32 v27, v26
	v_div_fmas_f32 v13, v13, v29, v25
	v_div_fixup_f32 v18, v13, v18, v24
	v_pk_mul_f32 v[14:15], v[14:15], v[18:19]
	v_fma_f32 v13, -v26, v27, 1.0
	v_fmac_f32_e32 v27, v13, v27
	v_div_scale_f32 v13, vcc, v22, v21, v22
	v_mul_f32_e32 v24, v13, v27
	v_fma_f32 v25, -v26, v24, v13
	v_fmac_f32_e32 v24, v25, v27
	v_div_scale_f32 v25, s[26:27], v20, v20, v23
	v_fma_f32 v13, -v26, v24, v13
	v_rcp_f32_e32 v26, v25
	v_div_fmas_f32 v13, v13, v27, v24
	v_div_fixup_f32 v21, v13, v21, v22
	v_bfe_u32 v19, v14, 16, 1
	v_fma_f32 v13, -v25, v26, 1.0
	v_fmac_f32_e32 v26, v13, v26
	v_div_scale_f32 v13, vcc, v23, v20, v23
	v_mul_f32_e32 v22, v13, v26
	v_fma_f32 v24, -v25, v22, v13
	v_fmac_f32_e32 v22, v24, v26
	v_fma_f32 v13, -v25, v22, v13
	v_div_fmas_f32 v13, v13, v26, v22
	v_div_fixup_f32 v20, v13, v20, v23
	v_pk_mul_f32 v[16:17], v[16:17], v[20:21]
	v_bfe_u32 v20, v15, 16, 1
	v_bfe_u32 v13, v16, 16, 1
	;; [unrolled: 1-line block ×3, first 2 shown]
	v_add3_u32 v13, v16, v13, s93
	v_add3_u32 v18, v17, v18, s93
	v_lshrrev_b32_e32 v13, 16, v13
	v_cmp_o_f32_e32 vcc, v16, v16
	v_add3_u32 v19, v14, v19, s93
	v_lshrrev_b32_e32 v18, 16, v18
	v_cndmask_b32_e32 v13, v59, v13, vcc
	v_cmp_o_f32_e32 vcc, v17, v17
	v_add3_u32 v20, v15, v20, s93
	v_lshrrev_b32_e32 v19, 16, v19
	v_cndmask_b32_e32 v16, v59, v18, vcc
	v_cmp_o_f32_e32 vcc, v14, v14
	v_lshrrev_b32_e32 v20, 16, v20
	v_perm_b32 v16, v16, v13, s94
	v_cndmask_b32_e32 v13, v59, v19, vcc
	v_cmp_o_f32_e32 vcc, v15, v15
	s_nop 1
	v_cndmask_b32_e32 v14, v59, v20, vcc
	v_perm_b32 v17, v14, v13, s94
	ds_write_b64 v49, v[16:17]
	; wave barrier
	ds_read_u16 v17, v46 offset:128
	ds_read_u16 v16, v47 offset:256
	;; [unrolled: 1-line block ×3, first 2 shown]
	v_lshl_add_u64 v[14:15], s[62:63], 1, v[8:9]
	s_and_saveexec_b64 s[26:27], s[18:19]
	s_cbranch_execnz .LBB4_97
; %bb.89:                               ;   in Loop: Header=BB4_11 Depth=1
	s_or_b64 exec, exec, s[26:27]
	s_and_saveexec_b64 s[18:19], s[20:21]
	s_cbranch_execnz .LBB4_98
.LBB4_90:                               ;   in Loop: Header=BB4_11 Depth=1
	s_or_b64 exec, exec, s[18:19]
	s_and_saveexec_b64 s[18:19], s[22:23]
	s_cbranch_execnz .LBB4_99
.LBB4_91:                               ;   in Loop: Header=BB4_11 Depth=1
	s_or_b64 exec, exec, s[18:19]
	s_and_saveexec_b64 s[18:19], s[24:25]
	s_cbranch_execz .LBB4_10
	s_branch .LBB4_100
.LBB4_92:                               ;   in Loop: Header=BB4_11 Depth=1
	global_load_ushort v19, v[14:15], off offset:128
	s_or_b64 exec, exec, s[26:27]
	s_and_saveexec_b64 s[26:27], s[22:23]
	s_cbranch_execz .LBB4_23
.LBB4_93:                               ;   in Loop: Header=BB4_11 Depth=1
	global_load_ushort v18, v[14:15], off offset:256
	s_or_b64 exec, exec, s[26:27]
	v_mov_b32_e32 v20, 0
	s_and_saveexec_b64 s[26:27], s[24:25]
	s_cbranch_execnz .LBB4_24
	s_branch .LBB4_25
.LBB4_94:                               ;   in Loop: Header=BB4_11 Depth=1
	ds_read_u16 v22, v45
	s_waitcnt lgkmcnt(0)
	global_store_short v[18:19], v22, off
	s_or_b64 exec, exec, s[26:27]
	s_and_saveexec_b64 s[26:27], s[20:21]
	s_cbranch_execz .LBB4_77
.LBB4_95:                               ;   in Loop: Header=BB4_11 Depth=1
	s_waitcnt lgkmcnt(2)
	global_store_short v[18:19], v21, off offset:128
	s_or_b64 exec, exec, s[26:27]
	s_and_saveexec_b64 s[26:27], s[22:23]
	s_cbranch_execz .LBB4_78
.LBB4_96:                               ;   in Loop: Header=BB4_11 Depth=1
	s_waitcnt lgkmcnt(1)
	global_store_short v[18:19], v20, off offset:256
	s_or_b64 exec, exec, s[26:27]
	s_and_saveexec_b64 s[26:27], s[24:25]
	s_cbranch_execnz .LBB4_79
	s_branch .LBB4_80
.LBB4_97:                               ;   in Loop: Header=BB4_11 Depth=1
	ds_read_u16 v18, v45
	s_waitcnt lgkmcnt(0)
	global_store_short v[14:15], v18, off
	s_or_b64 exec, exec, s[26:27]
	s_and_saveexec_b64 s[18:19], s[20:21]
	s_cbranch_execz .LBB4_90
.LBB4_98:                               ;   in Loop: Header=BB4_11 Depth=1
	s_waitcnt lgkmcnt(2)
	global_store_short v[14:15], v17, off offset:128
	s_or_b64 exec, exec, s[18:19]
	s_and_saveexec_b64 s[18:19], s[22:23]
	s_cbranch_execz .LBB4_91
.LBB4_99:                               ;   in Loop: Header=BB4_11 Depth=1
	s_waitcnt lgkmcnt(1)
	global_store_short v[14:15], v16, off offset:256
	s_or_b64 exec, exec, s[18:19]
	s_and_saveexec_b64 s[18:19], s[24:25]
	s_cbranch_execz .LBB4_10
.LBB4_100:                              ;   in Loop: Header=BB4_11 Depth=1
	s_waitcnt lgkmcnt(0)
	global_store_short v[14:15], v13, off offset:384
	s_branch .LBB4_10
.LBB4_101:
	s_endpgm
.LBB4_102:
	s_mov_b64 s[38:39], 0
	s_load_dwordx2 s[6:7], s[0:1], 0x20
	s_cmp_eq_u64 s[4:5], 0
	s_cbranch_scc0 .LBB4_2
	s_branch .LBB4_3
	.section	.rodata,"a",@progbits
	.p2align	6, 0x0
	.amdhsa_kernel _Z25selective_scan_fwd_kernelI32Selective_Scan_fwd_kernel_traitsILi64ELi4ELi1ELb0ELb1ELb1ELb1ELb1EN3c108BFloat16EfS2_EEv13SSMParamsBase
		.amdhsa_group_segment_fixed_size 0
		.amdhsa_private_segment_fixed_size 0
		.amdhsa_kernarg_size 248
		.amdhsa_user_sgpr_count 2
		.amdhsa_user_sgpr_dispatch_ptr 0
		.amdhsa_user_sgpr_queue_ptr 0
		.amdhsa_user_sgpr_kernarg_segment_ptr 1
		.amdhsa_user_sgpr_dispatch_id 0
		.amdhsa_user_sgpr_kernarg_preload_length 0
		.amdhsa_user_sgpr_kernarg_preload_offset 0
		.amdhsa_user_sgpr_private_segment_size 0
		.amdhsa_uses_dynamic_stack 0
		.amdhsa_enable_private_segment 0
		.amdhsa_system_sgpr_workgroup_id_x 1
		.amdhsa_system_sgpr_workgroup_id_y 1
		.amdhsa_system_sgpr_workgroup_id_z 0
		.amdhsa_system_sgpr_workgroup_info 0
		.amdhsa_system_vgpr_workitem_id 0
		.amdhsa_next_free_vgpr 68
		.amdhsa_next_free_sgpr 100
		.amdhsa_accum_offset 68
		.amdhsa_reserve_vcc 1
		.amdhsa_float_round_mode_32 0
		.amdhsa_float_round_mode_16_64 0
		.amdhsa_float_denorm_mode_32 3
		.amdhsa_float_denorm_mode_16_64 3
		.amdhsa_dx10_clamp 1
		.amdhsa_ieee_mode 1
		.amdhsa_fp16_overflow 0
		.amdhsa_tg_split 0
		.amdhsa_exception_fp_ieee_invalid_op 0
		.amdhsa_exception_fp_denorm_src 0
		.amdhsa_exception_fp_ieee_div_zero 0
		.amdhsa_exception_fp_ieee_overflow 0
		.amdhsa_exception_fp_ieee_underflow 0
		.amdhsa_exception_fp_ieee_inexact 0
		.amdhsa_exception_int_div_zero 0
	.end_amdhsa_kernel
	.section	.text._Z25selective_scan_fwd_kernelI32Selective_Scan_fwd_kernel_traitsILi64ELi4ELi1ELb0ELb1ELb1ELb1ELb1EN3c108BFloat16EfS2_EEv13SSMParamsBase,"axG",@progbits,_Z25selective_scan_fwd_kernelI32Selective_Scan_fwd_kernel_traitsILi64ELi4ELi1ELb0ELb1ELb1ELb1ELb1EN3c108BFloat16EfS2_EEv13SSMParamsBase,comdat
.Lfunc_end4:
	.size	_Z25selective_scan_fwd_kernelI32Selective_Scan_fwd_kernel_traitsILi64ELi4ELi1ELb0ELb1ELb1ELb1ELb1EN3c108BFloat16EfS2_EEv13SSMParamsBase, .Lfunc_end4-_Z25selective_scan_fwd_kernelI32Selective_Scan_fwd_kernel_traitsILi64ELi4ELi1ELb0ELb1ELb1ELb1ELb1EN3c108BFloat16EfS2_EEv13SSMParamsBase
                                        ; -- End function
	.section	.AMDGPU.csdata,"",@progbits
; Kernel info:
; codeLenInByte = 7444
; NumSgprs: 106
; NumVgprs: 68
; NumAgprs: 0
; TotalNumVgprs: 68
; ScratchSize: 0
; MemoryBound: 0
; FloatMode: 240
; IeeeMode: 1
; LDSByteSize: 0 bytes/workgroup (compile time only)
; SGPRBlocks: 13
; VGPRBlocks: 8
; NumSGPRsForWavesPerEU: 106
; NumVGPRsForWavesPerEU: 68
; AccumOffset: 68
; Occupancy: 7
; WaveLimiterHint : 1
; COMPUTE_PGM_RSRC2:SCRATCH_EN: 0
; COMPUTE_PGM_RSRC2:USER_SGPR: 2
; COMPUTE_PGM_RSRC2:TRAP_HANDLER: 0
; COMPUTE_PGM_RSRC2:TGID_X_EN: 1
; COMPUTE_PGM_RSRC2:TGID_Y_EN: 1
; COMPUTE_PGM_RSRC2:TGID_Z_EN: 0
; COMPUTE_PGM_RSRC2:TIDIG_COMP_CNT: 0
; COMPUTE_PGM_RSRC3_GFX90A:ACCUM_OFFSET: 16
; COMPUTE_PGM_RSRC3_GFX90A:TG_SPLIT: 0
	.section	.text._Z25selective_scan_fwd_kernelI32Selective_Scan_fwd_kernel_traitsILi64ELi4ELi1ELb0ELb1ELb1ELb1ELb0EN3c108BFloat16EfS2_EEv13SSMParamsBase,"axG",@progbits,_Z25selective_scan_fwd_kernelI32Selective_Scan_fwd_kernel_traitsILi64ELi4ELi1ELb0ELb1ELb1ELb1ELb0EN3c108BFloat16EfS2_EEv13SSMParamsBase,comdat
	.protected	_Z25selective_scan_fwd_kernelI32Selective_Scan_fwd_kernel_traitsILi64ELi4ELi1ELb0ELb1ELb1ELb1ELb0EN3c108BFloat16EfS2_EEv13SSMParamsBase ; -- Begin function _Z25selective_scan_fwd_kernelI32Selective_Scan_fwd_kernel_traitsILi64ELi4ELi1ELb0ELb1ELb1ELb1ELb0EN3c108BFloat16EfS2_EEv13SSMParamsBase
	.globl	_Z25selective_scan_fwd_kernelI32Selective_Scan_fwd_kernel_traitsILi64ELi4ELi1ELb0ELb1ELb1ELb1ELb0EN3c108BFloat16EfS2_EEv13SSMParamsBase
	.p2align	8
	.type	_Z25selective_scan_fwd_kernelI32Selective_Scan_fwd_kernel_traitsILi64ELi4ELi1ELb0ELb1ELb1ELb1ELb0EN3c108BFloat16EfS2_EEv13SSMParamsBase,@function
_Z25selective_scan_fwd_kernelI32Selective_Scan_fwd_kernel_traitsILi64ELi4ELi1ELb0ELb1ELb1ELb1ELb0EN3c108BFloat16EfS2_EEv13SSMParamsBase: ; @_Z25selective_scan_fwd_kernelI32Selective_Scan_fwd_kernel_traitsILi64ELi4ELi1ELb0ELb1ELb1ELb1ELb0EN3c108BFloat16EfS2_EEv13SSMParamsBase
; %bb.0:
	s_load_dword s35, s[0:1], 0x18
	s_load_dwordx4 s[4:7], s[0:1], 0xe8
	s_mov_b32 s28, s3
	s_waitcnt lgkmcnt(0)
	s_abs_i32 s34, s35
	v_cvt_f32_u32_e32 v1, s34
	s_cmp_eq_u64 s[6:7], 0
	v_rcp_iflag_f32_e32 v1, v1
	s_nop 0
	v_mul_f32_e32 v1, 0x4f7ffffe, v1
	v_cvt_u32_f32_e32 v1, v1
	s_nop 0
	v_readfirstlane_b32 s24, v1
	s_cbranch_scc1 .LBB5_3
; %bb.1:
	s_ashr_i32 s3, s2, 31
	s_add_u32 s6, s6, s2
	s_addc_u32 s7, s7, s3
	v_mov_b32_e32 v1, 0
	global_load_ubyte v1, v1, s[6:7]
	s_waitcnt vmcnt(0)
	v_and_b32_e32 v1, 1, v1
	v_cmp_eq_u32_e64 s[38:39], 1, v1
	s_load_dwordx2 s[6:7], s[0:1], 0x20
	s_cmp_eq_u64 s[4:5], 0
	s_cbranch_scc1 .LBB5_4
.LBB5_2:
	s_ashr_i32 s3, s2, 31
	s_lshl_b64 s[8:9], s[2:3], 2
	s_add_u32 s4, s4, s8
	s_addc_u32 s5, s5, s9
	s_load_dword s30, s[4:5], 0x0
	s_waitcnt lgkmcnt(0)
	s_ashr_i32 s31, s30, 31
	s_cmp_eq_u64 s[6:7], s[30:31]
	s_cbranch_scc0 .LBB5_5
	s_branch .LBB5_102
.LBB5_3:
	s_mov_b64 s[38:39], 0
	s_load_dwordx2 s[6:7], s[0:1], 0x20
	s_cmp_eq_u64 s[4:5], 0
	s_cbranch_scc0 .LBB5_2
.LBB5_4:
	s_mov_b32 s30, s2
	s_ashr_i32 s31, s30, 31
	s_waitcnt lgkmcnt(0)
	s_cmp_eq_u64 s[6:7], s[30:31]
	s_cbranch_scc1 .LBB5_102
.LBB5_5:
	s_load_dwordx16 s[4:19], s[0:1], 0x88
	s_load_dwordx2 s[56:57], s[0:1], 0x8
	s_mov_b32 s33, 0
	s_mov_b32 s78, 0
	s_waitcnt lgkmcnt(0)
	s_cmp_eq_u64 s[10:11], 0
	s_cbranch_scc1 .LBB5_7
; %bb.6:
	s_ashr_i32 s29, s28, 31
	s_lshl_b64 s[20:21], s[28:29], 2
	s_add_u32 s10, s10, s20
	s_addc_u32 s11, s11, s21
	s_load_dword s78, s[10:11], 0x0
.LBB5_7:
	s_cmp_eq_u64 s[16:17], 0
	s_cbranch_scc1 .LBB5_9
; %bb.8:
	s_ashr_i32 s29, s28, 31
	s_lshl_b64 s[10:11], s[28:29], 2
	s_add_u32 s10, s16, s10
	s_addc_u32 s11, s17, s11
	s_load_dword s33, s[10:11], 0x0
.LBB5_9:
	s_cmp_lt_i32 s56, 1
	s_cbranch_scc1 .LBB5_102
; %bb.10:
	s_sub_i32 s3, 0, s34
	s_mul_i32 s3, s3, s24
	s_mul_hi_u32 s3, s24, s3
	s_abs_i32 s29, s28
	s_add_i32 s3, s24, s3
	s_load_dwordx8 s[40:47], s[0:1], 0x2c
	s_load_dwordx2 s[16:17], s[0:1], 0x7c
	s_load_dwordx4 s[20:23], s[0:1], 0x6c
	s_load_dwordx8 s[48:55], s[0:1], 0x4c
	s_load_dwordx2 s[10:11], s[0:1], 0xd8
	s_load_dwordx4 s[24:27], s[0:1], 0xc8
	s_load_dword s79, s[0:1], 0x84
	s_mul_hi_u32 s3, s29, s3
	s_load_dword s31, s[0:1], 0x28
	s_ashr_i32 s0, s28, 31
	s_ashr_i32 s1, s35, 31
	s_xor_b32 s0, s0, s1
	s_mul_i32 s1, s3, s34
	s_sub_i32 s1, s29, s1
	s_add_i32 s29, s3, 1
	s_sub_i32 s35, s1, s34
	s_cmp_ge_u32 s1, s34
	s_cselect_b32 s3, s29, s3
	s_cselect_b32 s1, s35, s1
	s_add_i32 s29, s3, 1
	s_cmp_ge_u32 s1, s34
	s_cselect_b32 s1, s29, s3
	s_xor_b32 s1, s1, s0
	s_waitcnt lgkmcnt(0)
	s_mul_i32 s58, s50, s2
	s_mov_b32 s59, 0
	s_sub_i32 s3, s1, s0
	s_lshl_b64 s[0:1], s[58:59], 1
	s_add_u32 s12, s12, s0
	s_mul_i32 s58, s51, s28
	s_addc_u32 s13, s13, s1
	s_lshl_b64 s[0:1], s[58:59], 1
	s_add_u32 s50, s12, s0
	s_mul_i32 s58, s52, s2
	s_addc_u32 s51, s13, s1
	;; [unrolled: 4-line block ×9, first 2 shown]
	s_lshl_b64 s[0:1], s[58:59], 1
	s_add_u32 s3, s24, s0
	s_mul_i32 s58, s17, s28
	v_mbcnt_lo_u32_b32 v2, -1, 0
	s_addc_u32 s4, s25, s1
	s_lshl_b64 s[0:1], s[58:59], 1
	v_mbcnt_hi_u32_b32 v2, -1, v2
	s_add_u32 s45, s3, s0
	v_lshrrev_b32_e32 v3, 5, v2
	s_addc_u32 s49, s4, s1
	s_add_i32 s0, s56, 0x7ff
	v_and_b32_e32 v3, 2, v3
	s_lshr_b32 s81, s0, 11
	v_add_u32_e32 v42, 64, v2
	v_or_b32_e32 v43, 0x80, v2
	v_add_u32_e32 v44, 0xc0, v2
	v_add_u32_e32 v3, v3, v2
	v_lshl_add_u32 v45, v3, 1, 0
	v_lshrrev_b32_e32 v3, 5, v42
	v_lshrrev_b32_e32 v4, 5, v43
	;; [unrolled: 1-line block ×3, first 2 shown]
	s_bitcmp1_b32 s31, 0
	v_and_b32_e32 v3, 6, v3
	v_and_b32_e32 v4, 6, v4
	;; [unrolled: 1-line block ×3, first 2 shown]
	s_cselect_b64 s[60:61], -1, 0
	s_cmp_gt_i32 s57, 0
	v_add_lshl_u32 v3, v3, v2, 1
	v_add_lshl_u32 v4, v4, v2, 1
	;; [unrolled: 1-line block ×3, first 2 shown]
	s_cselect_b64 s[62:63], -1, 0
	s_add_i32 s0, 0, 0x210
	s_mul_i32 s58, s20, s2
	v_add_u32_e32 v50, s0, v3
	v_add_u32_e32 v51, s0, v4
	;; [unrolled: 1-line block ×3, first 2 shown]
	s_and_b32 s3, s56, 0xff
	s_add_i32 s82, s81, -1
	s_lshl_b64 s[0:1], s[58:59], 1
	s_add_u32 s4, s18, s0
	s_mul_i32 s58, s21, s28
	s_addc_u32 s5, s19, s1
	s_lshl_b64 s[0:1], s[58:59], 1
	s_add_u32 s18, s4, s0
	s_mul_i32 s58, s54, s2
	s_addc_u32 s19, s5, s1
	;; [unrolled: 4-line block ×5, first 2 shown]
	s_lshl_b64 s[0:1], s[58:59], 1
	s_add_u32 s22, s2, s0
	v_add_u32_e32 v46, 0, v3
	s_addc_u32 s23, s4, s1
	v_and_b32_e32 v3, 15, v2
	s_cmp_eq_u32 s3, 0
	v_cmp_eq_u32_e64 s[0:1], 0, v3
	v_cmp_lt_u32_e64 s[2:3], 1, v3
	v_cmp_lt_u32_e64 s[4:5], 3, v3
	;; [unrolled: 1-line block ×3, first 2 shown]
	v_and_b32_e32 v3, 16, v2
	v_add_u32_e32 v47, 0, v4
	v_lshrrev_b32_e32 v6, 3, v2
	v_cmp_ne_u32_e64 s[8:9], 0, v3
	v_add_u32_e32 v3, -1, v2
	v_and_b32_e32 v4, 64, v2
	v_and_b32_e32 v6, 14, v6
	v_cmp_lt_i32_e32 vcc, v3, v4
	v_mov_b32_e32 v1, 0
	v_lshlrev_b32_e32 v11, 2, v0
	v_lshl_add_u32 v6, v2, 2, v6
	v_cmp_eq_u32_e64 s[12:13], 63, v0
	v_cndmask_b32_e32 v3, v3, v2, vcc
	v_cmp_gt_u32_e64 s[14:15], 64, v0
	v_cmp_eq_u32_e64 s[16:17], 0, v0
	v_lshlrev_b32_e32 v0, 1, v2
                                        ; implicit-def: $vgpr12
	v_add_u32_e32 v48, 0, v5
	v_lshl_add_u32 v49, v6, 1, 0
	s_cselect_b64 s[54:55], -1, 0
	v_cmp_lt_u32_e64 s[10:11], 31, v2
	v_lshlrev_b32_e32 v53, 2, v3
	v_lshl_add_u64 v[4:5], s[18:19], 0, v[0:1]
	v_lshl_add_u64 v[6:7], s[20:21], 0, v[0:1]
	;; [unrolled: 1-line block ×3, first 2 shown]
	v_or_b32_e32 v3, 1, v11
	v_or_b32_e32 v10, 2, v11
	;; [unrolled: 1-line block ×3, first 2 shown]
	v_lshlrev_b32_e32 v0, 1, v2
	s_mov_b32 s83, 0x41a00000
	s_mov_b32 s84, 0x3fb8aa3b
	;; [unrolled: 1-line block ×6, first 2 shown]
	v_mov_b32_e32 v55, 0x3ecc95a3
	s_mov_b32 s89, 0x3f317218
	s_mov_b32 s90, 0x33800000
	s_add_i32 s91, 0, 0x428
	s_mov_b32 s92, 0xc2fc0000
	s_movk_i32 s93, 0x7fff
	s_mov_b32 s94, 0x5040100
	s_mov_b32 s95, 0xbfb8aa3b
	;; [unrolled: 1-line block ×4, first 2 shown]
	v_mov_b32_e32 v56, 0x7f800000
	v_mov_b32_e32 v12, 0x3f317218
	;; [unrolled: 1-line block ×5, first 2 shown]
	s_mov_b32 s98, 0
	s_branch .LBB5_12
.LBB5_11:                               ;   in Loop: Header=BB5_12 Depth=1
	s_or_b64 exec, exec, s[18:19]
	s_add_u32 s52, s52, 0x200
	s_addc_u32 s53, s53, 0
	s_add_u32 s50, s50, 0x200
	s_addc_u32 s51, s51, 0
	;; [unrolled: 2-line block ×4, first 2 shown]
	s_add_i32 s98, s98, 1
	s_cmp_lg_u32 s98, s81
	s_cbranch_scc0 .LBB5_102
.LBB5_12:                               ; =>This Loop Header: Depth=1
                                        ;     Child Loop BB5_37 Depth 2
	s_lshl_b32 s64, s98, 8
	s_sub_i32 s34, s56, s64
	v_lshl_add_u64 v[14:15], s[50:51], 0, v[0:1]
	v_cmp_gt_u32_e64 s[18:19], s34, v2
	s_waitcnt lgkmcnt(1)
	v_mov_b32_e32 v16, 0
	s_waitcnt lgkmcnt(0)
	; wave barrier
	s_and_saveexec_b64 s[20:21], s[18:19]
	s_cbranch_execz .LBB5_14
; %bb.13:                               ;   in Loop: Header=BB5_12 Depth=1
	global_load_ushort v16, v[14:15], off
.LBB5_14:                               ;   in Loop: Header=BB5_12 Depth=1
	s_or_b64 exec, exec, s[20:21]
	v_cmp_gt_u32_e64 s[20:21], s34, v42
	v_mov_b32_e32 v17, 0
	v_mov_b32_e32 v18, 0
	s_and_saveexec_b64 s[22:23], s[20:21]
	s_cbranch_execz .LBB5_16
; %bb.15:                               ;   in Loop: Header=BB5_12 Depth=1
	global_load_ushort v18, v[14:15], off offset:128
.LBB5_16:                               ;   in Loop: Header=BB5_12 Depth=1
	s_or_b64 exec, exec, s[22:23]
	v_cmp_gt_u32_e64 s[22:23], s34, v43
	s_and_saveexec_b64 s[24:25], s[22:23]
	s_cbranch_execz .LBB5_18
; %bb.17:                               ;   in Loop: Header=BB5_12 Depth=1
	global_load_ushort v17, v[14:15], off offset:256
.LBB5_18:                               ;   in Loop: Header=BB5_12 Depth=1
	s_or_b64 exec, exec, s[24:25]
	v_cmp_gt_u32_e64 s[24:25], s34, v44
	s_waitcnt lgkmcnt(0)
	v_mov_b32_e32 v13, 0
	v_mov_b32_e32 v19, 0
	s_and_saveexec_b64 s[26:27], s[24:25]
	s_cbranch_execz .LBB5_20
; %bb.19:                               ;   in Loop: Header=BB5_12 Depth=1
	global_load_ushort v19, v[14:15], off offset:384
.LBB5_20:                               ;   in Loop: Header=BB5_12 Depth=1
	s_or_b64 exec, exec, s[26:27]
	s_waitcnt vmcnt(0)
	ds_write_b16 v45, v16
	ds_write_b16 v46, v18 offset:128
	ds_write_b16 v47, v17 offset:256
	;; [unrolled: 1-line block ×3, first 2 shown]
	; wave barrier
	ds_read_b64 v[16:17], v49
	v_lshl_add_u64 v[14:15], s[52:53], 0, v[0:1]
	s_waitcnt lgkmcnt(0)
	; wave barrier
	s_waitcnt lgkmcnt(0)
	s_and_saveexec_b64 s[26:27], s[18:19]
	s_cbranch_execz .LBB5_22
; %bb.21:                               ;   in Loop: Header=BB5_12 Depth=1
	global_load_ushort v13, v[14:15], off
.LBB5_22:                               ;   in Loop: Header=BB5_12 Depth=1
	s_or_b64 exec, exec, s[26:27]
	v_mov_b32_e32 v18, 0
	v_mov_b32_e32 v19, 0
	s_and_saveexec_b64 s[26:27], s[20:21]
	s_cbranch_execnz .LBB5_93
; %bb.23:                               ;   in Loop: Header=BB5_12 Depth=1
	s_or_b64 exec, exec, s[26:27]
	s_and_saveexec_b64 s[26:27], s[22:23]
	s_cbranch_execnz .LBB5_94
.LBB5_24:                               ;   in Loop: Header=BB5_12 Depth=1
	s_or_b64 exec, exec, s[26:27]
	v_mov_b32_e32 v20, 0
	s_and_saveexec_b64 s[26:27], s[24:25]
	s_cbranch_execz .LBB5_26
.LBB5_25:                               ;   in Loop: Header=BB5_12 Depth=1
	global_load_ushort v20, v[14:15], off offset:384
.LBB5_26:                               ;   in Loop: Header=BB5_12 Depth=1
	s_or_b64 exec, exec, s[26:27]
	s_waitcnt vmcnt(0)
	ds_write_b16 v45, v13
	ds_write_b16 v46, v19 offset:128
	ds_write_b16 v47, v18 offset:256
	;; [unrolled: 1-line block ×3, first 2 shown]
	; wave barrier
	ds_read_b64 v[14:15], v49
	s_waitcnt lgkmcnt(0)
	v_lshlrev_b32_e32 v13, 16, v14
	v_add_f32_e32 v60, s33, v13
	v_cmp_ge_f32_e32 vcc, s83, v60
	s_and_b64 s[26:27], s[60:61], vcc
	s_and_saveexec_b64 s[28:29], s[26:27]
	s_cbranch_execz .LBB5_28
; %bb.27:                               ;   in Loop: Header=BB5_12 Depth=1
	v_mul_f32_e32 v13, 0x3fb8aa3b, v60
	v_rndne_f32_e32 v18, v13
	v_sub_f32_e32 v19, v13, v18
	v_fma_f32 v13, v60, s84, -v13
	v_fmac_f32_e32 v13, 0x32a5705f, v60
	v_add_f32_e32 v13, v19, v13
	v_cvt_i32_f32_e32 v18, v18
	v_exp_f32_e32 v13, v13
	v_cmp_ngt_f32_e32 vcc, s85, v60
	v_ldexp_f32 v13, v13, v18
	s_nop 0
	v_cndmask_b32_e32 v13, 0, v13, vcc
	v_cmp_nlt_f32_e32 vcc, s86, v60
	s_nop 1
	v_cndmask_b32_e32 v34, v56, v13, vcc
	v_add_f32_e32 v13, 1.0, v34
	v_add_f32_e32 v18, -1.0, v13
	v_sub_f32_e32 v19, v18, v13
	v_add_f32_e32 v19, 1.0, v19
	v_sub_f32_e32 v18, v34, v18
	v_add_f32_e32 v20, v18, v19
	v_frexp_mant_f32_e32 v21, v13
	v_cvt_f64_f32_e32 v[18:19], v13
	v_frexp_exp_i32_f64_e32 v18, v[18:19]
	v_cmp_gt_f32_e32 vcc, s88, v21
	v_cmp_gt_f32_e64 s[26:27], s90, v34
	s_nop 0
	v_subbrev_co_u32_e32 v26, vcc, 0, v18, vcc
	v_sub_u32_e32 v18, 0, v26
	v_ldexp_f32 v13, v13, v18
	v_ldexp_f32 v18, v20, v18
	v_add_f32_e32 v20, -1.0, v13
	v_add_f32_e32 v19, 1.0, v20
	v_sub_f32_e32 v19, v13, v19
	v_add_f32_e32 v21, v18, v19
	v_add_f32_e32 v19, 1.0, v13
	v_add_f32_e32 v22, -1.0, v19
	v_sub_f32_e32 v13, v13, v22
	v_add_f32_e32 v13, v18, v13
	v_add_f32_e32 v27, v19, v13
	v_rcp_f32_e32 v28, v27
	v_sub_f32_e32 v18, v19, v27
	v_add_f32_e32 v19, v20, v21
	v_add_f32_e32 v13, v13, v18
	v_mul_f32_e32 v30, v19, v28
	v_sub_f32_e32 v18, v20, v19
	v_mul_f32_e32 v20, v27, v30
	v_fma_f32 v22, v30, v27, -v20
	v_fmac_f32_e32 v22, v30, v13
	v_add_f32_e32 v29, v21, v18
	v_add_f32_e32 v18, v20, v22
	v_sub_f32_e32 v21, v19, v18
	v_pk_add_f32 v[24:25], v[18:19], v[20:21] neg_lo:[0,1] neg_hi:[0,1]
	v_mov_b32_e32 v23, v18
	v_pk_add_f32 v[18:19], v[24:25], v[22:23] neg_lo:[0,1] neg_hi:[0,1]
	v_cmp_eq_f32_e32 vcc, s87, v34
	v_add_f32_e32 v19, v29, v19
	v_add_f32_e32 v18, v18, v19
	;; [unrolled: 1-line block ×3, first 2 shown]
	v_mul_f32_e32 v29, v28, v19
	v_mul_f32_e32 v20, v27, v29
	v_fma_f32 v22, v29, v27, -v20
	v_fmac_f32_e32 v22, v29, v13
	v_sub_f32_e32 v13, v21, v19
	v_add_f32_e32 v13, v18, v13
	v_add_f32_e32 v18, v20, v22
	v_sub_f32_e32 v21, v19, v18
	v_pk_add_f32 v[24:25], v[18:19], v[20:21] neg_lo:[0,1] neg_hi:[0,1]
	v_mov_b32_e32 v23, v18
	v_pk_add_f32 v[18:19], v[24:25], v[22:23] neg_lo:[0,1] neg_hi:[0,1]
	s_or_b64 vcc, s[26:27], vcc
	v_add_f32_e32 v13, v13, v19
	v_add_f32_e32 v13, v18, v13
	;; [unrolled: 1-line block ×4, first 2 shown]
	v_sub_f32_e32 v18, v19, v30
	v_mul_f32_e32 v13, v28, v13
	v_sub_f32_e32 v18, v29, v18
	v_add_f32_e32 v20, v18, v13
	v_add_f32_e32 v22, v19, v20
	v_cvt_f32_i32_e32 v18, v26
	v_mul_f32_e32 v23, v22, v22
	v_sub_f32_e32 v19, v22, v19
	v_fmamk_f32 v13, v23, 0x3e9b6dac, v55
	v_sub_f32_e32 v19, v20, v19
	v_fmaak_f32 v13, v23, v13, 0x3f2aaada
	v_ldexp_f32 v24, v19, 1
	v_mul_f32_e32 v19, v22, v23
	v_ldexp_f32 v21, v22, 1
	v_pk_mul_f32 v[22:23], v[18:19], v[12:13]
	s_nop 0
	v_fma_f32 v20, v18, s89, -v22
	v_fmac_f32_e32 v20, 0xb102e308, v18
	v_pk_add_f32 v[18:19], v[22:23], v[20:21]
	s_nop 0
	v_sub_f32_e32 v13, v19, v21
	v_sub_f32_e32 v13, v23, v13
	v_add_f32_e32 v25, v24, v13
	v_mov_b32_e32 v24, v22
	v_pk_add_f32 v[22:23], v[18:19], v[22:23] neg_lo:[0,1] neg_hi:[0,1]
	v_pk_add_f32 v[26:27], v[18:19], v[24:25]
	v_mov_b32_e32 v21, v18
	v_mov_b32_e32 v23, v27
	v_pk_add_f32 v[28:29], v[20:21], v[22:23] neg_lo:[0,1] neg_hi:[0,1]
	v_pk_add_f32 v[20:21], v[20:21], v[22:23]
	v_mov_b32_e32 v24, v25
	v_mov_b32_e32 v22, v21
	v_pk_add_f32 v[30:31], v[22:23], v[18:19] neg_lo:[0,1] neg_hi:[0,1]
	v_mov_b32_e32 v20, v27
	v_mov_b32_e32 v13, v30
	v_pk_add_f32 v[32:33], v[26:27], v[12:13] neg_lo:[0,1] neg_hi:[0,1]
	v_mov_b32_e32 v26, v19
	v_mov_b32_e32 v27, v30
	;; [unrolled: 1-line block ×3, first 2 shown]
	v_pk_add_f32 v[20:21], v[20:21], v[26:27] neg_lo:[0,1] neg_hi:[0,1]
	v_mov_b32_e32 v25, v18
	v_pk_add_f32 v[18:19], v[24:25], v[20:21] neg_lo:[0,1] neg_hi:[0,1]
	v_mov_b32_e32 v32, v28
	v_pk_add_f32 v[20:21], v[32:33], v[18:19]
	s_nop 0
	v_mov_b32_e32 v24, v21
	v_pk_add_f32 v[24:25], v[20:21], v[24:25]
	s_nop 0
	v_pk_add_f32 v[22:23], v[22:23], v[24:25]
	v_mov_b32_e32 v19, v24
	v_mov_b32_e32 v21, v22
	v_pk_add_f32 v[26:27], v[20:21], v[28:29] neg_lo:[0,1] neg_hi:[0,1]
	s_nop 0
	v_sub_f32_e32 v13, v20, v26
	v_pk_add_f32 v[18:19], v[18:19], v[26:27] neg_lo:[0,1] neg_hi:[0,1]
	v_sub_f32_e32 v13, v28, v13
	v_add_f32_e32 v13, v18, v13
	v_add_f32_e32 v13, v13, v19
	v_add_f32_e32 v13, v22, v13
	v_cndmask_b32_e32 v60, v13, v34, vcc
.LBB5_28:                               ;   in Loop: Header=BB5_12 Depth=1
	s_or_b64 exec, exec, s[28:29]
	v_and_b32_e32 v13, 0xffff0000, v14
	v_add_f32_e32 v61, s33, v13
	v_cmp_ge_f32_e32 vcc, s83, v61
	s_and_b64 s[26:27], s[60:61], vcc
	s_and_saveexec_b64 s[28:29], s[26:27]
	s_cbranch_execz .LBB5_30
; %bb.29:                               ;   in Loop: Header=BB5_12 Depth=1
	v_mul_f32_e32 v13, 0x3fb8aa3b, v61
	v_rndne_f32_e32 v14, v13
	v_sub_f32_e32 v18, v13, v14
	v_fma_f32 v13, v61, s84, -v13
	v_fmac_f32_e32 v13, 0x32a5705f, v61
	v_add_f32_e32 v13, v18, v13
	v_cvt_i32_f32_e32 v14, v14
	v_exp_f32_e32 v13, v13
	v_cmp_ngt_f32_e32 vcc, s85, v61
	v_ldexp_f32 v13, v13, v14
	s_nop 0
	v_cndmask_b32_e32 v13, 0, v13, vcc
	v_cmp_nlt_f32_e32 vcc, s86, v61
	s_nop 1
	v_cndmask_b32_e32 v32, v56, v13, vcc
	v_add_f32_e32 v13, 1.0, v32
	v_add_f32_e32 v14, -1.0, v13
	v_sub_f32_e32 v18, v14, v13
	v_add_f32_e32 v18, 1.0, v18
	v_sub_f32_e32 v14, v32, v14
	v_add_f32_e32 v14, v14, v18
	v_frexp_mant_f32_e32 v20, v13
	v_cvt_f64_f32_e32 v[18:19], v13
	v_frexp_exp_i32_f64_e32 v18, v[18:19]
	v_cmp_gt_f32_e32 vcc, s88, v20
	v_cmp_gt_f32_e64 s[26:27], s90, v32
	s_nop 0
	v_subbrev_co_u32_e32 v26, vcc, 0, v18, vcc
	v_sub_u32_e32 v18, 0, v26
	v_ldexp_f32 v13, v13, v18
	v_ldexp_f32 v14, v14, v18
	v_add_f32_e32 v18, -1.0, v13
	v_add_f32_e32 v19, 1.0, v18
	v_sub_f32_e32 v19, v13, v19
	v_add_f32_e32 v20, v14, v19
	v_add_f32_e32 v19, 1.0, v13
	v_add_f32_e32 v21, -1.0, v19
	v_sub_f32_e32 v13, v13, v21
	v_add_f32_e32 v13, v14, v13
	v_add_f32_e32 v14, v19, v13
	v_rcp_f32_e32 v27, v14
	v_sub_f32_e32 v19, v19, v14
	v_add_f32_e32 v13, v13, v19
	v_add_f32_e32 v19, v18, v20
	v_sub_f32_e32 v18, v18, v19
	v_mul_f32_e32 v29, v19, v27
	v_add_f32_e32 v28, v20, v18
	v_mul_f32_e32 v20, v14, v29
	v_fma_f32 v22, v29, v14, -v20
	v_fmac_f32_e32 v22, v29, v13
	v_add_f32_e32 v18, v20, v22
	v_sub_f32_e32 v21, v19, v18
	v_pk_add_f32 v[24:25], v[18:19], v[20:21] neg_lo:[0,1] neg_hi:[0,1]
	v_mov_b32_e32 v23, v18
	v_pk_add_f32 v[18:19], v[24:25], v[22:23] neg_lo:[0,1] neg_hi:[0,1]
	v_cmp_eq_f32_e32 vcc, s87, v32
	v_add_f32_e32 v19, v28, v19
	v_add_f32_e32 v18, v18, v19
	;; [unrolled: 1-line block ×3, first 2 shown]
	v_mul_f32_e32 v28, v27, v19
	v_mul_f32_e32 v20, v14, v28
	v_fma_f32 v22, v28, v14, -v20
	v_fmac_f32_e32 v22, v28, v13
	v_sub_f32_e32 v13, v21, v19
	v_add_f32_e32 v13, v18, v13
	v_add_f32_e32 v18, v20, v22
	v_sub_f32_e32 v21, v19, v18
	v_pk_add_f32 v[24:25], v[18:19], v[20:21] neg_lo:[0,1] neg_hi:[0,1]
	v_mov_b32_e32 v23, v18
	v_pk_add_f32 v[18:19], v[24:25], v[22:23] neg_lo:[0,1] neg_hi:[0,1]
	v_add_f32_e32 v14, v29, v28
	v_add_f32_e32 v13, v13, v19
	;; [unrolled: 1-line block ×4, first 2 shown]
	v_sub_f32_e32 v18, v14, v29
	v_mul_f32_e32 v13, v27, v13
	v_sub_f32_e32 v18, v28, v18
	v_add_f32_e32 v19, v18, v13
	v_add_f32_e32 v20, v14, v19
	v_cvt_f32_i32_e32 v18, v26
	v_mul_f32_e32 v22, v20, v20
	v_fmamk_f32 v13, v22, 0x3e9b6dac, v55
	v_sub_f32_e32 v14, v20, v14
	v_fmaak_f32 v13, v22, v13, 0x3f2aaada
	v_sub_f32_e32 v14, v19, v14
	v_mul_f32_e32 v19, v20, v22
	v_pk_mul_f32 v[22:23], v[18:19], v[12:13]
	v_ldexp_f32 v21, v20, 1
	v_fma_f32 v20, v18, s89, -v22
	v_fmac_f32_e32 v20, 0xb102e308, v18
	v_pk_add_f32 v[18:19], v[22:23], v[20:21]
	v_ldexp_f32 v14, v14, 1
	v_sub_f32_e32 v13, v19, v21
	v_sub_f32_e32 v13, v23, v13
	v_add_f32_e32 v25, v14, v13
	v_mov_b32_e32 v24, v22
	v_pk_add_f32 v[22:23], v[18:19], v[22:23] neg_lo:[0,1] neg_hi:[0,1]
	v_pk_add_f32 v[26:27], v[18:19], v[24:25]
	v_mov_b32_e32 v21, v18
	v_mov_b32_e32 v23, v27
	v_pk_add_f32 v[28:29], v[20:21], v[22:23] neg_lo:[0,1] neg_hi:[0,1]
	v_pk_add_f32 v[20:21], v[20:21], v[22:23]
	s_or_b64 vcc, s[26:27], vcc
	v_mov_b32_e32 v14, v21
	v_pk_add_f32 v[22:23], v[14:15], v[18:19] neg_lo:[0,1] neg_hi:[0,1]
	v_mov_b32_e32 v20, v27
	v_mov_b32_e32 v13, v22
	v_pk_add_f32 v[30:31], v[26:27], v[12:13] neg_lo:[0,1] neg_hi:[0,1]
	v_mov_b32_e32 v26, v19
	v_mov_b32_e32 v27, v22
	;; [unrolled: 1-line block ×3, first 2 shown]
	v_pk_add_f32 v[20:21], v[20:21], v[26:27] neg_lo:[0,1] neg_hi:[0,1]
	v_mov_b32_e32 v22, v25
	v_mov_b32_e32 v23, v18
	v_pk_add_f32 v[18:19], v[22:23], v[20:21] neg_lo:[0,1] neg_hi:[0,1]
	v_mov_b32_e32 v30, v28
	v_pk_add_f32 v[20:21], v[30:31], v[18:19]
	s_nop 0
	v_mov_b32_e32 v22, v21
	v_pk_add_f32 v[22:23], v[20:21], v[22:23]
	s_nop 0
	v_pk_add_f32 v[24:25], v[14:15], v[22:23]
	v_mov_b32_e32 v19, v22
	v_mov_b32_e32 v21, v24
	v_pk_add_f32 v[26:27], v[20:21], v[28:29] neg_lo:[0,1] neg_hi:[0,1]
	s_nop 0
	v_sub_f32_e32 v13, v20, v26
	v_pk_add_f32 v[18:19], v[18:19], v[26:27] neg_lo:[0,1] neg_hi:[0,1]
	v_sub_f32_e32 v13, v28, v13
	v_add_f32_e32 v13, v18, v13
	v_add_f32_e32 v13, v13, v19
	;; [unrolled: 1-line block ×3, first 2 shown]
	v_cndmask_b32_e32 v61, v13, v32, vcc
.LBB5_30:                               ;   in Loop: Header=BB5_12 Depth=1
	s_or_b64 exec, exec, s[28:29]
	v_lshlrev_b32_e32 v13, 16, v15
	v_add_f32_e32 v19, s33, v13
	v_cmp_ge_f32_e32 vcc, s83, v19
	s_and_b64 s[26:27], s[60:61], vcc
	s_and_saveexec_b64 s[28:29], s[26:27]
	s_cbranch_execz .LBB5_32
; %bb.31:                               ;   in Loop: Header=BB5_12 Depth=1
	v_mul_f32_e32 v13, 0x3fb8aa3b, v19
	v_rndne_f32_e32 v14, v13
	v_sub_f32_e32 v18, v13, v14
	v_fma_f32 v13, v19, s84, -v13
	v_fmac_f32_e32 v13, 0x32a5705f, v19
	v_add_f32_e32 v13, v18, v13
	v_cvt_i32_f32_e32 v14, v14
	v_exp_f32_e32 v13, v13
	v_cmp_ngt_f32_e32 vcc, s85, v19
	v_ldexp_f32 v13, v13, v14
	s_nop 0
	v_cndmask_b32_e32 v13, 0, v13, vcc
	v_cmp_nlt_f32_e32 vcc, s86, v19
	s_nop 1
	v_cndmask_b32_e32 v32, v56, v13, vcc
	v_add_f32_e32 v13, 1.0, v32
	v_add_f32_e32 v14, -1.0, v13
	v_sub_f32_e32 v18, v14, v13
	v_add_f32_e32 v18, 1.0, v18
	v_sub_f32_e32 v14, v32, v14
	v_add_f32_e32 v14, v14, v18
	v_frexp_mant_f32_e32 v20, v13
	v_cvt_f64_f32_e32 v[18:19], v13
	v_frexp_exp_i32_f64_e32 v18, v[18:19]
	v_cmp_gt_f32_e32 vcc, s88, v20
	v_cmp_gt_f32_e64 s[26:27], s90, v32
	s_nop 0
	v_subbrev_co_u32_e32 v26, vcc, 0, v18, vcc
	v_sub_u32_e32 v18, 0, v26
	v_ldexp_f32 v13, v13, v18
	v_ldexp_f32 v14, v14, v18
	v_add_f32_e32 v18, -1.0, v13
	v_add_f32_e32 v19, 1.0, v18
	v_sub_f32_e32 v19, v13, v19
	v_add_f32_e32 v20, v14, v19
	v_add_f32_e32 v19, 1.0, v13
	v_add_f32_e32 v21, -1.0, v19
	v_sub_f32_e32 v13, v13, v21
	v_add_f32_e32 v13, v14, v13
	v_add_f32_e32 v14, v19, v13
	v_rcp_f32_e32 v27, v14
	v_sub_f32_e32 v19, v19, v14
	v_add_f32_e32 v13, v13, v19
	v_add_f32_e32 v19, v18, v20
	v_sub_f32_e32 v18, v18, v19
	v_mul_f32_e32 v29, v19, v27
	v_add_f32_e32 v28, v20, v18
	v_mul_f32_e32 v20, v14, v29
	v_fma_f32 v22, v29, v14, -v20
	v_fmac_f32_e32 v22, v29, v13
	v_add_f32_e32 v18, v20, v22
	v_sub_f32_e32 v21, v19, v18
	v_pk_add_f32 v[24:25], v[18:19], v[20:21] neg_lo:[0,1] neg_hi:[0,1]
	v_mov_b32_e32 v23, v18
	v_pk_add_f32 v[18:19], v[24:25], v[22:23] neg_lo:[0,1] neg_hi:[0,1]
	v_cmp_eq_f32_e32 vcc, s87, v32
	v_add_f32_e32 v19, v28, v19
	v_add_f32_e32 v18, v18, v19
	;; [unrolled: 1-line block ×3, first 2 shown]
	v_mul_f32_e32 v28, v27, v19
	v_mul_f32_e32 v20, v14, v28
	v_fma_f32 v22, v28, v14, -v20
	v_fmac_f32_e32 v22, v28, v13
	v_sub_f32_e32 v13, v21, v19
	v_add_f32_e32 v13, v18, v13
	v_add_f32_e32 v18, v20, v22
	v_sub_f32_e32 v21, v19, v18
	v_pk_add_f32 v[24:25], v[18:19], v[20:21] neg_lo:[0,1] neg_hi:[0,1]
	v_mov_b32_e32 v23, v18
	v_pk_add_f32 v[18:19], v[24:25], v[22:23] neg_lo:[0,1] neg_hi:[0,1]
	v_add_f32_e32 v14, v29, v28
	v_add_f32_e32 v13, v13, v19
	;; [unrolled: 1-line block ×4, first 2 shown]
	v_sub_f32_e32 v18, v14, v29
	v_mul_f32_e32 v13, v27, v13
	v_sub_f32_e32 v18, v28, v18
	v_add_f32_e32 v19, v18, v13
	v_add_f32_e32 v20, v14, v19
	v_cvt_f32_i32_e32 v18, v26
	v_mul_f32_e32 v22, v20, v20
	v_fmamk_f32 v13, v22, 0x3e9b6dac, v55
	v_sub_f32_e32 v14, v20, v14
	v_fmaak_f32 v13, v22, v13, 0x3f2aaada
	v_sub_f32_e32 v14, v19, v14
	v_mul_f32_e32 v19, v20, v22
	v_pk_mul_f32 v[22:23], v[18:19], v[12:13]
	v_ldexp_f32 v21, v20, 1
	v_fma_f32 v20, v18, s89, -v22
	v_fmac_f32_e32 v20, 0xb102e308, v18
	v_pk_add_f32 v[18:19], v[22:23], v[20:21]
	v_ldexp_f32 v14, v14, 1
	v_sub_f32_e32 v13, v19, v21
	v_sub_f32_e32 v13, v23, v13
	v_add_f32_e32 v25, v14, v13
	v_mov_b32_e32 v24, v22
	v_pk_add_f32 v[22:23], v[18:19], v[22:23] neg_lo:[0,1] neg_hi:[0,1]
	v_pk_add_f32 v[26:27], v[18:19], v[24:25]
	v_mov_b32_e32 v21, v18
	v_mov_b32_e32 v23, v27
	v_pk_add_f32 v[28:29], v[20:21], v[22:23] neg_lo:[0,1] neg_hi:[0,1]
	v_pk_add_f32 v[20:21], v[20:21], v[22:23]
	s_or_b64 vcc, s[26:27], vcc
	v_mov_b32_e32 v14, v21
	v_pk_add_f32 v[22:23], v[14:15], v[18:19] neg_lo:[0,1] neg_hi:[0,1]
	v_mov_b32_e32 v20, v27
	v_mov_b32_e32 v13, v22
	v_pk_add_f32 v[30:31], v[26:27], v[12:13] neg_lo:[0,1] neg_hi:[0,1]
	v_mov_b32_e32 v26, v19
	v_mov_b32_e32 v27, v22
	;; [unrolled: 1-line block ×3, first 2 shown]
	v_pk_add_f32 v[20:21], v[20:21], v[26:27] neg_lo:[0,1] neg_hi:[0,1]
	v_mov_b32_e32 v22, v25
	v_mov_b32_e32 v23, v18
	v_pk_add_f32 v[18:19], v[22:23], v[20:21] neg_lo:[0,1] neg_hi:[0,1]
	v_mov_b32_e32 v30, v28
	v_pk_add_f32 v[20:21], v[30:31], v[18:19]
	s_nop 0
	v_mov_b32_e32 v22, v21
	v_pk_add_f32 v[22:23], v[20:21], v[22:23]
	s_nop 0
	v_pk_add_f32 v[24:25], v[14:15], v[22:23]
	v_mov_b32_e32 v19, v22
	v_mov_b32_e32 v21, v24
	v_pk_add_f32 v[26:27], v[20:21], v[28:29] neg_lo:[0,1] neg_hi:[0,1]
	s_nop 0
	v_sub_f32_e32 v13, v20, v26
	v_pk_add_f32 v[18:19], v[18:19], v[26:27] neg_lo:[0,1] neg_hi:[0,1]
	v_sub_f32_e32 v13, v28, v13
	v_add_f32_e32 v13, v18, v13
	v_add_f32_e32 v13, v13, v19
	;; [unrolled: 1-line block ×3, first 2 shown]
	v_cndmask_b32_e32 v19, v13, v32, vcc
.LBB5_32:                               ;   in Loop: Header=BB5_12 Depth=1
	s_or_b64 exec, exec, s[28:29]
	v_and_b32_e32 v13, 0xffff0000, v15
	v_add_f32_e32 v18, s33, v13
	v_cmp_ge_f32_e32 vcc, s83, v18
	s_and_b64 s[26:27], s[60:61], vcc
	s_and_saveexec_b64 s[28:29], s[26:27]
	s_cbranch_execz .LBB5_34
; %bb.33:                               ;   in Loop: Header=BB5_12 Depth=1
	v_mul_f32_e32 v13, 0x3fb8aa3b, v18
	v_rndne_f32_e32 v14, v13
	v_sub_f32_e32 v15, v13, v14
	v_fma_f32 v13, v18, s84, -v13
	v_fmac_f32_e32 v13, 0x32a5705f, v18
	v_add_f32_e32 v13, v15, v13
	v_cvt_i32_f32_e32 v14, v14
	v_exp_f32_e32 v13, v13
	v_cmp_ngt_f32_e32 vcc, s85, v18
	v_ldexp_f32 v13, v13, v14
	s_nop 0
	v_cndmask_b32_e32 v13, 0, v13, vcc
	v_cmp_nlt_f32_e32 vcc, s86, v18
	s_nop 1
	v_cndmask_b32_e32 v32, v56, v13, vcc
	v_add_f32_e32 v13, 1.0, v32
	v_add_f32_e32 v14, -1.0, v13
	v_sub_f32_e32 v15, v14, v13
	v_add_f32_e32 v15, 1.0, v15
	v_sub_f32_e32 v14, v32, v14
	v_add_f32_e32 v18, v14, v15
	v_frexp_mant_f32_e32 v20, v13
	v_cvt_f64_f32_e32 v[14:15], v13
	v_frexp_exp_i32_f64_e32 v14, v[14:15]
	v_cmp_gt_f32_e32 vcc, s88, v20
	v_cmp_gt_f32_e64 s[26:27], s90, v32
	s_nop 0
	v_subbrev_co_u32_e32 v26, vcc, 0, v14, vcc
	v_sub_u32_e32 v14, 0, v26
	v_ldexp_f32 v13, v13, v14
	v_ldexp_f32 v14, v18, v14
	v_add_f32_e32 v18, -1.0, v13
	v_add_f32_e32 v15, 1.0, v18
	v_sub_f32_e32 v15, v13, v15
	v_add_f32_e32 v20, v14, v15
	v_add_f32_e32 v15, 1.0, v13
	v_add_f32_e32 v21, -1.0, v15
	v_sub_f32_e32 v13, v13, v21
	v_add_f32_e32 v13, v14, v13
	v_add_f32_e32 v27, v15, v13
	v_rcp_f32_e32 v28, v27
	v_sub_f32_e32 v14, v15, v27
	v_add_f32_e32 v15, v18, v20
	v_add_f32_e32 v13, v13, v14
	v_sub_f32_e32 v14, v18, v15
	v_mul_f32_e32 v29, v15, v28
	v_add_f32_e32 v18, v20, v14
	v_mul_f32_e32 v20, v27, v29
	v_fma_f32 v22, v29, v27, -v20
	v_fmac_f32_e32 v22, v29, v13
	v_add_f32_e32 v14, v20, v22
	v_sub_f32_e32 v21, v15, v14
	v_pk_add_f32 v[24:25], v[14:15], v[20:21] neg_lo:[0,1] neg_hi:[0,1]
	v_mov_b32_e32 v23, v14
	v_pk_add_f32 v[14:15], v[24:25], v[22:23] neg_lo:[0,1] neg_hi:[0,1]
	v_cmp_eq_f32_e32 vcc, s87, v32
	v_add_f32_e32 v15, v18, v15
	v_add_f32_e32 v14, v14, v15
	;; [unrolled: 1-line block ×3, first 2 shown]
	v_mul_f32_e32 v18, v28, v15
	v_mul_f32_e32 v20, v27, v18
	v_fma_f32 v22, v18, v27, -v20
	v_fmac_f32_e32 v22, v18, v13
	v_sub_f32_e32 v13, v21, v15
	v_add_f32_e32 v13, v14, v13
	v_add_f32_e32 v14, v20, v22
	v_sub_f32_e32 v21, v15, v14
	v_pk_add_f32 v[24:25], v[14:15], v[20:21] neg_lo:[0,1] neg_hi:[0,1]
	v_mov_b32_e32 v23, v14
	v_pk_add_f32 v[14:15], v[24:25], v[22:23] neg_lo:[0,1] neg_hi:[0,1]
	s_or_b64 vcc, s[26:27], vcc
	v_add_f32_e32 v13, v13, v15
	v_add_f32_e32 v13, v14, v13
	;; [unrolled: 1-line block ×4, first 2 shown]
	v_sub_f32_e32 v14, v15, v29
	v_mul_f32_e32 v13, v28, v13
	v_sub_f32_e32 v14, v18, v14
	v_add_f32_e32 v18, v14, v13
	v_add_f32_e32 v20, v15, v18
	v_cvt_f32_i32_e32 v14, v26
	v_mul_f32_e32 v22, v20, v20
	v_sub_f32_e32 v15, v20, v15
	v_fmamk_f32 v13, v22, 0x3e9b6dac, v55
	v_sub_f32_e32 v15, v18, v15
	v_fmaak_f32 v13, v22, v13, 0x3f2aaada
	v_ldexp_f32 v18, v15, 1
	v_mul_f32_e32 v15, v20, v22
	v_pk_mul_f32 v[22:23], v[14:15], v[12:13]
	v_ldexp_f32 v21, v20, 1
	v_fma_f32 v20, v14, s89, -v22
	v_fmac_f32_e32 v20, 0xb102e308, v14
	v_pk_add_f32 v[14:15], v[22:23], v[20:21]
	v_mov_b32_e32 v24, v22
	v_sub_f32_e32 v13, v15, v21
	v_sub_f32_e32 v13, v23, v13
	v_add_f32_e32 v25, v18, v13
	v_pk_add_f32 v[22:23], v[14:15], v[22:23] neg_lo:[0,1] neg_hi:[0,1]
	v_pk_add_f32 v[26:27], v[14:15], v[24:25]
	v_mov_b32_e32 v21, v14
	v_mov_b32_e32 v23, v27
	v_pk_add_f32 v[28:29], v[20:21], v[22:23] neg_lo:[0,1] neg_hi:[0,1]
	v_pk_add_f32 v[20:21], v[20:21], v[22:23]
	s_nop 0
	v_mov_b32_e32 v18, v21
	v_pk_add_f32 v[22:23], v[18:19], v[14:15] neg_lo:[0,1] neg_hi:[0,1]
	v_mov_b32_e32 v20, v27
	v_mov_b32_e32 v13, v22
	v_pk_add_f32 v[30:31], v[26:27], v[12:13] neg_lo:[0,1] neg_hi:[0,1]
	v_mov_b32_e32 v26, v15
	v_mov_b32_e32 v27, v22
	;; [unrolled: 1-line block ×3, first 2 shown]
	v_pk_add_f32 v[20:21], v[20:21], v[26:27] neg_lo:[0,1] neg_hi:[0,1]
	v_mov_b32_e32 v22, v25
	v_mov_b32_e32 v23, v14
	v_pk_add_f32 v[14:15], v[22:23], v[20:21] neg_lo:[0,1] neg_hi:[0,1]
	v_mov_b32_e32 v30, v28
	v_pk_add_f32 v[20:21], v[30:31], v[14:15]
	s_nop 0
	v_mov_b32_e32 v22, v21
	v_pk_add_f32 v[22:23], v[20:21], v[22:23]
	s_nop 0
	v_pk_add_f32 v[24:25], v[18:19], v[22:23]
	v_mov_b32_e32 v15, v22
	v_mov_b32_e32 v21, v24
	v_pk_add_f32 v[26:27], v[20:21], v[28:29] neg_lo:[0,1] neg_hi:[0,1]
	s_nop 0
	v_sub_f32_e32 v13, v20, v26
	v_pk_add_f32 v[14:15], v[14:15], v[26:27] neg_lo:[0,1] neg_hi:[0,1]
	v_sub_f32_e32 v13, v28, v13
	v_add_f32_e32 v13, v14, v13
	v_add_f32_e32 v13, v13, v15
	;; [unrolled: 1-line block ×3, first 2 shown]
	v_cndmask_b32_e32 v18, v13, v32, vcc
.LBB5_34:                               ;   in Loop: Header=BB5_12 Depth=1
	s_or_b64 exec, exec, s[28:29]
	v_lshlrev_b32_e32 v24, 16, v17
	v_and_b32_e32 v13, 0xffff0000, v17
	v_and_b32_e32 v25, 0xffff0000, v16
	v_lshlrev_b32_e32 v26, 16, v16
	v_mul_f32_e32 v14, s78, v24
	v_mul_f32_e32 v17, s78, v25
	;; [unrolled: 1-line block ×4, first 2 shown]
	s_and_b64 vcc, exec, s[62:63]
	s_waitcnt lgkmcnt(0)
	; wave barrier
	s_cbranch_vccz .LBB5_76
; %bb.35:                               ;   in Loop: Header=BB5_12 Depth=1
	s_cmp_lg_u32 s98, 0
	s_cselect_b64 s[66:67], -1, 0
	s_cmp_eq_u32 s98, s82
	v_cmp_gt_u32_e32 vcc, s34, v11
	s_cselect_b64 s[68:69], -1, 0
	s_or_b64 s[26:27], s[54:55], vcc
	v_cmp_gt_u32_e32 vcc, s34, v10
	s_mov_b32 s58, 0
	v_cmp_gt_u32_e64 s[28:29], s34, v3
	s_or_b64 s[30:31], s[54:55], vcc
	v_cmp_gt_u32_e32 vcc, s34, v54
	v_mul_f32_e32 v13, v18, v13
	v_lshl_add_u64 v[20:21], s[42:43], 0, v[0:1]
	v_lshl_add_u64 v[22:23], s[46:47], 0, v[0:1]
	v_mul_f32_e32 v62, v19, v24
	v_mul_f32_e32 v63, v61, v25
	;; [unrolled: 1-line block ×3, first 2 shown]
	s_or_b64 s[28:29], s[54:55], s[28:29]
	s_or_b64 s[34:35], s[54:55], vcc
	s_mov_b32 s70, s58
	s_mov_b32 s72, s58
	;; [unrolled: 1-line block ×5, first 2 shown]
	s_branch .LBB5_37
.LBB5_36:                               ;   in Loop: Header=BB5_37 Depth=2
	s_or_b64 exec, exec, s[36:37]
	v_mul_f32_e32 v27, v35, v34
	v_fma_f32 v30, v35, v37, v28
	v_cndmask_b32_e64 v28, v30, v28, s[16:17]
	v_cndmask_b32_e64 v27, v27, v35, s[16:17]
	s_waitcnt lgkmcnt(0)
	v_fmac_f32_e32 v28, v26, v27
	v_fmac_f32_e32 v29, v28, v33
	;; [unrolled: 1-line block ×4, first 2 shown]
	v_and_b32_e32 v27, 0xffff0000, v24
	v_and_b32_e32 v31, 0xffff0000, v25
	v_lshlrev_b32_e32 v26, 16, v24
	v_lshlrev_b32_e32 v30, 16, v25
	v_mov_b32_e32 v33, v36
	s_add_i32 s99, s99, 8
	s_add_i32 s65, s65, -1
	s_add_i32 s74, s74, s79
	s_add_i32 s72, s72, s48
	;; [unrolled: 1-line block ×4, first 2 shown]
	v_pk_fma_f32 v[14:15], v[32:33], v[30:31], v[14:15]
	s_cmp_eq_u32 s65, 0
	v_pk_fma_f32 v[16:17], v[28:29], v[26:27], v[16:17]
	s_cbranch_scc1 .LBB5_76
.LBB5_37:                               ;   Parent Loop BB5_12 Depth=1
                                        ; =>  This Inner Loop Header: Depth=2
	s_lshl_b64 s[36:37], s[58:59], 2
	s_add_u32 s36, s40, s36
	s_addc_u32 s37, s80, s37
	global_load_dword v26, v1, s[36:37]
	s_mov_b32 s71, s59
	v_lshl_add_u64 v[24:25], s[70:71], 1, v[20:21]
	v_mov_b32_e32 v27, 0
	v_mov_b32_e32 v28, 0
	s_and_saveexec_b64 s[36:37], s[18:19]
	s_cbranch_execz .LBB5_39
; %bb.38:                               ;   in Loop: Header=BB5_37 Depth=2
	global_load_ushort v28, v[24:25], off
.LBB5_39:                               ;   in Loop: Header=BB5_37 Depth=2
	s_or_b64 exec, exec, s[36:37]
	s_and_saveexec_b64 s[36:37], s[20:21]
	s_cbranch_execz .LBB5_41
; %bb.40:                               ;   in Loop: Header=BB5_37 Depth=2
	global_load_ushort v27, v[24:25], off offset:128
.LBB5_41:                               ;   in Loop: Header=BB5_37 Depth=2
	s_or_b64 exec, exec, s[36:37]
	v_mov_b32_e32 v29, 0
	v_mov_b32_e32 v30, 0
	s_and_saveexec_b64 s[36:37], s[22:23]
	s_cbranch_execz .LBB5_43
; %bb.42:                               ;   in Loop: Header=BB5_37 Depth=2
	global_load_ushort v30, v[24:25], off offset:256
.LBB5_43:                               ;   in Loop: Header=BB5_37 Depth=2
	s_or_b64 exec, exec, s[36:37]
	s_and_saveexec_b64 s[36:37], s[24:25]
	s_cbranch_execz .LBB5_45
; %bb.44:                               ;   in Loop: Header=BB5_37 Depth=2
	global_load_ushort v29, v[24:25], off offset:384
.LBB5_45:                               ;   in Loop: Header=BB5_37 Depth=2
	s_or_b64 exec, exec, s[36:37]
	s_waitcnt vmcnt(0)
	ds_write_b16 v45, v28
	ds_write_b16 v46, v27 offset:128
	ds_write_b16 v47, v30 offset:256
	;; [unrolled: 1-line block ×3, first 2 shown]
	; wave barrier
	ds_read_b64 v[28:29], v49
	s_mov_b32 s73, s59
	v_lshl_add_u64 v[24:25], s[72:73], 1, v[22:23]
	v_mov_b32_e32 v27, 0
	v_mov_b32_e32 v30, 0
	s_and_saveexec_b64 s[36:37], s[18:19]
	s_cbranch_execz .LBB5_47
; %bb.46:                               ;   in Loop: Header=BB5_37 Depth=2
	global_load_ushort v30, v[24:25], off
.LBB5_47:                               ;   in Loop: Header=BB5_37 Depth=2
	s_or_b64 exec, exec, s[36:37]
	s_and_saveexec_b64 s[36:37], s[20:21]
	s_cbranch_execz .LBB5_49
; %bb.48:                               ;   in Loop: Header=BB5_37 Depth=2
	global_load_ushort v27, v[24:25], off offset:128
.LBB5_49:                               ;   in Loop: Header=BB5_37 Depth=2
	s_or_b64 exec, exec, s[36:37]
	v_mov_b32_e32 v31, 0
	v_mov_b32_e32 v32, 0
	s_and_saveexec_b64 s[36:37], s[22:23]
	s_cbranch_execz .LBB5_51
; %bb.50:                               ;   in Loop: Header=BB5_37 Depth=2
	global_load_ushort v32, v[24:25], off offset:256
.LBB5_51:                               ;   in Loop: Header=BB5_37 Depth=2
	s_or_b64 exec, exec, s[36:37]
	s_and_saveexec_b64 s[36:37], s[24:25]
	s_cbranch_execz .LBB5_53
; %bb.52:                               ;   in Loop: Header=BB5_37 Depth=2
	global_load_ushort v31, v[24:25], off offset:384
.LBB5_53:                               ;   in Loop: Header=BB5_37 Depth=2
	s_or_b64 exec, exec, s[36:37]
	s_waitcnt vmcnt(0)
	ds_write_b16 v45, v30 offset:528
	ds_write_b16 v50, v27 offset:128
	;; [unrolled: 1-line block ×4, first 2 shown]
	; wave barrier
	ds_read_b64 v[24:25], v49 offset:528
	s_andn2_b64 vcc, exec, s[66:67]
	s_cbranch_vccnz .LBB5_55
; %bb.54:                               ;   in Loop: Header=BB5_37 Depth=2
	v_mov_b32_e32 v27, s99
	ds_read_b64 v[30:31], v27
	s_waitcnt lgkmcnt(0)
	v_mov_b32_e32 v27, v31
	s_cbranch_execz .LBB5_56
	s_branch .LBB5_59
.LBB5_55:                               ;   in Loop: Header=BB5_37 Depth=2
                                        ; implicit-def: $vgpr30
                                        ; implicit-def: $vgpr27
.LBB5_56:                               ;   in Loop: Header=BB5_37 Depth=2
	s_andn2_b64 vcc, exec, s[38:39]
	v_mov_b32_e32 v27, 0
	s_cbranch_vccnz .LBB5_58
; %bb.57:                               ;   in Loop: Header=BB5_37 Depth=2
	s_mov_b32 s75, s59
	s_lshl_b64 s[36:37], s[74:75], 1
	s_add_u32 s36, s45, s36
	s_addc_u32 s37, s49, s37
	global_load_ushort v27, v1, s[36:37]
	s_waitcnt vmcnt(0)
	v_lshlrev_b32_e32 v27, 16, v27
.LBB5_58:                               ;   in Loop: Header=BB5_37 Depth=2
	v_mov_b32_e32 v30, 1.0
.LBB5_59:                               ;   in Loop: Header=BB5_37 Depth=2
	v_mul_f32_e32 v26, 0x3fb8aa3b, v26
	s_waitcnt lgkmcnt(5)
	v_lshlrev_b32_e32 v31, 16, v28
	v_and_b32_e32 v32, 0xffff0000, v28
	v_mul_f32_e32 v28, v26, v60
	v_cmp_gt_f32_e32 vcc, s92, v28
	v_lshlrev_b32_e32 v33, 16, v29
	v_and_b32_e32 v34, 0xffff0000, v29
	v_cndmask_b32_e32 v28, 0, v57, vcc
	v_fmac_f32_e32 v28, v26, v60
	v_exp_f32_e32 v28, v28
	v_cndmask_b32_e32 v29, 1.0, v58, vcc
	v_pk_mul_f32 v[36:37], v[26:27], v[18:19] op_sel_hi:[0,1]
	v_cmp_gt_f32_e64 s[36:37], s92, v37
	v_mul_f32_e32 v29, v28, v29
	v_mul_f32_e32 v28, v64, v31
	;; [unrolled: 1-line block ×3, first 2 shown]
	v_cmp_gt_f32_e32 vcc, s92, v31
	v_cndmask_b32_e64 v35, 1.0, v29, s[26:27]
	v_cndmask_b32_e64 v28, 0, v28, s[26:27]
	v_cndmask_b32_e32 v31, 0, v57, vcc
	v_fmac_f32_e32 v31, v26, v61
	v_exp_f32_e32 v31, v31
	v_cndmask_b32_e32 v29, 1.0, v58, vcc
	v_mul_f32_e32 v26, v62, v33
	v_cmp_gt_f32_e32 vcc, s92, v36
	v_mul_f32_e32 v31, v31, v29
	v_mul_f32_e32 v29, v63, v32
	v_cndmask_b32_e64 v32, 0, v26, s[30:31]
	v_cndmask_b32_e32 v26, 0, v57, vcc
	v_cndmask_b32_e64 v33, 1.0, v31, s[28:29]
	v_add_f32_e32 v26, v36, v26
	v_cndmask_b32_e64 v31, 0, v57, s[36:37]
	v_exp_f32_e32 v26, v26
	v_add_f32_e32 v31, v37, v31
	v_exp_f32_e32 v31, v31
	v_cndmask_b32_e32 v36, 1.0, v58, vcc
	v_mul_f32_e32 v26, v26, v36
	v_cndmask_b32_e64 v36, 1.0, v58, s[36:37]
	v_cndmask_b32_e64 v29, 0, v29, s[28:29]
	v_mul_f32_e32 v31, v31, v36
	v_mul_f32_e32 v34, v13, v34
	v_cndmask_b32_e64 v39, 1.0, v31, s[30:31]
	v_cndmask_b32_e64 v38, 1.0, v26, s[34:35]
	v_fma_f32 v26, v33, v28, v29
	v_cndmask_b32_e64 v36, 0, v34, s[34:35]
	v_mul_f32_e32 v34, v26, v39
	v_pk_add_f32 v[40:41], v[34:35], v[32:33]
	v_pk_mul_f32 v[66:67], v[34:35], v[32:33]
	v_mov_b32_e32 v37, v38
	v_mov_b32_e32 v41, v67
	v_pk_mul_f32 v[66:67], v[40:41], v[38:39]
	v_pk_fma_f32 v[40:41], v[40:41], v[38:39], v[36:37]
	v_pk_mul_f32 v[66:67], v[66:67], v[36:37]
	s_nop 0
	v_mov_b32_dpp v31, v40 row_shr:1 row_mask:0xf bank_mask:0xf
	v_mov_b32_dpp v26, v67 row_shr:1 row_mask:0xf bank_mask:0xf
	v_mul_f32_e32 v41, v67, v26
	v_fma_f32 v26, v67, v31, v40
	v_cndmask_b32_e64 v37, v26, v40, s[0:1]
	v_cndmask_b32_e64 v26, v26, v40, s[0:1]
	;; [unrolled: 1-line block ×4, first 2 shown]
	v_mov_b32_dpp v41, v26 row_shr:2 row_mask:0xf bank_mask:0xf
	v_mov_b32_dpp v40, v31 row_shr:2 row_mask:0xf bank_mask:0xf
	s_and_saveexec_b64 s[36:37], s[2:3]
; %bb.60:                               ;   in Loop: Header=BB5_37 Depth=2
	v_fmac_f32_e32 v26, v31, v41
	v_mul_f32_e32 v31, v31, v40
	v_mov_b32_e32 v34, v31
	v_mov_b32_e32 v37, v26
; %bb.61:                               ;   in Loop: Header=BB5_37 Depth=2
	s_or_b64 exec, exec, s[36:37]
	v_mov_b32_dpp v40, v31 row_shr:4 row_mask:0xf bank_mask:0xf
	v_mov_b32_dpp v41, v26 row_shr:4 row_mask:0xf bank_mask:0xf
	s_and_saveexec_b64 s[36:37], s[4:5]
; %bb.62:                               ;   in Loop: Header=BB5_37 Depth=2
	v_fmac_f32_e32 v26, v31, v41
	v_mul_f32_e32 v31, v31, v40
	v_mov_b32_e32 v34, v31
	v_mov_b32_e32 v37, v26
; %bb.63:                               ;   in Loop: Header=BB5_37 Depth=2
	s_or_b64 exec, exec, s[36:37]
	;; [unrolled: 10-line block ×3, first 2 shown]
	v_mov_b32_dpp v40, v31 row_bcast:15 row_mask:0xf bank_mask:0xf
	v_mov_b32_dpp v41, v26 row_bcast:15 row_mask:0xf bank_mask:0xf
	s_and_saveexec_b64 s[36:37], s[8:9]
; %bb.66:                               ;   in Loop: Header=BB5_37 Depth=2
	v_fmac_f32_e32 v26, v31, v41
	v_mul_f32_e32 v31, v31, v40
	v_mov_b32_e32 v34, v31
	v_mov_b32_e32 v37, v26
; %bb.67:                               ;   in Loop: Header=BB5_37 Depth=2
	s_or_b64 exec, exec, s[36:37]
	v_mov_b32_dpp v40, v31 row_bcast:31 row_mask:0xf bank_mask:0xf
	v_mov_b32_dpp v41, v26 row_bcast:31 row_mask:0xf bank_mask:0xf
	v_mul_f32_e32 v40, v31, v40
	v_fmac_f32_e32 v26, v31, v41
	v_cndmask_b32_e64 v40, v34, v40, s[10:11]
	v_cndmask_b32_e64 v41, v37, v26, s[10:11]
	s_and_saveexec_b64 s[36:37], s[12:13]
	s_cbranch_execz .LBB5_69
; %bb.68:                               ;   in Loop: Header=BB5_37 Depth=2
	ds_write_b64 v1, v[40:41] offset:1056
.LBB5_69:                               ;   in Loop: Header=BB5_37 Depth=2
	s_or_b64 exec, exec, s[36:37]
	ds_bpermute_b32 v34, v53, v40
	ds_bpermute_b32 v37, v53, v41
	s_waitcnt lgkmcnt(0)
	; wave barrier
	s_waitcnt lgkmcnt(0)
	s_and_saveexec_b64 s[36:37], s[14:15]
	s_cbranch_execz .LBB5_73
; %bb.70:                               ;   in Loop: Header=BB5_37 Depth=2
	ds_read_b64 v[40:41], v1 offset:1056
	s_and_saveexec_b64 s[76:77], s[16:17]
	s_cbranch_execz .LBB5_72
; %bb.71:                               ;   in Loop: Header=BB5_37 Depth=2
	v_mov_b32_e32 v31, v27
	ds_write_b64 v1, v[30:31] offset:1056
.LBB5_72:                               ;   in Loop: Header=BB5_37 Depth=2
	s_or_b64 exec, exec, s[76:77]
	s_waitcnt lgkmcnt(0)
	v_mul_f32_e32 v31, v40, v27
	v_pk_add_f32 v[26:27], v[30:31], v[40:41]
	v_mul_f32_e32 v30, v30, v40
.LBB5_73:                               ;   in Loop: Header=BB5_37 Depth=2
	s_or_b64 exec, exec, s[36:37]
	s_waitcnt lgkmcnt(0)
	; wave barrier
	ds_read_b32 v26, v1 offset:1060
	s_and_saveexec_b64 s[36:37], s[16:17]
	s_cbranch_execz .LBB5_36
; %bb.74:                               ;   in Loop: Header=BB5_37 Depth=2
	v_mov_b32_e32 v31, v27
	v_mov_b32_e32 v40, s99
	s_andn2_b64 vcc, exec, s[68:69]
	ds_write_b64 v40, v[30:31]
	s_cbranch_vccnz .LBB5_36
; %bb.75:                               ;   in Loop: Header=BB5_37 Depth=2
	v_bfe_u32 v30, v27, 16, 1
	s_mov_b32 s75, s59
	v_add3_u32 v30, v27, v30, s93
	s_lshl_b64 s[76:77], s[74:75], 1
	v_lshrrev_b32_e32 v30, 16, v30
	v_cmp_o_f32_e32 vcc, v27, v27
	s_add_u32 s76, s45, s76
	s_addc_u32 s77, s49, s77
	v_cndmask_b32_e32 v27, v59, v30, vcc
	global_store_short v1, v27, s[76:77]
	s_branch .LBB5_36
.LBB5_76:                               ;   in Loop: Header=BB5_12 Depth=1
	v_bfe_u32 v13, v14, 16, 1
	v_bfe_u32 v18, v15, 16, 1
	v_add3_u32 v13, v14, v13, s93
	v_bfe_u32 v19, v16, 16, 1
	v_add3_u32 v18, v15, v18, s93
	v_lshrrev_b32_e32 v13, 16, v13
	v_cmp_o_f32_e32 vcc, v14, v14
	v_bfe_u32 v20, v17, 16, 1
	v_add3_u32 v19, v16, v19, s93
	v_lshrrev_b32_e32 v18, 16, v18
	v_cndmask_b32_e32 v13, v59, v13, vcc
	v_cmp_o_f32_e32 vcc, v15, v15
	v_add3_u32 v20, v17, v20, s93
	v_lshrrev_b32_e32 v21, 16, v19
	v_cndmask_b32_e32 v18, v59, v18, vcc
	v_cmp_o_f32_e32 vcc, v16, v16
	v_lshrrev_b32_e32 v20, 16, v20
	v_perm_b32 v19, v18, v13, s94
	v_cndmask_b32_e32 v13, v59, v21, vcc
	v_cmp_o_f32_e32 vcc, v17, v17
	s_waitcnt lgkmcnt(0)
	; wave barrier
	s_nop 0
	v_cndmask_b32_e32 v18, v59, v20, vcc
	v_perm_b32 v18, v18, v13, s94
	ds_write_b64 v49, v[18:19]
	; wave barrier
	ds_read_u16 v21, v46 offset:128
	ds_read_u16 v20, v47 offset:256
	ds_read_u16 v13, v48 offset:384
	s_mov_b32 s65, s59
	v_lshl_add_u64 v[18:19], s[64:65], 1, v[4:5]
	s_and_saveexec_b64 s[26:27], s[18:19]
	s_cbranch_execnz .LBB5_95
; %bb.77:                               ;   in Loop: Header=BB5_12 Depth=1
	s_or_b64 exec, exec, s[26:27]
	s_and_saveexec_b64 s[26:27], s[20:21]
	s_cbranch_execnz .LBB5_96
.LBB5_78:                               ;   in Loop: Header=BB5_12 Depth=1
	s_or_b64 exec, exec, s[26:27]
	s_and_saveexec_b64 s[26:27], s[22:23]
	s_cbranch_execnz .LBB5_97
.LBB5_79:                               ;   in Loop: Header=BB5_12 Depth=1
	s_or_b64 exec, exec, s[26:27]
	s_and_saveexec_b64 s[26:27], s[24:25]
	s_cbranch_execz .LBB5_81
.LBB5_80:                               ;   in Loop: Header=BB5_12 Depth=1
	s_waitcnt lgkmcnt(0)
	global_store_short v[18:19], v13, off offset:384
.LBB5_81:                               ;   in Loop: Header=BB5_12 Depth=1
	s_or_b64 exec, exec, s[26:27]
	v_lshl_add_u64 v[18:19], s[64:65], 1, v[6:7]
	s_waitcnt lgkmcnt(0)
	v_mov_b32_e32 v13, 0
	v_mov_b32_e32 v20, 0
	s_waitcnt lgkmcnt(0)
	; wave barrier
	s_and_saveexec_b64 s[26:27], s[18:19]
	s_cbranch_execz .LBB5_83
; %bb.82:                               ;   in Loop: Header=BB5_12 Depth=1
	global_load_ushort v20, v[18:19], off
.LBB5_83:                               ;   in Loop: Header=BB5_12 Depth=1
	s_or_b64 exec, exec, s[26:27]
	s_and_saveexec_b64 s[26:27], s[20:21]
	s_cbranch_execz .LBB5_85
; %bb.84:                               ;   in Loop: Header=BB5_12 Depth=1
	global_load_ushort v13, v[18:19], off offset:128
.LBB5_85:                               ;   in Loop: Header=BB5_12 Depth=1
	s_or_b64 exec, exec, s[26:27]
	v_mov_b32_e32 v21, 0
	v_mov_b32_e32 v22, 0
	s_and_saveexec_b64 s[26:27], s[22:23]
	s_cbranch_execz .LBB5_87
; %bb.86:                               ;   in Loop: Header=BB5_12 Depth=1
	global_load_ushort v22, v[18:19], off offset:256
.LBB5_87:                               ;   in Loop: Header=BB5_12 Depth=1
	s_or_b64 exec, exec, s[26:27]
	s_and_saveexec_b64 s[26:27], s[24:25]
	s_cbranch_execz .LBB5_89
; %bb.88:                               ;   in Loop: Header=BB5_12 Depth=1
	global_load_ushort v21, v[18:19], off offset:384
.LBB5_89:                               ;   in Loop: Header=BB5_12 Depth=1
	s_or_b64 exec, exec, s[26:27]
	s_waitcnt vmcnt(0)
	ds_write_b16 v45, v20
	ds_write_b16 v46, v13 offset:128
	ds_write_b16 v47, v22 offset:256
	;; [unrolled: 1-line block ×3, first 2 shown]
	; wave barrier
	ds_read_b64 v[18:19], v49
	s_waitcnt lgkmcnt(0)
	; wave barrier
	s_waitcnt lgkmcnt(0)
	v_and_b32_e32 v13, 0xffff0000, v19
	v_mul_f32_e32 v20, 0xbfb8aa3b, v13
	v_fma_f32 v21, v13, s95, -v20
	v_rndne_f32_e32 v22, v20
	v_fmac_f32_e32 v21, 0xb2a5705f, v13
	v_sub_f32_e32 v20, v20, v22
	v_add_f32_e32 v20, v20, v21
	v_exp_f32_e32 v20, v20
	v_cvt_i32_f32_e32 v21, v22
	v_and_b32_e32 v22, 0xffff0000, v18
	v_lshlrev_b32_e32 v24, 16, v19
	v_mul_f32_e32 v19, 0xbfb8aa3b, v22
	v_lshlrev_b32_e32 v23, 16, v18
	v_ldexp_f32 v18, v20, v21
	v_fma_f32 v20, v22, s95, -v19
	v_rndne_f32_e32 v21, v19
	v_fmac_f32_e32 v20, 0xb2a5705f, v22
	v_sub_f32_e32 v19, v19, v21
	v_add_f32_e32 v19, v19, v20
	v_exp_f32_e32 v20, v19
	v_cvt_i32_f32_e32 v21, v21
	v_cmp_nlt_f32_e32 vcc, s96, v13
	s_nop 1
	v_cndmask_b32_e32 v18, 0, v18, vcc
	v_cmp_ngt_f32_e32 vcc, s97, v13
	s_nop 1
	v_cndmask_b32_e32 v19, v56, v18, vcc
	v_ldexp_f32 v18, v20, v21
	v_mul_f32_e32 v20, 0xbfb8aa3b, v24
	v_rndne_f32_e32 v21, v20
	v_sub_f32_e32 v25, v20, v21
	v_fma_f32 v20, v24, s95, -v20
	v_fmac_f32_e32 v20, 0xb2a5705f, v24
	v_add_f32_e32 v20, v25, v20
	v_exp_f32_e32 v20, v20
	v_cvt_i32_f32_e32 v25, v21
	v_cmp_nlt_f32_e32 vcc, s96, v22
	s_nop 1
	v_cndmask_b32_e32 v18, 0, v18, vcc
	v_cmp_ngt_f32_e32 vcc, s97, v22
	s_nop 1
	v_cndmask_b32_e32 v21, v56, v18, vcc
	v_ldexp_f32 v18, v20, v25
	v_mul_f32_e32 v20, 0xbfb8aa3b, v23
	v_rndne_f32_e32 v25, v20
	v_sub_f32_e32 v26, v20, v25
	v_fma_f32 v20, v23, s95, -v20
	v_fmac_f32_e32 v20, 0xb2a5705f, v23
	v_add_f32_e32 v20, v26, v20
	v_exp_f32_e32 v20, v20
	v_cvt_i32_f32_e32 v25, v25
	v_cmp_nlt_f32_e32 vcc, s96, v24
	v_ldexp_f32 v20, v20, v25
	s_nop 0
	v_cndmask_b32_e32 v18, 0, v18, vcc
	v_cmp_ngt_f32_e32 vcc, s97, v24
	s_nop 1
	v_cndmask_b32_e32 v18, v56, v18, vcc
	v_pk_add_f32 v[18:19], v[18:19], 1.0 op_sel_hi:[1,0]
	v_cmp_nlt_f32_e32 vcc, s96, v23
	v_div_scale_f32 v25, s[26:27], v19, v19, v13
	v_rcp_f32_e32 v26, v25
	v_cndmask_b32_e32 v20, 0, v20, vcc
	v_cmp_ngt_f32_e32 vcc, s97, v23
	v_fma_f32 v27, -v25, v26, 1.0
	s_nop 0
	v_cndmask_b32_e32 v20, v56, v20, vcc
	v_fmac_f32_e32 v26, v27, v26
	v_div_scale_f32 v27, vcc, v13, v19, v13
	v_mul_f32_e32 v28, v27, v26
	v_fma_f32 v29, -v25, v28, v27
	v_fmac_f32_e32 v28, v29, v26
	v_fma_f32 v25, -v25, v28, v27
	v_div_scale_f32 v27, s[26:27], v18, v18, v24
	v_rcp_f32_e32 v29, v27
	v_div_fmas_f32 v25, v25, v26, v28
	v_div_fixup_f32 v19, v25, v19, v13
	v_pk_add_f32 v[20:21], v[20:21], 1.0 op_sel_hi:[1,0]
	v_fma_f32 v13, -v27, v29, 1.0
	v_fmac_f32_e32 v29, v13, v29
	v_div_scale_f32 v13, vcc, v24, v18, v24
	v_mul_f32_e32 v25, v13, v29
	v_fma_f32 v26, -v27, v25, v13
	v_fmac_f32_e32 v25, v26, v29
	v_div_scale_f32 v26, s[26:27], v21, v21, v22
	v_fma_f32 v13, -v27, v25, v13
	v_rcp_f32_e32 v27, v26
	v_div_fmas_f32 v13, v13, v29, v25
	v_div_fixup_f32 v18, v13, v18, v24
	v_pk_mul_f32 v[14:15], v[14:15], v[18:19]
	v_fma_f32 v13, -v26, v27, 1.0
	v_fmac_f32_e32 v27, v13, v27
	v_div_scale_f32 v13, vcc, v22, v21, v22
	v_mul_f32_e32 v24, v13, v27
	v_fma_f32 v25, -v26, v24, v13
	v_fmac_f32_e32 v24, v25, v27
	v_div_scale_f32 v25, s[26:27], v20, v20, v23
	v_fma_f32 v13, -v26, v24, v13
	v_rcp_f32_e32 v26, v25
	v_div_fmas_f32 v13, v13, v27, v24
	v_div_fixup_f32 v21, v13, v21, v22
	v_bfe_u32 v19, v14, 16, 1
	v_fma_f32 v13, -v25, v26, 1.0
	v_fmac_f32_e32 v26, v13, v26
	v_div_scale_f32 v13, vcc, v23, v20, v23
	v_mul_f32_e32 v22, v13, v26
	v_fma_f32 v24, -v25, v22, v13
	v_fmac_f32_e32 v22, v24, v26
	v_fma_f32 v13, -v25, v22, v13
	v_div_fmas_f32 v13, v13, v26, v22
	v_div_fixup_f32 v20, v13, v20, v23
	v_pk_mul_f32 v[16:17], v[16:17], v[20:21]
	v_bfe_u32 v20, v15, 16, 1
	v_bfe_u32 v13, v16, 16, 1
	;; [unrolled: 1-line block ×3, first 2 shown]
	v_add3_u32 v13, v16, v13, s93
	v_add3_u32 v18, v17, v18, s93
	v_lshrrev_b32_e32 v13, 16, v13
	v_cmp_o_f32_e32 vcc, v16, v16
	v_add3_u32 v19, v14, v19, s93
	v_lshrrev_b32_e32 v18, 16, v18
	v_cndmask_b32_e32 v13, v59, v13, vcc
	v_cmp_o_f32_e32 vcc, v17, v17
	v_add3_u32 v20, v15, v20, s93
	v_lshrrev_b32_e32 v19, 16, v19
	v_cndmask_b32_e32 v16, v59, v18, vcc
	v_cmp_o_f32_e32 vcc, v14, v14
	v_lshrrev_b32_e32 v20, 16, v20
	v_perm_b32 v16, v16, v13, s94
	v_cndmask_b32_e32 v13, v59, v19, vcc
	v_cmp_o_f32_e32 vcc, v15, v15
	s_nop 1
	v_cndmask_b32_e32 v14, v59, v20, vcc
	v_perm_b32 v17, v14, v13, s94
	ds_write_b64 v49, v[16:17]
	; wave barrier
	ds_read_u16 v17, v46 offset:128
	ds_read_u16 v16, v47 offset:256
	;; [unrolled: 1-line block ×3, first 2 shown]
	v_lshl_add_u64 v[14:15], s[64:65], 1, v[8:9]
	s_and_saveexec_b64 s[26:27], s[18:19]
	s_cbranch_execnz .LBB5_98
; %bb.90:                               ;   in Loop: Header=BB5_12 Depth=1
	s_or_b64 exec, exec, s[26:27]
	s_and_saveexec_b64 s[18:19], s[20:21]
	s_cbranch_execnz .LBB5_99
.LBB5_91:                               ;   in Loop: Header=BB5_12 Depth=1
	s_or_b64 exec, exec, s[18:19]
	s_and_saveexec_b64 s[18:19], s[22:23]
	s_cbranch_execnz .LBB5_100
.LBB5_92:                               ;   in Loop: Header=BB5_12 Depth=1
	s_or_b64 exec, exec, s[18:19]
	s_and_saveexec_b64 s[18:19], s[24:25]
	s_cbranch_execz .LBB5_11
	s_branch .LBB5_101
.LBB5_93:                               ;   in Loop: Header=BB5_12 Depth=1
	global_load_ushort v19, v[14:15], off offset:128
	s_or_b64 exec, exec, s[26:27]
	s_and_saveexec_b64 s[26:27], s[22:23]
	s_cbranch_execz .LBB5_24
.LBB5_94:                               ;   in Loop: Header=BB5_12 Depth=1
	global_load_ushort v18, v[14:15], off offset:256
	s_or_b64 exec, exec, s[26:27]
	v_mov_b32_e32 v20, 0
	s_and_saveexec_b64 s[26:27], s[24:25]
	s_cbranch_execnz .LBB5_25
	s_branch .LBB5_26
.LBB5_95:                               ;   in Loop: Header=BB5_12 Depth=1
	ds_read_u16 v22, v45
	s_waitcnt lgkmcnt(0)
	global_store_short v[18:19], v22, off
	s_or_b64 exec, exec, s[26:27]
	s_and_saveexec_b64 s[26:27], s[20:21]
	s_cbranch_execz .LBB5_78
.LBB5_96:                               ;   in Loop: Header=BB5_12 Depth=1
	s_waitcnt lgkmcnt(2)
	global_store_short v[18:19], v21, off offset:128
	s_or_b64 exec, exec, s[26:27]
	s_and_saveexec_b64 s[26:27], s[22:23]
	s_cbranch_execz .LBB5_79
.LBB5_97:                               ;   in Loop: Header=BB5_12 Depth=1
	s_waitcnt lgkmcnt(1)
	global_store_short v[18:19], v20, off offset:256
	s_or_b64 exec, exec, s[26:27]
	s_and_saveexec_b64 s[26:27], s[24:25]
	s_cbranch_execnz .LBB5_80
	s_branch .LBB5_81
.LBB5_98:                               ;   in Loop: Header=BB5_12 Depth=1
	ds_read_u16 v18, v45
	s_waitcnt lgkmcnt(0)
	global_store_short v[14:15], v18, off
	s_or_b64 exec, exec, s[26:27]
	s_and_saveexec_b64 s[18:19], s[20:21]
	s_cbranch_execz .LBB5_91
.LBB5_99:                               ;   in Loop: Header=BB5_12 Depth=1
	s_waitcnt lgkmcnt(2)
	global_store_short v[14:15], v17, off offset:128
	s_or_b64 exec, exec, s[18:19]
	s_and_saveexec_b64 s[18:19], s[22:23]
	s_cbranch_execz .LBB5_92
.LBB5_100:                              ;   in Loop: Header=BB5_12 Depth=1
	s_waitcnt lgkmcnt(1)
	global_store_short v[14:15], v16, off offset:256
	s_or_b64 exec, exec, s[18:19]
	s_and_saveexec_b64 s[18:19], s[24:25]
	s_cbranch_execz .LBB5_11
.LBB5_101:                              ;   in Loop: Header=BB5_12 Depth=1
	s_waitcnt lgkmcnt(0)
	global_store_short v[14:15], v13, off offset:384
	s_branch .LBB5_11
.LBB5_102:
	s_endpgm
	.section	.rodata,"a",@progbits
	.p2align	6, 0x0
	.amdhsa_kernel _Z25selective_scan_fwd_kernelI32Selective_Scan_fwd_kernel_traitsILi64ELi4ELi1ELb0ELb1ELb1ELb1ELb0EN3c108BFloat16EfS2_EEv13SSMParamsBase
		.amdhsa_group_segment_fixed_size 0
		.amdhsa_private_segment_fixed_size 0
		.amdhsa_kernarg_size 248
		.amdhsa_user_sgpr_count 2
		.amdhsa_user_sgpr_dispatch_ptr 0
		.amdhsa_user_sgpr_queue_ptr 0
		.amdhsa_user_sgpr_kernarg_segment_ptr 1
		.amdhsa_user_sgpr_dispatch_id 0
		.amdhsa_user_sgpr_kernarg_preload_length 0
		.amdhsa_user_sgpr_kernarg_preload_offset 0
		.amdhsa_user_sgpr_private_segment_size 0
		.amdhsa_uses_dynamic_stack 0
		.amdhsa_enable_private_segment 0
		.amdhsa_system_sgpr_workgroup_id_x 1
		.amdhsa_system_sgpr_workgroup_id_y 1
		.amdhsa_system_sgpr_workgroup_id_z 0
		.amdhsa_system_sgpr_workgroup_info 0
		.amdhsa_system_vgpr_workitem_id 0
		.amdhsa_next_free_vgpr 68
		.amdhsa_next_free_sgpr 100
		.amdhsa_accum_offset 68
		.amdhsa_reserve_vcc 1
		.amdhsa_float_round_mode_32 0
		.amdhsa_float_round_mode_16_64 0
		.amdhsa_float_denorm_mode_32 3
		.amdhsa_float_denorm_mode_16_64 3
		.amdhsa_dx10_clamp 1
		.amdhsa_ieee_mode 1
		.amdhsa_fp16_overflow 0
		.amdhsa_tg_split 0
		.amdhsa_exception_fp_ieee_invalid_op 0
		.amdhsa_exception_fp_denorm_src 0
		.amdhsa_exception_fp_ieee_div_zero 0
		.amdhsa_exception_fp_ieee_overflow 0
		.amdhsa_exception_fp_ieee_underflow 0
		.amdhsa_exception_fp_ieee_inexact 0
		.amdhsa_exception_int_div_zero 0
	.end_amdhsa_kernel
	.section	.text._Z25selective_scan_fwd_kernelI32Selective_Scan_fwd_kernel_traitsILi64ELi4ELi1ELb0ELb1ELb1ELb1ELb0EN3c108BFloat16EfS2_EEv13SSMParamsBase,"axG",@progbits,_Z25selective_scan_fwd_kernelI32Selective_Scan_fwd_kernel_traitsILi64ELi4ELi1ELb0ELb1ELb1ELb1ELb0EN3c108BFloat16EfS2_EEv13SSMParamsBase,comdat
.Lfunc_end5:
	.size	_Z25selective_scan_fwd_kernelI32Selective_Scan_fwd_kernel_traitsILi64ELi4ELi1ELb0ELb1ELb1ELb1ELb0EN3c108BFloat16EfS2_EEv13SSMParamsBase, .Lfunc_end5-_Z25selective_scan_fwd_kernelI32Selective_Scan_fwd_kernel_traitsILi64ELi4ELi1ELb0ELb1ELb1ELb1ELb0EN3c108BFloat16EfS2_EEv13SSMParamsBase
                                        ; -- End function
	.section	.AMDGPU.csdata,"",@progbits
; Kernel info:
; codeLenInByte = 7452
; NumSgprs: 106
; NumVgprs: 68
; NumAgprs: 0
; TotalNumVgprs: 68
; ScratchSize: 0
; MemoryBound: 0
; FloatMode: 240
; IeeeMode: 1
; LDSByteSize: 0 bytes/workgroup (compile time only)
; SGPRBlocks: 13
; VGPRBlocks: 8
; NumSGPRsForWavesPerEU: 106
; NumVGPRsForWavesPerEU: 68
; AccumOffset: 68
; Occupancy: 7
; WaveLimiterHint : 0
; COMPUTE_PGM_RSRC2:SCRATCH_EN: 0
; COMPUTE_PGM_RSRC2:USER_SGPR: 2
; COMPUTE_PGM_RSRC2:TRAP_HANDLER: 0
; COMPUTE_PGM_RSRC2:TGID_X_EN: 1
; COMPUTE_PGM_RSRC2:TGID_Y_EN: 1
; COMPUTE_PGM_RSRC2:TGID_Z_EN: 0
; COMPUTE_PGM_RSRC2:TIDIG_COMP_CNT: 0
; COMPUTE_PGM_RSRC3_GFX90A:ACCUM_OFFSET: 16
; COMPUTE_PGM_RSRC3_GFX90A:TG_SPLIT: 0
	.section	.text._Z25selective_scan_fwd_kernelI32Selective_Scan_fwd_kernel_traitsILi64ELi4ELi1ELb0ELb1ELb1ELb0ELb1EN3c108BFloat16EfS2_EEv13SSMParamsBase,"axG",@progbits,_Z25selective_scan_fwd_kernelI32Selective_Scan_fwd_kernel_traitsILi64ELi4ELi1ELb0ELb1ELb1ELb0ELb1EN3c108BFloat16EfS2_EEv13SSMParamsBase,comdat
	.protected	_Z25selective_scan_fwd_kernelI32Selective_Scan_fwd_kernel_traitsILi64ELi4ELi1ELb0ELb1ELb1ELb0ELb1EN3c108BFloat16EfS2_EEv13SSMParamsBase ; -- Begin function _Z25selective_scan_fwd_kernelI32Selective_Scan_fwd_kernel_traitsILi64ELi4ELi1ELb0ELb1ELb1ELb0ELb1EN3c108BFloat16EfS2_EEv13SSMParamsBase
	.globl	_Z25selective_scan_fwd_kernelI32Selective_Scan_fwd_kernel_traitsILi64ELi4ELi1ELb0ELb1ELb1ELb0ELb1EN3c108BFloat16EfS2_EEv13SSMParamsBase
	.p2align	8
	.type	_Z25selective_scan_fwd_kernelI32Selective_Scan_fwd_kernel_traitsILi64ELi4ELi1ELb0ELb1ELb1ELb0ELb1EN3c108BFloat16EfS2_EEv13SSMParamsBase,@function
_Z25selective_scan_fwd_kernelI32Selective_Scan_fwd_kernel_traitsILi64ELi4ELi1ELb0ELb1ELb1ELb0ELb1EN3c108BFloat16EfS2_EEv13SSMParamsBase: ; @_Z25selective_scan_fwd_kernelI32Selective_Scan_fwd_kernel_traitsILi64ELi4ELi1ELb0ELb1ELb1ELb0ELb1EN3c108BFloat16EfS2_EEv13SSMParamsBase
; %bb.0:
	s_load_dword s27, s[0:1], 0x18
	s_load_dwordx4 s[4:7], s[0:1], 0xe0
	s_load_dwordx2 s[10:11], s[0:1], 0xf0
	s_mov_b32 s20, s3
	s_ashr_i32 s3, s2, 31
	s_waitcnt lgkmcnt(0)
	s_abs_i32 s26, s27
	v_cvt_f32_u32_e32 v1, s26
	s_lshl_b64 s[8:9], s[2:3], 2
	s_add_u32 s24, s4, s8
	s_addc_u32 s25, s5, s9
	v_rcp_iflag_f32_e32 v1, v1
	s_cmp_eq_u64 s[10:11], 0
	v_mul_f32_e32 v1, 0x4f7ffffe, v1
	v_cvt_u32_f32_e32 v1, v1
	s_nop 0
	v_readfirstlane_b32 s28, v1
	s_cbranch_scc1 .LBB6_86
; %bb.1:
	s_add_u32 s4, s10, s2
	s_addc_u32 s5, s11, s3
	v_mov_b32_e32 v1, 0
	global_load_ubyte v1, v1, s[4:5]
	s_waitcnt vmcnt(0)
	v_and_b32_e32 v1, 1, v1
	v_cmp_eq_u32_e64 s[52:53], 1, v1
	s_load_dwordx2 s[4:5], s[0:1], 0x20
	s_cmp_eq_u64 s[6:7], 0
	s_cbranch_scc1 .LBB6_3
.LBB6_2:
	s_add_u32 s2, s6, s8
	s_addc_u32 s3, s7, s9
	s_load_dword s2, s[2:3], 0x0
	s_waitcnt lgkmcnt(0)
	s_ashr_i32 s3, s2, 31
.LBB6_3:
	s_waitcnt lgkmcnt(0)
	s_cmp_eq_u64 s[4:5], s[2:3]
	s_cbranch_scc1 .LBB6_85
; %bb.4:
	s_load_dwordx16 s[4:19], s[0:1], 0x88
	s_load_dwordx2 s[22:23], s[24:25], 0x0
	s_mov_b32 s33, 0
	s_mov_b32 s78, 0
	s_waitcnt lgkmcnt(0)
	s_cmp_eq_u64 s[10:11], 0
	s_cbranch_scc1 .LBB6_6
; %bb.5:
	s_ashr_i32 s21, s20, 31
	s_lshl_b64 s[24:25], s[20:21], 2
	s_add_u32 s10, s10, s24
	s_addc_u32 s11, s11, s25
	s_load_dword s78, s[10:11], 0x0
.LBB6_6:
	s_cmp_eq_u64 s[16:17], 0
	s_cbranch_scc1 .LBB6_8
; %bb.7:
	s_ashr_i32 s21, s20, 31
	s_lshl_b64 s[10:11], s[20:21], 2
	s_add_u32 s10, s16, s10
	s_addc_u32 s11, s17, s11
	s_load_dword s33, s[10:11], 0x0
.LBB6_8:
	s_sub_i32 s79, s23, s22
	s_cmp_lt_i32 s79, 1
	s_cbranch_scc1 .LBB6_85
; %bb.9:
	s_sub_i32 s3, 0, s26
	s_mul_i32 s3, s3, s28
	s_mul_hi_u32 s3, s28, s3
	s_load_dwordx8 s[40:47], s[0:1], 0x2c
	s_load_dwordx2 s[16:17], s[0:1], 0x5c
	s_load_dwordx4 s[48:51], s[0:1], 0x4c
	s_abs_i32 s21, s20
	s_add_i32 s28, s28, s3
	s_load_dwordx4 s[36:39], s[0:1], 0x7c
	s_load_dwordx2 s[10:11], s[0:1], 0x6c
	s_load_dwordx2 s[24:25], s[0:1], 0xc8
	s_mul_hi_u32 s3, s21, s28
	s_waitcnt lgkmcnt(0)
	s_load_dword s39, s[0:1], 0xc
	s_load_dword s23, s[0:1], 0x28
	s_ashr_i32 s0, s20, 31
	s_ashr_i32 s1, s27, 31
	s_xor_b32 s0, s0, s1
	s_mul_i32 s1, s3, s26
	s_sub_i32 s1, s21, s1
	s_add_i32 s21, s3, 1
	s_sub_i32 s27, s1, s26
	s_cmp_ge_u32 s1, s26
	s_cselect_b32 s3, s21, s3
	s_cselect_b32 s1, s27, s1
	s_add_i32 s21, s3, 1
	s_cmp_ge_u32 s1, s26
	s_cselect_b32 s1, s21, s3
	s_xor_b32 s1, s1, s0
	s_mul_i32 s54, s22, s50
	s_mov_b32 s55, 0
	s_sub_i32 s3, s1, s0
	s_lshl_b64 s[0:1], s[54:55], 1
	s_add_u32 s12, s12, s0
	s_mul_i32 s54, s51, s20
	s_addc_u32 s13, s13, s1
	s_lshl_b64 s[0:1], s[54:55], 1
	s_add_u32 s50, s12, s0
	s_mul_i32 s54, s22, s16
	s_addc_u32 s51, s13, s1
	;; [unrolled: 4-line block ×9, first 2 shown]
	s_lshl_b64 s[0:1], s[54:55], 1
	s_add_u32 s2, s24, s0
	s_mul_i32 s54, s37, s20
	v_mbcnt_lo_u32_b32 v2, -1, 0
	s_addc_u32 s3, s25, s1
	s_lshl_b64 s[0:1], s[54:55], 1
	v_mbcnt_hi_u32_b32 v2, -1, v2
	s_add_u32 s45, s2, s0
	v_lshrrev_b32_e32 v3, 5, v2
	s_addc_u32 s49, s3, s1
	s_add_i32 s0, s79, 0x7ff
	v_and_b32_e32 v3, 2, v3
	s_lshr_b32 s81, s0, 11
	v_add_u32_e32 v38, 64, v2
	v_or_b32_e32 v39, 0x80, v2
	v_add_u32_e32 v40, 0xc0, v2
	v_add_u32_e32 v3, v3, v2
	v_lshl_add_u32 v41, v3, 1, 0
	v_lshrrev_b32_e32 v3, 5, v38
	v_lshrrev_b32_e32 v4, 5, v39
	;; [unrolled: 1-line block ×3, first 2 shown]
	s_waitcnt lgkmcnt(0)
	s_bitcmp1_b32 s23, 0
	v_and_b32_e32 v3, 6, v3
	v_and_b32_e32 v4, 6, v4
	;; [unrolled: 1-line block ×3, first 2 shown]
	s_cselect_b64 s[58:59], -1, 0
	s_cmp_gt_i32 s39, 0
	v_add_lshl_u32 v3, v3, v2, 1
	v_add_lshl_u32 v4, v4, v2, 1
	;; [unrolled: 1-line block ×3, first 2 shown]
	s_cselect_b64 s[60:61], -1, 0
	s_add_i32 s0, 0, 0x210
	s_mul_i32 s54, s22, s10
	v_add_u32_e32 v46, s0, v3
	v_add_u32_e32 v47, s0, v4
	;; [unrolled: 1-line block ×3, first 2 shown]
	s_and_b32 s2, s79, 0xff
	s_add_i32 s82, s81, -1
	s_lshl_b64 s[0:1], s[54:55], 1
	s_add_u32 s3, s18, s0
	s_mul_i32 s54, s11, s20
	s_addc_u32 s4, s19, s1
	s_lshl_b64 s[0:1], s[54:55], 1
	s_add_u32 s18, s3, s0
	v_add_u32_e32 v42, 0, v3
	s_addc_u32 s19, s4, s1
	v_and_b32_e32 v3, 15, v2
	s_cmp_eq_u32 s2, 0
	v_cmp_eq_u32_e64 s[0:1], 0, v3
	v_cmp_lt_u32_e64 s[2:3], 1, v3
	v_cmp_lt_u32_e64 s[4:5], 3, v3
	;; [unrolled: 1-line block ×3, first 2 shown]
	v_and_b32_e32 v3, 16, v2
	v_add_u32_e32 v43, 0, v4
	v_lshrrev_b32_e32 v6, 3, v2
	v_cmp_ne_u32_e64 s[8:9], 0, v3
	v_add_u32_e32 v3, -1, v2
	v_and_b32_e32 v4, 64, v2
	v_and_b32_e32 v6, 14, v6
	v_cmp_lt_i32_e32 vcc, v3, v4
	v_mov_b32_e32 v1, 0
	v_lshlrev_b32_e32 v7, 2, v0
	v_lshl_add_u32 v6, v2, 2, v6
	v_cmp_eq_u32_e64 s[12:13], 63, v0
	v_cndmask_b32_e32 v3, v3, v2, vcc
	v_cmp_gt_u32_e64 s[14:15], 64, v0
	v_cmp_eq_u32_e64 s[16:17], 0, v0
	v_lshlrev_b32_e32 v0, 1, v2
                                        ; implicit-def: $vgpr8
	v_add_u32_e32 v44, 0, v5
	v_lshl_add_u32 v45, v6, 1, 0
	s_cselect_b64 s[62:63], -1, 0
	v_cmp_lt_u32_e64 s[10:11], 31, v2
	v_lshlrev_b32_e32 v49, 2, v3
	v_lshl_add_u64 v[4:5], s[18:19], 0, v[0:1]
	v_or_b32_e32 v3, 1, v7
	v_or_b32_e32 v6, 2, v7
	;; [unrolled: 1-line block ×3, first 2 shown]
	v_lshlrev_b32_e32 v0, 1, v2
	s_mov_b32 s83, 0x41a00000
	s_mov_b32 s84, 0x3fb8aa3b
	;; [unrolled: 1-line block ×6, first 2 shown]
	v_mov_b32_e32 v51, 0x3ecc95a3
	s_mov_b32 s89, 0x3f317218
	s_mov_b32 s90, 0x33800000
	s_add_i32 s91, 0, 0x428
	s_mov_b32 s92, 0xc2fc0000
	s_movk_i32 s93, 0x7fff
	s_mov_b32 s94, 0x5040100
	v_mov_b32_e32 v52, 0x7f800000
	v_mov_b32_e32 v8, 0x3f317218
	;; [unrolled: 1-line block ×5, first 2 shown]
	s_mov_b32 s95, 0
	s_branch .LBB6_11
.LBB6_10:                               ;   in Loop: Header=BB6_11 Depth=1
	s_or_b64 exec, exec, s[18:19]
	s_add_u32 s56, s56, 0x200
	s_addc_u32 s57, s57, 0
	s_add_u32 s50, s50, 0x200
	s_addc_u32 s51, s51, 0
	;; [unrolled: 2-line block ×4, first 2 shown]
	s_add_i32 s95, s95, 1
	s_cmp_eq_u32 s95, s81
	s_cbranch_scc1 .LBB6_85
.LBB6_11:                               ; =>This Loop Header: Depth=1
                                        ;     Child Loop BB6_36 Depth 2
	s_lshl_b32 s64, s95, 8
	s_sub_i32 s34, s79, s64
	v_lshl_add_u64 v[10:11], s[50:51], 0, v[0:1]
	v_cmp_gt_u32_e64 s[18:19], s34, v2
	s_waitcnt lgkmcnt(1)
	v_mov_b32_e32 v12, 0
	s_waitcnt lgkmcnt(0)
	; wave barrier
	s_and_saveexec_b64 s[20:21], s[18:19]
	s_cbranch_execz .LBB6_13
; %bb.12:                               ;   in Loop: Header=BB6_11 Depth=1
	global_load_ushort v12, v[10:11], off
.LBB6_13:                               ;   in Loop: Header=BB6_11 Depth=1
	s_or_b64 exec, exec, s[20:21]
	v_cmp_gt_u32_e64 s[20:21], s34, v38
	v_mov_b32_e32 v13, 0
	v_mov_b32_e32 v14, 0
	s_and_saveexec_b64 s[22:23], s[20:21]
	s_cbranch_execz .LBB6_15
; %bb.14:                               ;   in Loop: Header=BB6_11 Depth=1
	global_load_ushort v14, v[10:11], off offset:128
.LBB6_15:                               ;   in Loop: Header=BB6_11 Depth=1
	s_or_b64 exec, exec, s[22:23]
	v_cmp_gt_u32_e64 s[22:23], s34, v39
	s_and_saveexec_b64 s[24:25], s[22:23]
	s_cbranch_execz .LBB6_17
; %bb.16:                               ;   in Loop: Header=BB6_11 Depth=1
	global_load_ushort v13, v[10:11], off offset:256
.LBB6_17:                               ;   in Loop: Header=BB6_11 Depth=1
	s_or_b64 exec, exec, s[24:25]
	v_cmp_gt_u32_e64 s[24:25], s34, v40
	s_waitcnt lgkmcnt(0)
	v_mov_b32_e32 v9, 0
	v_mov_b32_e32 v15, 0
	s_and_saveexec_b64 s[26:27], s[24:25]
	s_cbranch_execz .LBB6_19
; %bb.18:                               ;   in Loop: Header=BB6_11 Depth=1
	global_load_ushort v15, v[10:11], off offset:384
.LBB6_19:                               ;   in Loop: Header=BB6_11 Depth=1
	s_or_b64 exec, exec, s[26:27]
	s_waitcnt vmcnt(0)
	ds_write_b16 v41, v12
	ds_write_b16 v42, v14 offset:128
	ds_write_b16 v43, v13 offset:256
	;; [unrolled: 1-line block ×3, first 2 shown]
	; wave barrier
	ds_read_b64 v[12:13], v45
	v_lshl_add_u64 v[10:11], s[56:57], 0, v[0:1]
	s_waitcnt lgkmcnt(0)
	; wave barrier
	s_waitcnt lgkmcnt(0)
	s_and_saveexec_b64 s[26:27], s[18:19]
	s_cbranch_execz .LBB6_21
; %bb.20:                               ;   in Loop: Header=BB6_11 Depth=1
	global_load_ushort v9, v[10:11], off
.LBB6_21:                               ;   in Loop: Header=BB6_11 Depth=1
	s_or_b64 exec, exec, s[26:27]
	v_mov_b32_e32 v14, 0
	v_mov_b32_e32 v15, 0
	s_and_saveexec_b64 s[26:27], s[20:21]
	s_cbranch_execnz .LBB6_79
; %bb.22:                               ;   in Loop: Header=BB6_11 Depth=1
	s_or_b64 exec, exec, s[26:27]
	s_and_saveexec_b64 s[26:27], s[22:23]
	s_cbranch_execnz .LBB6_80
.LBB6_23:                               ;   in Loop: Header=BB6_11 Depth=1
	s_or_b64 exec, exec, s[26:27]
	v_mov_b32_e32 v16, 0
	s_and_saveexec_b64 s[26:27], s[24:25]
	s_cbranch_execz .LBB6_25
.LBB6_24:                               ;   in Loop: Header=BB6_11 Depth=1
	global_load_ushort v16, v[10:11], off offset:384
.LBB6_25:                               ;   in Loop: Header=BB6_11 Depth=1
	s_or_b64 exec, exec, s[26:27]
	s_waitcnt vmcnt(0)
	ds_write_b16 v41, v9
	ds_write_b16 v42, v15 offset:128
	ds_write_b16 v43, v14 offset:256
	;; [unrolled: 1-line block ×3, first 2 shown]
	; wave barrier
	ds_read_b64 v[14:15], v45
	s_waitcnt lgkmcnt(0)
	v_lshlrev_b32_e32 v9, 16, v14
	v_add_f32_e32 v56, s33, v9
	v_cmp_ge_f32_e32 vcc, s83, v56
	s_and_b64 s[26:27], s[58:59], vcc
	s_and_saveexec_b64 s[28:29], s[26:27]
	s_cbranch_execz .LBB6_27
; %bb.26:                               ;   in Loop: Header=BB6_11 Depth=1
	v_mul_f32_e32 v9, 0x3fb8aa3b, v56
	v_rndne_f32_e32 v10, v9
	v_sub_f32_e32 v11, v9, v10
	v_fma_f32 v9, v56, s84, -v9
	v_fmac_f32_e32 v9, 0x32a5705f, v56
	v_add_f32_e32 v9, v11, v9
	v_cvt_i32_f32_e32 v10, v10
	v_exp_f32_e32 v9, v9
	v_cmp_ngt_f32_e32 vcc, s85, v56
	v_ldexp_f32 v9, v9, v10
	s_nop 0
	v_cndmask_b32_e32 v9, 0, v9, vcc
	v_cmp_nlt_f32_e32 vcc, s86, v56
	s_nop 1
	v_cndmask_b32_e32 v30, v52, v9, vcc
	v_add_f32_e32 v9, 1.0, v30
	v_add_f32_e32 v10, -1.0, v9
	v_sub_f32_e32 v11, v10, v9
	v_add_f32_e32 v11, 1.0, v11
	v_sub_f32_e32 v10, v30, v10
	v_add_f32_e32 v16, v10, v11
	v_frexp_mant_f32_e32 v17, v9
	v_cvt_f64_f32_e32 v[10:11], v9
	v_frexp_exp_i32_f64_e32 v10, v[10:11]
	v_cmp_gt_f32_e32 vcc, s88, v17
	v_cmp_gt_f32_e64 s[26:27], s90, v30
	s_nop 0
	v_subbrev_co_u32_e32 v22, vcc, 0, v10, vcc
	v_sub_u32_e32 v10, 0, v22
	v_ldexp_f32 v9, v9, v10
	v_ldexp_f32 v10, v16, v10
	v_add_f32_e32 v16, -1.0, v9
	v_add_f32_e32 v11, 1.0, v16
	v_sub_f32_e32 v11, v9, v11
	v_add_f32_e32 v17, v10, v11
	v_add_f32_e32 v11, 1.0, v9
	v_add_f32_e32 v18, -1.0, v11
	v_sub_f32_e32 v9, v9, v18
	v_add_f32_e32 v9, v10, v9
	v_add_f32_e32 v23, v11, v9
	v_rcp_f32_e32 v24, v23
	v_sub_f32_e32 v10, v11, v23
	v_add_f32_e32 v11, v16, v17
	v_add_f32_e32 v9, v9, v10
	v_mul_f32_e32 v26, v11, v24
	v_sub_f32_e32 v10, v16, v11
	v_mul_f32_e32 v16, v23, v26
	v_fma_f32 v18, v26, v23, -v16
	v_fmac_f32_e32 v18, v26, v9
	v_add_f32_e32 v25, v17, v10
	v_add_f32_e32 v10, v16, v18
	v_sub_f32_e32 v17, v11, v10
	v_pk_add_f32 v[20:21], v[10:11], v[16:17] neg_lo:[0,1] neg_hi:[0,1]
	v_mov_b32_e32 v19, v10
	v_pk_add_f32 v[10:11], v[20:21], v[18:19] neg_lo:[0,1] neg_hi:[0,1]
	v_cmp_eq_f32_e32 vcc, s87, v30
	v_add_f32_e32 v11, v25, v11
	v_add_f32_e32 v10, v10, v11
	;; [unrolled: 1-line block ×3, first 2 shown]
	v_mul_f32_e32 v25, v24, v11
	v_mul_f32_e32 v16, v23, v25
	v_fma_f32 v18, v25, v23, -v16
	v_fmac_f32_e32 v18, v25, v9
	v_sub_f32_e32 v9, v17, v11
	v_add_f32_e32 v9, v10, v9
	v_add_f32_e32 v10, v16, v18
	v_sub_f32_e32 v17, v11, v10
	v_pk_add_f32 v[20:21], v[10:11], v[16:17] neg_lo:[0,1] neg_hi:[0,1]
	v_mov_b32_e32 v19, v10
	v_pk_add_f32 v[10:11], v[20:21], v[18:19] neg_lo:[0,1] neg_hi:[0,1]
	s_or_b64 vcc, s[26:27], vcc
	v_add_f32_e32 v9, v9, v11
	v_add_f32_e32 v9, v10, v9
	v_add_f32_e32 v11, v26, v25
	v_add_f32_e32 v9, v17, v9
	v_sub_f32_e32 v10, v11, v26
	v_mul_f32_e32 v9, v24, v9
	v_sub_f32_e32 v10, v25, v10
	v_add_f32_e32 v16, v10, v9
	v_add_f32_e32 v18, v11, v16
	v_cvt_f32_i32_e32 v10, v22
	v_mul_f32_e32 v19, v18, v18
	v_sub_f32_e32 v11, v18, v11
	v_fmamk_f32 v9, v19, 0x3e9b6dac, v51
	v_sub_f32_e32 v11, v16, v11
	v_fmaak_f32 v9, v19, v9, 0x3f2aaada
	v_ldexp_f32 v20, v11, 1
	v_mul_f32_e32 v11, v18, v19
	v_ldexp_f32 v17, v18, 1
	v_pk_mul_f32 v[18:19], v[10:11], v[8:9]
	s_nop 0
	v_fma_f32 v16, v10, s89, -v18
	v_fmac_f32_e32 v16, 0xb102e308, v10
	v_pk_add_f32 v[10:11], v[18:19], v[16:17]
	s_nop 0
	v_sub_f32_e32 v9, v11, v17
	v_sub_f32_e32 v9, v19, v9
	v_add_f32_e32 v21, v20, v9
	v_mov_b32_e32 v20, v18
	v_pk_add_f32 v[18:19], v[10:11], v[18:19] neg_lo:[0,1] neg_hi:[0,1]
	v_pk_add_f32 v[22:23], v[10:11], v[20:21]
	v_mov_b32_e32 v17, v10
	v_mov_b32_e32 v19, v23
	v_pk_add_f32 v[24:25], v[16:17], v[18:19] neg_lo:[0,1] neg_hi:[0,1]
	v_pk_add_f32 v[16:17], v[16:17], v[18:19]
	v_mov_b32_e32 v20, v21
	v_mov_b32_e32 v18, v17
	v_pk_add_f32 v[26:27], v[18:19], v[10:11] neg_lo:[0,1] neg_hi:[0,1]
	v_mov_b32_e32 v16, v23
	v_mov_b32_e32 v9, v26
	v_pk_add_f32 v[28:29], v[22:23], v[8:9] neg_lo:[0,1] neg_hi:[0,1]
	v_mov_b32_e32 v22, v11
	v_mov_b32_e32 v23, v26
	;; [unrolled: 1-line block ×3, first 2 shown]
	v_pk_add_f32 v[16:17], v[16:17], v[22:23] neg_lo:[0,1] neg_hi:[0,1]
	v_mov_b32_e32 v21, v10
	v_pk_add_f32 v[10:11], v[20:21], v[16:17] neg_lo:[0,1] neg_hi:[0,1]
	v_mov_b32_e32 v28, v24
	v_pk_add_f32 v[16:17], v[28:29], v[10:11]
	s_nop 0
	v_mov_b32_e32 v20, v17
	v_pk_add_f32 v[20:21], v[16:17], v[20:21]
	s_nop 0
	v_pk_add_f32 v[18:19], v[18:19], v[20:21]
	v_mov_b32_e32 v11, v20
	v_mov_b32_e32 v17, v18
	v_pk_add_f32 v[22:23], v[16:17], v[24:25] neg_lo:[0,1] neg_hi:[0,1]
	s_nop 0
	v_sub_f32_e32 v9, v16, v22
	v_pk_add_f32 v[10:11], v[10:11], v[22:23] neg_lo:[0,1] neg_hi:[0,1]
	v_sub_f32_e32 v9, v24, v9
	v_add_f32_e32 v9, v10, v9
	v_add_f32_e32 v9, v9, v11
	;; [unrolled: 1-line block ×3, first 2 shown]
	v_cndmask_b32_e32 v56, v9, v30, vcc
.LBB6_27:                               ;   in Loop: Header=BB6_11 Depth=1
	s_or_b64 exec, exec, s[28:29]
	v_and_b32_e32 v9, 0xffff0000, v14
	v_add_f32_e32 v57, s33, v9
	v_cmp_ge_f32_e32 vcc, s83, v57
	s_and_b64 s[26:27], s[58:59], vcc
	s_and_saveexec_b64 s[28:29], s[26:27]
	s_cbranch_execz .LBB6_29
; %bb.28:                               ;   in Loop: Header=BB6_11 Depth=1
	v_mul_f32_e32 v9, 0x3fb8aa3b, v57
	v_rndne_f32_e32 v10, v9
	v_sub_f32_e32 v11, v9, v10
	v_fma_f32 v9, v57, s84, -v9
	v_fmac_f32_e32 v9, 0x32a5705f, v57
	v_add_f32_e32 v9, v11, v9
	v_cvt_i32_f32_e32 v10, v10
	v_exp_f32_e32 v9, v9
	v_cmp_ngt_f32_e32 vcc, s85, v57
	v_ldexp_f32 v9, v9, v10
	s_nop 0
	v_cndmask_b32_e32 v9, 0, v9, vcc
	v_cmp_nlt_f32_e32 vcc, s86, v57
	s_nop 1
	v_cndmask_b32_e32 v28, v52, v9, vcc
	v_add_f32_e32 v9, 1.0, v28
	v_add_f32_e32 v10, -1.0, v9
	v_sub_f32_e32 v11, v10, v9
	v_add_f32_e32 v11, 1.0, v11
	v_sub_f32_e32 v10, v28, v10
	v_add_f32_e32 v14, v10, v11
	v_frexp_mant_f32_e32 v16, v9
	v_cvt_f64_f32_e32 v[10:11], v9
	v_frexp_exp_i32_f64_e32 v10, v[10:11]
	v_cmp_gt_f32_e32 vcc, s88, v16
	v_cmp_gt_f32_e64 s[26:27], s90, v28
	s_nop 0
	v_subbrev_co_u32_e32 v22, vcc, 0, v10, vcc
	v_sub_u32_e32 v10, 0, v22
	v_ldexp_f32 v9, v9, v10
	v_ldexp_f32 v10, v14, v10
	v_add_f32_e32 v14, -1.0, v9
	v_add_f32_e32 v11, 1.0, v14
	v_sub_f32_e32 v11, v9, v11
	v_add_f32_e32 v16, v10, v11
	v_add_f32_e32 v11, 1.0, v9
	v_add_f32_e32 v17, -1.0, v11
	v_sub_f32_e32 v9, v9, v17
	v_add_f32_e32 v9, v10, v9
	v_add_f32_e32 v23, v11, v9
	v_rcp_f32_e32 v24, v23
	v_sub_f32_e32 v10, v11, v23
	v_add_f32_e32 v11, v14, v16
	v_add_f32_e32 v9, v9, v10
	v_sub_f32_e32 v10, v14, v11
	v_mul_f32_e32 v25, v11, v24
	v_add_f32_e32 v14, v16, v10
	v_mul_f32_e32 v16, v23, v25
	v_fma_f32 v18, v25, v23, -v16
	v_fmac_f32_e32 v18, v25, v9
	v_add_f32_e32 v10, v16, v18
	v_sub_f32_e32 v17, v11, v10
	v_pk_add_f32 v[20:21], v[10:11], v[16:17] neg_lo:[0,1] neg_hi:[0,1]
	v_mov_b32_e32 v19, v10
	v_pk_add_f32 v[10:11], v[20:21], v[18:19] neg_lo:[0,1] neg_hi:[0,1]
	v_cmp_eq_f32_e32 vcc, s87, v28
	v_add_f32_e32 v11, v14, v11
	v_add_f32_e32 v10, v10, v11
	;; [unrolled: 1-line block ×3, first 2 shown]
	v_mul_f32_e32 v14, v24, v11
	v_mul_f32_e32 v16, v23, v14
	v_fma_f32 v18, v14, v23, -v16
	v_fmac_f32_e32 v18, v14, v9
	v_sub_f32_e32 v9, v17, v11
	v_add_f32_e32 v9, v10, v9
	v_add_f32_e32 v10, v16, v18
	v_sub_f32_e32 v17, v11, v10
	v_pk_add_f32 v[20:21], v[10:11], v[16:17] neg_lo:[0,1] neg_hi:[0,1]
	v_mov_b32_e32 v19, v10
	v_pk_add_f32 v[10:11], v[20:21], v[18:19] neg_lo:[0,1] neg_hi:[0,1]
	s_or_b64 vcc, s[26:27], vcc
	v_add_f32_e32 v9, v9, v11
	v_add_f32_e32 v9, v10, v9
	v_add_f32_e32 v11, v25, v14
	v_add_f32_e32 v9, v17, v9
	v_sub_f32_e32 v10, v11, v25
	v_mul_f32_e32 v9, v24, v9
	v_sub_f32_e32 v10, v14, v10
	v_add_f32_e32 v14, v10, v9
	v_add_f32_e32 v16, v11, v14
	v_cvt_f32_i32_e32 v10, v22
	v_mul_f32_e32 v18, v16, v16
	v_sub_f32_e32 v11, v16, v11
	v_fmamk_f32 v9, v18, 0x3e9b6dac, v51
	v_sub_f32_e32 v11, v14, v11
	v_fmaak_f32 v9, v18, v9, 0x3f2aaada
	v_ldexp_f32 v14, v11, 1
	v_mul_f32_e32 v11, v16, v18
	v_pk_mul_f32 v[18:19], v[10:11], v[8:9]
	v_ldexp_f32 v17, v16, 1
	v_fma_f32 v16, v10, s89, -v18
	v_fmac_f32_e32 v16, 0xb102e308, v10
	v_pk_add_f32 v[10:11], v[18:19], v[16:17]
	v_mov_b32_e32 v20, v18
	v_sub_f32_e32 v9, v11, v17
	v_sub_f32_e32 v9, v19, v9
	v_add_f32_e32 v21, v14, v9
	v_pk_add_f32 v[18:19], v[10:11], v[18:19] neg_lo:[0,1] neg_hi:[0,1]
	v_pk_add_f32 v[22:23], v[10:11], v[20:21]
	v_mov_b32_e32 v17, v10
	v_mov_b32_e32 v19, v23
	v_pk_add_f32 v[24:25], v[16:17], v[18:19] neg_lo:[0,1] neg_hi:[0,1]
	v_pk_add_f32 v[16:17], v[16:17], v[18:19]
	s_nop 0
	v_mov_b32_e32 v14, v17
	v_pk_add_f32 v[18:19], v[14:15], v[10:11] neg_lo:[0,1] neg_hi:[0,1]
	v_mov_b32_e32 v16, v23
	v_mov_b32_e32 v9, v18
	v_pk_add_f32 v[26:27], v[22:23], v[8:9] neg_lo:[0,1] neg_hi:[0,1]
	v_mov_b32_e32 v22, v11
	v_mov_b32_e32 v23, v18
	v_mov_b32_e32 v25, v17
	v_pk_add_f32 v[16:17], v[16:17], v[22:23] neg_lo:[0,1] neg_hi:[0,1]
	v_mov_b32_e32 v18, v21
	v_mov_b32_e32 v19, v10
	v_pk_add_f32 v[10:11], v[18:19], v[16:17] neg_lo:[0,1] neg_hi:[0,1]
	v_mov_b32_e32 v26, v24
	v_pk_add_f32 v[16:17], v[26:27], v[10:11]
	s_nop 0
	v_mov_b32_e32 v18, v17
	v_pk_add_f32 v[18:19], v[16:17], v[18:19]
	s_nop 0
	v_pk_add_f32 v[20:21], v[14:15], v[18:19]
	v_mov_b32_e32 v11, v18
	v_mov_b32_e32 v17, v20
	v_pk_add_f32 v[22:23], v[16:17], v[24:25] neg_lo:[0,1] neg_hi:[0,1]
	s_nop 0
	v_sub_f32_e32 v9, v16, v22
	v_pk_add_f32 v[10:11], v[10:11], v[22:23] neg_lo:[0,1] neg_hi:[0,1]
	v_sub_f32_e32 v9, v24, v9
	v_add_f32_e32 v9, v10, v9
	v_add_f32_e32 v9, v9, v11
	v_add_f32_e32 v9, v20, v9
	v_cndmask_b32_e32 v57, v9, v28, vcc
.LBB6_29:                               ;   in Loop: Header=BB6_11 Depth=1
	s_or_b64 exec, exec, s[28:29]
	v_lshlrev_b32_e32 v9, 16, v15
	v_add_f32_e32 v11, s33, v9
	v_cmp_ge_f32_e32 vcc, s83, v11
	s_and_b64 s[26:27], s[58:59], vcc
	s_and_saveexec_b64 s[28:29], s[26:27]
	s_cbranch_execz .LBB6_31
; %bb.30:                               ;   in Loop: Header=BB6_11 Depth=1
	v_mul_f32_e32 v9, 0x3fb8aa3b, v11
	v_rndne_f32_e32 v10, v9
	v_sub_f32_e32 v14, v9, v10
	v_fma_f32 v9, v11, s84, -v9
	v_fmac_f32_e32 v9, 0x32a5705f, v11
	v_add_f32_e32 v9, v14, v9
	v_cvt_i32_f32_e32 v10, v10
	v_exp_f32_e32 v9, v9
	v_cmp_ngt_f32_e32 vcc, s85, v11
	v_ldexp_f32 v9, v9, v10
	s_nop 0
	v_cndmask_b32_e32 v9, 0, v9, vcc
	v_cmp_nlt_f32_e32 vcc, s86, v11
	s_nop 1
	v_cndmask_b32_e32 v28, v52, v9, vcc
	v_add_f32_e32 v9, 1.0, v28
	v_add_f32_e32 v10, -1.0, v9
	v_sub_f32_e32 v11, v10, v9
	v_add_f32_e32 v11, 1.0, v11
	v_sub_f32_e32 v10, v28, v10
	v_add_f32_e32 v14, v10, v11
	v_frexp_mant_f32_e32 v16, v9
	v_cvt_f64_f32_e32 v[10:11], v9
	v_frexp_exp_i32_f64_e32 v10, v[10:11]
	v_cmp_gt_f32_e32 vcc, s88, v16
	v_cmp_gt_f32_e64 s[26:27], s90, v28
	s_nop 0
	v_subbrev_co_u32_e32 v22, vcc, 0, v10, vcc
	v_sub_u32_e32 v10, 0, v22
	v_ldexp_f32 v9, v9, v10
	v_ldexp_f32 v10, v14, v10
	v_add_f32_e32 v14, -1.0, v9
	v_add_f32_e32 v11, 1.0, v14
	v_sub_f32_e32 v11, v9, v11
	v_add_f32_e32 v16, v10, v11
	v_add_f32_e32 v11, 1.0, v9
	v_add_f32_e32 v17, -1.0, v11
	v_sub_f32_e32 v9, v9, v17
	v_add_f32_e32 v9, v10, v9
	v_add_f32_e32 v23, v11, v9
	v_rcp_f32_e32 v24, v23
	v_sub_f32_e32 v10, v11, v23
	v_add_f32_e32 v11, v14, v16
	v_add_f32_e32 v9, v9, v10
	v_sub_f32_e32 v10, v14, v11
	v_mul_f32_e32 v25, v11, v24
	v_add_f32_e32 v14, v16, v10
	v_mul_f32_e32 v16, v23, v25
	v_fma_f32 v18, v25, v23, -v16
	v_fmac_f32_e32 v18, v25, v9
	v_add_f32_e32 v10, v16, v18
	v_sub_f32_e32 v17, v11, v10
	v_pk_add_f32 v[20:21], v[10:11], v[16:17] neg_lo:[0,1] neg_hi:[0,1]
	v_mov_b32_e32 v19, v10
	v_pk_add_f32 v[10:11], v[20:21], v[18:19] neg_lo:[0,1] neg_hi:[0,1]
	v_cmp_eq_f32_e32 vcc, s87, v28
	v_add_f32_e32 v11, v14, v11
	v_add_f32_e32 v10, v10, v11
	;; [unrolled: 1-line block ×3, first 2 shown]
	v_mul_f32_e32 v14, v24, v11
	v_mul_f32_e32 v16, v23, v14
	v_fma_f32 v18, v14, v23, -v16
	v_fmac_f32_e32 v18, v14, v9
	v_sub_f32_e32 v9, v17, v11
	v_add_f32_e32 v9, v10, v9
	v_add_f32_e32 v10, v16, v18
	v_sub_f32_e32 v17, v11, v10
	v_pk_add_f32 v[20:21], v[10:11], v[16:17] neg_lo:[0,1] neg_hi:[0,1]
	v_mov_b32_e32 v19, v10
	v_pk_add_f32 v[10:11], v[20:21], v[18:19] neg_lo:[0,1] neg_hi:[0,1]
	s_or_b64 vcc, s[26:27], vcc
	v_add_f32_e32 v9, v9, v11
	v_add_f32_e32 v9, v10, v9
	;; [unrolled: 1-line block ×4, first 2 shown]
	v_sub_f32_e32 v10, v11, v25
	v_mul_f32_e32 v9, v24, v9
	v_sub_f32_e32 v10, v14, v10
	v_add_f32_e32 v14, v10, v9
	v_add_f32_e32 v16, v11, v14
	v_cvt_f32_i32_e32 v10, v22
	v_mul_f32_e32 v18, v16, v16
	v_sub_f32_e32 v11, v16, v11
	v_fmamk_f32 v9, v18, 0x3e9b6dac, v51
	v_sub_f32_e32 v11, v14, v11
	v_fmaak_f32 v9, v18, v9, 0x3f2aaada
	v_ldexp_f32 v14, v11, 1
	v_mul_f32_e32 v11, v16, v18
	v_pk_mul_f32 v[18:19], v[10:11], v[8:9]
	v_ldexp_f32 v17, v16, 1
	v_fma_f32 v16, v10, s89, -v18
	v_fmac_f32_e32 v16, 0xb102e308, v10
	v_pk_add_f32 v[10:11], v[18:19], v[16:17]
	v_mov_b32_e32 v20, v18
	v_sub_f32_e32 v9, v11, v17
	v_sub_f32_e32 v9, v19, v9
	v_add_f32_e32 v21, v14, v9
	v_pk_add_f32 v[18:19], v[10:11], v[18:19] neg_lo:[0,1] neg_hi:[0,1]
	v_pk_add_f32 v[22:23], v[10:11], v[20:21]
	v_mov_b32_e32 v17, v10
	v_mov_b32_e32 v19, v23
	v_pk_add_f32 v[24:25], v[16:17], v[18:19] neg_lo:[0,1] neg_hi:[0,1]
	v_pk_add_f32 v[16:17], v[16:17], v[18:19]
	s_nop 0
	v_mov_b32_e32 v14, v17
	v_pk_add_f32 v[18:19], v[14:15], v[10:11] neg_lo:[0,1] neg_hi:[0,1]
	v_mov_b32_e32 v16, v23
	v_mov_b32_e32 v9, v18
	v_pk_add_f32 v[26:27], v[22:23], v[8:9] neg_lo:[0,1] neg_hi:[0,1]
	v_mov_b32_e32 v22, v11
	v_mov_b32_e32 v23, v18
	v_mov_b32_e32 v25, v17
	v_pk_add_f32 v[16:17], v[16:17], v[22:23] neg_lo:[0,1] neg_hi:[0,1]
	v_mov_b32_e32 v18, v21
	v_mov_b32_e32 v19, v10
	v_pk_add_f32 v[10:11], v[18:19], v[16:17] neg_lo:[0,1] neg_hi:[0,1]
	v_mov_b32_e32 v26, v24
	v_pk_add_f32 v[16:17], v[26:27], v[10:11]
	s_nop 0
	v_mov_b32_e32 v18, v17
	v_pk_add_f32 v[18:19], v[16:17], v[18:19]
	s_nop 0
	v_pk_add_f32 v[20:21], v[14:15], v[18:19]
	v_mov_b32_e32 v11, v18
	v_mov_b32_e32 v17, v20
	v_pk_add_f32 v[22:23], v[16:17], v[24:25] neg_lo:[0,1] neg_hi:[0,1]
	s_nop 0
	v_sub_f32_e32 v9, v16, v22
	v_pk_add_f32 v[10:11], v[10:11], v[22:23] neg_lo:[0,1] neg_hi:[0,1]
	v_sub_f32_e32 v9, v24, v9
	v_add_f32_e32 v9, v10, v9
	v_add_f32_e32 v9, v9, v11
	;; [unrolled: 1-line block ×3, first 2 shown]
	v_cndmask_b32_e32 v11, v9, v28, vcc
.LBB6_31:                               ;   in Loop: Header=BB6_11 Depth=1
	s_or_b64 exec, exec, s[28:29]
	v_and_b32_e32 v9, 0xffff0000, v15
	v_add_f32_e32 v10, s33, v9
	v_cmp_ge_f32_e32 vcc, s83, v10
	s_and_b64 s[26:27], s[58:59], vcc
	s_and_saveexec_b64 s[28:29], s[26:27]
	s_cbranch_execz .LBB6_33
; %bb.32:                               ;   in Loop: Header=BB6_11 Depth=1
	v_mul_f32_e32 v9, 0x3fb8aa3b, v10
	v_rndne_f32_e32 v14, v9
	v_sub_f32_e32 v15, v9, v14
	v_fma_f32 v9, v10, s84, -v9
	v_fmac_f32_e32 v9, 0x32a5705f, v10
	v_add_f32_e32 v9, v15, v9
	v_cvt_i32_f32_e32 v14, v14
	v_exp_f32_e32 v9, v9
	v_cmp_ngt_f32_e32 vcc, s85, v10
	v_ldexp_f32 v9, v9, v14
	s_nop 0
	v_cndmask_b32_e32 v9, 0, v9, vcc
	v_cmp_nlt_f32_e32 vcc, s86, v10
	s_nop 1
	v_cndmask_b32_e32 v28, v52, v9, vcc
	v_add_f32_e32 v9, 1.0, v28
	v_add_f32_e32 v10, -1.0, v9
	v_sub_f32_e32 v14, v10, v9
	v_add_f32_e32 v14, 1.0, v14
	v_sub_f32_e32 v10, v28, v10
	v_add_f32_e32 v10, v10, v14
	v_frexp_mant_f32_e32 v16, v9
	v_cvt_f64_f32_e32 v[14:15], v9
	v_frexp_exp_i32_f64_e32 v14, v[14:15]
	v_cmp_gt_f32_e32 vcc, s88, v16
	v_cmp_gt_f32_e64 s[26:27], s90, v28
	s_nop 0
	v_subbrev_co_u32_e32 v22, vcc, 0, v14, vcc
	v_sub_u32_e32 v14, 0, v22
	v_ldexp_f32 v9, v9, v14
	v_ldexp_f32 v10, v10, v14
	v_add_f32_e32 v14, -1.0, v9
	v_add_f32_e32 v15, 1.0, v14
	v_sub_f32_e32 v15, v9, v15
	v_add_f32_e32 v16, v10, v15
	v_add_f32_e32 v15, 1.0, v9
	v_add_f32_e32 v17, -1.0, v15
	v_sub_f32_e32 v9, v9, v17
	v_add_f32_e32 v9, v10, v9
	v_add_f32_e32 v10, v15, v9
	v_rcp_f32_e32 v23, v10
	v_sub_f32_e32 v15, v15, v10
	v_add_f32_e32 v9, v9, v15
	v_add_f32_e32 v15, v14, v16
	v_sub_f32_e32 v14, v14, v15
	v_mul_f32_e32 v25, v15, v23
	v_add_f32_e32 v24, v16, v14
	v_mul_f32_e32 v16, v10, v25
	v_fma_f32 v18, v25, v10, -v16
	v_fmac_f32_e32 v18, v25, v9
	v_add_f32_e32 v14, v16, v18
	v_sub_f32_e32 v17, v15, v14
	v_pk_add_f32 v[20:21], v[14:15], v[16:17] neg_lo:[0,1] neg_hi:[0,1]
	v_mov_b32_e32 v19, v14
	v_pk_add_f32 v[14:15], v[20:21], v[18:19] neg_lo:[0,1] neg_hi:[0,1]
	v_cmp_eq_f32_e32 vcc, s87, v28
	v_add_f32_e32 v15, v24, v15
	v_add_f32_e32 v14, v14, v15
	;; [unrolled: 1-line block ×3, first 2 shown]
	v_mul_f32_e32 v24, v23, v15
	v_mul_f32_e32 v16, v10, v24
	v_fma_f32 v18, v24, v10, -v16
	v_fmac_f32_e32 v18, v24, v9
	v_sub_f32_e32 v9, v17, v15
	v_add_f32_e32 v9, v14, v9
	v_add_f32_e32 v14, v16, v18
	v_sub_f32_e32 v17, v15, v14
	v_pk_add_f32 v[20:21], v[14:15], v[16:17] neg_lo:[0,1] neg_hi:[0,1]
	v_mov_b32_e32 v19, v14
	v_pk_add_f32 v[14:15], v[20:21], v[18:19] neg_lo:[0,1] neg_hi:[0,1]
	v_add_f32_e32 v10, v25, v24
	v_add_f32_e32 v9, v9, v15
	;; [unrolled: 1-line block ×4, first 2 shown]
	v_sub_f32_e32 v14, v10, v25
	v_mul_f32_e32 v9, v23, v9
	v_sub_f32_e32 v14, v24, v14
	v_add_f32_e32 v15, v14, v9
	v_add_f32_e32 v16, v10, v15
	v_cvt_f32_i32_e32 v14, v22
	v_mul_f32_e32 v18, v16, v16
	v_fmamk_f32 v9, v18, 0x3e9b6dac, v51
	v_sub_f32_e32 v10, v16, v10
	v_fmaak_f32 v9, v18, v9, 0x3f2aaada
	v_sub_f32_e32 v10, v15, v10
	v_mul_f32_e32 v15, v16, v18
	v_pk_mul_f32 v[18:19], v[14:15], v[8:9]
	v_ldexp_f32 v17, v16, 1
	v_fma_f32 v16, v14, s89, -v18
	v_fmac_f32_e32 v16, 0xb102e308, v14
	v_pk_add_f32 v[14:15], v[18:19], v[16:17]
	v_ldexp_f32 v10, v10, 1
	v_sub_f32_e32 v9, v15, v17
	v_sub_f32_e32 v9, v19, v9
	v_add_f32_e32 v21, v10, v9
	v_mov_b32_e32 v20, v18
	v_pk_add_f32 v[18:19], v[14:15], v[18:19] neg_lo:[0,1] neg_hi:[0,1]
	v_pk_add_f32 v[22:23], v[14:15], v[20:21]
	v_mov_b32_e32 v17, v14
	v_mov_b32_e32 v19, v23
	v_pk_add_f32 v[24:25], v[16:17], v[18:19] neg_lo:[0,1] neg_hi:[0,1]
	v_pk_add_f32 v[16:17], v[16:17], v[18:19]
	s_or_b64 vcc, s[26:27], vcc
	v_mov_b32_e32 v10, v17
	v_pk_add_f32 v[18:19], v[10:11], v[14:15] neg_lo:[0,1] neg_hi:[0,1]
	v_mov_b32_e32 v16, v23
	v_mov_b32_e32 v9, v18
	v_pk_add_f32 v[26:27], v[22:23], v[8:9] neg_lo:[0,1] neg_hi:[0,1]
	v_mov_b32_e32 v22, v15
	v_mov_b32_e32 v23, v18
	;; [unrolled: 1-line block ×3, first 2 shown]
	v_pk_add_f32 v[16:17], v[16:17], v[22:23] neg_lo:[0,1] neg_hi:[0,1]
	v_mov_b32_e32 v18, v21
	v_mov_b32_e32 v19, v14
	v_pk_add_f32 v[14:15], v[18:19], v[16:17] neg_lo:[0,1] neg_hi:[0,1]
	v_mov_b32_e32 v26, v24
	v_pk_add_f32 v[16:17], v[26:27], v[14:15]
	s_nop 0
	v_mov_b32_e32 v18, v17
	v_pk_add_f32 v[18:19], v[16:17], v[18:19]
	s_nop 0
	v_pk_add_f32 v[20:21], v[10:11], v[18:19]
	v_mov_b32_e32 v15, v18
	v_mov_b32_e32 v17, v20
	v_pk_add_f32 v[22:23], v[16:17], v[24:25] neg_lo:[0,1] neg_hi:[0,1]
	s_nop 0
	v_sub_f32_e32 v9, v16, v22
	v_pk_add_f32 v[14:15], v[14:15], v[22:23] neg_lo:[0,1] neg_hi:[0,1]
	v_sub_f32_e32 v9, v24, v9
	v_add_f32_e32 v9, v14, v9
	v_add_f32_e32 v9, v9, v15
	;; [unrolled: 1-line block ×3, first 2 shown]
	v_cndmask_b32_e32 v10, v9, v28, vcc
.LBB6_33:                               ;   in Loop: Header=BB6_11 Depth=1
	s_or_b64 exec, exec, s[28:29]
	v_lshlrev_b32_e32 v20, 16, v13
	v_and_b32_e32 v9, 0xffff0000, v13
	v_and_b32_e32 v21, 0xffff0000, v12
	v_lshlrev_b32_e32 v22, 16, v12
	v_mul_f32_e32 v14, s78, v20
	v_mul_f32_e32 v13, s78, v21
	v_mul_f32_e32 v12, s78, v22
	v_mul_f32_e32 v15, s78, v9
	s_and_b64 vcc, exec, s[60:61]
	s_waitcnt lgkmcnt(0)
	; wave barrier
	s_cbranch_vccz .LBB6_75
; %bb.34:                               ;   in Loop: Header=BB6_11 Depth=1
	s_cmp_lg_u32 s95, 0
	s_cselect_b64 s[66:67], -1, 0
	s_cmp_eq_u32 s95, s82
	v_cmp_gt_u32_e32 vcc, s34, v7
	s_cselect_b64 s[68:69], -1, 0
	s_or_b64 s[26:27], s[62:63], vcc
	v_cmp_gt_u32_e32 vcc, s34, v6
	s_mov_b32 s54, 0
	v_cmp_gt_u32_e64 s[28:29], s34, v3
	s_or_b64 s[30:31], s[62:63], vcc
	v_cmp_gt_u32_e32 vcc, s34, v50
	v_mul_f32_e32 v9, v10, v9
	v_lshl_add_u64 v[16:17], s[42:43], 0, v[0:1]
	v_lshl_add_u64 v[18:19], s[46:47], 0, v[0:1]
	v_mul_f32_e32 v58, v11, v20
	v_mul_f32_e32 v59, v57, v21
	;; [unrolled: 1-line block ×3, first 2 shown]
	s_or_b64 s[28:29], s[62:63], s[28:29]
	s_or_b64 s[34:35], s[62:63], vcc
	s_mov_b32 s70, s54
	s_mov_b32 s72, s54
	;; [unrolled: 1-line block ×5, first 2 shown]
	s_branch .LBB6_36
.LBB6_35:                               ;   in Loop: Header=BB6_36 Depth=2
	s_or_b64 exec, exec, s[36:37]
	v_mul_f32_e32 v23, v31, v30
	v_fma_f32 v26, v31, v33, v24
	v_cndmask_b32_e64 v24, v26, v24, s[16:17]
	v_cndmask_b32_e64 v23, v23, v31, s[16:17]
	s_waitcnt lgkmcnt(0)
	v_fmac_f32_e32 v24, v22, v23
	v_fmac_f32_e32 v25, v24, v29
	;; [unrolled: 1-line block ×4, first 2 shown]
	v_and_b32_e32 v23, 0xffff0000, v20
	v_and_b32_e32 v27, 0xffff0000, v21
	v_lshlrev_b32_e32 v22, 16, v20
	v_lshlrev_b32_e32 v26, 16, v21
	v_mov_b32_e32 v29, v32
	s_add_i32 s96, s96, 8
	s_add_i32 s65, s65, -1
	s_add_i32 s74, s74, s38
	s_add_i32 s72, s72, s48
	;; [unrolled: 1-line block ×4, first 2 shown]
	v_pk_fma_f32 v[14:15], v[28:29], v[26:27], v[14:15]
	s_cmp_eq_u32 s65, 0
	v_pk_fma_f32 v[12:13], v[24:25], v[22:23], v[12:13]
	s_cbranch_scc1 .LBB6_75
.LBB6_36:                               ;   Parent Loop BB6_11 Depth=1
                                        ; =>  This Inner Loop Header: Depth=2
	s_lshl_b64 s[36:37], s[54:55], 2
	s_add_u32 s36, s40, s36
	s_addc_u32 s37, s80, s37
	global_load_dword v22, v1, s[36:37]
	s_mov_b32 s71, s55
	v_lshl_add_u64 v[20:21], s[70:71], 1, v[16:17]
	v_mov_b32_e32 v23, 0
	v_mov_b32_e32 v24, 0
	s_and_saveexec_b64 s[36:37], s[18:19]
	s_cbranch_execz .LBB6_38
; %bb.37:                               ;   in Loop: Header=BB6_36 Depth=2
	global_load_ushort v24, v[20:21], off
.LBB6_38:                               ;   in Loop: Header=BB6_36 Depth=2
	s_or_b64 exec, exec, s[36:37]
	s_and_saveexec_b64 s[36:37], s[20:21]
	s_cbranch_execz .LBB6_40
; %bb.39:                               ;   in Loop: Header=BB6_36 Depth=2
	global_load_ushort v23, v[20:21], off offset:128
.LBB6_40:                               ;   in Loop: Header=BB6_36 Depth=2
	s_or_b64 exec, exec, s[36:37]
	v_mov_b32_e32 v25, 0
	v_mov_b32_e32 v26, 0
	s_and_saveexec_b64 s[36:37], s[22:23]
	s_cbranch_execz .LBB6_42
; %bb.41:                               ;   in Loop: Header=BB6_36 Depth=2
	global_load_ushort v26, v[20:21], off offset:256
.LBB6_42:                               ;   in Loop: Header=BB6_36 Depth=2
	s_or_b64 exec, exec, s[36:37]
	s_and_saveexec_b64 s[36:37], s[24:25]
	s_cbranch_execz .LBB6_44
; %bb.43:                               ;   in Loop: Header=BB6_36 Depth=2
	global_load_ushort v25, v[20:21], off offset:384
.LBB6_44:                               ;   in Loop: Header=BB6_36 Depth=2
	s_or_b64 exec, exec, s[36:37]
	s_waitcnt vmcnt(0)
	ds_write_b16 v41, v24
	ds_write_b16 v42, v23 offset:128
	ds_write_b16 v43, v26 offset:256
	;; [unrolled: 1-line block ×3, first 2 shown]
	; wave barrier
	ds_read_b64 v[24:25], v45
	s_mov_b32 s73, s55
	v_lshl_add_u64 v[20:21], s[72:73], 1, v[18:19]
	v_mov_b32_e32 v23, 0
	v_mov_b32_e32 v26, 0
	s_and_saveexec_b64 s[36:37], s[18:19]
	s_cbranch_execz .LBB6_46
; %bb.45:                               ;   in Loop: Header=BB6_36 Depth=2
	global_load_ushort v26, v[20:21], off
.LBB6_46:                               ;   in Loop: Header=BB6_36 Depth=2
	s_or_b64 exec, exec, s[36:37]
	s_and_saveexec_b64 s[36:37], s[20:21]
	s_cbranch_execz .LBB6_48
; %bb.47:                               ;   in Loop: Header=BB6_36 Depth=2
	global_load_ushort v23, v[20:21], off offset:128
.LBB6_48:                               ;   in Loop: Header=BB6_36 Depth=2
	s_or_b64 exec, exec, s[36:37]
	v_mov_b32_e32 v27, 0
	v_mov_b32_e32 v28, 0
	s_and_saveexec_b64 s[36:37], s[22:23]
	s_cbranch_execz .LBB6_50
; %bb.49:                               ;   in Loop: Header=BB6_36 Depth=2
	global_load_ushort v28, v[20:21], off offset:256
.LBB6_50:                               ;   in Loop: Header=BB6_36 Depth=2
	s_or_b64 exec, exec, s[36:37]
	s_and_saveexec_b64 s[36:37], s[24:25]
	s_cbranch_execz .LBB6_52
; %bb.51:                               ;   in Loop: Header=BB6_36 Depth=2
	global_load_ushort v27, v[20:21], off offset:384
.LBB6_52:                               ;   in Loop: Header=BB6_36 Depth=2
	s_or_b64 exec, exec, s[36:37]
	s_waitcnt vmcnt(0)
	ds_write_b16 v41, v26 offset:528
	ds_write_b16 v46, v23 offset:128
	;; [unrolled: 1-line block ×4, first 2 shown]
	; wave barrier
	ds_read_b64 v[20:21], v45 offset:528
	s_andn2_b64 vcc, exec, s[66:67]
	s_cbranch_vccnz .LBB6_54
; %bb.53:                               ;   in Loop: Header=BB6_36 Depth=2
	v_mov_b32_e32 v23, s96
	ds_read_b64 v[26:27], v23
	s_waitcnt lgkmcnt(0)
	v_mov_b32_e32 v23, v27
	s_cbranch_execz .LBB6_55
	s_branch .LBB6_58
.LBB6_54:                               ;   in Loop: Header=BB6_36 Depth=2
                                        ; implicit-def: $vgpr26
                                        ; implicit-def: $vgpr23
.LBB6_55:                               ;   in Loop: Header=BB6_36 Depth=2
	s_andn2_b64 vcc, exec, s[52:53]
	v_mov_b32_e32 v23, 0
	s_cbranch_vccnz .LBB6_57
; %bb.56:                               ;   in Loop: Header=BB6_36 Depth=2
	s_mov_b32 s75, s55
	s_lshl_b64 s[36:37], s[74:75], 1
	s_add_u32 s36, s45, s36
	s_addc_u32 s37, s49, s37
	global_load_ushort v23, v1, s[36:37]
	s_waitcnt vmcnt(0)
	v_lshlrev_b32_e32 v23, 16, v23
.LBB6_57:                               ;   in Loop: Header=BB6_36 Depth=2
	v_mov_b32_e32 v26, 1.0
.LBB6_58:                               ;   in Loop: Header=BB6_36 Depth=2
	v_mul_f32_e32 v22, 0x3fb8aa3b, v22
	s_waitcnt lgkmcnt(5)
	v_lshlrev_b32_e32 v27, 16, v24
	v_and_b32_e32 v28, 0xffff0000, v24
	v_mul_f32_e32 v24, v22, v56
	v_cmp_gt_f32_e32 vcc, s92, v24
	v_lshlrev_b32_e32 v29, 16, v25
	v_and_b32_e32 v30, 0xffff0000, v25
	v_cndmask_b32_e32 v24, 0, v53, vcc
	v_fmac_f32_e32 v24, v22, v56
	v_exp_f32_e32 v24, v24
	v_cndmask_b32_e32 v25, 1.0, v54, vcc
	v_pk_mul_f32 v[32:33], v[22:23], v[10:11] op_sel_hi:[0,1]
	v_cmp_gt_f32_e64 s[36:37], s92, v33
	v_mul_f32_e32 v25, v24, v25
	v_mul_f32_e32 v24, v60, v27
	;; [unrolled: 1-line block ×3, first 2 shown]
	v_cmp_gt_f32_e32 vcc, s92, v27
	v_cndmask_b32_e64 v31, 1.0, v25, s[26:27]
	v_cndmask_b32_e64 v24, 0, v24, s[26:27]
	v_cndmask_b32_e32 v27, 0, v53, vcc
	v_fmac_f32_e32 v27, v22, v57
	v_exp_f32_e32 v27, v27
	v_cndmask_b32_e32 v25, 1.0, v54, vcc
	v_mul_f32_e32 v22, v58, v29
	v_cmp_gt_f32_e32 vcc, s92, v32
	v_mul_f32_e32 v27, v27, v25
	v_mul_f32_e32 v25, v59, v28
	v_cndmask_b32_e64 v28, 0, v22, s[30:31]
	v_cndmask_b32_e32 v22, 0, v53, vcc
	v_cndmask_b32_e64 v29, 1.0, v27, s[28:29]
	v_add_f32_e32 v22, v32, v22
	v_cndmask_b32_e64 v27, 0, v53, s[36:37]
	v_exp_f32_e32 v22, v22
	v_add_f32_e32 v27, v33, v27
	v_exp_f32_e32 v27, v27
	v_cndmask_b32_e32 v32, 1.0, v54, vcc
	v_mul_f32_e32 v22, v22, v32
	v_cndmask_b32_e64 v32, 1.0, v54, s[36:37]
	v_cndmask_b32_e64 v25, 0, v25, s[28:29]
	v_mul_f32_e32 v27, v27, v32
	v_mul_f32_e32 v30, v9, v30
	v_cndmask_b32_e64 v35, 1.0, v27, s[30:31]
	v_cndmask_b32_e64 v34, 1.0, v22, s[34:35]
	v_fma_f32 v22, v29, v24, v25
	v_cndmask_b32_e64 v32, 0, v30, s[34:35]
	v_mul_f32_e32 v30, v22, v35
	v_pk_add_f32 v[36:37], v[30:31], v[28:29]
	v_pk_mul_f32 v[62:63], v[30:31], v[28:29]
	v_mov_b32_e32 v33, v34
	v_mov_b32_e32 v37, v63
	v_pk_mul_f32 v[62:63], v[36:37], v[34:35]
	v_pk_fma_f32 v[36:37], v[36:37], v[34:35], v[32:33]
	v_pk_mul_f32 v[62:63], v[62:63], v[32:33]
	s_nop 0
	v_mov_b32_dpp v27, v36 row_shr:1 row_mask:0xf bank_mask:0xf
	v_mov_b32_dpp v22, v63 row_shr:1 row_mask:0xf bank_mask:0xf
	v_mul_f32_e32 v37, v63, v22
	v_fma_f32 v22, v63, v27, v36
	v_cndmask_b32_e64 v33, v22, v36, s[0:1]
	v_cndmask_b32_e64 v22, v22, v36, s[0:1]
	;; [unrolled: 1-line block ×4, first 2 shown]
	v_mov_b32_dpp v37, v22 row_shr:2 row_mask:0xf bank_mask:0xf
	v_mov_b32_dpp v36, v27 row_shr:2 row_mask:0xf bank_mask:0xf
	s_and_saveexec_b64 s[36:37], s[2:3]
; %bb.59:                               ;   in Loop: Header=BB6_36 Depth=2
	v_fmac_f32_e32 v22, v27, v37
	v_mul_f32_e32 v27, v27, v36
	v_mov_b32_e32 v30, v27
	v_mov_b32_e32 v33, v22
; %bb.60:                               ;   in Loop: Header=BB6_36 Depth=2
	s_or_b64 exec, exec, s[36:37]
	v_mov_b32_dpp v36, v27 row_shr:4 row_mask:0xf bank_mask:0xf
	v_mov_b32_dpp v37, v22 row_shr:4 row_mask:0xf bank_mask:0xf
	s_and_saveexec_b64 s[36:37], s[4:5]
; %bb.61:                               ;   in Loop: Header=BB6_36 Depth=2
	v_fmac_f32_e32 v22, v27, v37
	v_mul_f32_e32 v27, v27, v36
	v_mov_b32_e32 v30, v27
	v_mov_b32_e32 v33, v22
; %bb.62:                               ;   in Loop: Header=BB6_36 Depth=2
	s_or_b64 exec, exec, s[36:37]
	;; [unrolled: 10-line block ×3, first 2 shown]
	v_mov_b32_dpp v36, v27 row_bcast:15 row_mask:0xf bank_mask:0xf
	v_mov_b32_dpp v37, v22 row_bcast:15 row_mask:0xf bank_mask:0xf
	s_and_saveexec_b64 s[36:37], s[8:9]
; %bb.65:                               ;   in Loop: Header=BB6_36 Depth=2
	v_fmac_f32_e32 v22, v27, v37
	v_mul_f32_e32 v27, v27, v36
	v_mov_b32_e32 v30, v27
	v_mov_b32_e32 v33, v22
; %bb.66:                               ;   in Loop: Header=BB6_36 Depth=2
	s_or_b64 exec, exec, s[36:37]
	v_mov_b32_dpp v36, v27 row_bcast:31 row_mask:0xf bank_mask:0xf
	v_mov_b32_dpp v37, v22 row_bcast:31 row_mask:0xf bank_mask:0xf
	v_mul_f32_e32 v36, v27, v36
	v_fmac_f32_e32 v22, v27, v37
	v_cndmask_b32_e64 v36, v30, v36, s[10:11]
	v_cndmask_b32_e64 v37, v33, v22, s[10:11]
	s_and_saveexec_b64 s[36:37], s[12:13]
	s_cbranch_execz .LBB6_68
; %bb.67:                               ;   in Loop: Header=BB6_36 Depth=2
	ds_write_b64 v1, v[36:37] offset:1056
.LBB6_68:                               ;   in Loop: Header=BB6_36 Depth=2
	s_or_b64 exec, exec, s[36:37]
	ds_bpermute_b32 v30, v49, v36
	ds_bpermute_b32 v33, v49, v37
	s_waitcnt lgkmcnt(0)
	; wave barrier
	s_waitcnt lgkmcnt(0)
	s_and_saveexec_b64 s[36:37], s[14:15]
	s_cbranch_execz .LBB6_72
; %bb.69:                               ;   in Loop: Header=BB6_36 Depth=2
	ds_read_b64 v[36:37], v1 offset:1056
	s_and_saveexec_b64 s[76:77], s[16:17]
	s_cbranch_execz .LBB6_71
; %bb.70:                               ;   in Loop: Header=BB6_36 Depth=2
	v_mov_b32_e32 v27, v23
	ds_write_b64 v1, v[26:27] offset:1056
.LBB6_71:                               ;   in Loop: Header=BB6_36 Depth=2
	s_or_b64 exec, exec, s[76:77]
	s_waitcnt lgkmcnt(0)
	v_mul_f32_e32 v27, v36, v23
	v_pk_add_f32 v[22:23], v[26:27], v[36:37]
	v_mul_f32_e32 v26, v26, v36
.LBB6_72:                               ;   in Loop: Header=BB6_36 Depth=2
	s_or_b64 exec, exec, s[36:37]
	s_waitcnt lgkmcnt(0)
	; wave barrier
	ds_read_b32 v22, v1 offset:1060
	s_and_saveexec_b64 s[36:37], s[16:17]
	s_cbranch_execz .LBB6_35
; %bb.73:                               ;   in Loop: Header=BB6_36 Depth=2
	v_mov_b32_e32 v27, v23
	v_mov_b32_e32 v36, s96
	s_andn2_b64 vcc, exec, s[68:69]
	ds_write_b64 v36, v[26:27]
	s_cbranch_vccnz .LBB6_35
; %bb.74:                               ;   in Loop: Header=BB6_36 Depth=2
	v_bfe_u32 v26, v23, 16, 1
	s_mov_b32 s75, s55
	v_add3_u32 v26, v23, v26, s93
	s_lshl_b64 s[76:77], s[74:75], 1
	v_lshrrev_b32_e32 v26, 16, v26
	v_cmp_o_f32_e32 vcc, v23, v23
	s_add_u32 s76, s45, s76
	s_addc_u32 s77, s49, s77
	v_cndmask_b32_e32 v23, v55, v26, vcc
	global_store_short v1, v23, s[76:77]
	s_branch .LBB6_35
.LBB6_75:                               ;   in Loop: Header=BB6_11 Depth=1
	v_bfe_u32 v9, v14, 16, 1
	v_bfe_u32 v10, v15, 16, 1
	v_add3_u32 v9, v14, v9, s93
	v_bfe_u32 v11, v12, 16, 1
	v_add3_u32 v10, v15, v10, s93
	v_lshrrev_b32_e32 v9, 16, v9
	v_cmp_o_f32_e32 vcc, v14, v14
	v_bfe_u32 v16, v13, 16, 1
	v_add3_u32 v11, v12, v11, s93
	v_lshrrev_b32_e32 v10, 16, v10
	v_cndmask_b32_e32 v9, v55, v9, vcc
	v_cmp_o_f32_e32 vcc, v15, v15
	v_add3_u32 v16, v13, v16, s93
	v_lshrrev_b32_e32 v17, 16, v11
	v_cndmask_b32_e32 v10, v55, v10, vcc
	v_cmp_o_f32_e32 vcc, v12, v12
	v_lshrrev_b32_e32 v16, 16, v16
	v_perm_b32 v11, v10, v9, s94
	v_cndmask_b32_e32 v9, v55, v17, vcc
	v_cmp_o_f32_e32 vcc, v13, v13
	s_waitcnt lgkmcnt(0)
	; wave barrier
	s_nop 0
	v_cndmask_b32_e32 v10, v55, v16, vcc
	v_perm_b32 v10, v10, v9, s94
	ds_write_b64 v45, v[10:11]
	; wave barrier
	ds_read_u16 v13, v42 offset:128
	ds_read_u16 v12, v43 offset:256
	;; [unrolled: 1-line block ×3, first 2 shown]
	s_mov_b32 s65, s55
	v_lshl_add_u64 v[10:11], s[64:65], 1, v[4:5]
	s_and_saveexec_b64 s[26:27], s[18:19]
	s_cbranch_execnz .LBB6_81
; %bb.76:                               ;   in Loop: Header=BB6_11 Depth=1
	s_or_b64 exec, exec, s[26:27]
	s_and_saveexec_b64 s[18:19], s[20:21]
	s_cbranch_execnz .LBB6_82
.LBB6_77:                               ;   in Loop: Header=BB6_11 Depth=1
	s_or_b64 exec, exec, s[18:19]
	s_and_saveexec_b64 s[18:19], s[22:23]
	s_cbranch_execnz .LBB6_83
.LBB6_78:                               ;   in Loop: Header=BB6_11 Depth=1
	s_or_b64 exec, exec, s[18:19]
	s_and_saveexec_b64 s[18:19], s[24:25]
	s_cbranch_execz .LBB6_10
	s_branch .LBB6_84
.LBB6_79:                               ;   in Loop: Header=BB6_11 Depth=1
	global_load_ushort v15, v[10:11], off offset:128
	s_or_b64 exec, exec, s[26:27]
	s_and_saveexec_b64 s[26:27], s[22:23]
	s_cbranch_execz .LBB6_23
.LBB6_80:                               ;   in Loop: Header=BB6_11 Depth=1
	global_load_ushort v14, v[10:11], off offset:256
	s_or_b64 exec, exec, s[26:27]
	v_mov_b32_e32 v16, 0
	s_and_saveexec_b64 s[26:27], s[24:25]
	s_cbranch_execnz .LBB6_24
	s_branch .LBB6_25
.LBB6_81:                               ;   in Loop: Header=BB6_11 Depth=1
	ds_read_u16 v14, v41
	s_waitcnt lgkmcnt(0)
	global_store_short v[10:11], v14, off
	s_or_b64 exec, exec, s[26:27]
	s_and_saveexec_b64 s[18:19], s[20:21]
	s_cbranch_execz .LBB6_77
.LBB6_82:                               ;   in Loop: Header=BB6_11 Depth=1
	s_waitcnt lgkmcnt(2)
	global_store_short v[10:11], v13, off offset:128
	s_or_b64 exec, exec, s[18:19]
	s_and_saveexec_b64 s[18:19], s[22:23]
	s_cbranch_execz .LBB6_78
.LBB6_83:                               ;   in Loop: Header=BB6_11 Depth=1
	s_waitcnt lgkmcnt(1)
	global_store_short v[10:11], v12, off offset:256
	s_or_b64 exec, exec, s[18:19]
	s_and_saveexec_b64 s[18:19], s[24:25]
	s_cbranch_execz .LBB6_10
.LBB6_84:                               ;   in Loop: Header=BB6_11 Depth=1
	s_waitcnt lgkmcnt(0)
	global_store_short v[10:11], v9, off offset:384
	s_branch .LBB6_10
.LBB6_85:
	s_endpgm
.LBB6_86:
	s_mov_b64 s[52:53], 0
	s_load_dwordx2 s[4:5], s[0:1], 0x20
	s_cmp_eq_u64 s[6:7], 0
	s_cbranch_scc0 .LBB6_2
	s_branch .LBB6_3
	.section	.rodata,"a",@progbits
	.p2align	6, 0x0
	.amdhsa_kernel _Z25selective_scan_fwd_kernelI32Selective_Scan_fwd_kernel_traitsILi64ELi4ELi1ELb0ELb1ELb1ELb0ELb1EN3c108BFloat16EfS2_EEv13SSMParamsBase
		.amdhsa_group_segment_fixed_size 0
		.amdhsa_private_segment_fixed_size 0
		.amdhsa_kernarg_size 248
		.amdhsa_user_sgpr_count 2
		.amdhsa_user_sgpr_dispatch_ptr 0
		.amdhsa_user_sgpr_queue_ptr 0
		.amdhsa_user_sgpr_kernarg_segment_ptr 1
		.amdhsa_user_sgpr_dispatch_id 0
		.amdhsa_user_sgpr_kernarg_preload_length 0
		.amdhsa_user_sgpr_kernarg_preload_offset 0
		.amdhsa_user_sgpr_private_segment_size 0
		.amdhsa_uses_dynamic_stack 0
		.amdhsa_enable_private_segment 0
		.amdhsa_system_sgpr_workgroup_id_x 1
		.amdhsa_system_sgpr_workgroup_id_y 1
		.amdhsa_system_sgpr_workgroup_id_z 0
		.amdhsa_system_sgpr_workgroup_info 0
		.amdhsa_system_vgpr_workitem_id 0
		.amdhsa_next_free_vgpr 64
		.amdhsa_next_free_sgpr 97
		.amdhsa_accum_offset 64
		.amdhsa_reserve_vcc 1
		.amdhsa_float_round_mode_32 0
		.amdhsa_float_round_mode_16_64 0
		.amdhsa_float_denorm_mode_32 3
		.amdhsa_float_denorm_mode_16_64 3
		.amdhsa_dx10_clamp 1
		.amdhsa_ieee_mode 1
		.amdhsa_fp16_overflow 0
		.amdhsa_tg_split 0
		.amdhsa_exception_fp_ieee_invalid_op 0
		.amdhsa_exception_fp_denorm_src 0
		.amdhsa_exception_fp_ieee_div_zero 0
		.amdhsa_exception_fp_ieee_overflow 0
		.amdhsa_exception_fp_ieee_underflow 0
		.amdhsa_exception_fp_ieee_inexact 0
		.amdhsa_exception_int_div_zero 0
	.end_amdhsa_kernel
	.section	.text._Z25selective_scan_fwd_kernelI32Selective_Scan_fwd_kernel_traitsILi64ELi4ELi1ELb0ELb1ELb1ELb0ELb1EN3c108BFloat16EfS2_EEv13SSMParamsBase,"axG",@progbits,_Z25selective_scan_fwd_kernelI32Selective_Scan_fwd_kernel_traitsILi64ELi4ELi1ELb0ELb1ELb1ELb0ELb1EN3c108BFloat16EfS2_EEv13SSMParamsBase,comdat
.Lfunc_end6:
	.size	_Z25selective_scan_fwd_kernelI32Selective_Scan_fwd_kernel_traitsILi64ELi4ELi1ELb0ELb1ELb1ELb0ELb1EN3c108BFloat16EfS2_EEv13SSMParamsBase, .Lfunc_end6-_Z25selective_scan_fwd_kernelI32Selective_Scan_fwd_kernel_traitsILi64ELi4ELi1ELb0ELb1ELb1ELb0ELb1EN3c108BFloat16EfS2_EEv13SSMParamsBase
                                        ; -- End function
	.section	.AMDGPU.csdata,"",@progbits
; Kernel info:
; codeLenInByte = 6228
; NumSgprs: 103
; NumVgprs: 64
; NumAgprs: 0
; TotalNumVgprs: 64
; ScratchSize: 0
; MemoryBound: 0
; FloatMode: 240
; IeeeMode: 1
; LDSByteSize: 0 bytes/workgroup (compile time only)
; SGPRBlocks: 12
; VGPRBlocks: 7
; NumSGPRsForWavesPerEU: 103
; NumVGPRsForWavesPerEU: 64
; AccumOffset: 64
; Occupancy: 7
; WaveLimiterHint : 1
; COMPUTE_PGM_RSRC2:SCRATCH_EN: 0
; COMPUTE_PGM_RSRC2:USER_SGPR: 2
; COMPUTE_PGM_RSRC2:TRAP_HANDLER: 0
; COMPUTE_PGM_RSRC2:TGID_X_EN: 1
; COMPUTE_PGM_RSRC2:TGID_Y_EN: 1
; COMPUTE_PGM_RSRC2:TGID_Z_EN: 0
; COMPUTE_PGM_RSRC2:TIDIG_COMP_CNT: 0
; COMPUTE_PGM_RSRC3_GFX90A:ACCUM_OFFSET: 15
; COMPUTE_PGM_RSRC3_GFX90A:TG_SPLIT: 0
	.section	.text._Z25selective_scan_fwd_kernelI32Selective_Scan_fwd_kernel_traitsILi64ELi4ELi1ELb0ELb1ELb1ELb0ELb0EN3c108BFloat16EfS2_EEv13SSMParamsBase,"axG",@progbits,_Z25selective_scan_fwd_kernelI32Selective_Scan_fwd_kernel_traitsILi64ELi4ELi1ELb0ELb1ELb1ELb0ELb0EN3c108BFloat16EfS2_EEv13SSMParamsBase,comdat
	.protected	_Z25selective_scan_fwd_kernelI32Selective_Scan_fwd_kernel_traitsILi64ELi4ELi1ELb0ELb1ELb1ELb0ELb0EN3c108BFloat16EfS2_EEv13SSMParamsBase ; -- Begin function _Z25selective_scan_fwd_kernelI32Selective_Scan_fwd_kernel_traitsILi64ELi4ELi1ELb0ELb1ELb1ELb0ELb0EN3c108BFloat16EfS2_EEv13SSMParamsBase
	.globl	_Z25selective_scan_fwd_kernelI32Selective_Scan_fwd_kernel_traitsILi64ELi4ELi1ELb0ELb1ELb1ELb0ELb0EN3c108BFloat16EfS2_EEv13SSMParamsBase
	.p2align	8
	.type	_Z25selective_scan_fwd_kernelI32Selective_Scan_fwd_kernel_traitsILi64ELi4ELi1ELb0ELb1ELb1ELb0ELb0EN3c108BFloat16EfS2_EEv13SSMParamsBase,@function
_Z25selective_scan_fwd_kernelI32Selective_Scan_fwd_kernel_traitsILi64ELi4ELi1ELb0ELb1ELb1ELb0ELb0EN3c108BFloat16EfS2_EEv13SSMParamsBase: ; @_Z25selective_scan_fwd_kernelI32Selective_Scan_fwd_kernel_traitsILi64ELi4ELi1ELb0ELb1ELb1ELb0ELb0EN3c108BFloat16EfS2_EEv13SSMParamsBase
; %bb.0:
	s_load_dword s25, s[0:1], 0x18
	s_load_dwordx4 s[4:7], s[0:1], 0xe8
	s_mov_b32 s20, s3
	s_waitcnt lgkmcnt(0)
	s_abs_i32 s24, s25
	v_cvt_f32_u32_e32 v1, s24
	s_cmp_eq_u64 s[6:7], 0
	v_rcp_iflag_f32_e32 v1, v1
	s_nop 0
	v_mul_f32_e32 v1, 0x4f7ffffe, v1
	v_cvt_u32_f32_e32 v1, v1
	s_nop 0
	v_readfirstlane_b32 s26, v1
	s_cbranch_scc1 .LBB7_3
; %bb.1:
	s_ashr_i32 s3, s2, 31
	s_add_u32 s6, s6, s2
	s_addc_u32 s7, s7, s3
	v_mov_b32_e32 v1, 0
	global_load_ubyte v1, v1, s[6:7]
	s_waitcnt vmcnt(0)
	v_and_b32_e32 v1, 1, v1
	v_cmp_eq_u32_e64 s[52:53], 1, v1
	s_load_dwordx2 s[6:7], s[0:1], 0x20
	s_cmp_eq_u64 s[4:5], 0
	s_cbranch_scc1 .LBB7_4
.LBB7_2:
	s_ashr_i32 s3, s2, 31
	s_lshl_b64 s[8:9], s[2:3], 2
	s_add_u32 s4, s4, s8
	s_addc_u32 s5, s5, s9
	s_load_dword s22, s[4:5], 0x0
	s_waitcnt lgkmcnt(0)
	s_ashr_i32 s23, s22, 31
	s_cmp_eq_u64 s[6:7], s[22:23]
	s_cbranch_scc0 .LBB7_5
	s_branch .LBB7_86
.LBB7_3:
	s_mov_b64 s[52:53], 0
	s_load_dwordx2 s[6:7], s[0:1], 0x20
	s_cmp_eq_u64 s[4:5], 0
	s_cbranch_scc0 .LBB7_2
.LBB7_4:
	s_mov_b32 s22, s2
	s_ashr_i32 s23, s22, 31
	s_waitcnt lgkmcnt(0)
	s_cmp_eq_u64 s[6:7], s[22:23]
	s_cbranch_scc1 .LBB7_86
.LBB7_5:
	s_load_dwordx16 s[4:19], s[0:1], 0x88
	s_load_dwordx2 s[54:55], s[0:1], 0x8
	s_mov_b32 s33, 0
	s_mov_b32 s80, 0
	s_waitcnt lgkmcnt(0)
	s_cmp_eq_u64 s[10:11], 0
	s_cbranch_scc1 .LBB7_7
; %bb.6:
	s_ashr_i32 s21, s20, 31
	s_lshl_b64 s[28:29], s[20:21], 2
	s_add_u32 s10, s10, s28
	s_addc_u32 s11, s11, s29
	s_load_dword s80, s[10:11], 0x0
.LBB7_7:
	s_cmp_eq_u64 s[16:17], 0
	s_cbranch_scc1 .LBB7_9
; %bb.8:
	s_ashr_i32 s21, s20, 31
	s_lshl_b64 s[10:11], s[20:21], 2
	s_add_u32 s10, s16, s10
	s_addc_u32 s11, s17, s11
	s_load_dword s33, s[10:11], 0x0
.LBB7_9:
	s_cmp_lt_i32 s54, 1
	s_cbranch_scc1 .LBB7_86
; %bb.10:
	s_sub_i32 s3, 0, s24
	s_mul_i32 s3, s3, s26
	s_mul_hi_u32 s3, s26, s3
	s_abs_i32 s21, s20
	s_add_i32 s3, s26, s3
	s_load_dwordx8 s[40:47], s[0:1], 0x2c
	s_load_dwordx2 s[16:17], s[0:1], 0x5c
	s_load_dwordx4 s[48:51], s[0:1], 0x4c
	s_load_dwordx4 s[36:39], s[0:1], 0x7c
	s_load_dwordx2 s[10:11], s[0:1], 0x6c
	s_load_dwordx2 s[26:27], s[0:1], 0xc8
	s_mul_hi_u32 s3, s21, s3
	s_load_dword s23, s[0:1], 0x28
	s_ashr_i32 s0, s20, 31
	s_ashr_i32 s1, s25, 31
	s_xor_b32 s0, s0, s1
	s_mul_i32 s1, s3, s24
	s_sub_i32 s1, s21, s1
	s_add_i32 s21, s3, 1
	s_sub_i32 s25, s1, s24
	s_cmp_ge_u32 s1, s24
	s_cselect_b32 s3, s21, s3
	s_cselect_b32 s1, s25, s1
	s_add_i32 s21, s3, 1
	s_cmp_ge_u32 s1, s24
	s_cselect_b32 s1, s21, s3
	s_xor_b32 s1, s1, s0
	s_waitcnt lgkmcnt(0)
	s_mul_i32 s56, s50, s2
	s_mov_b32 s57, 0
	s_sub_i32 s3, s1, s0
	s_lshl_b64 s[0:1], s[56:57], 1
	s_add_u32 s12, s12, s0
	s_mul_i32 s56, s51, s20
	s_addc_u32 s13, s13, s1
	s_lshl_b64 s[0:1], s[56:57], 1
	s_add_u32 s50, s12, s0
	s_mul_i32 s56, s16, s2
	s_addc_u32 s51, s13, s1
	;; [unrolled: 4-line block ×9, first 2 shown]
	s_lshl_b64 s[0:1], s[56:57], 1
	s_add_u32 s3, s26, s0
	s_mul_i32 s56, s37, s20
	v_mbcnt_lo_u32_b32 v2, -1, 0
	s_addc_u32 s4, s27, s1
	s_lshl_b64 s[0:1], s[56:57], 1
	v_mbcnt_hi_u32_b32 v2, -1, v2
	s_add_u32 s45, s3, s0
	v_lshrrev_b32_e32 v3, 5, v2
	s_addc_u32 s49, s4, s1
	s_add_i32 s0, s54, 0x7ff
	v_and_b32_e32 v3, 2, v3
	s_lshr_b32 s81, s0, 11
	v_add_u32_e32 v38, 64, v2
	v_or_b32_e32 v39, 0x80, v2
	v_add_u32_e32 v40, 0xc0, v2
	v_add_u32_e32 v3, v3, v2
	v_lshl_add_u32 v41, v3, 1, 0
	v_lshrrev_b32_e32 v3, 5, v38
	v_lshrrev_b32_e32 v4, 5, v39
	;; [unrolled: 1-line block ×3, first 2 shown]
	s_bitcmp1_b32 s23, 0
	v_and_b32_e32 v3, 6, v3
	v_and_b32_e32 v4, 6, v4
	v_and_b32_e32 v5, 14, v5
	s_cselect_b64 s[60:61], -1, 0
	s_cmp_gt_i32 s55, 0
	v_add_lshl_u32 v3, v3, v2, 1
	v_add_lshl_u32 v4, v4, v2, 1
	;; [unrolled: 1-line block ×3, first 2 shown]
	s_cselect_b64 s[62:63], -1, 0
	s_add_i32 s0, 0, 0x210
	s_mul_i32 s56, s10, s2
	v_add_u32_e32 v46, s0, v3
	v_add_u32_e32 v47, s0, v4
	;; [unrolled: 1-line block ×3, first 2 shown]
	s_and_b32 s3, s54, 0xff
	s_add_i32 s82, s81, -1
	s_lshl_b64 s[0:1], s[56:57], 1
	s_add_u32 s2, s18, s0
	s_mul_i32 s56, s11, s20
	s_addc_u32 s4, s19, s1
	s_lshl_b64 s[0:1], s[56:57], 1
	s_add_u32 s18, s2, s0
	v_add_u32_e32 v42, 0, v3
	s_addc_u32 s19, s4, s1
	v_and_b32_e32 v3, 15, v2
	s_cmp_eq_u32 s3, 0
	v_cmp_eq_u32_e64 s[0:1], 0, v3
	v_cmp_lt_u32_e64 s[2:3], 1, v3
	v_cmp_lt_u32_e64 s[4:5], 3, v3
	;; [unrolled: 1-line block ×3, first 2 shown]
	v_and_b32_e32 v3, 16, v2
	v_add_u32_e32 v43, 0, v4
	v_lshrrev_b32_e32 v6, 3, v2
	v_cmp_ne_u32_e64 s[8:9], 0, v3
	v_add_u32_e32 v3, -1, v2
	v_and_b32_e32 v4, 64, v2
	v_and_b32_e32 v6, 14, v6
	v_cmp_lt_i32_e32 vcc, v3, v4
	v_mov_b32_e32 v1, 0
	v_lshlrev_b32_e32 v7, 2, v0
	v_lshl_add_u32 v6, v2, 2, v6
	v_cmp_eq_u32_e64 s[12:13], 63, v0
	v_cndmask_b32_e32 v3, v3, v2, vcc
	v_cmp_gt_u32_e64 s[14:15], 64, v0
	v_cmp_eq_u32_e64 s[16:17], 0, v0
	v_lshlrev_b32_e32 v0, 1, v2
                                        ; implicit-def: $vgpr8
	v_add_u32_e32 v44, 0, v5
	v_lshl_add_u32 v45, v6, 1, 0
	s_cselect_b64 s[64:65], -1, 0
	v_cmp_lt_u32_e64 s[10:11], 31, v2
	v_lshlrev_b32_e32 v49, 2, v3
	v_lshl_add_u64 v[4:5], s[18:19], 0, v[0:1]
	v_or_b32_e32 v3, 1, v7
	v_or_b32_e32 v6, 2, v7
	;; [unrolled: 1-line block ×3, first 2 shown]
	v_lshlrev_b32_e32 v0, 1, v2
	s_mov_b32 s83, 0x41a00000
	s_mov_b32 s84, 0x3fb8aa3b
	;; [unrolled: 1-line block ×6, first 2 shown]
	v_mov_b32_e32 v51, 0x3ecc95a3
	s_mov_b32 s89, 0x3f317218
	s_mov_b32 s90, 0x33800000
	s_add_i32 s91, 0, 0x428
	s_mov_b32 s92, 0xc2fc0000
	s_movk_i32 s93, 0x7fff
	s_mov_b32 s94, 0x5040100
	v_mov_b32_e32 v52, 0x7f800000
	v_mov_b32_e32 v8, 0x3f317218
	v_mov_b32_e32 v53, 0x42800000
	v_mov_b32_e32 v54, 0x1f800000
	v_mov_b32_e32 v55, 0x7fc0
	s_mov_b32 s95, 0
	s_branch .LBB7_12
.LBB7_11:                               ;   in Loop: Header=BB7_12 Depth=1
	s_or_b64 exec, exec, s[18:19]
	s_add_u32 s58, s58, 0x200
	s_addc_u32 s59, s59, 0
	s_add_u32 s50, s50, 0x200
	s_addc_u32 s51, s51, 0
	;; [unrolled: 2-line block ×4, first 2 shown]
	s_add_i32 s95, s95, 1
	s_cmp_eq_u32 s95, s81
	s_cbranch_scc1 .LBB7_86
.LBB7_12:                               ; =>This Loop Header: Depth=1
                                        ;     Child Loop BB7_37 Depth 2
	s_lshl_b32 s66, s95, 8
	s_sub_i32 s34, s54, s66
	v_lshl_add_u64 v[10:11], s[50:51], 0, v[0:1]
	v_cmp_gt_u32_e64 s[18:19], s34, v2
	s_waitcnt lgkmcnt(1)
	v_mov_b32_e32 v12, 0
	s_waitcnt lgkmcnt(0)
	; wave barrier
	s_and_saveexec_b64 s[20:21], s[18:19]
	s_cbranch_execz .LBB7_14
; %bb.13:                               ;   in Loop: Header=BB7_12 Depth=1
	global_load_ushort v12, v[10:11], off
.LBB7_14:                               ;   in Loop: Header=BB7_12 Depth=1
	s_or_b64 exec, exec, s[20:21]
	v_cmp_gt_u32_e64 s[20:21], s34, v38
	v_mov_b32_e32 v13, 0
	v_mov_b32_e32 v14, 0
	s_and_saveexec_b64 s[22:23], s[20:21]
	s_cbranch_execz .LBB7_16
; %bb.15:                               ;   in Loop: Header=BB7_12 Depth=1
	global_load_ushort v14, v[10:11], off offset:128
.LBB7_16:                               ;   in Loop: Header=BB7_12 Depth=1
	s_or_b64 exec, exec, s[22:23]
	v_cmp_gt_u32_e64 s[22:23], s34, v39
	s_and_saveexec_b64 s[24:25], s[22:23]
	s_cbranch_execz .LBB7_18
; %bb.17:                               ;   in Loop: Header=BB7_12 Depth=1
	global_load_ushort v13, v[10:11], off offset:256
.LBB7_18:                               ;   in Loop: Header=BB7_12 Depth=1
	s_or_b64 exec, exec, s[24:25]
	v_cmp_gt_u32_e64 s[24:25], s34, v40
	s_waitcnt lgkmcnt(0)
	v_mov_b32_e32 v9, 0
	v_mov_b32_e32 v15, 0
	s_and_saveexec_b64 s[26:27], s[24:25]
	s_cbranch_execz .LBB7_20
; %bb.19:                               ;   in Loop: Header=BB7_12 Depth=1
	global_load_ushort v15, v[10:11], off offset:384
.LBB7_20:                               ;   in Loop: Header=BB7_12 Depth=1
	s_or_b64 exec, exec, s[26:27]
	s_waitcnt vmcnt(0)
	ds_write_b16 v41, v12
	ds_write_b16 v42, v14 offset:128
	ds_write_b16 v43, v13 offset:256
	;; [unrolled: 1-line block ×3, first 2 shown]
	; wave barrier
	ds_read_b64 v[12:13], v45
	v_lshl_add_u64 v[10:11], s[58:59], 0, v[0:1]
	s_waitcnt lgkmcnt(0)
	; wave barrier
	s_waitcnt lgkmcnt(0)
	s_and_saveexec_b64 s[26:27], s[18:19]
	s_cbranch_execz .LBB7_22
; %bb.21:                               ;   in Loop: Header=BB7_12 Depth=1
	global_load_ushort v9, v[10:11], off
.LBB7_22:                               ;   in Loop: Header=BB7_12 Depth=1
	s_or_b64 exec, exec, s[26:27]
	v_mov_b32_e32 v14, 0
	v_mov_b32_e32 v15, 0
	s_and_saveexec_b64 s[26:27], s[20:21]
	s_cbranch_execnz .LBB7_80
; %bb.23:                               ;   in Loop: Header=BB7_12 Depth=1
	s_or_b64 exec, exec, s[26:27]
	s_and_saveexec_b64 s[26:27], s[22:23]
	s_cbranch_execnz .LBB7_81
.LBB7_24:                               ;   in Loop: Header=BB7_12 Depth=1
	s_or_b64 exec, exec, s[26:27]
	v_mov_b32_e32 v16, 0
	s_and_saveexec_b64 s[26:27], s[24:25]
	s_cbranch_execz .LBB7_26
.LBB7_25:                               ;   in Loop: Header=BB7_12 Depth=1
	global_load_ushort v16, v[10:11], off offset:384
.LBB7_26:                               ;   in Loop: Header=BB7_12 Depth=1
	s_or_b64 exec, exec, s[26:27]
	s_waitcnt vmcnt(0)
	ds_write_b16 v41, v9
	ds_write_b16 v42, v15 offset:128
	ds_write_b16 v43, v14 offset:256
	;; [unrolled: 1-line block ×3, first 2 shown]
	; wave barrier
	ds_read_b64 v[14:15], v45
	s_waitcnt lgkmcnt(0)
	v_lshlrev_b32_e32 v9, 16, v14
	v_add_f32_e32 v56, s33, v9
	v_cmp_ge_f32_e32 vcc, s83, v56
	s_and_b64 s[26:27], s[60:61], vcc
	s_and_saveexec_b64 s[28:29], s[26:27]
	s_cbranch_execz .LBB7_28
; %bb.27:                               ;   in Loop: Header=BB7_12 Depth=1
	v_mul_f32_e32 v9, 0x3fb8aa3b, v56
	v_rndne_f32_e32 v10, v9
	v_sub_f32_e32 v11, v9, v10
	v_fma_f32 v9, v56, s84, -v9
	v_fmac_f32_e32 v9, 0x32a5705f, v56
	v_add_f32_e32 v9, v11, v9
	v_cvt_i32_f32_e32 v10, v10
	v_exp_f32_e32 v9, v9
	v_cmp_ngt_f32_e32 vcc, s85, v56
	v_ldexp_f32 v9, v9, v10
	s_nop 0
	v_cndmask_b32_e32 v9, 0, v9, vcc
	v_cmp_nlt_f32_e32 vcc, s86, v56
	s_nop 1
	v_cndmask_b32_e32 v30, v52, v9, vcc
	v_add_f32_e32 v9, 1.0, v30
	v_add_f32_e32 v10, -1.0, v9
	v_sub_f32_e32 v11, v10, v9
	v_add_f32_e32 v11, 1.0, v11
	v_sub_f32_e32 v10, v30, v10
	v_add_f32_e32 v16, v10, v11
	v_frexp_mant_f32_e32 v17, v9
	v_cvt_f64_f32_e32 v[10:11], v9
	v_frexp_exp_i32_f64_e32 v10, v[10:11]
	v_cmp_gt_f32_e32 vcc, s88, v17
	v_cmp_gt_f32_e64 s[26:27], s90, v30
	s_nop 0
	v_subbrev_co_u32_e32 v22, vcc, 0, v10, vcc
	v_sub_u32_e32 v10, 0, v22
	v_ldexp_f32 v9, v9, v10
	v_ldexp_f32 v10, v16, v10
	v_add_f32_e32 v16, -1.0, v9
	v_add_f32_e32 v11, 1.0, v16
	v_sub_f32_e32 v11, v9, v11
	v_add_f32_e32 v17, v10, v11
	v_add_f32_e32 v11, 1.0, v9
	v_add_f32_e32 v18, -1.0, v11
	v_sub_f32_e32 v9, v9, v18
	v_add_f32_e32 v9, v10, v9
	v_add_f32_e32 v23, v11, v9
	v_rcp_f32_e32 v24, v23
	v_sub_f32_e32 v10, v11, v23
	v_add_f32_e32 v11, v16, v17
	v_add_f32_e32 v9, v9, v10
	v_mul_f32_e32 v26, v11, v24
	v_sub_f32_e32 v10, v16, v11
	v_mul_f32_e32 v16, v23, v26
	v_fma_f32 v18, v26, v23, -v16
	v_fmac_f32_e32 v18, v26, v9
	v_add_f32_e32 v25, v17, v10
	v_add_f32_e32 v10, v16, v18
	v_sub_f32_e32 v17, v11, v10
	v_pk_add_f32 v[20:21], v[10:11], v[16:17] neg_lo:[0,1] neg_hi:[0,1]
	v_mov_b32_e32 v19, v10
	v_pk_add_f32 v[10:11], v[20:21], v[18:19] neg_lo:[0,1] neg_hi:[0,1]
	v_cmp_eq_f32_e32 vcc, s87, v30
	v_add_f32_e32 v11, v25, v11
	v_add_f32_e32 v10, v10, v11
	;; [unrolled: 1-line block ×3, first 2 shown]
	v_mul_f32_e32 v25, v24, v11
	v_mul_f32_e32 v16, v23, v25
	v_fma_f32 v18, v25, v23, -v16
	v_fmac_f32_e32 v18, v25, v9
	v_sub_f32_e32 v9, v17, v11
	v_add_f32_e32 v9, v10, v9
	v_add_f32_e32 v10, v16, v18
	v_sub_f32_e32 v17, v11, v10
	v_pk_add_f32 v[20:21], v[10:11], v[16:17] neg_lo:[0,1] neg_hi:[0,1]
	v_mov_b32_e32 v19, v10
	v_pk_add_f32 v[10:11], v[20:21], v[18:19] neg_lo:[0,1] neg_hi:[0,1]
	s_or_b64 vcc, s[26:27], vcc
	v_add_f32_e32 v9, v9, v11
	v_add_f32_e32 v9, v10, v9
	;; [unrolled: 1-line block ×4, first 2 shown]
	v_sub_f32_e32 v10, v11, v26
	v_mul_f32_e32 v9, v24, v9
	v_sub_f32_e32 v10, v25, v10
	v_add_f32_e32 v16, v10, v9
	v_add_f32_e32 v18, v11, v16
	v_cvt_f32_i32_e32 v10, v22
	v_mul_f32_e32 v19, v18, v18
	v_sub_f32_e32 v11, v18, v11
	v_fmamk_f32 v9, v19, 0x3e9b6dac, v51
	v_sub_f32_e32 v11, v16, v11
	v_fmaak_f32 v9, v19, v9, 0x3f2aaada
	v_ldexp_f32 v20, v11, 1
	v_mul_f32_e32 v11, v18, v19
	v_ldexp_f32 v17, v18, 1
	v_pk_mul_f32 v[18:19], v[10:11], v[8:9]
	s_nop 0
	v_fma_f32 v16, v10, s89, -v18
	v_fmac_f32_e32 v16, 0xb102e308, v10
	v_pk_add_f32 v[10:11], v[18:19], v[16:17]
	s_nop 0
	v_sub_f32_e32 v9, v11, v17
	v_sub_f32_e32 v9, v19, v9
	v_add_f32_e32 v21, v20, v9
	v_mov_b32_e32 v20, v18
	v_pk_add_f32 v[18:19], v[10:11], v[18:19] neg_lo:[0,1] neg_hi:[0,1]
	v_pk_add_f32 v[22:23], v[10:11], v[20:21]
	v_mov_b32_e32 v17, v10
	v_mov_b32_e32 v19, v23
	v_pk_add_f32 v[24:25], v[16:17], v[18:19] neg_lo:[0,1] neg_hi:[0,1]
	v_pk_add_f32 v[16:17], v[16:17], v[18:19]
	v_mov_b32_e32 v20, v21
	v_mov_b32_e32 v18, v17
	v_pk_add_f32 v[26:27], v[18:19], v[10:11] neg_lo:[0,1] neg_hi:[0,1]
	v_mov_b32_e32 v16, v23
	v_mov_b32_e32 v9, v26
	v_pk_add_f32 v[28:29], v[22:23], v[8:9] neg_lo:[0,1] neg_hi:[0,1]
	v_mov_b32_e32 v22, v11
	v_mov_b32_e32 v23, v26
	;; [unrolled: 1-line block ×3, first 2 shown]
	v_pk_add_f32 v[16:17], v[16:17], v[22:23] neg_lo:[0,1] neg_hi:[0,1]
	v_mov_b32_e32 v21, v10
	v_pk_add_f32 v[10:11], v[20:21], v[16:17] neg_lo:[0,1] neg_hi:[0,1]
	v_mov_b32_e32 v28, v24
	v_pk_add_f32 v[16:17], v[28:29], v[10:11]
	s_nop 0
	v_mov_b32_e32 v20, v17
	v_pk_add_f32 v[20:21], v[16:17], v[20:21]
	s_nop 0
	v_pk_add_f32 v[18:19], v[18:19], v[20:21]
	v_mov_b32_e32 v11, v20
	v_mov_b32_e32 v17, v18
	v_pk_add_f32 v[22:23], v[16:17], v[24:25] neg_lo:[0,1] neg_hi:[0,1]
	s_nop 0
	v_sub_f32_e32 v9, v16, v22
	v_pk_add_f32 v[10:11], v[10:11], v[22:23] neg_lo:[0,1] neg_hi:[0,1]
	v_sub_f32_e32 v9, v24, v9
	v_add_f32_e32 v9, v10, v9
	v_add_f32_e32 v9, v9, v11
	;; [unrolled: 1-line block ×3, first 2 shown]
	v_cndmask_b32_e32 v56, v9, v30, vcc
.LBB7_28:                               ;   in Loop: Header=BB7_12 Depth=1
	s_or_b64 exec, exec, s[28:29]
	v_and_b32_e32 v9, 0xffff0000, v14
	v_add_f32_e32 v57, s33, v9
	v_cmp_ge_f32_e32 vcc, s83, v57
	s_and_b64 s[26:27], s[60:61], vcc
	s_and_saveexec_b64 s[28:29], s[26:27]
	s_cbranch_execz .LBB7_30
; %bb.29:                               ;   in Loop: Header=BB7_12 Depth=1
	v_mul_f32_e32 v9, 0x3fb8aa3b, v57
	v_rndne_f32_e32 v10, v9
	v_sub_f32_e32 v11, v9, v10
	v_fma_f32 v9, v57, s84, -v9
	v_fmac_f32_e32 v9, 0x32a5705f, v57
	v_add_f32_e32 v9, v11, v9
	v_cvt_i32_f32_e32 v10, v10
	v_exp_f32_e32 v9, v9
	v_cmp_ngt_f32_e32 vcc, s85, v57
	v_ldexp_f32 v9, v9, v10
	s_nop 0
	v_cndmask_b32_e32 v9, 0, v9, vcc
	v_cmp_nlt_f32_e32 vcc, s86, v57
	s_nop 1
	v_cndmask_b32_e32 v28, v52, v9, vcc
	v_add_f32_e32 v9, 1.0, v28
	v_add_f32_e32 v10, -1.0, v9
	v_sub_f32_e32 v11, v10, v9
	v_add_f32_e32 v11, 1.0, v11
	v_sub_f32_e32 v10, v28, v10
	v_add_f32_e32 v14, v10, v11
	v_frexp_mant_f32_e32 v16, v9
	v_cvt_f64_f32_e32 v[10:11], v9
	v_frexp_exp_i32_f64_e32 v10, v[10:11]
	v_cmp_gt_f32_e32 vcc, s88, v16
	v_cmp_gt_f32_e64 s[26:27], s90, v28
	s_nop 0
	v_subbrev_co_u32_e32 v22, vcc, 0, v10, vcc
	v_sub_u32_e32 v10, 0, v22
	v_ldexp_f32 v9, v9, v10
	v_ldexp_f32 v10, v14, v10
	v_add_f32_e32 v14, -1.0, v9
	v_add_f32_e32 v11, 1.0, v14
	v_sub_f32_e32 v11, v9, v11
	v_add_f32_e32 v16, v10, v11
	v_add_f32_e32 v11, 1.0, v9
	v_add_f32_e32 v17, -1.0, v11
	v_sub_f32_e32 v9, v9, v17
	v_add_f32_e32 v9, v10, v9
	v_add_f32_e32 v23, v11, v9
	v_rcp_f32_e32 v24, v23
	v_sub_f32_e32 v10, v11, v23
	v_add_f32_e32 v11, v14, v16
	v_add_f32_e32 v9, v9, v10
	v_sub_f32_e32 v10, v14, v11
	v_mul_f32_e32 v25, v11, v24
	v_add_f32_e32 v14, v16, v10
	v_mul_f32_e32 v16, v23, v25
	v_fma_f32 v18, v25, v23, -v16
	v_fmac_f32_e32 v18, v25, v9
	v_add_f32_e32 v10, v16, v18
	v_sub_f32_e32 v17, v11, v10
	v_pk_add_f32 v[20:21], v[10:11], v[16:17] neg_lo:[0,1] neg_hi:[0,1]
	v_mov_b32_e32 v19, v10
	v_pk_add_f32 v[10:11], v[20:21], v[18:19] neg_lo:[0,1] neg_hi:[0,1]
	v_cmp_eq_f32_e32 vcc, s87, v28
	v_add_f32_e32 v11, v14, v11
	v_add_f32_e32 v10, v10, v11
	;; [unrolled: 1-line block ×3, first 2 shown]
	v_mul_f32_e32 v14, v24, v11
	v_mul_f32_e32 v16, v23, v14
	v_fma_f32 v18, v14, v23, -v16
	v_fmac_f32_e32 v18, v14, v9
	v_sub_f32_e32 v9, v17, v11
	v_add_f32_e32 v9, v10, v9
	v_add_f32_e32 v10, v16, v18
	v_sub_f32_e32 v17, v11, v10
	v_pk_add_f32 v[20:21], v[10:11], v[16:17] neg_lo:[0,1] neg_hi:[0,1]
	v_mov_b32_e32 v19, v10
	v_pk_add_f32 v[10:11], v[20:21], v[18:19] neg_lo:[0,1] neg_hi:[0,1]
	s_or_b64 vcc, s[26:27], vcc
	v_add_f32_e32 v9, v9, v11
	v_add_f32_e32 v9, v10, v9
	;; [unrolled: 1-line block ×4, first 2 shown]
	v_sub_f32_e32 v10, v11, v25
	v_mul_f32_e32 v9, v24, v9
	v_sub_f32_e32 v10, v14, v10
	v_add_f32_e32 v14, v10, v9
	v_add_f32_e32 v16, v11, v14
	v_cvt_f32_i32_e32 v10, v22
	v_mul_f32_e32 v18, v16, v16
	v_sub_f32_e32 v11, v16, v11
	v_fmamk_f32 v9, v18, 0x3e9b6dac, v51
	v_sub_f32_e32 v11, v14, v11
	v_fmaak_f32 v9, v18, v9, 0x3f2aaada
	v_ldexp_f32 v14, v11, 1
	v_mul_f32_e32 v11, v16, v18
	v_pk_mul_f32 v[18:19], v[10:11], v[8:9]
	v_ldexp_f32 v17, v16, 1
	v_fma_f32 v16, v10, s89, -v18
	v_fmac_f32_e32 v16, 0xb102e308, v10
	v_pk_add_f32 v[10:11], v[18:19], v[16:17]
	v_mov_b32_e32 v20, v18
	v_sub_f32_e32 v9, v11, v17
	v_sub_f32_e32 v9, v19, v9
	v_add_f32_e32 v21, v14, v9
	v_pk_add_f32 v[18:19], v[10:11], v[18:19] neg_lo:[0,1] neg_hi:[0,1]
	v_pk_add_f32 v[22:23], v[10:11], v[20:21]
	v_mov_b32_e32 v17, v10
	v_mov_b32_e32 v19, v23
	v_pk_add_f32 v[24:25], v[16:17], v[18:19] neg_lo:[0,1] neg_hi:[0,1]
	v_pk_add_f32 v[16:17], v[16:17], v[18:19]
	s_nop 0
	v_mov_b32_e32 v14, v17
	v_pk_add_f32 v[18:19], v[14:15], v[10:11] neg_lo:[0,1] neg_hi:[0,1]
	v_mov_b32_e32 v16, v23
	v_mov_b32_e32 v9, v18
	v_pk_add_f32 v[26:27], v[22:23], v[8:9] neg_lo:[0,1] neg_hi:[0,1]
	v_mov_b32_e32 v22, v11
	v_mov_b32_e32 v23, v18
	v_mov_b32_e32 v25, v17
	v_pk_add_f32 v[16:17], v[16:17], v[22:23] neg_lo:[0,1] neg_hi:[0,1]
	v_mov_b32_e32 v18, v21
	v_mov_b32_e32 v19, v10
	v_pk_add_f32 v[10:11], v[18:19], v[16:17] neg_lo:[0,1] neg_hi:[0,1]
	v_mov_b32_e32 v26, v24
	v_pk_add_f32 v[16:17], v[26:27], v[10:11]
	s_nop 0
	v_mov_b32_e32 v18, v17
	v_pk_add_f32 v[18:19], v[16:17], v[18:19]
	s_nop 0
	v_pk_add_f32 v[20:21], v[14:15], v[18:19]
	v_mov_b32_e32 v11, v18
	v_mov_b32_e32 v17, v20
	v_pk_add_f32 v[22:23], v[16:17], v[24:25] neg_lo:[0,1] neg_hi:[0,1]
	s_nop 0
	v_sub_f32_e32 v9, v16, v22
	v_pk_add_f32 v[10:11], v[10:11], v[22:23] neg_lo:[0,1] neg_hi:[0,1]
	v_sub_f32_e32 v9, v24, v9
	v_add_f32_e32 v9, v10, v9
	v_add_f32_e32 v9, v9, v11
	;; [unrolled: 1-line block ×3, first 2 shown]
	v_cndmask_b32_e32 v57, v9, v28, vcc
.LBB7_30:                               ;   in Loop: Header=BB7_12 Depth=1
	s_or_b64 exec, exec, s[28:29]
	v_lshlrev_b32_e32 v9, 16, v15
	v_add_f32_e32 v11, s33, v9
	v_cmp_ge_f32_e32 vcc, s83, v11
	s_and_b64 s[26:27], s[60:61], vcc
	s_and_saveexec_b64 s[28:29], s[26:27]
	s_cbranch_execz .LBB7_32
; %bb.31:                               ;   in Loop: Header=BB7_12 Depth=1
	v_mul_f32_e32 v9, 0x3fb8aa3b, v11
	v_rndne_f32_e32 v10, v9
	v_sub_f32_e32 v14, v9, v10
	v_fma_f32 v9, v11, s84, -v9
	v_fmac_f32_e32 v9, 0x32a5705f, v11
	v_add_f32_e32 v9, v14, v9
	v_cvt_i32_f32_e32 v10, v10
	v_exp_f32_e32 v9, v9
	v_cmp_ngt_f32_e32 vcc, s85, v11
	v_ldexp_f32 v9, v9, v10
	s_nop 0
	v_cndmask_b32_e32 v9, 0, v9, vcc
	v_cmp_nlt_f32_e32 vcc, s86, v11
	s_nop 1
	v_cndmask_b32_e32 v28, v52, v9, vcc
	v_add_f32_e32 v9, 1.0, v28
	v_add_f32_e32 v10, -1.0, v9
	v_sub_f32_e32 v11, v10, v9
	v_add_f32_e32 v11, 1.0, v11
	v_sub_f32_e32 v10, v28, v10
	v_add_f32_e32 v14, v10, v11
	v_frexp_mant_f32_e32 v16, v9
	v_cvt_f64_f32_e32 v[10:11], v9
	v_frexp_exp_i32_f64_e32 v10, v[10:11]
	v_cmp_gt_f32_e32 vcc, s88, v16
	v_cmp_gt_f32_e64 s[26:27], s90, v28
	s_nop 0
	v_subbrev_co_u32_e32 v22, vcc, 0, v10, vcc
	v_sub_u32_e32 v10, 0, v22
	v_ldexp_f32 v9, v9, v10
	v_ldexp_f32 v10, v14, v10
	v_add_f32_e32 v14, -1.0, v9
	v_add_f32_e32 v11, 1.0, v14
	v_sub_f32_e32 v11, v9, v11
	v_add_f32_e32 v16, v10, v11
	v_add_f32_e32 v11, 1.0, v9
	v_add_f32_e32 v17, -1.0, v11
	v_sub_f32_e32 v9, v9, v17
	v_add_f32_e32 v9, v10, v9
	v_add_f32_e32 v23, v11, v9
	v_rcp_f32_e32 v24, v23
	v_sub_f32_e32 v10, v11, v23
	v_add_f32_e32 v11, v14, v16
	v_add_f32_e32 v9, v9, v10
	v_sub_f32_e32 v10, v14, v11
	v_mul_f32_e32 v25, v11, v24
	v_add_f32_e32 v14, v16, v10
	v_mul_f32_e32 v16, v23, v25
	v_fma_f32 v18, v25, v23, -v16
	v_fmac_f32_e32 v18, v25, v9
	v_add_f32_e32 v10, v16, v18
	v_sub_f32_e32 v17, v11, v10
	v_pk_add_f32 v[20:21], v[10:11], v[16:17] neg_lo:[0,1] neg_hi:[0,1]
	v_mov_b32_e32 v19, v10
	v_pk_add_f32 v[10:11], v[20:21], v[18:19] neg_lo:[0,1] neg_hi:[0,1]
	v_cmp_eq_f32_e32 vcc, s87, v28
	v_add_f32_e32 v11, v14, v11
	v_add_f32_e32 v10, v10, v11
	;; [unrolled: 1-line block ×3, first 2 shown]
	v_mul_f32_e32 v14, v24, v11
	v_mul_f32_e32 v16, v23, v14
	v_fma_f32 v18, v14, v23, -v16
	v_fmac_f32_e32 v18, v14, v9
	v_sub_f32_e32 v9, v17, v11
	v_add_f32_e32 v9, v10, v9
	v_add_f32_e32 v10, v16, v18
	v_sub_f32_e32 v17, v11, v10
	v_pk_add_f32 v[20:21], v[10:11], v[16:17] neg_lo:[0,1] neg_hi:[0,1]
	v_mov_b32_e32 v19, v10
	v_pk_add_f32 v[10:11], v[20:21], v[18:19] neg_lo:[0,1] neg_hi:[0,1]
	s_or_b64 vcc, s[26:27], vcc
	v_add_f32_e32 v9, v9, v11
	v_add_f32_e32 v9, v10, v9
	;; [unrolled: 1-line block ×4, first 2 shown]
	v_sub_f32_e32 v10, v11, v25
	v_mul_f32_e32 v9, v24, v9
	v_sub_f32_e32 v10, v14, v10
	v_add_f32_e32 v14, v10, v9
	v_add_f32_e32 v16, v11, v14
	v_cvt_f32_i32_e32 v10, v22
	v_mul_f32_e32 v18, v16, v16
	v_sub_f32_e32 v11, v16, v11
	v_fmamk_f32 v9, v18, 0x3e9b6dac, v51
	v_sub_f32_e32 v11, v14, v11
	v_fmaak_f32 v9, v18, v9, 0x3f2aaada
	v_ldexp_f32 v14, v11, 1
	v_mul_f32_e32 v11, v16, v18
	v_pk_mul_f32 v[18:19], v[10:11], v[8:9]
	v_ldexp_f32 v17, v16, 1
	v_fma_f32 v16, v10, s89, -v18
	v_fmac_f32_e32 v16, 0xb102e308, v10
	v_pk_add_f32 v[10:11], v[18:19], v[16:17]
	v_mov_b32_e32 v20, v18
	v_sub_f32_e32 v9, v11, v17
	v_sub_f32_e32 v9, v19, v9
	v_add_f32_e32 v21, v14, v9
	v_pk_add_f32 v[18:19], v[10:11], v[18:19] neg_lo:[0,1] neg_hi:[0,1]
	v_pk_add_f32 v[22:23], v[10:11], v[20:21]
	v_mov_b32_e32 v17, v10
	v_mov_b32_e32 v19, v23
	v_pk_add_f32 v[24:25], v[16:17], v[18:19] neg_lo:[0,1] neg_hi:[0,1]
	v_pk_add_f32 v[16:17], v[16:17], v[18:19]
	s_nop 0
	v_mov_b32_e32 v14, v17
	v_pk_add_f32 v[18:19], v[14:15], v[10:11] neg_lo:[0,1] neg_hi:[0,1]
	v_mov_b32_e32 v16, v23
	v_mov_b32_e32 v9, v18
	v_pk_add_f32 v[26:27], v[22:23], v[8:9] neg_lo:[0,1] neg_hi:[0,1]
	v_mov_b32_e32 v22, v11
	v_mov_b32_e32 v23, v18
	;; [unrolled: 1-line block ×3, first 2 shown]
	v_pk_add_f32 v[16:17], v[16:17], v[22:23] neg_lo:[0,1] neg_hi:[0,1]
	v_mov_b32_e32 v18, v21
	v_mov_b32_e32 v19, v10
	v_pk_add_f32 v[10:11], v[18:19], v[16:17] neg_lo:[0,1] neg_hi:[0,1]
	v_mov_b32_e32 v26, v24
	v_pk_add_f32 v[16:17], v[26:27], v[10:11]
	s_nop 0
	v_mov_b32_e32 v18, v17
	v_pk_add_f32 v[18:19], v[16:17], v[18:19]
	s_nop 0
	v_pk_add_f32 v[20:21], v[14:15], v[18:19]
	v_mov_b32_e32 v11, v18
	v_mov_b32_e32 v17, v20
	v_pk_add_f32 v[22:23], v[16:17], v[24:25] neg_lo:[0,1] neg_hi:[0,1]
	s_nop 0
	v_sub_f32_e32 v9, v16, v22
	v_pk_add_f32 v[10:11], v[10:11], v[22:23] neg_lo:[0,1] neg_hi:[0,1]
	v_sub_f32_e32 v9, v24, v9
	v_add_f32_e32 v9, v10, v9
	v_add_f32_e32 v9, v9, v11
	;; [unrolled: 1-line block ×3, first 2 shown]
	v_cndmask_b32_e32 v11, v9, v28, vcc
.LBB7_32:                               ;   in Loop: Header=BB7_12 Depth=1
	s_or_b64 exec, exec, s[28:29]
	v_and_b32_e32 v9, 0xffff0000, v15
	v_add_f32_e32 v10, s33, v9
	v_cmp_ge_f32_e32 vcc, s83, v10
	s_and_b64 s[26:27], s[60:61], vcc
	s_and_saveexec_b64 s[28:29], s[26:27]
	s_cbranch_execz .LBB7_34
; %bb.33:                               ;   in Loop: Header=BB7_12 Depth=1
	v_mul_f32_e32 v9, 0x3fb8aa3b, v10
	v_rndne_f32_e32 v14, v9
	v_sub_f32_e32 v15, v9, v14
	v_fma_f32 v9, v10, s84, -v9
	v_fmac_f32_e32 v9, 0x32a5705f, v10
	v_add_f32_e32 v9, v15, v9
	v_cvt_i32_f32_e32 v14, v14
	v_exp_f32_e32 v9, v9
	v_cmp_ngt_f32_e32 vcc, s85, v10
	v_ldexp_f32 v9, v9, v14
	s_nop 0
	v_cndmask_b32_e32 v9, 0, v9, vcc
	v_cmp_nlt_f32_e32 vcc, s86, v10
	s_nop 1
	v_cndmask_b32_e32 v28, v52, v9, vcc
	v_add_f32_e32 v9, 1.0, v28
	v_add_f32_e32 v10, -1.0, v9
	v_sub_f32_e32 v14, v10, v9
	v_add_f32_e32 v14, 1.0, v14
	v_sub_f32_e32 v10, v28, v10
	v_add_f32_e32 v10, v10, v14
	v_frexp_mant_f32_e32 v16, v9
	v_cvt_f64_f32_e32 v[14:15], v9
	v_frexp_exp_i32_f64_e32 v14, v[14:15]
	v_cmp_gt_f32_e32 vcc, s88, v16
	v_cmp_gt_f32_e64 s[26:27], s90, v28
	s_nop 0
	v_subbrev_co_u32_e32 v22, vcc, 0, v14, vcc
	v_sub_u32_e32 v14, 0, v22
	v_ldexp_f32 v9, v9, v14
	v_ldexp_f32 v10, v10, v14
	v_add_f32_e32 v14, -1.0, v9
	v_add_f32_e32 v15, 1.0, v14
	v_sub_f32_e32 v15, v9, v15
	v_add_f32_e32 v16, v10, v15
	v_add_f32_e32 v15, 1.0, v9
	v_add_f32_e32 v17, -1.0, v15
	v_sub_f32_e32 v9, v9, v17
	v_add_f32_e32 v9, v10, v9
	v_add_f32_e32 v10, v15, v9
	v_rcp_f32_e32 v23, v10
	v_sub_f32_e32 v15, v15, v10
	v_add_f32_e32 v9, v9, v15
	v_add_f32_e32 v15, v14, v16
	v_sub_f32_e32 v14, v14, v15
	v_mul_f32_e32 v25, v15, v23
	v_add_f32_e32 v24, v16, v14
	v_mul_f32_e32 v16, v10, v25
	v_fma_f32 v18, v25, v10, -v16
	v_fmac_f32_e32 v18, v25, v9
	v_add_f32_e32 v14, v16, v18
	v_sub_f32_e32 v17, v15, v14
	v_pk_add_f32 v[20:21], v[14:15], v[16:17] neg_lo:[0,1] neg_hi:[0,1]
	v_mov_b32_e32 v19, v14
	v_pk_add_f32 v[14:15], v[20:21], v[18:19] neg_lo:[0,1] neg_hi:[0,1]
	v_cmp_eq_f32_e32 vcc, s87, v28
	v_add_f32_e32 v15, v24, v15
	v_add_f32_e32 v14, v14, v15
	;; [unrolled: 1-line block ×3, first 2 shown]
	v_mul_f32_e32 v24, v23, v15
	v_mul_f32_e32 v16, v10, v24
	v_fma_f32 v18, v24, v10, -v16
	v_fmac_f32_e32 v18, v24, v9
	v_sub_f32_e32 v9, v17, v15
	v_add_f32_e32 v9, v14, v9
	v_add_f32_e32 v14, v16, v18
	v_sub_f32_e32 v17, v15, v14
	v_pk_add_f32 v[20:21], v[14:15], v[16:17] neg_lo:[0,1] neg_hi:[0,1]
	v_mov_b32_e32 v19, v14
	v_pk_add_f32 v[14:15], v[20:21], v[18:19] neg_lo:[0,1] neg_hi:[0,1]
	v_add_f32_e32 v10, v25, v24
	v_add_f32_e32 v9, v9, v15
	;; [unrolled: 1-line block ×4, first 2 shown]
	v_sub_f32_e32 v14, v10, v25
	v_mul_f32_e32 v9, v23, v9
	v_sub_f32_e32 v14, v24, v14
	v_add_f32_e32 v15, v14, v9
	v_add_f32_e32 v16, v10, v15
	v_cvt_f32_i32_e32 v14, v22
	v_mul_f32_e32 v18, v16, v16
	v_fmamk_f32 v9, v18, 0x3e9b6dac, v51
	v_sub_f32_e32 v10, v16, v10
	v_fmaak_f32 v9, v18, v9, 0x3f2aaada
	v_sub_f32_e32 v10, v15, v10
	v_mul_f32_e32 v15, v16, v18
	v_pk_mul_f32 v[18:19], v[14:15], v[8:9]
	v_ldexp_f32 v17, v16, 1
	v_fma_f32 v16, v14, s89, -v18
	v_fmac_f32_e32 v16, 0xb102e308, v14
	v_pk_add_f32 v[14:15], v[18:19], v[16:17]
	v_ldexp_f32 v10, v10, 1
	v_sub_f32_e32 v9, v15, v17
	v_sub_f32_e32 v9, v19, v9
	v_add_f32_e32 v21, v10, v9
	v_mov_b32_e32 v20, v18
	v_pk_add_f32 v[18:19], v[14:15], v[18:19] neg_lo:[0,1] neg_hi:[0,1]
	v_pk_add_f32 v[22:23], v[14:15], v[20:21]
	v_mov_b32_e32 v17, v14
	v_mov_b32_e32 v19, v23
	v_pk_add_f32 v[24:25], v[16:17], v[18:19] neg_lo:[0,1] neg_hi:[0,1]
	v_pk_add_f32 v[16:17], v[16:17], v[18:19]
	s_or_b64 vcc, s[26:27], vcc
	v_mov_b32_e32 v10, v17
	v_pk_add_f32 v[18:19], v[10:11], v[14:15] neg_lo:[0,1] neg_hi:[0,1]
	v_mov_b32_e32 v16, v23
	v_mov_b32_e32 v9, v18
	v_pk_add_f32 v[26:27], v[22:23], v[8:9] neg_lo:[0,1] neg_hi:[0,1]
	v_mov_b32_e32 v22, v15
	v_mov_b32_e32 v23, v18
	;; [unrolled: 1-line block ×3, first 2 shown]
	v_pk_add_f32 v[16:17], v[16:17], v[22:23] neg_lo:[0,1] neg_hi:[0,1]
	v_mov_b32_e32 v18, v21
	v_mov_b32_e32 v19, v14
	v_pk_add_f32 v[14:15], v[18:19], v[16:17] neg_lo:[0,1] neg_hi:[0,1]
	v_mov_b32_e32 v26, v24
	v_pk_add_f32 v[16:17], v[26:27], v[14:15]
	s_nop 0
	v_mov_b32_e32 v18, v17
	v_pk_add_f32 v[18:19], v[16:17], v[18:19]
	s_nop 0
	v_pk_add_f32 v[20:21], v[10:11], v[18:19]
	v_mov_b32_e32 v15, v18
	v_mov_b32_e32 v17, v20
	v_pk_add_f32 v[22:23], v[16:17], v[24:25] neg_lo:[0,1] neg_hi:[0,1]
	s_nop 0
	v_sub_f32_e32 v9, v16, v22
	v_pk_add_f32 v[14:15], v[14:15], v[22:23] neg_lo:[0,1] neg_hi:[0,1]
	v_sub_f32_e32 v9, v24, v9
	v_add_f32_e32 v9, v14, v9
	v_add_f32_e32 v9, v9, v15
	;; [unrolled: 1-line block ×3, first 2 shown]
	v_cndmask_b32_e32 v10, v9, v28, vcc
.LBB7_34:                               ;   in Loop: Header=BB7_12 Depth=1
	s_or_b64 exec, exec, s[28:29]
	v_lshlrev_b32_e32 v20, 16, v13
	v_and_b32_e32 v9, 0xffff0000, v13
	v_and_b32_e32 v21, 0xffff0000, v12
	v_lshlrev_b32_e32 v22, 16, v12
	v_mul_f32_e32 v14, s80, v20
	v_mul_f32_e32 v13, s80, v21
	;; [unrolled: 1-line block ×4, first 2 shown]
	s_and_b64 vcc, exec, s[62:63]
	s_waitcnt lgkmcnt(0)
	; wave barrier
	s_cbranch_vccz .LBB7_76
; %bb.35:                               ;   in Loop: Header=BB7_12 Depth=1
	s_cmp_lg_u32 s95, 0
	s_cselect_b64 s[68:69], -1, 0
	s_cmp_eq_u32 s95, s82
	v_cmp_gt_u32_e32 vcc, s34, v7
	s_cselect_b64 s[70:71], -1, 0
	s_or_b64 s[26:27], s[64:65], vcc
	v_cmp_gt_u32_e32 vcc, s34, v6
	s_mov_b32 s56, 0
	v_cmp_gt_u32_e64 s[28:29], s34, v3
	s_or_b64 s[30:31], s[64:65], vcc
	v_cmp_gt_u32_e32 vcc, s34, v50
	v_mul_f32_e32 v9, v10, v9
	v_lshl_add_u64 v[16:17], s[42:43], 0, v[0:1]
	v_lshl_add_u64 v[18:19], s[46:47], 0, v[0:1]
	v_mul_f32_e32 v58, v11, v20
	v_mul_f32_e32 v59, v57, v21
	;; [unrolled: 1-line block ×3, first 2 shown]
	s_or_b64 s[28:29], s[64:65], s[28:29]
	s_or_b64 s[34:35], s[64:65], vcc
	s_mov_b32 s72, s56
	s_mov_b32 s74, s56
	;; [unrolled: 1-line block ×5, first 2 shown]
	s_branch .LBB7_37
.LBB7_36:                               ;   in Loop: Header=BB7_37 Depth=2
	s_or_b64 exec, exec, s[36:37]
	v_mul_f32_e32 v23, v31, v30
	v_fma_f32 v26, v31, v33, v24
	v_cndmask_b32_e64 v24, v26, v24, s[16:17]
	v_cndmask_b32_e64 v23, v23, v31, s[16:17]
	s_waitcnt lgkmcnt(0)
	v_fmac_f32_e32 v24, v22, v23
	v_fmac_f32_e32 v25, v24, v29
	;; [unrolled: 1-line block ×4, first 2 shown]
	v_and_b32_e32 v23, 0xffff0000, v20
	v_and_b32_e32 v27, 0xffff0000, v21
	v_lshlrev_b32_e32 v22, 16, v20
	v_lshlrev_b32_e32 v26, 16, v21
	v_mov_b32_e32 v29, v32
	s_add_i32 s96, s96, 8
	s_add_i32 s67, s67, -1
	s_add_i32 s76, s76, s38
	s_add_i32 s74, s74, s48
	;; [unrolled: 1-line block ×4, first 2 shown]
	v_pk_fma_f32 v[14:15], v[28:29], v[26:27], v[14:15]
	s_cmp_eq_u32 s67, 0
	v_pk_fma_f32 v[12:13], v[24:25], v[22:23], v[12:13]
	s_cbranch_scc1 .LBB7_76
.LBB7_37:                               ;   Parent Loop BB7_12 Depth=1
                                        ; =>  This Inner Loop Header: Depth=2
	s_lshl_b64 s[36:37], s[56:57], 2
	s_add_u32 s36, s39, s36
	s_addc_u32 s37, s40, s37
	global_load_dword v22, v1, s[36:37]
	s_mov_b32 s73, s57
	v_lshl_add_u64 v[20:21], s[72:73], 1, v[16:17]
	v_mov_b32_e32 v23, 0
	v_mov_b32_e32 v24, 0
	s_and_saveexec_b64 s[36:37], s[18:19]
	s_cbranch_execz .LBB7_39
; %bb.38:                               ;   in Loop: Header=BB7_37 Depth=2
	global_load_ushort v24, v[20:21], off
.LBB7_39:                               ;   in Loop: Header=BB7_37 Depth=2
	s_or_b64 exec, exec, s[36:37]
	s_and_saveexec_b64 s[36:37], s[20:21]
	s_cbranch_execz .LBB7_41
; %bb.40:                               ;   in Loop: Header=BB7_37 Depth=2
	global_load_ushort v23, v[20:21], off offset:128
.LBB7_41:                               ;   in Loop: Header=BB7_37 Depth=2
	s_or_b64 exec, exec, s[36:37]
	v_mov_b32_e32 v25, 0
	v_mov_b32_e32 v26, 0
	s_and_saveexec_b64 s[36:37], s[22:23]
	s_cbranch_execz .LBB7_43
; %bb.42:                               ;   in Loop: Header=BB7_37 Depth=2
	global_load_ushort v26, v[20:21], off offset:256
.LBB7_43:                               ;   in Loop: Header=BB7_37 Depth=2
	s_or_b64 exec, exec, s[36:37]
	s_and_saveexec_b64 s[36:37], s[24:25]
	s_cbranch_execz .LBB7_45
; %bb.44:                               ;   in Loop: Header=BB7_37 Depth=2
	global_load_ushort v25, v[20:21], off offset:384
.LBB7_45:                               ;   in Loop: Header=BB7_37 Depth=2
	s_or_b64 exec, exec, s[36:37]
	s_waitcnt vmcnt(0)
	ds_write_b16 v41, v24
	ds_write_b16 v42, v23 offset:128
	ds_write_b16 v43, v26 offset:256
	;; [unrolled: 1-line block ×3, first 2 shown]
	; wave barrier
	ds_read_b64 v[24:25], v45
	s_mov_b32 s75, s57
	v_lshl_add_u64 v[20:21], s[74:75], 1, v[18:19]
	v_mov_b32_e32 v23, 0
	v_mov_b32_e32 v26, 0
	s_and_saveexec_b64 s[36:37], s[18:19]
	s_cbranch_execz .LBB7_47
; %bb.46:                               ;   in Loop: Header=BB7_37 Depth=2
	global_load_ushort v26, v[20:21], off
.LBB7_47:                               ;   in Loop: Header=BB7_37 Depth=2
	s_or_b64 exec, exec, s[36:37]
	s_and_saveexec_b64 s[36:37], s[20:21]
	s_cbranch_execz .LBB7_49
; %bb.48:                               ;   in Loop: Header=BB7_37 Depth=2
	global_load_ushort v23, v[20:21], off offset:128
.LBB7_49:                               ;   in Loop: Header=BB7_37 Depth=2
	s_or_b64 exec, exec, s[36:37]
	v_mov_b32_e32 v27, 0
	v_mov_b32_e32 v28, 0
	s_and_saveexec_b64 s[36:37], s[22:23]
	s_cbranch_execz .LBB7_51
; %bb.50:                               ;   in Loop: Header=BB7_37 Depth=2
	global_load_ushort v28, v[20:21], off offset:256
.LBB7_51:                               ;   in Loop: Header=BB7_37 Depth=2
	s_or_b64 exec, exec, s[36:37]
	s_and_saveexec_b64 s[36:37], s[24:25]
	s_cbranch_execz .LBB7_53
; %bb.52:                               ;   in Loop: Header=BB7_37 Depth=2
	global_load_ushort v27, v[20:21], off offset:384
.LBB7_53:                               ;   in Loop: Header=BB7_37 Depth=2
	s_or_b64 exec, exec, s[36:37]
	s_waitcnt vmcnt(0)
	ds_write_b16 v41, v26 offset:528
	ds_write_b16 v46, v23 offset:128
	;; [unrolled: 1-line block ×4, first 2 shown]
	; wave barrier
	ds_read_b64 v[20:21], v45 offset:528
	s_andn2_b64 vcc, exec, s[68:69]
	s_cbranch_vccnz .LBB7_55
; %bb.54:                               ;   in Loop: Header=BB7_37 Depth=2
	v_mov_b32_e32 v23, s96
	ds_read_b64 v[26:27], v23
	s_waitcnt lgkmcnt(0)
	v_mov_b32_e32 v23, v27
	s_cbranch_execz .LBB7_56
	s_branch .LBB7_59
.LBB7_55:                               ;   in Loop: Header=BB7_37 Depth=2
                                        ; implicit-def: $vgpr26
                                        ; implicit-def: $vgpr23
.LBB7_56:                               ;   in Loop: Header=BB7_37 Depth=2
	s_andn2_b64 vcc, exec, s[52:53]
	v_mov_b32_e32 v23, 0
	s_cbranch_vccnz .LBB7_58
; %bb.57:                               ;   in Loop: Header=BB7_37 Depth=2
	s_mov_b32 s77, s57
	s_lshl_b64 s[36:37], s[76:77], 1
	s_add_u32 s36, s45, s36
	s_addc_u32 s37, s49, s37
	global_load_ushort v23, v1, s[36:37]
	s_waitcnt vmcnt(0)
	v_lshlrev_b32_e32 v23, 16, v23
.LBB7_58:                               ;   in Loop: Header=BB7_37 Depth=2
	v_mov_b32_e32 v26, 1.0
.LBB7_59:                               ;   in Loop: Header=BB7_37 Depth=2
	v_mul_f32_e32 v22, 0x3fb8aa3b, v22
	s_waitcnt lgkmcnt(5)
	v_lshlrev_b32_e32 v27, 16, v24
	v_and_b32_e32 v28, 0xffff0000, v24
	v_mul_f32_e32 v24, v22, v56
	v_cmp_gt_f32_e32 vcc, s92, v24
	v_lshlrev_b32_e32 v29, 16, v25
	v_and_b32_e32 v30, 0xffff0000, v25
	v_cndmask_b32_e32 v24, 0, v53, vcc
	v_fmac_f32_e32 v24, v22, v56
	v_exp_f32_e32 v24, v24
	v_cndmask_b32_e32 v25, 1.0, v54, vcc
	v_pk_mul_f32 v[32:33], v[22:23], v[10:11] op_sel_hi:[0,1]
	v_cmp_gt_f32_e64 s[36:37], s92, v33
	v_mul_f32_e32 v25, v24, v25
	v_mul_f32_e32 v24, v60, v27
	;; [unrolled: 1-line block ×3, first 2 shown]
	v_cmp_gt_f32_e32 vcc, s92, v27
	v_cndmask_b32_e64 v31, 1.0, v25, s[26:27]
	v_cndmask_b32_e64 v24, 0, v24, s[26:27]
	v_cndmask_b32_e32 v27, 0, v53, vcc
	v_fmac_f32_e32 v27, v22, v57
	v_exp_f32_e32 v27, v27
	v_cndmask_b32_e32 v25, 1.0, v54, vcc
	v_mul_f32_e32 v22, v58, v29
	v_cmp_gt_f32_e32 vcc, s92, v32
	v_mul_f32_e32 v27, v27, v25
	v_mul_f32_e32 v25, v59, v28
	v_cndmask_b32_e64 v28, 0, v22, s[30:31]
	v_cndmask_b32_e32 v22, 0, v53, vcc
	v_cndmask_b32_e64 v29, 1.0, v27, s[28:29]
	v_add_f32_e32 v22, v32, v22
	v_cndmask_b32_e64 v27, 0, v53, s[36:37]
	v_exp_f32_e32 v22, v22
	v_add_f32_e32 v27, v33, v27
	v_exp_f32_e32 v27, v27
	v_cndmask_b32_e32 v32, 1.0, v54, vcc
	v_mul_f32_e32 v22, v22, v32
	v_cndmask_b32_e64 v32, 1.0, v54, s[36:37]
	v_cndmask_b32_e64 v25, 0, v25, s[28:29]
	v_mul_f32_e32 v27, v27, v32
	v_mul_f32_e32 v30, v9, v30
	v_cndmask_b32_e64 v35, 1.0, v27, s[30:31]
	v_cndmask_b32_e64 v34, 1.0, v22, s[34:35]
	v_fma_f32 v22, v29, v24, v25
	v_cndmask_b32_e64 v32, 0, v30, s[34:35]
	v_mul_f32_e32 v30, v22, v35
	v_pk_add_f32 v[36:37], v[30:31], v[28:29]
	v_pk_mul_f32 v[62:63], v[30:31], v[28:29]
	v_mov_b32_e32 v33, v34
	v_mov_b32_e32 v37, v63
	v_pk_mul_f32 v[62:63], v[36:37], v[34:35]
	v_pk_fma_f32 v[36:37], v[36:37], v[34:35], v[32:33]
	v_pk_mul_f32 v[62:63], v[62:63], v[32:33]
	s_nop 0
	v_mov_b32_dpp v27, v36 row_shr:1 row_mask:0xf bank_mask:0xf
	v_mov_b32_dpp v22, v63 row_shr:1 row_mask:0xf bank_mask:0xf
	v_mul_f32_e32 v37, v63, v22
	v_fma_f32 v22, v63, v27, v36
	v_cndmask_b32_e64 v33, v22, v36, s[0:1]
	v_cndmask_b32_e64 v22, v22, v36, s[0:1]
	;; [unrolled: 1-line block ×4, first 2 shown]
	v_mov_b32_dpp v37, v22 row_shr:2 row_mask:0xf bank_mask:0xf
	v_mov_b32_dpp v36, v27 row_shr:2 row_mask:0xf bank_mask:0xf
	s_and_saveexec_b64 s[36:37], s[2:3]
; %bb.60:                               ;   in Loop: Header=BB7_37 Depth=2
	v_fmac_f32_e32 v22, v27, v37
	v_mul_f32_e32 v27, v27, v36
	v_mov_b32_e32 v30, v27
	v_mov_b32_e32 v33, v22
; %bb.61:                               ;   in Loop: Header=BB7_37 Depth=2
	s_or_b64 exec, exec, s[36:37]
	v_mov_b32_dpp v36, v27 row_shr:4 row_mask:0xf bank_mask:0xf
	v_mov_b32_dpp v37, v22 row_shr:4 row_mask:0xf bank_mask:0xf
	s_and_saveexec_b64 s[36:37], s[4:5]
; %bb.62:                               ;   in Loop: Header=BB7_37 Depth=2
	v_fmac_f32_e32 v22, v27, v37
	v_mul_f32_e32 v27, v27, v36
	v_mov_b32_e32 v30, v27
	v_mov_b32_e32 v33, v22
; %bb.63:                               ;   in Loop: Header=BB7_37 Depth=2
	s_or_b64 exec, exec, s[36:37]
	;; [unrolled: 10-line block ×3, first 2 shown]
	v_mov_b32_dpp v36, v27 row_bcast:15 row_mask:0xf bank_mask:0xf
	v_mov_b32_dpp v37, v22 row_bcast:15 row_mask:0xf bank_mask:0xf
	s_and_saveexec_b64 s[36:37], s[8:9]
; %bb.66:                               ;   in Loop: Header=BB7_37 Depth=2
	v_fmac_f32_e32 v22, v27, v37
	v_mul_f32_e32 v27, v27, v36
	v_mov_b32_e32 v30, v27
	v_mov_b32_e32 v33, v22
; %bb.67:                               ;   in Loop: Header=BB7_37 Depth=2
	s_or_b64 exec, exec, s[36:37]
	v_mov_b32_dpp v36, v27 row_bcast:31 row_mask:0xf bank_mask:0xf
	v_mov_b32_dpp v37, v22 row_bcast:31 row_mask:0xf bank_mask:0xf
	v_mul_f32_e32 v36, v27, v36
	v_fmac_f32_e32 v22, v27, v37
	v_cndmask_b32_e64 v36, v30, v36, s[10:11]
	v_cndmask_b32_e64 v37, v33, v22, s[10:11]
	s_and_saveexec_b64 s[36:37], s[12:13]
	s_cbranch_execz .LBB7_69
; %bb.68:                               ;   in Loop: Header=BB7_37 Depth=2
	ds_write_b64 v1, v[36:37] offset:1056
.LBB7_69:                               ;   in Loop: Header=BB7_37 Depth=2
	s_or_b64 exec, exec, s[36:37]
	ds_bpermute_b32 v30, v49, v36
	ds_bpermute_b32 v33, v49, v37
	s_waitcnt lgkmcnt(0)
	; wave barrier
	s_waitcnt lgkmcnt(0)
	s_and_saveexec_b64 s[36:37], s[14:15]
	s_cbranch_execz .LBB7_73
; %bb.70:                               ;   in Loop: Header=BB7_37 Depth=2
	ds_read_b64 v[36:37], v1 offset:1056
	s_and_saveexec_b64 s[78:79], s[16:17]
	s_cbranch_execz .LBB7_72
; %bb.71:                               ;   in Loop: Header=BB7_37 Depth=2
	v_mov_b32_e32 v27, v23
	ds_write_b64 v1, v[26:27] offset:1056
.LBB7_72:                               ;   in Loop: Header=BB7_37 Depth=2
	s_or_b64 exec, exec, s[78:79]
	s_waitcnt lgkmcnt(0)
	v_mul_f32_e32 v27, v36, v23
	v_pk_add_f32 v[22:23], v[26:27], v[36:37]
	v_mul_f32_e32 v26, v26, v36
.LBB7_73:                               ;   in Loop: Header=BB7_37 Depth=2
	s_or_b64 exec, exec, s[36:37]
	s_waitcnt lgkmcnt(0)
	; wave barrier
	ds_read_b32 v22, v1 offset:1060
	s_and_saveexec_b64 s[36:37], s[16:17]
	s_cbranch_execz .LBB7_36
; %bb.74:                               ;   in Loop: Header=BB7_37 Depth=2
	v_mov_b32_e32 v27, v23
	v_mov_b32_e32 v36, s96
	s_andn2_b64 vcc, exec, s[70:71]
	ds_write_b64 v36, v[26:27]
	s_cbranch_vccnz .LBB7_36
; %bb.75:                               ;   in Loop: Header=BB7_37 Depth=2
	v_bfe_u32 v26, v23, 16, 1
	s_mov_b32 s77, s57
	v_add3_u32 v26, v23, v26, s93
	s_lshl_b64 s[78:79], s[76:77], 1
	v_lshrrev_b32_e32 v26, 16, v26
	v_cmp_o_f32_e32 vcc, v23, v23
	s_add_u32 s78, s45, s78
	s_addc_u32 s79, s49, s79
	v_cndmask_b32_e32 v23, v55, v26, vcc
	global_store_short v1, v23, s[78:79]
	s_branch .LBB7_36
.LBB7_76:                               ;   in Loop: Header=BB7_12 Depth=1
	v_bfe_u32 v9, v14, 16, 1
	v_bfe_u32 v10, v15, 16, 1
	v_add3_u32 v9, v14, v9, s93
	v_bfe_u32 v11, v12, 16, 1
	v_add3_u32 v10, v15, v10, s93
	v_lshrrev_b32_e32 v9, 16, v9
	v_cmp_o_f32_e32 vcc, v14, v14
	v_bfe_u32 v16, v13, 16, 1
	v_add3_u32 v11, v12, v11, s93
	v_lshrrev_b32_e32 v10, 16, v10
	v_cndmask_b32_e32 v9, v55, v9, vcc
	v_cmp_o_f32_e32 vcc, v15, v15
	v_add3_u32 v16, v13, v16, s93
	v_lshrrev_b32_e32 v17, 16, v11
	v_cndmask_b32_e32 v10, v55, v10, vcc
	v_cmp_o_f32_e32 vcc, v12, v12
	v_lshrrev_b32_e32 v16, 16, v16
	v_perm_b32 v11, v10, v9, s94
	v_cndmask_b32_e32 v9, v55, v17, vcc
	v_cmp_o_f32_e32 vcc, v13, v13
	s_waitcnt lgkmcnt(0)
	; wave barrier
	s_nop 0
	v_cndmask_b32_e32 v10, v55, v16, vcc
	v_perm_b32 v10, v10, v9, s94
	ds_write_b64 v45, v[10:11]
	; wave barrier
	ds_read_u16 v13, v42 offset:128
	ds_read_u16 v12, v43 offset:256
	ds_read_u16 v9, v44 offset:384
	s_mov_b32 s67, s57
	v_lshl_add_u64 v[10:11], s[66:67], 1, v[4:5]
	s_and_saveexec_b64 s[26:27], s[18:19]
	s_cbranch_execnz .LBB7_82
; %bb.77:                               ;   in Loop: Header=BB7_12 Depth=1
	s_or_b64 exec, exec, s[26:27]
	s_and_saveexec_b64 s[18:19], s[20:21]
	s_cbranch_execnz .LBB7_83
.LBB7_78:                               ;   in Loop: Header=BB7_12 Depth=1
	s_or_b64 exec, exec, s[18:19]
	s_and_saveexec_b64 s[18:19], s[22:23]
	s_cbranch_execnz .LBB7_84
.LBB7_79:                               ;   in Loop: Header=BB7_12 Depth=1
	s_or_b64 exec, exec, s[18:19]
	s_and_saveexec_b64 s[18:19], s[24:25]
	s_cbranch_execz .LBB7_11
	s_branch .LBB7_85
.LBB7_80:                               ;   in Loop: Header=BB7_12 Depth=1
	global_load_ushort v15, v[10:11], off offset:128
	s_or_b64 exec, exec, s[26:27]
	s_and_saveexec_b64 s[26:27], s[22:23]
	s_cbranch_execz .LBB7_24
.LBB7_81:                               ;   in Loop: Header=BB7_12 Depth=1
	global_load_ushort v14, v[10:11], off offset:256
	s_or_b64 exec, exec, s[26:27]
	v_mov_b32_e32 v16, 0
	s_and_saveexec_b64 s[26:27], s[24:25]
	s_cbranch_execnz .LBB7_25
	s_branch .LBB7_26
.LBB7_82:                               ;   in Loop: Header=BB7_12 Depth=1
	ds_read_u16 v14, v41
	s_waitcnt lgkmcnt(0)
	global_store_short v[10:11], v14, off
	s_or_b64 exec, exec, s[26:27]
	s_and_saveexec_b64 s[18:19], s[20:21]
	s_cbranch_execz .LBB7_78
.LBB7_83:                               ;   in Loop: Header=BB7_12 Depth=1
	s_waitcnt lgkmcnt(2)
	global_store_short v[10:11], v13, off offset:128
	s_or_b64 exec, exec, s[18:19]
	s_and_saveexec_b64 s[18:19], s[22:23]
	s_cbranch_execz .LBB7_79
.LBB7_84:                               ;   in Loop: Header=BB7_12 Depth=1
	s_waitcnt lgkmcnt(1)
	global_store_short v[10:11], v12, off offset:256
	s_or_b64 exec, exec, s[18:19]
	s_and_saveexec_b64 s[18:19], s[24:25]
	s_cbranch_execz .LBB7_11
.LBB7_85:                               ;   in Loop: Header=BB7_12 Depth=1
	s_waitcnt lgkmcnt(0)
	global_store_short v[10:11], v9, off offset:384
	s_branch .LBB7_11
.LBB7_86:
	s_endpgm
	.section	.rodata,"a",@progbits
	.p2align	6, 0x0
	.amdhsa_kernel _Z25selective_scan_fwd_kernelI32Selective_Scan_fwd_kernel_traitsILi64ELi4ELi1ELb0ELb1ELb1ELb0ELb0EN3c108BFloat16EfS2_EEv13SSMParamsBase
		.amdhsa_group_segment_fixed_size 0
		.amdhsa_private_segment_fixed_size 0
		.amdhsa_kernarg_size 248
		.amdhsa_user_sgpr_count 2
		.amdhsa_user_sgpr_dispatch_ptr 0
		.amdhsa_user_sgpr_queue_ptr 0
		.amdhsa_user_sgpr_kernarg_segment_ptr 1
		.amdhsa_user_sgpr_dispatch_id 0
		.amdhsa_user_sgpr_kernarg_preload_length 0
		.amdhsa_user_sgpr_kernarg_preload_offset 0
		.amdhsa_user_sgpr_private_segment_size 0
		.amdhsa_uses_dynamic_stack 0
		.amdhsa_enable_private_segment 0
		.amdhsa_system_sgpr_workgroup_id_x 1
		.amdhsa_system_sgpr_workgroup_id_y 1
		.amdhsa_system_sgpr_workgroup_id_z 0
		.amdhsa_system_sgpr_workgroup_info 0
		.amdhsa_system_vgpr_workitem_id 0
		.amdhsa_next_free_vgpr 64
		.amdhsa_next_free_sgpr 97
		.amdhsa_accum_offset 64
		.amdhsa_reserve_vcc 1
		.amdhsa_float_round_mode_32 0
		.amdhsa_float_round_mode_16_64 0
		.amdhsa_float_denorm_mode_32 3
		.amdhsa_float_denorm_mode_16_64 3
		.amdhsa_dx10_clamp 1
		.amdhsa_ieee_mode 1
		.amdhsa_fp16_overflow 0
		.amdhsa_tg_split 0
		.amdhsa_exception_fp_ieee_invalid_op 0
		.amdhsa_exception_fp_denorm_src 0
		.amdhsa_exception_fp_ieee_div_zero 0
		.amdhsa_exception_fp_ieee_overflow 0
		.amdhsa_exception_fp_ieee_underflow 0
		.amdhsa_exception_fp_ieee_inexact 0
		.amdhsa_exception_int_div_zero 0
	.end_amdhsa_kernel
	.section	.text._Z25selective_scan_fwd_kernelI32Selective_Scan_fwd_kernel_traitsILi64ELi4ELi1ELb0ELb1ELb1ELb0ELb0EN3c108BFloat16EfS2_EEv13SSMParamsBase,"axG",@progbits,_Z25selective_scan_fwd_kernelI32Selective_Scan_fwd_kernel_traitsILi64ELi4ELi1ELb0ELb1ELb1ELb0ELb0EN3c108BFloat16EfS2_EEv13SSMParamsBase,comdat
.Lfunc_end7:
	.size	_Z25selective_scan_fwd_kernelI32Selective_Scan_fwd_kernel_traitsILi64ELi4ELi1ELb0ELb1ELb1ELb0ELb0EN3c108BFloat16EfS2_EEv13SSMParamsBase, .Lfunc_end7-_Z25selective_scan_fwd_kernelI32Selective_Scan_fwd_kernel_traitsILi64ELi4ELi1ELb0ELb1ELb1ELb0ELb0EN3c108BFloat16EfS2_EEv13SSMParamsBase
                                        ; -- End function
	.section	.AMDGPU.csdata,"",@progbits
; Kernel info:
; codeLenInByte = 6220
; NumSgprs: 103
; NumVgprs: 64
; NumAgprs: 0
; TotalNumVgprs: 64
; ScratchSize: 0
; MemoryBound: 0
; FloatMode: 240
; IeeeMode: 1
; LDSByteSize: 0 bytes/workgroup (compile time only)
; SGPRBlocks: 12
; VGPRBlocks: 7
; NumSGPRsForWavesPerEU: 103
; NumVGPRsForWavesPerEU: 64
; AccumOffset: 64
; Occupancy: 7
; WaveLimiterHint : 0
; COMPUTE_PGM_RSRC2:SCRATCH_EN: 0
; COMPUTE_PGM_RSRC2:USER_SGPR: 2
; COMPUTE_PGM_RSRC2:TRAP_HANDLER: 0
; COMPUTE_PGM_RSRC2:TGID_X_EN: 1
; COMPUTE_PGM_RSRC2:TGID_Y_EN: 1
; COMPUTE_PGM_RSRC2:TGID_Z_EN: 0
; COMPUTE_PGM_RSRC2:TIDIG_COMP_CNT: 0
; COMPUTE_PGM_RSRC3_GFX90A:ACCUM_OFFSET: 15
; COMPUTE_PGM_RSRC3_GFX90A:TG_SPLIT: 0
	.section	.text._Z25selective_scan_fwd_kernelI32Selective_Scan_fwd_kernel_traitsILi64ELi8ELi1ELb1ELb1ELb1ELb1ELb1EN3c108BFloat16EfS2_EEv13SSMParamsBase,"axG",@progbits,_Z25selective_scan_fwd_kernelI32Selective_Scan_fwd_kernel_traitsILi64ELi8ELi1ELb1ELb1ELb1ELb1ELb1EN3c108BFloat16EfS2_EEv13SSMParamsBase,comdat
	.protected	_Z25selective_scan_fwd_kernelI32Selective_Scan_fwd_kernel_traitsILi64ELi8ELi1ELb1ELb1ELb1ELb1ELb1EN3c108BFloat16EfS2_EEv13SSMParamsBase ; -- Begin function _Z25selective_scan_fwd_kernelI32Selective_Scan_fwd_kernel_traitsILi64ELi8ELi1ELb1ELb1ELb1ELb1ELb1EN3c108BFloat16EfS2_EEv13SSMParamsBase
	.globl	_Z25selective_scan_fwd_kernelI32Selective_Scan_fwd_kernel_traitsILi64ELi8ELi1ELb1ELb1ELb1ELb1ELb1EN3c108BFloat16EfS2_EEv13SSMParamsBase
	.p2align	8
	.type	_Z25selective_scan_fwd_kernelI32Selective_Scan_fwd_kernel_traitsILi64ELi8ELi1ELb1ELb1ELb1ELb1ELb1EN3c108BFloat16EfS2_EEv13SSMParamsBase,@function
_Z25selective_scan_fwd_kernelI32Selective_Scan_fwd_kernel_traitsILi64ELi8ELi1ELb1ELb1ELb1ELb1ELb1EN3c108BFloat16EfS2_EEv13SSMParamsBase: ; @_Z25selective_scan_fwd_kernelI32Selective_Scan_fwd_kernel_traitsILi64ELi8ELi1ELb1ELb1ELb1ELb1ELb1EN3c108BFloat16EfS2_EEv13SSMParamsBase
; %bb.0:
	s_load_dword s37, s[0:1], 0x18
	s_load_dwordx4 s[4:7], s[0:1], 0xe8
	s_load_dwordx8 s[20:27], s[0:1], 0xc8
	s_mov_b32 s34, s3
	s_ashr_i32 s3, s2, 31
	s_lshl_b64 s[8:9], s[2:3], 2
	s_waitcnt lgkmcnt(0)
	s_abs_i32 s36, s37
	v_cvt_f32_u32_e32 v1, s36
	s_add_u32 s28, s26, s8
	s_addc_u32 s29, s27, s9
	s_cmp_eq_u64 s[6:7], 0
	v_rcp_iflag_f32_e32 v1, v1
	s_nop 0
	v_mul_f32_e32 v1, 0x4f7ffffe, v1
	v_cvt_u32_f32_e32 v1, v1
	s_nop 0
	v_readfirstlane_b32 s38, v1
	s_cbranch_scc1 .LBB8_169
; %bb.1:
	s_add_u32 s6, s6, s2
	s_addc_u32 s7, s7, s3
	v_mov_b32_e32 v1, 0
	global_load_ubyte v1, v1, s[6:7]
	s_waitcnt vmcnt(0)
	v_and_b32_e32 v1, 1, v1
	v_cmp_eq_u32_e64 s[68:69], 1, v1
	s_load_dwordx2 s[6:7], s[0:1], 0x20
	s_cmp_eq_u64 s[4:5], 0
	s_cbranch_scc1 .LBB8_3
.LBB8_2:
	s_add_u32 s2, s4, s8
	s_addc_u32 s3, s5, s9
	s_load_dword s2, s[2:3], 0x0
	s_waitcnt lgkmcnt(0)
	s_ashr_i32 s3, s2, 31
.LBB8_3:
	s_waitcnt lgkmcnt(0)
	s_cmp_eq_u64 s[6:7], s[2:3]
	s_cbranch_scc1 .LBB8_168
; %bb.4:
	s_load_dwordx16 s[4:19], s[0:1], 0x88
	s_load_dwordx2 s[26:27], s[28:29], 0x0
	s_mov_b32 s33, 0
	s_mov_b32 s92, 0
	s_waitcnt lgkmcnt(0)
	s_cmp_eq_u64 s[10:11], 0
	s_cbranch_scc1 .LBB8_6
; %bb.5:
	s_ashr_i32 s35, s34, 31
	s_lshl_b64 s[28:29], s[34:35], 2
	s_add_u32 s10, s10, s28
	s_addc_u32 s11, s11, s29
	s_load_dword s92, s[10:11], 0x0
.LBB8_6:
	s_cmp_eq_u64 s[16:17], 0
	s_cbranch_scc1 .LBB8_8
; %bb.7:
	s_ashr_i32 s35, s34, 31
	s_lshl_b64 s[10:11], s[34:35], 2
	s_add_u32 s10, s16, s10
	s_addc_u32 s11, s17, s11
	s_load_dword s33, s[10:11], 0x0
.LBB8_8:
	s_sub_i32 s35, s27, s26
	s_cmp_lt_i32 s35, 1
	s_cbranch_scc1 .LBB8_168
; %bb.9:
	s_sub_i32 s3, 0, s36
	s_mul_i32 s3, s3, s38
	s_mul_hi_u32 s3, s38, s3
	s_abs_i32 s16, s34
	s_add_i32 s38, s38, s3
	s_load_dwordx8 s[52:59], s[0:1], 0x2c
	s_load_dwordx2 s[10:11], s[0:1], 0x7c
	s_load_dwordx4 s[28:31], s[0:1], 0x6c
	s_load_dwordx8 s[60:67], s[0:1], 0x4c
	s_load_dword s94, s[0:1], 0x84
	s_mul_hi_u32 s3, s16, s38
	s_load_dword s38, s[0:1], 0xc
	s_load_dword s17, s[0:1], 0x28
	s_ashr_i32 s0, s34, 31
	s_ashr_i32 s1, s37, 31
	s_xor_b32 s0, s0, s1
	s_mul_i32 s1, s3, s36
	s_sub_i32 s1, s16, s1
	s_add_i32 s16, s3, 1
	s_sub_i32 s27, s1, s36
	s_cmp_ge_u32 s1, s36
	s_cselect_b32 s3, s16, s3
	s_cselect_b32 s1, s27, s1
	s_add_i32 s16, s3, 1
	s_cmp_ge_u32 s1, s36
	s_cselect_b32 s1, s16, s3
	s_xor_b32 s1, s1, s0
	s_waitcnt lgkmcnt(0)
	s_mul_i32 s70, s26, s62
	s_mov_b32 s71, 0
	s_sub_i32 s3, s1, s0
	s_lshl_b64 s[0:1], s[70:71], 1
	s_add_u32 s12, s12, s0
	s_mul_i32 s70, s63, s34
	s_addc_u32 s13, s13, s1
	s_lshl_b64 s[0:1], s[70:71], 1
	s_add_u32 s62, s12, s0
	s_mul_i32 s70, s26, s64
	s_addc_u32 s63, s13, s1
	;; [unrolled: 4-line block ×10, first 2 shown]
	s_lshl_b64 s[0:1], s[70:71], 1
	v_mbcnt_lo_u32_b32 v1, -1, 0
	s_add_u32 s57, s2, s0
	v_mbcnt_hi_u32_b32 v10, -1, v1
	s_addc_u32 s61, s3, s1
	s_add_i32 s0, s35, 0x7ff
	v_lshrrev_b32_e32 v1, 5, v10
	s_lshr_b32 s1, s0, 11
	v_and_b32_e32 v1, 2, v1
	v_add_u32_e32 v42, 64, v10
	v_or_b32_e32 v43, 0x80, v10
	v_add_u32_e32 v44, 0xc0, v10
	v_or_b32_e32 v45, 0x100, v10
	;; [unrolled: 2-line block ×3, first 2 shown]
	v_add_u32_e32 v48, 0x1c0, v10
	v_add_u32_e32 v1, v1, v10
	s_bitcmp1_b32 s17, 0
	v_lshl_add_u32 v49, v1, 1, 0
	v_lshrrev_b32_e32 v1, 5, v42
	v_lshrrev_b32_e32 v2, 5, v43
	;; [unrolled: 1-line block ×7, first 2 shown]
	s_cselect_b64 s[72:73], -1, 0
                                        ; implicit-def: $vgpr95 : SGPR spill to VGPR lane
	s_cmp_gt_i32 s38, 0
	v_and_b32_e32 v1, 6, v1
	v_and_b32_e32 v2, 6, v2
	;; [unrolled: 1-line block ×7, first 2 shown]
	v_writelane_b32 v95, s38, 0
	s_cselect_b64 s[2:3], -1, 0
	v_add_lshl_u32 v1, v1, v10, 1
	v_add_lshl_u32 v2, v2, v10, 1
	;; [unrolled: 1-line block ×7, first 2 shown]
	v_writelane_b32 v95, s2, 1
	s_add_i32 s0, 0, 0x420
	v_add_u32_e32 v58, s0, v1
	v_writelane_b32 v95, s3, 2
	v_add_u32_e32 v59, s0, v2
	v_add_u32_e32 v60, s0, v3
	;; [unrolled: 1-line block ×6, first 2 shown]
	s_and_b32 s0, s35, 0x1ff
	v_writelane_b32 v95, s35, 3
	s_cmp_eq_u32 s0, 0
	s_cselect_b64 s[76:77], -1, 0
	v_writelane_b32 v95, s1, 4
	s_add_i32 s0, s1, -1
	s_mul_i32 s70, s26, s28
	v_writelane_b32 v95, s0, 5
	s_lshl_b64 s[0:1], s[70:71], 1
	s_add_u32 s14, s18, s0
	s_mul_i32 s70, s29, s34
	s_addc_u32 s15, s19, s1
	s_lshl_b64 s[12:13], s[70:71], 1
	s_add_u32 s18, s14, s12
	s_mul_i32 s70, s26, s66
	s_addc_u32 s19, s15, s13
	;; [unrolled: 4-line block ×3, first 2 shown]
	s_lshl_b64 s[12:13], s[70:71], 1
	s_add_u32 s20, s14, s12
	s_mul_i32 s70, s26, s30
	v_lshrrev_b32_e32 v8, 2, v10
	s_addc_u32 s21, s15, s13
	s_lshl_b64 s[14:15], s[70:71], 1
	v_lshlrev_b32_e32 v11, 3, v0
	v_and_b32_e32 v8, 30, v8
	s_add_u32 s22, s24, s14
	v_lshl_add_u32 v8, v10, 3, v8
	v_cmp_eq_u32_e64 s[12:13], 63, v0
	s_addc_u32 s23, s25, s15
	v_cmp_gt_u32_e64 s[14:15], 64, v0
	v_cmp_eq_u32_e64 s[16:17], 0, v0
	v_or_b32_e32 v0, 1, v11
	v_mov_b32_e32 v9, 0
	v_add_u32_e32 v50, 0, v1
	v_lshl_add_u32 v57, v8, 1, 0
	v_and_b32_e32 v1, 15, v10
	v_lshlrev_b32_e32 v8, 1, v10
	s_mul_i32 s70, s31, s34
	scratch_store_dword off, v0, off offset:4 ; 4-byte Folded Spill
	v_or_b32_e32 v0, 2, v11
	v_cmp_ne_u32_e64 s[0:1], 0, v1
	v_cmp_lt_u32_e64 s[2:3], 1, v1
	v_cmp_lt_u32_e64 s[4:5], 3, v1
	;; [unrolled: 1-line block ×3, first 2 shown]
	v_and_b32_e32 v1, 16, v10
	v_lshl_add_u64 v[12:13], s[18:19], 0, v[8:9]
	s_lshl_b64 s[18:19], s[70:71], 1
	scratch_store_dword off, v0, off offset:8 ; 4-byte Folded Spill
	v_or_b32_e32 v0, 3, v11
	v_add_u32_e32 v51, 0, v2
	v_cmp_ne_u32_e64 s[8:9], 0, v1
	v_add_u32_e32 v1, -1, v10
	v_and_b32_e32 v2, 64, v10
	s_add_u32 s18, s22, s18
	scratch_store_dword off, v0, off offset:12 ; 4-byte Folded Spill
	v_or_b32_e32 v0, 4, v11
	v_cmp_lt_i32_e32 vcc, v1, v2
	s_addc_u32 s19, s23, s19
	scratch_store_dword off, v0, off offset:16 ; 4-byte Folded Spill
	v_or_b32_e32 v0, 5, v11
	v_cndmask_b32_e32 v1, v1, v10, vcc
	v_lshl_add_u64 v[16:17], s[18:19], 0, v[8:9]
	scratch_store_dword off, v0, off offset:20 ; 4-byte Folded Spill
	v_or_b32_e32 v0, 6, v11
	s_add_i32 s18, 0, 0x848
	v_add_u32_e32 v52, 0, v3
	v_add_u32_e32 v53, 0, v4
	;; [unrolled: 1-line block ×5, first 2 shown]
	v_cmp_lt_u32_e64 s[10:11], 31, v10
	v_lshlrev_b32_e32 v65, 2, v1
	v_lshl_add_u64 v[14:15], s[20:21], 0, v[8:9]
	scratch_store_dword off, v0, off offset:24 ; 4-byte Folded Spill
	scratch_store_dword off, v11, off       ; 4-byte Folded Spill
	v_or_b32_e32 v0, 7, v11
	v_lshlrev_b32_e32 v8, 1, v10
	s_mov_b32 s40, 0x41a00000
	s_mov_b32 s41, 0x3fb8aa3b
	;; [unrolled: 1-line block ×6, first 2 shown]
	v_mov_b32_e32 v73, 0x3ecc95a3
	s_mov_b32 s46, 0x3f317218
	s_mov_b32 s47, 0x33800000
	v_writelane_b32 v95, s18, 6
	s_mov_b32 s98, 0xc2fc0000
	s_movk_i32 s74, 0x7fff
	s_mov_b32 s97, 0xbfb8aa3b
	s_mov_b32 s93, 0x42ce8ed0
	;; [unrolled: 1-line block ×3, first 2 shown]
	v_mov_b32_e32 v74, 0x7f800000
	v_mov_b32_e32 v18, 0x3f317218
	;; [unrolled: 1-line block ×5, first 2 shown]
	s_mov_b32 s99, 0
	scratch_store_dword off, v0, off offset:28 ; 4-byte Folded Spill
                                        ; implicit-def: $vgpr0
	s_branch .LBB8_11
.LBB8_10:                               ;   in Loop: Header=BB8_11 Depth=1
	s_or_b64 exec, exec, s[18:19]
	s_add_u32 s64, s64, 0x400
	s_addc_u32 s65, s65, 0
	s_add_u32 s62, s62, 0x400
	s_addc_u32 s63, s63, 0
	;; [unrolled: 2-line block ×4, first 2 shown]
	s_add_i32 s99, s99, 1
	v_readlane_b32 s18, v95, 4
	s_cmp_lg_u32 s99, s18
	s_cbranch_scc0 .LBB8_168
.LBB8_11:                               ; =>This Loop Header: Depth=1
                                        ;     Child Loop BB8_60 Depth 2
	s_lshl_b32 s66, s99, 9
	v_readlane_b32 s18, v95, 3
	s_sub_i32 s50, s18, s66
	v_lshl_add_u64 v[0:1], s[62:63], 0, v[8:9]
	v_cmp_gt_u32_e64 s[18:19], s50, v10
	s_waitcnt lgkmcnt(0)
	v_mov_b32_e32 v2, 0
	s_waitcnt lgkmcnt(0)
	; wave barrier
	s_and_saveexec_b64 s[20:21], s[18:19]
	s_cbranch_execz .LBB8_13
; %bb.12:                               ;   in Loop: Header=BB8_11 Depth=1
	global_load_ushort v2, v[0:1], off
.LBB8_13:                               ;   in Loop: Header=BB8_11 Depth=1
	s_or_b64 exec, exec, s[20:21]
	v_cmp_gt_u32_e64 s[20:21], s50, v42
	v_mov_b32_e32 v3, 0
	v_mov_b32_e32 v4, 0
	s_and_saveexec_b64 s[22:23], s[20:21]
	s_cbranch_execz .LBB8_15
; %bb.14:                               ;   in Loop: Header=BB8_11 Depth=1
	global_load_ushort v4, v[0:1], off offset:128
.LBB8_15:                               ;   in Loop: Header=BB8_11 Depth=1
	s_or_b64 exec, exec, s[22:23]
	v_cmp_gt_u32_e64 s[22:23], s50, v43
	s_and_saveexec_b64 s[24:25], s[22:23]
	s_cbranch_execz .LBB8_17
; %bb.16:                               ;   in Loop: Header=BB8_11 Depth=1
	global_load_ushort v3, v[0:1], off offset:256
.LBB8_17:                               ;   in Loop: Header=BB8_11 Depth=1
	s_or_b64 exec, exec, s[24:25]
	v_cmp_gt_u32_e64 s[24:25], s50, v44
	v_mov_b32_e32 v5, 0
	v_mov_b32_e32 v7, 0
	s_and_saveexec_b64 s[26:27], s[24:25]
	s_cbranch_execz .LBB8_19
; %bb.18:                               ;   in Loop: Header=BB8_11 Depth=1
	global_load_ushort v7, v[0:1], off offset:384
.LBB8_19:                               ;   in Loop: Header=BB8_11 Depth=1
	s_or_b64 exec, exec, s[26:27]
	v_cmp_gt_u32_e64 s[26:27], s50, v45
	s_and_saveexec_b64 s[28:29], s[26:27]
	s_cbranch_execz .LBB8_21
; %bb.20:                               ;   in Loop: Header=BB8_11 Depth=1
	global_load_ushort v5, v[0:1], off offset:512
.LBB8_21:                               ;   in Loop: Header=BB8_11 Depth=1
	;; [unrolled: 16-line block ×3, first 2 shown]
	s_or_b64 exec, exec, s[34:35]
	v_cmp_gt_u32_e64 s[34:35], s50, v48
	v_mov_b32_e32 v6, 0
	v_mov_b32_e32 v20, 0
	s_and_saveexec_b64 s[36:37], s[34:35]
	s_cbranch_execz .LBB8_27
; %bb.26:                               ;   in Loop: Header=BB8_11 Depth=1
	global_load_ushort v20, v[0:1], off offset:896
.LBB8_27:                               ;   in Loop: Header=BB8_11 Depth=1
	s_or_b64 exec, exec, s[36:37]
	s_waitcnt vmcnt(0)
	ds_write_b16 v49, v2
	ds_write_b16 v50, v4 offset:128
	ds_write_b16 v51, v3 offset:256
	;; [unrolled: 1-line block ×7, first 2 shown]
	; wave barrier
	ds_read_b128 v[0:3], v57
	v_lshl_add_u64 v[4:5], s[64:65], 0, v[8:9]
	s_waitcnt lgkmcnt(0)
	; wave barrier
	s_waitcnt lgkmcnt(0)
	s_and_saveexec_b64 s[36:37], s[18:19]
	s_cbranch_execz .LBB8_29
; %bb.28:                               ;   in Loop: Header=BB8_11 Depth=1
	global_load_ushort v6, v[4:5], off
.LBB8_29:                               ;   in Loop: Header=BB8_11 Depth=1
	s_or_b64 exec, exec, s[36:37]
	v_mov_b32_e32 v7, 0
	v_mov_b32_e32 v19, 0
	s_and_saveexec_b64 s[36:37], s[20:21]
	s_cbranch_execz .LBB8_31
; %bb.30:                               ;   in Loop: Header=BB8_11 Depth=1
	global_load_ushort v19, v[4:5], off offset:128
.LBB8_31:                               ;   in Loop: Header=BB8_11 Depth=1
	s_or_b64 exec, exec, s[36:37]
	s_and_saveexec_b64 s[36:37], s[22:23]
	s_cbranch_execz .LBB8_33
; %bb.32:                               ;   in Loop: Header=BB8_11 Depth=1
	global_load_ushort v7, v[4:5], off offset:256
.LBB8_33:                               ;   in Loop: Header=BB8_11 Depth=1
	s_or_b64 exec, exec, s[36:37]
	v_mov_b32_e32 v11, 0
	v_mov_b32_e32 v20, 0
	s_and_saveexec_b64 s[36:37], s[24:25]
	s_cbranch_execz .LBB8_35
; %bb.34:                               ;   in Loop: Header=BB8_11 Depth=1
	global_load_ushort v20, v[4:5], off offset:384
.LBB8_35:                               ;   in Loop: Header=BB8_11 Depth=1
	s_or_b64 exec, exec, s[36:37]
	s_and_saveexec_b64 s[36:37], s[26:27]
	s_cbranch_execz .LBB8_37
; %bb.36:                               ;   in Loop: Header=BB8_11 Depth=1
	global_load_ushort v11, v[4:5], off offset:512
.LBB8_37:                               ;   in Loop: Header=BB8_11 Depth=1
	s_or_b64 exec, exec, s[36:37]
	v_mov_b32_e32 v21, 0
	v_mov_b32_e32 v22, 0
	s_and_saveexec_b64 s[36:37], s[28:29]
	s_cbranch_execnz .LBB8_151
; %bb.38:                               ;   in Loop: Header=BB8_11 Depth=1
	s_or_b64 exec, exec, s[36:37]
	s_and_saveexec_b64 s[36:37], s[30:31]
	s_cbranch_execnz .LBB8_152
.LBB8_39:                               ;   in Loop: Header=BB8_11 Depth=1
	s_or_b64 exec, exec, s[36:37]
	v_mov_b32_e32 v23, 0
	s_and_saveexec_b64 s[36:37], s[34:35]
	s_cbranch_execz .LBB8_41
.LBB8_40:                               ;   in Loop: Header=BB8_11 Depth=1
	global_load_ushort v23, v[4:5], off offset:896
.LBB8_41:                               ;   in Loop: Header=BB8_11 Depth=1
	s_or_b64 exec, exec, s[36:37]
	s_waitcnt vmcnt(0)
	ds_write_b16 v49, v6
	ds_write_b16 v50, v19 offset:128
	ds_write_b16 v51, v7 offset:256
	;; [unrolled: 1-line block ×7, first 2 shown]
	; wave barrier
	ds_read_b128 v[4:7], v57
	s_waitcnt lgkmcnt(0)
	v_lshlrev_b32_e32 v11, 16, v4
	v_add_f32_e32 v78, s33, v11
	v_cmp_ge_f32_e32 vcc, s40, v78
	s_and_b64 s[36:37], s[72:73], vcc
	s_and_saveexec_b64 s[38:39], s[36:37]
	s_cbranch_execz .LBB8_43
; %bb.42:                               ;   in Loop: Header=BB8_11 Depth=1
	v_mul_f32_e32 v11, 0x3fb8aa3b, v78
	v_rndne_f32_e32 v19, v11
	v_sub_f32_e32 v20, v11, v19
	v_fma_f32 v11, v78, s41, -v11
	v_fmac_f32_e32 v11, 0x32a5705f, v78
	v_add_f32_e32 v11, v20, v11
	v_cvt_i32_f32_e32 v19, v19
	v_exp_f32_e32 v11, v11
	v_cmp_ngt_f32_e32 vcc, s42, v78
	v_ldexp_f32 v11, v11, v19
	s_nop 0
	v_cndmask_b32_e32 v11, 0, v11, vcc
	v_cmp_nlt_f32_e32 vcc, s43, v78
	s_nop 1
	v_cndmask_b32_e32 v36, v74, v11, vcc
	v_add_f32_e32 v11, 1.0, v36
	v_add_f32_e32 v19, -1.0, v11
	v_sub_f32_e32 v20, v19, v11
	v_add_f32_e32 v20, 1.0, v20
	v_sub_f32_e32 v19, v36, v19
	v_add_f32_e32 v19, v19, v20
	v_frexp_mant_f32_e32 v22, v11
	v_cvt_f64_f32_e32 v[20:21], v11
	v_frexp_exp_i32_f64_e32 v20, v[20:21]
	v_cmp_gt_f32_e32 vcc, s45, v22
	v_cmp_gt_f32_e64 s[36:37], s47, v36
	s_nop 0
	v_subbrev_co_u32_e32 v28, vcc, 0, v20, vcc
	v_sub_u32_e32 v20, 0, v28
	v_ldexp_f32 v11, v11, v20
	v_ldexp_f32 v19, v19, v20
	v_add_f32_e32 v20, -1.0, v11
	v_add_f32_e32 v21, 1.0, v20
	v_sub_f32_e32 v21, v11, v21
	v_add_f32_e32 v22, v19, v21
	v_add_f32_e32 v21, 1.0, v11
	v_add_f32_e32 v23, -1.0, v21
	v_sub_f32_e32 v11, v11, v23
	v_add_f32_e32 v11, v19, v11
	v_add_f32_e32 v19, v21, v11
	v_rcp_f32_e32 v29, v19
	v_sub_f32_e32 v21, v21, v19
	v_add_f32_e32 v11, v11, v21
	v_add_f32_e32 v21, v20, v22
	v_sub_f32_e32 v20, v20, v21
	v_mul_f32_e32 v31, v21, v29
	v_add_f32_e32 v30, v22, v20
	v_mul_f32_e32 v22, v19, v31
	v_fma_f32 v24, v31, v19, -v22
	v_fmac_f32_e32 v24, v31, v11
	v_add_f32_e32 v20, v22, v24
	v_sub_f32_e32 v23, v21, v20
	v_pk_add_f32 v[26:27], v[20:21], v[22:23] neg_lo:[0,1] neg_hi:[0,1]
	v_mov_b32_e32 v25, v20
	v_pk_add_f32 v[20:21], v[26:27], v[24:25] neg_lo:[0,1] neg_hi:[0,1]
	v_cmp_eq_f32_e32 vcc, s44, v36
	v_add_f32_e32 v21, v30, v21
	v_add_f32_e32 v20, v20, v21
	;; [unrolled: 1-line block ×3, first 2 shown]
	v_mul_f32_e32 v30, v29, v21
	v_mul_f32_e32 v22, v19, v30
	v_fma_f32 v24, v30, v19, -v22
	v_fmac_f32_e32 v24, v30, v11
	v_sub_f32_e32 v11, v23, v21
	v_add_f32_e32 v11, v20, v11
	v_add_f32_e32 v20, v22, v24
	v_sub_f32_e32 v23, v21, v20
	v_pk_add_f32 v[26:27], v[20:21], v[22:23] neg_lo:[0,1] neg_hi:[0,1]
	v_mov_b32_e32 v25, v20
	v_pk_add_f32 v[20:21], v[26:27], v[24:25] neg_lo:[0,1] neg_hi:[0,1]
	s_or_b64 vcc, s[36:37], vcc
	v_add_f32_e32 v11, v11, v21
	v_add_f32_e32 v11, v20, v11
	;; [unrolled: 1-line block ×4, first 2 shown]
	v_sub_f32_e32 v19, v21, v31
	v_mul_f32_e32 v11, v29, v11
	v_sub_f32_e32 v19, v30, v19
	v_add_f32_e32 v11, v19, v11
	v_add_f32_e32 v22, v21, v11
	v_cvt_f32_i32_e32 v20, v28
	v_mul_f32_e32 v24, v22, v22
	v_fmamk_f32 v19, v24, 0x3e9b6dac, v73
	v_sub_f32_e32 v21, v22, v21
	v_fmaak_f32 v19, v24, v19, 0x3f2aaada
	v_sub_f32_e32 v11, v11, v21
	v_mul_f32_e32 v21, v22, v24
	v_pk_mul_f32 v[24:25], v[20:21], v[18:19]
	v_ldexp_f32 v23, v22, 1
	v_fma_f32 v22, v20, s46, -v24
	v_fmac_f32_e32 v22, 0xb102e308, v20
	v_pk_add_f32 v[20:21], v[24:25], v[22:23]
	v_ldexp_f32 v11, v11, 1
	v_sub_f32_e32 v19, v21, v23
	v_sub_f32_e32 v19, v25, v19
	v_add_f32_e32 v27, v11, v19
	v_mov_b32_e32 v26, v24
	v_pk_add_f32 v[24:25], v[20:21], v[24:25] neg_lo:[0,1] neg_hi:[0,1]
	v_pk_add_f32 v[28:29], v[20:21], v[26:27]
	v_mov_b32_e32 v23, v20
	v_mov_b32_e32 v25, v29
	v_pk_add_f32 v[30:31], v[22:23], v[24:25] neg_lo:[0,1] neg_hi:[0,1]
	v_pk_add_f32 v[22:23], v[22:23], v[24:25]
	v_mov_b32_e32 v26, v27
	v_mov_b32_e32 v24, v23
	v_pk_add_f32 v[32:33], v[24:25], v[20:21] neg_lo:[0,1] neg_hi:[0,1]
	v_mov_b32_e32 v22, v29
	v_mov_b32_e32 v11, v32
	v_pk_add_f32 v[34:35], v[28:29], v[10:11] neg_lo:[0,1] neg_hi:[0,1]
	v_mov_b32_e32 v28, v21
	v_mov_b32_e32 v29, v32
	;; [unrolled: 1-line block ×3, first 2 shown]
	v_pk_add_f32 v[22:23], v[22:23], v[28:29] neg_lo:[0,1] neg_hi:[0,1]
	v_mov_b32_e32 v27, v20
	v_pk_add_f32 v[20:21], v[26:27], v[22:23] neg_lo:[0,1] neg_hi:[0,1]
	v_mov_b32_e32 v34, v30
	v_pk_add_f32 v[22:23], v[34:35], v[20:21]
	s_nop 0
	v_mov_b32_e32 v26, v23
	v_pk_add_f32 v[26:27], v[22:23], v[26:27]
	s_nop 0
	v_pk_add_f32 v[24:25], v[24:25], v[26:27]
	v_mov_b32_e32 v21, v26
	v_mov_b32_e32 v23, v24
	v_pk_add_f32 v[28:29], v[22:23], v[30:31] neg_lo:[0,1] neg_hi:[0,1]
	s_nop 0
	v_sub_f32_e32 v11, v22, v28
	v_pk_add_f32 v[20:21], v[20:21], v[28:29] neg_lo:[0,1] neg_hi:[0,1]
	v_sub_f32_e32 v11, v30, v11
	v_add_f32_e32 v11, v20, v11
	v_add_f32_e32 v11, v11, v21
	;; [unrolled: 1-line block ×3, first 2 shown]
	v_cndmask_b32_e32 v78, v11, v36, vcc
.LBB8_43:                               ;   in Loop: Header=BB8_11 Depth=1
	s_or_b64 exec, exec, s[38:39]
	v_and_b32_e32 v4, 0xffff0000, v4
	v_add_f32_e32 v79, s33, v4
	v_cmp_ge_f32_e32 vcc, s40, v79
	s_and_b64 s[36:37], s[72:73], vcc
	s_and_saveexec_b64 s[38:39], s[36:37]
	s_cbranch_execz .LBB8_45
; %bb.44:                               ;   in Loop: Header=BB8_11 Depth=1
	v_mul_f32_e32 v4, 0x3fb8aa3b, v79
	v_rndne_f32_e32 v11, v4
	v_sub_f32_e32 v19, v4, v11
	v_fma_f32 v4, v79, s41, -v4
	v_fmac_f32_e32 v4, 0x32a5705f, v79
	v_add_f32_e32 v4, v19, v4
	v_cvt_i32_f32_e32 v11, v11
	v_exp_f32_e32 v4, v4
	v_cmp_ngt_f32_e32 vcc, s42, v79
	v_ldexp_f32 v4, v4, v11
	s_nop 0
	v_cndmask_b32_e32 v4, 0, v4, vcc
	v_cmp_nlt_f32_e32 vcc, s43, v79
	s_nop 1
	v_cndmask_b32_e32 v34, v74, v4, vcc
	v_add_f32_e32 v4, 1.0, v34
	v_add_f32_e32 v11, -1.0, v4
	v_sub_f32_e32 v19, v11, v4
	v_add_f32_e32 v19, 1.0, v19
	v_sub_f32_e32 v11, v34, v11
	v_add_f32_e32 v11, v11, v19
	v_frexp_mant_f32_e32 v19, v4
	v_cvt_f64_f32_e32 v[20:21], v4
	v_frexp_exp_i32_f64_e32 v20, v[20:21]
	v_cmp_gt_f32_e32 vcc, s45, v19
	v_cmp_gt_f32_e64 s[36:37], s47, v34
	s_nop 0
	v_subbrev_co_u32_e32 v28, vcc, 0, v20, vcc
	v_sub_u32_e32 v19, 0, v28
	v_ldexp_f32 v4, v4, v19
	v_ldexp_f32 v11, v11, v19
	v_add_f32_e32 v19, -1.0, v4
	v_add_f32_e32 v21, 1.0, v4
	v_add_f32_e32 v20, 1.0, v19
	v_add_f32_e32 v22, -1.0, v21
	v_sub_f32_e32 v20, v4, v20
	v_sub_f32_e32 v4, v4, v22
	v_add_f32_e32 v4, v11, v4
	v_add_f32_e32 v20, v11, v20
	;; [unrolled: 1-line block ×3, first 2 shown]
	v_rcp_f32_e32 v29, v11
	v_sub_f32_e32 v21, v21, v11
	v_add_f32_e32 v4, v4, v21
	v_add_f32_e32 v21, v19, v20
	v_mul_f32_e32 v30, v21, v29
	v_mul_f32_e32 v22, v11, v30
	v_fma_f32 v24, v30, v11, -v22
	v_sub_f32_e32 v19, v19, v21
	v_fmac_f32_e32 v24, v30, v4
	v_add_f32_e32 v19, v20, v19
	v_add_f32_e32 v20, v22, v24
	v_sub_f32_e32 v23, v21, v20
	v_pk_add_f32 v[26:27], v[20:21], v[22:23] neg_lo:[0,1] neg_hi:[0,1]
	v_mov_b32_e32 v25, v20
	v_pk_add_f32 v[20:21], v[26:27], v[24:25] neg_lo:[0,1] neg_hi:[0,1]
	v_cmp_eq_f32_e32 vcc, s44, v34
	v_add_f32_e32 v19, v19, v21
	v_add_f32_e32 v19, v20, v19
	v_add_f32_e32 v21, v23, v19
	v_mul_f32_e32 v31, v29, v21
	v_mul_f32_e32 v22, v11, v31
	v_fma_f32 v24, v31, v11, -v22
	v_fmac_f32_e32 v24, v31, v4
	v_add_f32_e32 v20, v22, v24
	v_sub_f32_e32 v4, v23, v21
	v_sub_f32_e32 v23, v21, v20
	v_pk_add_f32 v[26:27], v[20:21], v[22:23] neg_lo:[0,1] neg_hi:[0,1]
	v_mov_b32_e32 v25, v20
	v_add_f32_e32 v4, v19, v4
	v_pk_add_f32 v[20:21], v[26:27], v[24:25] neg_lo:[0,1] neg_hi:[0,1]
	v_add_f32_e32 v11, v30, v31
	v_add_f32_e32 v4, v4, v21
	;; [unrolled: 1-line block ×4, first 2 shown]
	v_sub_f32_e32 v19, v11, v30
	v_mul_f32_e32 v4, v29, v4
	v_sub_f32_e32 v19, v31, v19
	v_add_f32_e32 v4, v19, v4
	v_add_f32_e32 v21, v11, v4
	v_cvt_f32_i32_e32 v20, v28
	v_mul_f32_e32 v22, v21, v21
	v_fmamk_f32 v19, v22, 0x3e9b6dac, v73
	v_fmaak_f32 v19, v22, v19, 0x3f2aaada
	v_sub_f32_e32 v11, v21, v11
	v_ldexp_f32 v23, v21, 1
	v_mul_f32_e32 v21, v21, v22
	v_pk_mul_f32 v[24:25], v[20:21], v[18:19]
	v_sub_f32_e32 v4, v4, v11
	v_fma_f32 v22, v20, s46, -v24
	v_fmac_f32_e32 v22, 0xb102e308, v20
	v_pk_add_f32 v[20:21], v[24:25], v[22:23]
	v_ldexp_f32 v4, v4, 1
	v_sub_f32_e32 v11, v21, v23
	v_sub_f32_e32 v11, v25, v11
	v_add_f32_e32 v27, v4, v11
	v_mov_b32_e32 v26, v24
	v_pk_add_f32 v[24:25], v[20:21], v[24:25] neg_lo:[0,1] neg_hi:[0,1]
	v_pk_add_f32 v[28:29], v[20:21], v[26:27]
	v_mov_b32_e32 v23, v20
	v_mov_b32_e32 v25, v29
	v_pk_add_f32 v[30:31], v[22:23], v[24:25] neg_lo:[0,1] neg_hi:[0,1]
	v_pk_add_f32 v[22:23], v[22:23], v[24:25]
	s_or_b64 vcc, s[36:37], vcc
	v_mov_b32_e32 v4, v23
	v_pk_add_f32 v[24:25], v[4:5], v[20:21] neg_lo:[0,1] neg_hi:[0,1]
	v_mov_b32_e32 v22, v29
	v_mov_b32_e32 v11, v24
	v_pk_add_f32 v[32:33], v[28:29], v[10:11] neg_lo:[0,1] neg_hi:[0,1]
	v_mov_b32_e32 v28, v21
	v_mov_b32_e32 v29, v24
	;; [unrolled: 1-line block ×3, first 2 shown]
	v_pk_add_f32 v[22:23], v[22:23], v[28:29] neg_lo:[0,1] neg_hi:[0,1]
	v_mov_b32_e32 v24, v27
	v_mov_b32_e32 v25, v20
	v_pk_add_f32 v[20:21], v[24:25], v[22:23] neg_lo:[0,1] neg_hi:[0,1]
	v_mov_b32_e32 v32, v30
	v_pk_add_f32 v[22:23], v[32:33], v[20:21]
	s_nop 0
	v_mov_b32_e32 v24, v23
	v_pk_add_f32 v[24:25], v[22:23], v[24:25]
	s_nop 0
	v_pk_add_f32 v[26:27], v[4:5], v[24:25]
	v_mov_b32_e32 v21, v24
	v_mov_b32_e32 v23, v26
	v_pk_add_f32 v[28:29], v[22:23], v[30:31] neg_lo:[0,1] neg_hi:[0,1]
	s_nop 0
	v_sub_f32_e32 v4, v22, v28
	v_pk_add_f32 v[20:21], v[20:21], v[28:29] neg_lo:[0,1] neg_hi:[0,1]
	v_sub_f32_e32 v4, v30, v4
	v_add_f32_e32 v4, v20, v4
	v_add_f32_e32 v4, v4, v21
	;; [unrolled: 1-line block ×3, first 2 shown]
	v_cndmask_b32_e32 v79, v4, v34, vcc
.LBB8_45:                               ;   in Loop: Header=BB8_11 Depth=1
	s_or_b64 exec, exec, s[38:39]
	v_lshlrev_b32_e32 v4, 16, v5
	v_add_f32_e32 v80, s33, v4
	v_cmp_ge_f32_e32 vcc, s40, v80
	s_and_b64 s[36:37], s[72:73], vcc
	s_and_saveexec_b64 s[38:39], s[36:37]
	s_cbranch_execz .LBB8_47
; %bb.46:                               ;   in Loop: Header=BB8_11 Depth=1
	v_mul_f32_e32 v4, 0x3fb8aa3b, v80
	v_rndne_f32_e32 v11, v4
	v_sub_f32_e32 v19, v4, v11
	v_fma_f32 v4, v80, s41, -v4
	v_fmac_f32_e32 v4, 0x32a5705f, v80
	v_add_f32_e32 v4, v19, v4
	v_cvt_i32_f32_e32 v11, v11
	v_exp_f32_e32 v4, v4
	v_cmp_ngt_f32_e32 vcc, s42, v80
	v_ldexp_f32 v4, v4, v11
	s_nop 0
	v_cndmask_b32_e32 v4, 0, v4, vcc
	v_cmp_nlt_f32_e32 vcc, s43, v80
	s_nop 1
	v_cndmask_b32_e32 v34, v74, v4, vcc
	v_add_f32_e32 v4, 1.0, v34
	v_add_f32_e32 v11, -1.0, v4
	v_sub_f32_e32 v19, v11, v4
	v_add_f32_e32 v19, 1.0, v19
	v_sub_f32_e32 v11, v34, v11
	v_add_f32_e32 v11, v11, v19
	v_frexp_mant_f32_e32 v19, v4
	v_cvt_f64_f32_e32 v[20:21], v4
	v_frexp_exp_i32_f64_e32 v20, v[20:21]
	v_cmp_gt_f32_e32 vcc, s45, v19
	v_cmp_gt_f32_e64 s[36:37], s47, v34
	s_nop 0
	v_subbrev_co_u32_e32 v28, vcc, 0, v20, vcc
	v_sub_u32_e32 v19, 0, v28
	v_ldexp_f32 v4, v4, v19
	v_ldexp_f32 v11, v11, v19
	v_add_f32_e32 v19, -1.0, v4
	v_add_f32_e32 v21, 1.0, v4
	v_add_f32_e32 v20, 1.0, v19
	v_add_f32_e32 v22, -1.0, v21
	v_sub_f32_e32 v20, v4, v20
	v_sub_f32_e32 v4, v4, v22
	v_add_f32_e32 v4, v11, v4
	v_add_f32_e32 v20, v11, v20
	v_add_f32_e32 v11, v21, v4
	v_rcp_f32_e32 v29, v11
	v_sub_f32_e32 v21, v21, v11
	v_add_f32_e32 v4, v4, v21
	v_add_f32_e32 v21, v19, v20
	v_mul_f32_e32 v30, v21, v29
	v_mul_f32_e32 v22, v11, v30
	v_fma_f32 v24, v30, v11, -v22
	v_sub_f32_e32 v19, v19, v21
	v_fmac_f32_e32 v24, v30, v4
	v_add_f32_e32 v19, v20, v19
	v_add_f32_e32 v20, v22, v24
	v_sub_f32_e32 v23, v21, v20
	v_pk_add_f32 v[26:27], v[20:21], v[22:23] neg_lo:[0,1] neg_hi:[0,1]
	v_mov_b32_e32 v25, v20
	v_pk_add_f32 v[20:21], v[26:27], v[24:25] neg_lo:[0,1] neg_hi:[0,1]
	v_cmp_eq_f32_e32 vcc, s44, v34
	v_add_f32_e32 v19, v19, v21
	v_add_f32_e32 v19, v20, v19
	;; [unrolled: 1-line block ×3, first 2 shown]
	v_mul_f32_e32 v31, v29, v21
	v_mul_f32_e32 v22, v11, v31
	v_fma_f32 v24, v31, v11, -v22
	v_fmac_f32_e32 v24, v31, v4
	v_add_f32_e32 v20, v22, v24
	v_sub_f32_e32 v4, v23, v21
	v_sub_f32_e32 v23, v21, v20
	v_pk_add_f32 v[26:27], v[20:21], v[22:23] neg_lo:[0,1] neg_hi:[0,1]
	v_mov_b32_e32 v25, v20
	v_add_f32_e32 v4, v19, v4
	v_pk_add_f32 v[20:21], v[26:27], v[24:25] neg_lo:[0,1] neg_hi:[0,1]
	v_add_f32_e32 v11, v30, v31
	v_add_f32_e32 v4, v4, v21
	;; [unrolled: 1-line block ×4, first 2 shown]
	v_sub_f32_e32 v19, v11, v30
	v_mul_f32_e32 v4, v29, v4
	v_sub_f32_e32 v19, v31, v19
	v_add_f32_e32 v4, v19, v4
	v_add_f32_e32 v21, v11, v4
	v_cvt_f32_i32_e32 v20, v28
	v_mul_f32_e32 v22, v21, v21
	v_fmamk_f32 v19, v22, 0x3e9b6dac, v73
	v_fmaak_f32 v19, v22, v19, 0x3f2aaada
	v_sub_f32_e32 v11, v21, v11
	v_ldexp_f32 v23, v21, 1
	v_mul_f32_e32 v21, v21, v22
	v_pk_mul_f32 v[24:25], v[20:21], v[18:19]
	v_sub_f32_e32 v4, v4, v11
	v_fma_f32 v22, v20, s46, -v24
	v_fmac_f32_e32 v22, 0xb102e308, v20
	v_pk_add_f32 v[20:21], v[24:25], v[22:23]
	v_ldexp_f32 v4, v4, 1
	v_sub_f32_e32 v11, v21, v23
	v_sub_f32_e32 v11, v25, v11
	v_add_f32_e32 v27, v4, v11
	v_mov_b32_e32 v26, v24
	v_pk_add_f32 v[24:25], v[20:21], v[24:25] neg_lo:[0,1] neg_hi:[0,1]
	v_pk_add_f32 v[28:29], v[20:21], v[26:27]
	v_mov_b32_e32 v23, v20
	v_mov_b32_e32 v25, v29
	v_pk_add_f32 v[30:31], v[22:23], v[24:25] neg_lo:[0,1] neg_hi:[0,1]
	v_pk_add_f32 v[22:23], v[22:23], v[24:25]
	s_or_b64 vcc, s[36:37], vcc
	v_mov_b32_e32 v4, v23
	v_pk_add_f32 v[24:25], v[4:5], v[20:21] neg_lo:[0,1] neg_hi:[0,1]
	v_mov_b32_e32 v22, v29
	v_mov_b32_e32 v11, v24
	v_pk_add_f32 v[32:33], v[28:29], v[10:11] neg_lo:[0,1] neg_hi:[0,1]
	v_mov_b32_e32 v28, v21
	v_mov_b32_e32 v29, v24
	;; [unrolled: 1-line block ×3, first 2 shown]
	v_pk_add_f32 v[22:23], v[22:23], v[28:29] neg_lo:[0,1] neg_hi:[0,1]
	v_mov_b32_e32 v24, v27
	v_mov_b32_e32 v25, v20
	v_pk_add_f32 v[20:21], v[24:25], v[22:23] neg_lo:[0,1] neg_hi:[0,1]
	v_mov_b32_e32 v32, v30
	v_pk_add_f32 v[22:23], v[32:33], v[20:21]
	s_nop 0
	v_mov_b32_e32 v24, v23
	v_pk_add_f32 v[24:25], v[22:23], v[24:25]
	s_nop 0
	v_pk_add_f32 v[26:27], v[4:5], v[24:25]
	v_mov_b32_e32 v21, v24
	v_mov_b32_e32 v23, v26
	v_pk_add_f32 v[28:29], v[22:23], v[30:31] neg_lo:[0,1] neg_hi:[0,1]
	s_nop 0
	v_sub_f32_e32 v4, v22, v28
	v_pk_add_f32 v[20:21], v[20:21], v[28:29] neg_lo:[0,1] neg_hi:[0,1]
	v_sub_f32_e32 v4, v30, v4
	v_add_f32_e32 v4, v20, v4
	v_add_f32_e32 v4, v4, v21
	v_add_f32_e32 v4, v26, v4
	v_cndmask_b32_e32 v80, v4, v34, vcc
.LBB8_47:                               ;   in Loop: Header=BB8_11 Depth=1
	s_or_b64 exec, exec, s[38:39]
	v_and_b32_e32 v4, 0xffff0000, v5
	v_add_f32_e32 v81, s33, v4
	v_cmp_ge_f32_e32 vcc, s40, v81
	s_and_b64 s[36:37], s[72:73], vcc
	s_and_saveexec_b64 s[38:39], s[36:37]
	s_cbranch_execz .LBB8_49
; %bb.48:                               ;   in Loop: Header=BB8_11 Depth=1
	v_mul_f32_e32 v4, 0x3fb8aa3b, v81
	v_rndne_f32_e32 v5, v4
	v_sub_f32_e32 v11, v4, v5
	v_fma_f32 v4, v81, s41, -v4
	v_fmac_f32_e32 v4, 0x32a5705f, v81
	v_add_f32_e32 v4, v11, v4
	v_cvt_i32_f32_e32 v5, v5
	v_exp_f32_e32 v4, v4
	v_cmp_ngt_f32_e32 vcc, s42, v81
	v_ldexp_f32 v4, v4, v5
	s_nop 0
	v_cndmask_b32_e32 v4, 0, v4, vcc
	v_cmp_nlt_f32_e32 vcc, s43, v81
	s_nop 1
	v_cndmask_b32_e32 v34, v74, v4, vcc
	v_add_f32_e32 v11, 1.0, v34
	v_add_f32_e32 v4, -1.0, v11
	v_sub_f32_e32 v5, v4, v11
	v_add_f32_e32 v5, 1.0, v5
	v_sub_f32_e32 v4, v34, v4
	v_add_f32_e32 v19, v4, v5
	v_frexp_mant_f32_e32 v20, v11
	v_cvt_f64_f32_e32 v[4:5], v11
	v_frexp_exp_i32_f64_e32 v4, v[4:5]
	v_cmp_gt_f32_e32 vcc, s45, v20
	v_cmp_gt_f32_e64 s[36:37], s47, v34
	s_nop 0
	v_subbrev_co_u32_e32 v26, vcc, 0, v4, vcc
	v_sub_u32_e32 v4, 0, v26
	v_ldexp_f32 v5, v11, v4
	v_add_f32_e32 v11, -1.0, v5
	v_add_f32_e32 v20, 1.0, v5
	v_ldexp_f32 v4, v19, v4
	v_add_f32_e32 v19, 1.0, v11
	v_add_f32_e32 v21, -1.0, v20
	v_sub_f32_e32 v19, v5, v19
	v_sub_f32_e32 v5, v5, v21
	v_add_f32_e32 v19, v4, v19
	v_add_f32_e32 v4, v4, v5
	;; [unrolled: 1-line block ×3, first 2 shown]
	v_rcp_f32_e32 v29, v27
	v_sub_f32_e32 v5, v20, v27
	v_add_f32_e32 v28, v4, v5
	v_add_f32_e32 v5, v11, v19
	v_sub_f32_e32 v4, v11, v5
	v_add_f32_e32 v11, v19, v4
	v_mul_f32_e32 v19, v5, v29
	v_mul_f32_e32 v20, v27, v19
	v_fma_f32 v22, v19, v27, -v20
	v_fmac_f32_e32 v22, v19, v28
	v_add_f32_e32 v4, v20, v22
	v_sub_f32_e32 v21, v5, v4
	v_pk_add_f32 v[24:25], v[4:5], v[20:21] neg_lo:[0,1] neg_hi:[0,1]
	v_mov_b32_e32 v23, v4
	v_pk_add_f32 v[4:5], v[24:25], v[22:23] neg_lo:[0,1] neg_hi:[0,1]
	v_cmp_eq_f32_e32 vcc, s44, v34
	v_add_f32_e32 v5, v11, v5
	v_add_f32_e32 v4, v4, v5
	;; [unrolled: 1-line block ×3, first 2 shown]
	v_mul_f32_e32 v11, v29, v5
	v_mul_f32_e32 v20, v27, v11
	v_fma_f32 v22, v11, v27, -v20
	v_fmac_f32_e32 v22, v11, v28
	v_sub_f32_e32 v21, v21, v5
	v_add_f32_e32 v27, v4, v21
	v_add_f32_e32 v4, v20, v22
	v_sub_f32_e32 v21, v5, v4
	v_pk_add_f32 v[24:25], v[4:5], v[20:21] neg_lo:[0,1] neg_hi:[0,1]
	v_mov_b32_e32 v23, v4
	v_pk_add_f32 v[4:5], v[24:25], v[22:23] neg_lo:[0,1] neg_hi:[0,1]
	s_or_b64 vcc, s[36:37], vcc
	v_add_f32_e32 v5, v27, v5
	v_add_f32_e32 v4, v4, v5
	;; [unrolled: 1-line block ×4, first 2 shown]
	v_sub_f32_e32 v19, v5, v19
	v_mul_f32_e32 v4, v29, v4
	v_sub_f32_e32 v11, v11, v19
	v_add_f32_e32 v11, v11, v4
	v_add_f32_e32 v20, v5, v11
	v_mul_f32_e32 v22, v20, v20
	v_fmamk_f32 v4, v22, 0x3e9b6dac, v73
	v_fmaak_f32 v19, v22, v4, 0x3f2aaada
	v_cvt_f32_i32_e32 v4, v26
	v_sub_f32_e32 v5, v20, v5
	v_sub_f32_e32 v5, v11, v5
	v_ldexp_f32 v11, v5, 1
	v_mul_f32_e32 v5, v20, v22
	v_pk_mul_f32 v[22:23], v[4:5], v[18:19]
	v_ldexp_f32 v21, v20, 1
	v_fma_f32 v20, v4, s46, -v22
	v_fmac_f32_e32 v20, 0xb102e308, v4
	v_pk_add_f32 v[4:5], v[22:23], v[20:21]
	v_mov_b32_e32 v24, v22
	v_sub_f32_e32 v19, v5, v21
	v_sub_f32_e32 v19, v23, v19
	v_add_f32_e32 v25, v11, v19
	v_pk_add_f32 v[22:23], v[4:5], v[22:23] neg_lo:[0,1] neg_hi:[0,1]
	v_pk_add_f32 v[26:27], v[4:5], v[24:25]
	v_mov_b32_e32 v21, v4
	v_mov_b32_e32 v23, v27
	v_pk_add_f32 v[28:29], v[20:21], v[22:23] neg_lo:[0,1] neg_hi:[0,1]
	v_pk_add_f32 v[20:21], v[20:21], v[22:23]
	v_mov_b32_e32 v24, v25
	v_mov_b32_e32 v22, v21
	v_pk_add_f32 v[30:31], v[22:23], v[4:5] neg_lo:[0,1] neg_hi:[0,1]
	v_mov_b32_e32 v20, v27
	v_mov_b32_e32 v11, v30
	v_pk_add_f32 v[32:33], v[26:27], v[10:11] neg_lo:[0,1] neg_hi:[0,1]
	v_mov_b32_e32 v26, v5
	v_mov_b32_e32 v27, v30
	;; [unrolled: 1-line block ×3, first 2 shown]
	v_pk_add_f32 v[20:21], v[20:21], v[26:27] neg_lo:[0,1] neg_hi:[0,1]
	v_mov_b32_e32 v25, v4
	v_pk_add_f32 v[4:5], v[24:25], v[20:21] neg_lo:[0,1] neg_hi:[0,1]
	v_mov_b32_e32 v32, v28
	v_pk_add_f32 v[20:21], v[32:33], v[4:5]
	s_nop 0
	v_mov_b32_e32 v24, v21
	v_pk_add_f32 v[24:25], v[20:21], v[24:25]
	s_nop 0
	v_pk_add_f32 v[22:23], v[22:23], v[24:25]
	v_mov_b32_e32 v5, v24
	v_mov_b32_e32 v21, v22
	v_pk_add_f32 v[26:27], v[20:21], v[28:29] neg_lo:[0,1] neg_hi:[0,1]
	s_nop 0
	v_sub_f32_e32 v11, v20, v26
	v_pk_add_f32 v[4:5], v[4:5], v[26:27] neg_lo:[0,1] neg_hi:[0,1]
	v_sub_f32_e32 v11, v28, v11
	v_add_f32_e32 v4, v4, v11
	v_add_f32_e32 v4, v4, v5
	;; [unrolled: 1-line block ×3, first 2 shown]
	v_cndmask_b32_e32 v81, v4, v34, vcc
.LBB8_49:                               ;   in Loop: Header=BB8_11 Depth=1
	s_or_b64 exec, exec, s[38:39]
	v_lshlrev_b32_e32 v4, 16, v6
	v_add_f32_e32 v82, s33, v4
	v_cmp_ge_f32_e32 vcc, s40, v82
	s_and_b64 s[36:37], s[72:73], vcc
	s_and_saveexec_b64 s[38:39], s[36:37]
	s_cbranch_execz .LBB8_51
; %bb.50:                               ;   in Loop: Header=BB8_11 Depth=1
	v_mul_f32_e32 v4, 0x3fb8aa3b, v82
	v_rndne_f32_e32 v5, v4
	v_sub_f32_e32 v11, v4, v5
	v_fma_f32 v4, v82, s41, -v4
	v_fmac_f32_e32 v4, 0x32a5705f, v82
	v_add_f32_e32 v4, v11, v4
	v_cvt_i32_f32_e32 v5, v5
	v_exp_f32_e32 v4, v4
	v_cmp_ngt_f32_e32 vcc, s42, v82
	v_ldexp_f32 v4, v4, v5
	s_nop 0
	v_cndmask_b32_e32 v4, 0, v4, vcc
	v_cmp_nlt_f32_e32 vcc, s43, v82
	s_nop 1
	v_cndmask_b32_e32 v34, v74, v4, vcc
	v_add_f32_e32 v11, 1.0, v34
	v_add_f32_e32 v4, -1.0, v11
	v_sub_f32_e32 v5, v4, v11
	v_add_f32_e32 v5, 1.0, v5
	v_sub_f32_e32 v4, v34, v4
	v_add_f32_e32 v19, v4, v5
	v_frexp_mant_f32_e32 v20, v11
	v_cvt_f64_f32_e32 v[4:5], v11
	v_frexp_exp_i32_f64_e32 v4, v[4:5]
	v_cmp_gt_f32_e32 vcc, s45, v20
	v_cmp_gt_f32_e64 s[36:37], s47, v34
	s_nop 0
	v_subbrev_co_u32_e32 v26, vcc, 0, v4, vcc
	v_sub_u32_e32 v4, 0, v26
	v_ldexp_f32 v5, v11, v4
	v_add_f32_e32 v11, -1.0, v5
	v_add_f32_e32 v20, 1.0, v5
	v_ldexp_f32 v4, v19, v4
	v_add_f32_e32 v19, 1.0, v11
	v_add_f32_e32 v21, -1.0, v20
	v_sub_f32_e32 v19, v5, v19
	v_sub_f32_e32 v5, v5, v21
	v_add_f32_e32 v19, v4, v19
	v_add_f32_e32 v4, v4, v5
	;; [unrolled: 1-line block ×3, first 2 shown]
	v_rcp_f32_e32 v29, v27
	v_sub_f32_e32 v5, v20, v27
	v_add_f32_e32 v28, v4, v5
	v_add_f32_e32 v5, v11, v19
	v_sub_f32_e32 v4, v11, v5
	v_add_f32_e32 v11, v19, v4
	v_mul_f32_e32 v19, v5, v29
	v_mul_f32_e32 v20, v27, v19
	v_fma_f32 v22, v19, v27, -v20
	v_fmac_f32_e32 v22, v19, v28
	v_add_f32_e32 v4, v20, v22
	v_sub_f32_e32 v21, v5, v4
	v_pk_add_f32 v[24:25], v[4:5], v[20:21] neg_lo:[0,1] neg_hi:[0,1]
	v_mov_b32_e32 v23, v4
	v_pk_add_f32 v[4:5], v[24:25], v[22:23] neg_lo:[0,1] neg_hi:[0,1]
	v_cmp_eq_f32_e32 vcc, s44, v34
	v_add_f32_e32 v5, v11, v5
	v_add_f32_e32 v4, v4, v5
	v_add_f32_e32 v5, v21, v4
	v_mul_f32_e32 v11, v29, v5
	v_mul_f32_e32 v20, v27, v11
	v_fma_f32 v22, v11, v27, -v20
	v_fmac_f32_e32 v22, v11, v28
	v_sub_f32_e32 v21, v21, v5
	v_add_f32_e32 v27, v4, v21
	v_add_f32_e32 v4, v20, v22
	v_sub_f32_e32 v21, v5, v4
	v_pk_add_f32 v[24:25], v[4:5], v[20:21] neg_lo:[0,1] neg_hi:[0,1]
	v_mov_b32_e32 v23, v4
	v_pk_add_f32 v[4:5], v[24:25], v[22:23] neg_lo:[0,1] neg_hi:[0,1]
	s_or_b64 vcc, s[36:37], vcc
	v_add_f32_e32 v5, v27, v5
	v_add_f32_e32 v4, v4, v5
	;; [unrolled: 1-line block ×4, first 2 shown]
	v_sub_f32_e32 v19, v5, v19
	v_mul_f32_e32 v4, v29, v4
	v_sub_f32_e32 v11, v11, v19
	v_add_f32_e32 v11, v11, v4
	v_add_f32_e32 v20, v5, v11
	v_mul_f32_e32 v22, v20, v20
	v_fmamk_f32 v4, v22, 0x3e9b6dac, v73
	v_fmaak_f32 v19, v22, v4, 0x3f2aaada
	v_cvt_f32_i32_e32 v4, v26
	v_sub_f32_e32 v5, v20, v5
	v_sub_f32_e32 v5, v11, v5
	v_ldexp_f32 v11, v5, 1
	v_mul_f32_e32 v5, v20, v22
	v_pk_mul_f32 v[22:23], v[4:5], v[18:19]
	v_ldexp_f32 v21, v20, 1
	v_fma_f32 v20, v4, s46, -v22
	v_fmac_f32_e32 v20, 0xb102e308, v4
	v_pk_add_f32 v[4:5], v[22:23], v[20:21]
	v_mov_b32_e32 v24, v22
	v_sub_f32_e32 v19, v5, v21
	v_sub_f32_e32 v19, v23, v19
	v_add_f32_e32 v25, v11, v19
	v_pk_add_f32 v[22:23], v[4:5], v[22:23] neg_lo:[0,1] neg_hi:[0,1]
	v_pk_add_f32 v[26:27], v[4:5], v[24:25]
	v_mov_b32_e32 v21, v4
	v_mov_b32_e32 v23, v27
	v_pk_add_f32 v[28:29], v[20:21], v[22:23] neg_lo:[0,1] neg_hi:[0,1]
	v_pk_add_f32 v[20:21], v[20:21], v[22:23]
	v_mov_b32_e32 v24, v25
	v_mov_b32_e32 v22, v21
	v_pk_add_f32 v[30:31], v[22:23], v[4:5] neg_lo:[0,1] neg_hi:[0,1]
	v_mov_b32_e32 v20, v27
	v_mov_b32_e32 v11, v30
	v_pk_add_f32 v[32:33], v[26:27], v[10:11] neg_lo:[0,1] neg_hi:[0,1]
	v_mov_b32_e32 v26, v5
	v_mov_b32_e32 v27, v30
	;; [unrolled: 1-line block ×3, first 2 shown]
	v_pk_add_f32 v[20:21], v[20:21], v[26:27] neg_lo:[0,1] neg_hi:[0,1]
	v_mov_b32_e32 v25, v4
	v_pk_add_f32 v[4:5], v[24:25], v[20:21] neg_lo:[0,1] neg_hi:[0,1]
	v_mov_b32_e32 v32, v28
	v_pk_add_f32 v[20:21], v[32:33], v[4:5]
	s_nop 0
	v_mov_b32_e32 v24, v21
	v_pk_add_f32 v[24:25], v[20:21], v[24:25]
	s_nop 0
	v_pk_add_f32 v[22:23], v[22:23], v[24:25]
	v_mov_b32_e32 v5, v24
	v_mov_b32_e32 v21, v22
	v_pk_add_f32 v[26:27], v[20:21], v[28:29] neg_lo:[0,1] neg_hi:[0,1]
	s_nop 0
	v_sub_f32_e32 v11, v20, v26
	v_pk_add_f32 v[4:5], v[4:5], v[26:27] neg_lo:[0,1] neg_hi:[0,1]
	v_sub_f32_e32 v11, v28, v11
	v_add_f32_e32 v4, v4, v11
	v_add_f32_e32 v4, v4, v5
	;; [unrolled: 1-line block ×3, first 2 shown]
	v_cndmask_b32_e32 v82, v4, v34, vcc
.LBB8_51:                               ;   in Loop: Header=BB8_11 Depth=1
	s_or_b64 exec, exec, s[38:39]
	v_and_b32_e32 v4, 0xffff0000, v6
	v_add_f32_e32 v83, s33, v4
	v_cmp_ge_f32_e32 vcc, s40, v83
	s_and_b64 s[36:37], s[72:73], vcc
	s_and_saveexec_b64 s[38:39], s[36:37]
	s_cbranch_execz .LBB8_53
; %bb.52:                               ;   in Loop: Header=BB8_11 Depth=1
	v_mul_f32_e32 v4, 0x3fb8aa3b, v83
	v_rndne_f32_e32 v5, v4
	v_sub_f32_e32 v6, v4, v5
	v_fma_f32 v4, v83, s41, -v4
	v_fmac_f32_e32 v4, 0x32a5705f, v83
	v_add_f32_e32 v4, v6, v4
	v_cvt_i32_f32_e32 v5, v5
	v_exp_f32_e32 v4, v4
	v_cmp_ngt_f32_e32 vcc, s42, v83
	v_ldexp_f32 v4, v4, v5
	s_nop 0
	v_cndmask_b32_e32 v4, 0, v4, vcc
	v_cmp_nlt_f32_e32 vcc, s43, v83
	s_nop 1
	v_cndmask_b32_e32 v32, v74, v4, vcc
	v_add_f32_e32 v6, 1.0, v32
	v_add_f32_e32 v4, -1.0, v6
	v_sub_f32_e32 v5, v4, v6
	v_add_f32_e32 v5, 1.0, v5
	v_sub_f32_e32 v4, v32, v4
	v_add_f32_e32 v11, v4, v5
	v_frexp_mant_f32_e32 v19, v6
	v_cvt_f64_f32_e32 v[4:5], v6
	v_frexp_exp_i32_f64_e32 v4, v[4:5]
	v_cmp_gt_f32_e32 vcc, s45, v19
	v_cmp_gt_f32_e64 s[36:37], s47, v32
	s_nop 0
	v_subbrev_co_u32_e32 v26, vcc, 0, v4, vcc
	v_sub_u32_e32 v4, 0, v26
	v_ldexp_f32 v5, v6, v4
	v_add_f32_e32 v6, -1.0, v5
	v_add_f32_e32 v19, 1.0, v5
	v_ldexp_f32 v4, v11, v4
	v_add_f32_e32 v11, 1.0, v6
	v_add_f32_e32 v20, -1.0, v19
	v_sub_f32_e32 v11, v5, v11
	v_sub_f32_e32 v5, v5, v20
	v_add_f32_e32 v11, v4, v11
	v_add_f32_e32 v4, v4, v5
	;; [unrolled: 1-line block ×3, first 2 shown]
	v_rcp_f32_e32 v28, v27
	v_sub_f32_e32 v5, v19, v27
	v_add_f32_e32 v19, v4, v5
	v_add_f32_e32 v5, v6, v11
	v_sub_f32_e32 v4, v6, v5
	v_add_f32_e32 v6, v11, v4
	v_mul_f32_e32 v11, v5, v28
	v_mul_f32_e32 v20, v27, v11
	v_fma_f32 v22, v11, v27, -v20
	v_fmac_f32_e32 v22, v11, v19
	v_add_f32_e32 v4, v20, v22
	v_sub_f32_e32 v21, v5, v4
	v_pk_add_f32 v[24:25], v[4:5], v[20:21] neg_lo:[0,1] neg_hi:[0,1]
	v_mov_b32_e32 v23, v4
	v_pk_add_f32 v[4:5], v[24:25], v[22:23] neg_lo:[0,1] neg_hi:[0,1]
	v_cmp_eq_f32_e32 vcc, s44, v32
	v_add_f32_e32 v5, v6, v5
	v_add_f32_e32 v4, v4, v5
	;; [unrolled: 1-line block ×3, first 2 shown]
	v_mul_f32_e32 v6, v28, v5
	v_mul_f32_e32 v20, v27, v6
	v_fma_f32 v22, v6, v27, -v20
	v_fmac_f32_e32 v22, v6, v19
	v_sub_f32_e32 v19, v21, v5
	v_add_f32_e32 v19, v4, v19
	v_add_f32_e32 v4, v20, v22
	v_sub_f32_e32 v21, v5, v4
	v_pk_add_f32 v[24:25], v[4:5], v[20:21] neg_lo:[0,1] neg_hi:[0,1]
	v_mov_b32_e32 v23, v4
	v_pk_add_f32 v[4:5], v[24:25], v[22:23] neg_lo:[0,1] neg_hi:[0,1]
	s_or_b64 vcc, s[36:37], vcc
	v_add_f32_e32 v5, v19, v5
	v_add_f32_e32 v4, v4, v5
	;; [unrolled: 1-line block ×4, first 2 shown]
	v_sub_f32_e32 v11, v5, v11
	v_mul_f32_e32 v4, v28, v4
	v_sub_f32_e32 v6, v6, v11
	v_add_f32_e32 v6, v6, v4
	v_add_f32_e32 v11, v5, v6
	v_mul_f32_e32 v20, v11, v11
	v_fmamk_f32 v4, v20, 0x3e9b6dac, v73
	v_fmaak_f32 v19, v20, v4, 0x3f2aaada
	v_cvt_f32_i32_e32 v4, v26
	v_sub_f32_e32 v5, v11, v5
	v_sub_f32_e32 v5, v6, v5
	v_ldexp_f32 v6, v5, 1
	v_mul_f32_e32 v5, v11, v20
	v_pk_mul_f32 v[22:23], v[4:5], v[18:19]
	v_ldexp_f32 v21, v11, 1
	v_fma_f32 v20, v4, s46, -v22
	v_fmac_f32_e32 v20, 0xb102e308, v4
	v_pk_add_f32 v[4:5], v[22:23], v[20:21]
	v_mov_b32_e32 v24, v22
	v_sub_f32_e32 v11, v5, v21
	v_sub_f32_e32 v11, v23, v11
	v_add_f32_e32 v25, v6, v11
	v_pk_add_f32 v[22:23], v[4:5], v[22:23] neg_lo:[0,1] neg_hi:[0,1]
	v_pk_add_f32 v[26:27], v[4:5], v[24:25]
	v_mov_b32_e32 v21, v4
	v_mov_b32_e32 v23, v27
	v_pk_add_f32 v[28:29], v[20:21], v[22:23] neg_lo:[0,1] neg_hi:[0,1]
	v_pk_add_f32 v[20:21], v[20:21], v[22:23]
	s_nop 0
	v_mov_b32_e32 v6, v21
	v_pk_add_f32 v[22:23], v[6:7], v[4:5] neg_lo:[0,1] neg_hi:[0,1]
	v_mov_b32_e32 v20, v27
	v_mov_b32_e32 v11, v22
	v_pk_add_f32 v[30:31], v[26:27], v[10:11] neg_lo:[0,1] neg_hi:[0,1]
	v_mov_b32_e32 v26, v5
	v_mov_b32_e32 v27, v22
	;; [unrolled: 1-line block ×3, first 2 shown]
	v_pk_add_f32 v[20:21], v[20:21], v[26:27] neg_lo:[0,1] neg_hi:[0,1]
	v_mov_b32_e32 v22, v25
	v_mov_b32_e32 v23, v4
	v_pk_add_f32 v[4:5], v[22:23], v[20:21] neg_lo:[0,1] neg_hi:[0,1]
	v_mov_b32_e32 v30, v28
	v_pk_add_f32 v[20:21], v[30:31], v[4:5]
	s_nop 0
	v_mov_b32_e32 v22, v21
	v_pk_add_f32 v[22:23], v[20:21], v[22:23]
	s_nop 0
	v_pk_add_f32 v[24:25], v[6:7], v[22:23]
	v_mov_b32_e32 v5, v22
	v_mov_b32_e32 v21, v24
	v_pk_add_f32 v[26:27], v[20:21], v[28:29] neg_lo:[0,1] neg_hi:[0,1]
	s_nop 0
	v_sub_f32_e32 v6, v20, v26
	v_pk_add_f32 v[4:5], v[4:5], v[26:27] neg_lo:[0,1] neg_hi:[0,1]
	v_sub_f32_e32 v6, v28, v6
	v_add_f32_e32 v4, v4, v6
	v_add_f32_e32 v4, v4, v5
	;; [unrolled: 1-line block ×3, first 2 shown]
	v_cndmask_b32_e32 v83, v4, v32, vcc
.LBB8_53:                               ;   in Loop: Header=BB8_11 Depth=1
	s_or_b64 exec, exec, s[38:39]
	v_lshlrev_b32_e32 v4, 16, v7
	v_add_f32_e32 v84, s33, v4
	v_cmp_ge_f32_e32 vcc, s40, v84
	s_and_b64 s[36:37], s[72:73], vcc
	s_and_saveexec_b64 s[38:39], s[36:37]
	s_cbranch_execz .LBB8_55
; %bb.54:                               ;   in Loop: Header=BB8_11 Depth=1
	v_mul_f32_e32 v4, 0x3fb8aa3b, v84
	v_rndne_f32_e32 v5, v4
	v_sub_f32_e32 v6, v4, v5
	v_fma_f32 v4, v84, s41, -v4
	v_fmac_f32_e32 v4, 0x32a5705f, v84
	v_add_f32_e32 v4, v6, v4
	v_cvt_i32_f32_e32 v5, v5
	v_exp_f32_e32 v4, v4
	v_cmp_ngt_f32_e32 vcc, s42, v84
	v_ldexp_f32 v4, v4, v5
	s_nop 0
	v_cndmask_b32_e32 v4, 0, v4, vcc
	v_cmp_nlt_f32_e32 vcc, s43, v84
	s_nop 1
	v_cndmask_b32_e32 v32, v74, v4, vcc
	v_add_f32_e32 v6, 1.0, v32
	v_add_f32_e32 v4, -1.0, v6
	v_sub_f32_e32 v5, v4, v6
	v_add_f32_e32 v5, 1.0, v5
	v_sub_f32_e32 v4, v32, v4
	v_add_f32_e32 v11, v4, v5
	v_frexp_mant_f32_e32 v19, v6
	v_cvt_f64_f32_e32 v[4:5], v6
	v_frexp_exp_i32_f64_e32 v4, v[4:5]
	v_cmp_gt_f32_e32 vcc, s45, v19
	v_cmp_gt_f32_e64 s[36:37], s47, v32
	s_nop 0
	v_subbrev_co_u32_e32 v26, vcc, 0, v4, vcc
	v_sub_u32_e32 v4, 0, v26
	v_ldexp_f32 v5, v6, v4
	v_add_f32_e32 v6, -1.0, v5
	v_add_f32_e32 v19, 1.0, v5
	v_ldexp_f32 v4, v11, v4
	v_add_f32_e32 v11, 1.0, v6
	v_add_f32_e32 v20, -1.0, v19
	v_sub_f32_e32 v11, v5, v11
	v_sub_f32_e32 v5, v5, v20
	v_add_f32_e32 v11, v4, v11
	v_add_f32_e32 v4, v4, v5
	;; [unrolled: 1-line block ×3, first 2 shown]
	v_rcp_f32_e32 v28, v27
	v_sub_f32_e32 v5, v19, v27
	v_add_f32_e32 v19, v4, v5
	v_add_f32_e32 v5, v6, v11
	v_sub_f32_e32 v4, v6, v5
	v_add_f32_e32 v6, v11, v4
	v_mul_f32_e32 v11, v5, v28
	v_mul_f32_e32 v20, v27, v11
	v_fma_f32 v22, v11, v27, -v20
	v_fmac_f32_e32 v22, v11, v19
	v_add_f32_e32 v4, v20, v22
	v_sub_f32_e32 v21, v5, v4
	v_pk_add_f32 v[24:25], v[4:5], v[20:21] neg_lo:[0,1] neg_hi:[0,1]
	v_mov_b32_e32 v23, v4
	v_pk_add_f32 v[4:5], v[24:25], v[22:23] neg_lo:[0,1] neg_hi:[0,1]
	v_cmp_eq_f32_e32 vcc, s44, v32
	v_add_f32_e32 v5, v6, v5
	v_add_f32_e32 v4, v4, v5
	;; [unrolled: 1-line block ×3, first 2 shown]
	v_mul_f32_e32 v6, v28, v5
	v_mul_f32_e32 v20, v27, v6
	v_fma_f32 v22, v6, v27, -v20
	v_fmac_f32_e32 v22, v6, v19
	v_sub_f32_e32 v19, v21, v5
	v_add_f32_e32 v19, v4, v19
	v_add_f32_e32 v4, v20, v22
	v_sub_f32_e32 v21, v5, v4
	v_pk_add_f32 v[24:25], v[4:5], v[20:21] neg_lo:[0,1] neg_hi:[0,1]
	v_mov_b32_e32 v23, v4
	v_pk_add_f32 v[4:5], v[24:25], v[22:23] neg_lo:[0,1] neg_hi:[0,1]
	s_or_b64 vcc, s[36:37], vcc
	v_add_f32_e32 v5, v19, v5
	v_add_f32_e32 v4, v4, v5
	;; [unrolled: 1-line block ×4, first 2 shown]
	v_sub_f32_e32 v11, v5, v11
	v_mul_f32_e32 v4, v28, v4
	v_sub_f32_e32 v6, v6, v11
	v_add_f32_e32 v6, v6, v4
	v_add_f32_e32 v11, v5, v6
	v_mul_f32_e32 v20, v11, v11
	v_fmamk_f32 v4, v20, 0x3e9b6dac, v73
	v_fmaak_f32 v19, v20, v4, 0x3f2aaada
	v_cvt_f32_i32_e32 v4, v26
	v_sub_f32_e32 v5, v11, v5
	v_sub_f32_e32 v5, v6, v5
	v_ldexp_f32 v6, v5, 1
	v_mul_f32_e32 v5, v11, v20
	v_pk_mul_f32 v[22:23], v[4:5], v[18:19]
	v_ldexp_f32 v21, v11, 1
	v_fma_f32 v20, v4, s46, -v22
	v_fmac_f32_e32 v20, 0xb102e308, v4
	v_pk_add_f32 v[4:5], v[22:23], v[20:21]
	v_mov_b32_e32 v24, v22
	v_sub_f32_e32 v11, v5, v21
	v_sub_f32_e32 v11, v23, v11
	v_add_f32_e32 v25, v6, v11
	v_pk_add_f32 v[22:23], v[4:5], v[22:23] neg_lo:[0,1] neg_hi:[0,1]
	v_pk_add_f32 v[26:27], v[4:5], v[24:25]
	v_mov_b32_e32 v21, v4
	v_mov_b32_e32 v23, v27
	v_pk_add_f32 v[28:29], v[20:21], v[22:23] neg_lo:[0,1] neg_hi:[0,1]
	v_pk_add_f32 v[20:21], v[20:21], v[22:23]
	s_nop 0
	v_mov_b32_e32 v6, v21
	v_pk_add_f32 v[22:23], v[6:7], v[4:5] neg_lo:[0,1] neg_hi:[0,1]
	v_mov_b32_e32 v20, v27
	v_mov_b32_e32 v11, v22
	v_pk_add_f32 v[30:31], v[26:27], v[10:11] neg_lo:[0,1] neg_hi:[0,1]
	v_mov_b32_e32 v26, v5
	v_mov_b32_e32 v27, v22
	;; [unrolled: 1-line block ×3, first 2 shown]
	v_pk_add_f32 v[20:21], v[20:21], v[26:27] neg_lo:[0,1] neg_hi:[0,1]
	v_mov_b32_e32 v22, v25
	v_mov_b32_e32 v23, v4
	v_pk_add_f32 v[4:5], v[22:23], v[20:21] neg_lo:[0,1] neg_hi:[0,1]
	v_mov_b32_e32 v30, v28
	v_pk_add_f32 v[20:21], v[30:31], v[4:5]
	s_nop 0
	v_mov_b32_e32 v22, v21
	v_pk_add_f32 v[22:23], v[20:21], v[22:23]
	s_nop 0
	v_pk_add_f32 v[24:25], v[6:7], v[22:23]
	v_mov_b32_e32 v5, v22
	v_mov_b32_e32 v21, v24
	v_pk_add_f32 v[26:27], v[20:21], v[28:29] neg_lo:[0,1] neg_hi:[0,1]
	s_nop 0
	v_sub_f32_e32 v6, v20, v26
	v_pk_add_f32 v[4:5], v[4:5], v[26:27] neg_lo:[0,1] neg_hi:[0,1]
	v_sub_f32_e32 v6, v28, v6
	v_add_f32_e32 v4, v4, v6
	v_add_f32_e32 v4, v4, v5
	;; [unrolled: 1-line block ×3, first 2 shown]
	v_cndmask_b32_e32 v84, v4, v32, vcc
.LBB8_55:                               ;   in Loop: Header=BB8_11 Depth=1
	s_or_b64 exec, exec, s[38:39]
	v_and_b32_e32 v4, 0xffff0000, v7
	v_add_f32_e32 v19, s33, v4
	v_cmp_ge_f32_e32 vcc, s40, v19
	s_and_b64 s[36:37], s[72:73], vcc
	s_and_saveexec_b64 s[38:39], s[36:37]
	s_cbranch_execz .LBB8_57
; %bb.56:                               ;   in Loop: Header=BB8_11 Depth=1
	v_mul_f32_e32 v4, 0x3fb8aa3b, v19
	v_rndne_f32_e32 v5, v4
	v_sub_f32_e32 v6, v4, v5
	v_fma_f32 v4, v19, s41, -v4
	v_fmac_f32_e32 v4, 0x32a5705f, v19
	v_add_f32_e32 v4, v6, v4
	v_cvt_i32_f32_e32 v5, v5
	v_exp_f32_e32 v4, v4
	v_cmp_ngt_f32_e32 vcc, s42, v19
	v_ldexp_f32 v4, v4, v5
	s_nop 0
	v_cndmask_b32_e32 v4, 0, v4, vcc
	v_cmp_nlt_f32_e32 vcc, s43, v19
	s_nop 1
	v_cndmask_b32_e32 v32, v74, v4, vcc
	v_add_f32_e32 v6, 1.0, v32
	v_add_f32_e32 v4, -1.0, v6
	v_sub_f32_e32 v5, v4, v6
	v_add_f32_e32 v5, 1.0, v5
	v_sub_f32_e32 v4, v32, v4
	v_add_f32_e32 v7, v4, v5
	v_frexp_mant_f32_e32 v11, v6
	v_cvt_f64_f32_e32 v[4:5], v6
	v_frexp_exp_i32_f64_e32 v4, v[4:5]
	v_cmp_gt_f32_e32 vcc, s45, v11
	v_cmp_gt_f32_e64 s[36:37], s47, v32
	s_nop 0
	v_subbrev_co_u32_e32 v11, vcc, 0, v4, vcc
	v_sub_u32_e32 v4, 0, v11
	v_ldexp_f32 v5, v6, v4
	v_add_f32_e32 v6, -1.0, v5
	v_add_f32_e32 v19, 1.0, v5
	v_ldexp_f32 v4, v7, v4
	v_add_f32_e32 v7, 1.0, v6
	v_add_f32_e32 v20, -1.0, v19
	v_sub_f32_e32 v7, v5, v7
	v_sub_f32_e32 v5, v5, v20
	v_add_f32_e32 v7, v4, v7
	v_add_f32_e32 v4, v4, v5
	;; [unrolled: 1-line block ×3, first 2 shown]
	v_rcp_f32_e32 v25, v24
	v_sub_f32_e32 v5, v19, v24
	v_add_f32_e32 v19, v4, v5
	v_add_f32_e32 v5, v6, v7
	v_mul_f32_e32 v27, v5, v25
	v_sub_f32_e32 v4, v6, v5
	v_mul_f32_e32 v6, v24, v27
	v_fma_f32 v20, v27, v24, -v6
	v_fmac_f32_e32 v20, v27, v19
	v_add_f32_e32 v26, v7, v4
	v_add_f32_e32 v4, v6, v20
	v_sub_f32_e32 v7, v5, v4
	v_pk_add_f32 v[22:23], v[4:5], v[6:7] neg_lo:[0,1] neg_hi:[0,1]
	v_mov_b32_e32 v21, v4
	v_pk_add_f32 v[4:5], v[22:23], v[20:21] neg_lo:[0,1] neg_hi:[0,1]
	v_cmp_eq_f32_e32 vcc, s44, v32
	v_add_f32_e32 v5, v26, v5
	v_add_f32_e32 v4, v4, v5
	;; [unrolled: 1-line block ×3, first 2 shown]
	v_mul_f32_e32 v26, v25, v5
	v_mul_f32_e32 v6, v24, v26
	v_fma_f32 v20, v26, v24, -v6
	v_fmac_f32_e32 v20, v26, v19
	v_sub_f32_e32 v7, v7, v5
	v_add_f32_e32 v19, v4, v7
	v_add_f32_e32 v4, v6, v20
	v_sub_f32_e32 v7, v5, v4
	v_pk_add_f32 v[22:23], v[4:5], v[6:7] neg_lo:[0,1] neg_hi:[0,1]
	v_mov_b32_e32 v21, v4
	v_pk_add_f32 v[4:5], v[22:23], v[20:21] neg_lo:[0,1] neg_hi:[0,1]
	s_or_b64 vcc, s[36:37], vcc
	v_add_f32_e32 v5, v19, v5
	v_add_f32_e32 v4, v4, v5
	v_add_f32_e32 v5, v27, v26
	v_add_f32_e32 v4, v7, v4
	v_sub_f32_e32 v6, v5, v27
	v_mul_f32_e32 v4, v25, v4
	v_sub_f32_e32 v6, v26, v6
	v_add_f32_e32 v6, v6, v4
	v_add_f32_e32 v20, v5, v6
	v_mul_f32_e32 v21, v20, v20
	v_fmamk_f32 v4, v21, 0x3e9b6dac, v73
	v_fmaak_f32 v19, v21, v4, 0x3f2aaada
	v_cvt_f32_i32_e32 v4, v11
	v_sub_f32_e32 v5, v20, v5
	v_sub_f32_e32 v5, v6, v5
	v_ldexp_f32 v11, v5, 1
	v_mul_f32_e32 v5, v20, v21
	v_ldexp_f32 v7, v20, 1
	v_pk_mul_f32 v[20:21], v[4:5], v[18:19]
	s_nop 0
	v_fma_f32 v6, v4, s46, -v20
	v_fmac_f32_e32 v6, 0xb102e308, v4
	v_pk_add_f32 v[4:5], v[20:21], v[6:7]
	v_mov_b32_e32 v22, v20
	v_sub_f32_e32 v7, v5, v7
	v_sub_f32_e32 v7, v21, v7
	v_add_f32_e32 v23, v11, v7
	v_pk_add_f32 v[20:21], v[4:5], v[20:21] neg_lo:[0,1] neg_hi:[0,1]
	v_pk_add_f32 v[24:25], v[4:5], v[22:23]
	v_mov_b32_e32 v7, v4
	v_mov_b32_e32 v21, v25
	v_pk_add_f32 v[26:27], v[6:7], v[20:21] neg_lo:[0,1] neg_hi:[0,1]
	v_pk_add_f32 v[6:7], v[6:7], v[20:21]
	v_mov_b32_e32 v22, v23
	v_mov_b32_e32 v20, v7
	v_pk_add_f32 v[28:29], v[20:21], v[4:5] neg_lo:[0,1] neg_hi:[0,1]
	v_mov_b32_e32 v6, v25
	v_mov_b32_e32 v11, v28
	v_pk_add_f32 v[30:31], v[24:25], v[10:11] neg_lo:[0,1] neg_hi:[0,1]
	v_mov_b32_e32 v24, v5
	v_mov_b32_e32 v25, v28
	;; [unrolled: 1-line block ×3, first 2 shown]
	v_pk_add_f32 v[6:7], v[6:7], v[24:25] neg_lo:[0,1] neg_hi:[0,1]
	v_mov_b32_e32 v23, v4
	v_pk_add_f32 v[4:5], v[22:23], v[6:7] neg_lo:[0,1] neg_hi:[0,1]
	v_mov_b32_e32 v30, v26
	v_pk_add_f32 v[6:7], v[30:31], v[4:5]
	s_nop 0
	v_mov_b32_e32 v22, v7
	v_pk_add_f32 v[22:23], v[6:7], v[22:23]
	s_nop 0
	v_pk_add_f32 v[20:21], v[20:21], v[22:23]
	v_mov_b32_e32 v5, v22
	v_mov_b32_e32 v7, v20
	v_pk_add_f32 v[24:25], v[6:7], v[26:27] neg_lo:[0,1] neg_hi:[0,1]
	s_nop 0
	v_sub_f32_e32 v6, v6, v24
	v_pk_add_f32 v[4:5], v[4:5], v[24:25] neg_lo:[0,1] neg_hi:[0,1]
	v_sub_f32_e32 v6, v26, v6
	v_add_f32_e32 v4, v4, v6
	v_add_f32_e32 v4, v4, v5
	;; [unrolled: 1-line block ×3, first 2 shown]
	v_cndmask_b32_e32 v19, v4, v32, vcc
.LBB8_57:                               ;   in Loop: Header=BB8_11 Depth=1
	s_or_b64 exec, exec, s[38:39]
	v_readlane_b32 s36, v95, 1
	v_lshlrev_b32_e32 v4, 16, v3
	v_and_b32_e32 v7, 0xffff0000, v3
	v_and_b32_e32 v3, 0xffff0000, v2
	v_lshlrev_b32_e32 v2, 16, v2
	v_and_b32_e32 v5, 0xffff0000, v1
	v_lshlrev_b32_e32 v1, 16, v1
	;; [unrolled: 2-line block ×3, first 2 shown]
	v_readlane_b32 s37, v95, 2
	v_mul_f32_e32 v20, s92, v4
	v_mul_f32_e32 v23, s92, v3
	;; [unrolled: 1-line block ×8, first 2 shown]
	s_and_b64 vcc, exec, s[36:37]
	s_waitcnt lgkmcnt(0)
	; wave barrier
	s_cbranch_vccz .LBB8_118
; %bb.58:                               ;   in Loop: Header=BB8_11 Depth=1
	v_mul_f32_e32 v92, v78, v0
	scratch_load_dword v0, off, off         ; 4-byte Folded Reload
	s_cmp_lg_u32 s99, 0
	v_readlane_b32 s36, v95, 5
	s_cselect_b64 s[78:79], -1, 0
	s_cmp_eq_u32 s99, s36
	s_cselect_b64 s[80:81], -1, 0
	s_mov_b32 s70, 0
	v_mul_f32_e32 v85, v19, v7
	v_lshl_add_u64 v[28:29], s[54:55], 0, v[8:9]
	v_lshl_add_u64 v[30:31], s[58:59], 0, v[8:9]
	v_mul_f32_e32 v86, v84, v4
	v_mul_f32_e32 v87, v83, v3
	;; [unrolled: 1-line block ×6, first 2 shown]
	s_mov_b32 s82, s70
	s_mov_b32 s84, s70
	;; [unrolled: 1-line block ×3, first 2 shown]
	v_readlane_b32 s67, v95, 0
	v_readlane_b32 s75, v95, 6
	s_waitcnt vmcnt(0)
	v_cmp_gt_u32_e32 vcc, s50, v0
	scratch_load_dword v0, off, off offset:4 ; 4-byte Folded Reload
	s_or_b64 s[36:37], s[76:77], vcc
	s_waitcnt vmcnt(0)
	v_cmp_gt_u32_e32 vcc, s50, v0
	scratch_load_dword v0, off, off offset:8 ; 4-byte Folded Reload
	s_or_b64 s[38:39], s[76:77], vcc
	;; [unrolled: 4-line block ×7, first 2 shown]
	s_waitcnt vmcnt(0)
	v_cmp_gt_u32_e32 vcc, s50, v0
	s_or_b64 s[50:51], s[76:77], vcc
	s_branch .LBB8_60
.LBB8_59:                               ;   in Loop: Header=BB8_60 Depth=2
	s_or_b64 exec, exec, s[88:89]
	v_mul_f32_e32 v33, v93, v72
	v_fma_f32 v11, v93, v11, v4
	v_cndmask_b32_e64 v4, v11, v4, s[16:17]
	v_cndmask_b32_e64 v11, v33, v93, s[16:17]
	s_waitcnt lgkmcnt(0)
	v_fmac_f32_e32 v4, v32, v11
	v_fmac_f32_e32 v5, v4, v94
	;; [unrolled: 1-line block ×8, first 2 shown]
	v_and_b32_e32 v33, 0xffff0000, v0
	v_and_b32_e32 v35, 0xffff0000, v1
	v_lshlrev_b32_e32 v32, 16, v0
	v_lshlrev_b32_e32 v34, 16, v1
	v_and_b32_e32 v1, 0xffff0000, v2
	v_and_b32_e32 v41, 0xffff0000, v3
	v_lshlrev_b32_e32 v0, 16, v2
	v_lshlrev_b32_e32 v40, 16, v3
	s_add_i32 s75, s75, 8
	s_add_i32 s67, s67, -1
	s_add_i32 s86, s86, s94
	s_add_i32 s84, s84, s60
	;; [unrolled: 1-line block ×4, first 2 shown]
	v_pk_fma_f32 v[24:25], v[36:37], v[34:35], v[24:25]
	v_pk_fma_f32 v[26:27], v[4:5], v[32:33], v[26:27]
	;; [unrolled: 1-line block ×3, first 2 shown]
	s_cmp_eq_u32 s67, 0
	v_pk_fma_f32 v[22:23], v[6:7], v[0:1], v[22:23]
	s_cbranch_scc1 .LBB8_117
.LBB8_60:                               ;   Parent Loop BB8_11 Depth=1
                                        ; =>  This Inner Loop Header: Depth=2
	s_lshl_b64 s[88:89], s[70:71], 2
	s_add_u32 s88, s52, s88
	s_addc_u32 s89, s96, s89
	global_load_dword v32, v9, s[88:89]
	s_mov_b32 s83, s71
	v_lshl_add_u64 v[0:1], s[82:83], 1, v[28:29]
	v_mov_b32_e32 v2, 0
	v_mov_b32_e32 v3, 0
	s_and_saveexec_b64 s[88:89], s[18:19]
	s_cbranch_execz .LBB8_62
; %bb.61:                               ;   in Loop: Header=BB8_60 Depth=2
	global_load_ushort v3, v[0:1], off
.LBB8_62:                               ;   in Loop: Header=BB8_60 Depth=2
	s_or_b64 exec, exec, s[88:89]
	s_and_saveexec_b64 s[88:89], s[20:21]
	s_cbranch_execz .LBB8_64
; %bb.63:                               ;   in Loop: Header=BB8_60 Depth=2
	global_load_ushort v2, v[0:1], off offset:128
.LBB8_64:                               ;   in Loop: Header=BB8_60 Depth=2
	s_or_b64 exec, exec, s[88:89]
	v_mov_b32_e32 v4, 0
	v_mov_b32_e32 v5, 0
	s_and_saveexec_b64 s[88:89], s[22:23]
	s_cbranch_execz .LBB8_66
; %bb.65:                               ;   in Loop: Header=BB8_60 Depth=2
	global_load_ushort v5, v[0:1], off offset:256
.LBB8_66:                               ;   in Loop: Header=BB8_60 Depth=2
	s_or_b64 exec, exec, s[88:89]
	s_and_saveexec_b64 s[88:89], s[24:25]
	s_cbranch_execz .LBB8_68
; %bb.67:                               ;   in Loop: Header=BB8_60 Depth=2
	global_load_ushort v4, v[0:1], off offset:384
.LBB8_68:                               ;   in Loop: Header=BB8_60 Depth=2
	s_or_b64 exec, exec, s[88:89]
	v_mov_b32_e32 v6, 0
	v_mov_b32_e32 v7, 0
	s_and_saveexec_b64 s[88:89], s[26:27]
	s_cbranch_execz .LBB8_70
; %bb.69:                               ;   in Loop: Header=BB8_60 Depth=2
	global_load_ushort v7, v[0:1], off offset:512
.LBB8_70:                               ;   in Loop: Header=BB8_60 Depth=2
	;; [unrolled: 14-line block ×3, first 2 shown]
	s_or_b64 exec, exec, s[88:89]
	s_and_saveexec_b64 s[88:89], s[34:35]
	s_cbranch_execz .LBB8_76
; %bb.75:                               ;   in Loop: Header=BB8_60 Depth=2
	global_load_ushort v11, v[0:1], off offset:896
.LBB8_76:                               ;   in Loop: Header=BB8_60 Depth=2
	s_or_b64 exec, exec, s[88:89]
	s_waitcnt vmcnt(0)
	ds_write_b16 v49, v3
	ds_write_b16 v50, v2 offset:128
	ds_write_b16 v51, v5 offset:256
	;; [unrolled: 1-line block ×7, first 2 shown]
	; wave barrier
	ds_read_b128 v[4:7], v57
	s_mov_b32 s85, s71
	v_lshl_add_u64 v[0:1], s[84:85], 1, v[30:31]
	v_mov_b32_e32 v2, 0
	v_mov_b32_e32 v3, 0
	s_and_saveexec_b64 s[88:89], s[18:19]
	s_cbranch_execz .LBB8_78
; %bb.77:                               ;   in Loop: Header=BB8_60 Depth=2
	global_load_ushort v3, v[0:1], off
.LBB8_78:                               ;   in Loop: Header=BB8_60 Depth=2
	s_or_b64 exec, exec, s[88:89]
	s_and_saveexec_b64 s[88:89], s[20:21]
	s_cbranch_execz .LBB8_80
; %bb.79:                               ;   in Loop: Header=BB8_60 Depth=2
	global_load_ushort v2, v[0:1], off offset:128
.LBB8_80:                               ;   in Loop: Header=BB8_60 Depth=2
	s_or_b64 exec, exec, s[88:89]
	v_mov_b32_e32 v11, 0
	v_mov_b32_e32 v33, 0
	s_and_saveexec_b64 s[88:89], s[22:23]
	s_cbranch_execz .LBB8_82
; %bb.81:                               ;   in Loop: Header=BB8_60 Depth=2
	global_load_ushort v33, v[0:1], off offset:256
.LBB8_82:                               ;   in Loop: Header=BB8_60 Depth=2
	s_or_b64 exec, exec, s[88:89]
	s_and_saveexec_b64 s[88:89], s[24:25]
	s_cbranch_execz .LBB8_84
; %bb.83:                               ;   in Loop: Header=BB8_60 Depth=2
	global_load_ushort v11, v[0:1], off offset:384
.LBB8_84:                               ;   in Loop: Header=BB8_60 Depth=2
	s_or_b64 exec, exec, s[88:89]
	v_mov_b32_e32 v34, 0
	v_mov_b32_e32 v35, 0
	s_and_saveexec_b64 s[88:89], s[26:27]
	s_cbranch_execz .LBB8_86
; %bb.85:                               ;   in Loop: Header=BB8_60 Depth=2
	global_load_ushort v35, v[0:1], off offset:512
.LBB8_86:                               ;   in Loop: Header=BB8_60 Depth=2
	;; [unrolled: 14-line block ×3, first 2 shown]
	s_or_b64 exec, exec, s[88:89]
	s_and_saveexec_b64 s[88:89], s[34:35]
	s_cbranch_execz .LBB8_92
; %bb.91:                               ;   in Loop: Header=BB8_60 Depth=2
	global_load_ushort v36, v[0:1], off offset:896
.LBB8_92:                               ;   in Loop: Header=BB8_60 Depth=2
	s_or_b64 exec, exec, s[88:89]
	s_waitcnt vmcnt(0)
	ds_write_b16 v49, v3 offset:1056
	ds_write_b16 v58, v2 offset:128
	;; [unrolled: 1-line block ×8, first 2 shown]
	; wave barrier
	ds_read_b128 v[0:3], v57 offset:1056
	s_andn2_b64 vcc, exec, s[78:79]
	s_cbranch_vccnz .LBB8_94
; %bb.93:                               ;   in Loop: Header=BB8_60 Depth=2
	v_mov_b32_e32 v11, s75
	ds_read_b64 v[34:35], v11
	s_waitcnt lgkmcnt(0)
	v_mov_b32_e32 v33, v35
	s_cbranch_execz .LBB8_95
	s_branch .LBB8_98
.LBB8_94:                               ;   in Loop: Header=BB8_60 Depth=2
                                        ; implicit-def: $vgpr34
                                        ; implicit-def: $vgpr33
.LBB8_95:                               ;   in Loop: Header=BB8_60 Depth=2
	s_andn2_b64 vcc, exec, s[68:69]
	v_mov_b32_e32 v33, 0
	s_cbranch_vccnz .LBB8_97
; %bb.96:                               ;   in Loop: Header=BB8_60 Depth=2
	s_mov_b32 s87, s71
	s_lshl_b64 s[88:89], s[86:87], 1
	s_add_u32 s88, s57, s88
	s_addc_u32 s89, s61, s89
	global_load_ushort v11, v9, s[88:89]
	s_waitcnt vmcnt(0)
	v_lshlrev_b32_e32 v33, 16, v11
.LBB8_97:                               ;   in Loop: Header=BB8_60 Depth=2
	v_mov_b32_e32 v34, 1.0
.LBB8_98:                               ;   in Loop: Header=BB8_60 Depth=2
	v_mul_f32_e32 v32, 0x3fb8aa3b, v32
	s_waitcnt lgkmcnt(9)
	v_lshlrev_b32_e32 v11, 16, v4
	v_and_b32_e32 v35, 0xffff0000, v4
	v_mul_f32_e32 v4, v32, v78
	v_cmp_gt_f32_e32 vcc, s98, v4
	v_lshlrev_b32_e32 v38, 16, v6
	v_and_b32_e32 v39, 0xffff0000, v6
	v_cndmask_b32_e32 v4, 0, v75, vcc
	v_mul_f32_e32 v6, v32, v79
	v_lshlrev_b32_e32 v36, 16, v5
	v_and_b32_e32 v37, 0xffff0000, v5
	v_fmac_f32_e32 v4, v32, v78
	v_cndmask_b32_e32 v5, 1.0, v76, vcc
	v_cmp_gt_f32_e32 vcc, s98, v6
	v_exp_f32_e32 v4, v4
	v_lshlrev_b32_e32 v40, 16, v7
	v_cndmask_b32_e32 v6, 0, v75, vcc
	v_fmac_f32_e32 v6, v32, v79
	v_exp_f32_e32 v6, v6
	v_and_b32_e32 v41, 0xffff0000, v7
	v_mul_f32_e32 v5, v4, v5
	v_mul_f32_e32 v7, v32, v80
	v_cndmask_b32_e64 v93, 1.0, v5, s[36:37]
	v_cndmask_b32_e32 v5, 1.0, v76, vcc
	v_cmp_gt_f32_e32 vcc, s98, v7
	v_mul_f32_e32 v4, v92, v11
	v_mul_f32_e32 v6, v6, v5
	v_cndmask_b32_e32 v7, 0, v75, vcc
	v_mul_f32_e32 v11, v32, v81
	v_fmac_f32_e32 v7, v32, v80
	v_cndmask_b32_e64 v94, 1.0, v6, s[38:39]
	v_cndmask_b32_e32 v6, 1.0, v76, vcc
	v_cmp_gt_f32_e32 vcc, s98, v11
	v_exp_f32_e32 v7, v7
	v_mul_f32_e32 v5, v91, v35
	v_cndmask_b32_e32 v11, 0, v75, vcc
	v_fmac_f32_e32 v11, v32, v81
	v_exp_f32_e32 v11, v11
	v_mul_f32_e32 v6, v7, v6
	v_cndmask_b32_e64 v66, 1.0, v6, s[40:41]
	v_cndmask_b32_e32 v6, 1.0, v76, vcc
	v_mul_f32_e32 v6, v11, v6
	v_mul_f32_e32 v11, v32, v82
	v_cmp_gt_f32_e32 vcc, s98, v11
	v_mul_f32_e32 v7, v90, v36
	v_cndmask_b32_e64 v36, 0, v7, s[40:41]
	v_cndmask_b32_e32 v11, 0, v75, vcc
	v_fmac_f32_e32 v11, v32, v82
	v_exp_f32_e32 v11, v11
	v_mul_f32_e32 v7, v89, v37
	v_cndmask_b32_e64 v67, 1.0, v6, s[42:43]
	v_cndmask_b32_e32 v6, 1.0, v76, vcc
	v_cndmask_b32_e64 v37, 0, v7, s[42:43]
	v_mul_f32_e32 v7, v11, v6
	v_mul_f32_e32 v11, v32, v83
	v_cmp_gt_f32_e32 vcc, s98, v11
	v_mul_f32_e32 v35, v32, v84
	v_cndmask_b32_e64 v68, 1.0, v7, s[44:45]
	v_cndmask_b32_e32 v11, 0, v75, vcc
	v_fmac_f32_e32 v11, v32, v83
	v_exp_f32_e32 v11, v11
	v_cndmask_b32_e32 v7, 1.0, v76, vcc
	v_cmp_gt_f32_e32 vcc, s98, v35
	v_mul_f32_e32 v6, v88, v38
	v_mul_f32_e32 v11, v11, v7
	v_cndmask_b32_e32 v35, 0, v75, vcc
	v_mul_f32_e32 v38, v32, v19
	v_fmac_f32_e32 v35, v32, v84
	v_cndmask_b32_e64 v69, 1.0, v11, s[46:47]
	v_cndmask_b32_e32 v11, 1.0, v76, vcc
	v_cmp_gt_f32_e32 vcc, s98, v38
	v_exp_f32_e32 v35, v35
	v_cndmask_b32_e64 v4, 0, v4, s[36:37]
	v_cndmask_b32_e32 v38, 0, v75, vcc
	v_fmac_f32_e32 v38, v32, v19
	v_exp_f32_e32 v32, v38
	v_mul_f32_e32 v11, v35, v11
	v_cndmask_b32_e64 v70, 1.0, v11, s[48:49]
	v_cndmask_b32_e32 v11, 1.0, v76, vcc
	v_cndmask_b32_e64 v5, 0, v5, s[38:39]
	v_mul_f32_e32 v11, v32, v11
	v_mul_f32_e32 v32, v85, v41
	;; [unrolled: 1-line block ×3, first 2 shown]
	v_cndmask_b32_e64 v39, 0, v32, s[50:51]
	v_cndmask_b32_e64 v71, 1.0, v11, s[50:51]
	v_mul_f32_e32 v11, v94, v93
	v_fma_f32 v32, v94, v4, v5
	v_mul_f32_e32 v11, v11, v66
	v_fma_f32 v32, v32, v66, v36
	v_cndmask_b32_e64 v6, 0, v6, s[44:45]
	v_mul_f32_e32 v11, v11, v67
	v_fma_f32 v32, v32, v67, v37
	v_cndmask_b32_e64 v7, 0, v7, s[46:47]
	v_mul_f32_e32 v35, v86, v40
	v_mul_f32_e32 v11, v11, v68
	v_fma_f32 v32, v32, v68, v6
	v_cndmask_b32_e64 v38, 0, v35, s[48:49]
	v_mul_f32_e32 v11, v11, v69
	v_fma_f32 v32, v32, v69, v7
	v_mul_f32_e32 v11, v11, v70
	v_fma_f32 v32, v32, v70, v38
	;; [unrolled: 2-line block ×3, first 2 shown]
	s_nop 0
	v_mov_b32_dpp v40, v35 row_shr:1 row_mask:0xf bank_mask:0xf
	v_mov_b32_dpp v11, v32 row_shr:1 row_mask:0xf bank_mask:0xf
	s_and_saveexec_b64 s[88:89], s[0:1]
; %bb.99:                               ;   in Loop: Header=BB8_60 Depth=2
	v_mul_f32_e32 v40, v35, v40
	v_fmac_f32_e32 v32, v35, v11
	v_mov_b32_e32 v35, v40
; %bb.100:                              ;   in Loop: Header=BB8_60 Depth=2
	s_or_b64 exec, exec, s[88:89]
	s_nop 0
	v_mov_b32_dpp v11, v35 row_shr:2 row_mask:0xf bank_mask:0xf
	v_mov_b32_dpp v40, v32 row_shr:2 row_mask:0xf bank_mask:0xf
	s_and_saveexec_b64 s[88:89], s[2:3]
; %bb.101:                              ;   in Loop: Header=BB8_60 Depth=2
	v_fmac_f32_e32 v32, v35, v40
	v_mul_f32_e32 v35, v35, v11
; %bb.102:                              ;   in Loop: Header=BB8_60 Depth=2
	s_or_b64 exec, exec, s[88:89]
	s_nop 0
	v_mov_b32_dpp v11, v35 row_shr:4 row_mask:0xf bank_mask:0xf
	v_mov_b32_dpp v40, v32 row_shr:4 row_mask:0xf bank_mask:0xf
	s_and_saveexec_b64 s[88:89], s[4:5]
; %bb.103:                              ;   in Loop: Header=BB8_60 Depth=2
	v_fmac_f32_e32 v32, v35, v40
	v_mul_f32_e32 v35, v35, v11
	;; [unrolled: 9-line block ×3, first 2 shown]
; %bb.106:                              ;   in Loop: Header=BB8_60 Depth=2
	s_or_b64 exec, exec, s[88:89]
	s_nop 0
	v_mov_b32_dpp v11, v35 row_bcast:15 row_mask:0xf bank_mask:0xf
	v_mov_b32_dpp v40, v32 row_bcast:15 row_mask:0xf bank_mask:0xf
	s_and_saveexec_b64 s[88:89], s[8:9]
; %bb.107:                              ;   in Loop: Header=BB8_60 Depth=2
	v_fmac_f32_e32 v32, v35, v40
	v_mul_f32_e32 v35, v35, v11
; %bb.108:                              ;   in Loop: Header=BB8_60 Depth=2
	s_or_b64 exec, exec, s[88:89]
	s_nop 0
	v_mov_b32_dpp v11, v35 row_bcast:31 row_mask:0xf bank_mask:0xf
	v_mov_b32_dpp v40, v32 row_bcast:31 row_mask:0xf bank_mask:0xf
	v_mov_b32_e32 v41, v32
	v_mul_f32_e32 v11, v35, v11
	v_fmac_f32_e32 v41, v35, v40
	v_cndmask_b32_e64 v40, v35, v11, s[10:11]
	v_cndmask_b32_e64 v41, v32, v41, s[10:11]
	s_and_saveexec_b64 s[88:89], s[12:13]
	s_cbranch_execz .LBB8_110
; %bb.109:                              ;   in Loop: Header=BB8_60 Depth=2
	ds_write_b64 v9, v[40:41] offset:2112
.LBB8_110:                              ;   in Loop: Header=BB8_60 Depth=2
	s_or_b64 exec, exec, s[88:89]
	ds_bpermute_b32 v72, v65, v40
	ds_bpermute_b32 v11, v65, v41
	s_waitcnt lgkmcnt(0)
	; wave barrier
	s_waitcnt lgkmcnt(0)
	s_and_saveexec_b64 s[88:89], s[14:15]
	s_cbranch_execz .LBB8_114
; %bb.111:                              ;   in Loop: Header=BB8_60 Depth=2
	ds_read_b64 v[40:41], v9 offset:2112
	s_and_saveexec_b64 s[90:91], s[16:17]
	s_cbranch_execz .LBB8_113
; %bb.112:                              ;   in Loop: Header=BB8_60 Depth=2
	v_mov_b32_e32 v35, v33
	ds_write_b64 v9, v[34:35] offset:2112
.LBB8_113:                              ;   in Loop: Header=BB8_60 Depth=2
	s_or_b64 exec, exec, s[90:91]
	s_waitcnt lgkmcnt(0)
	v_mul_f32_e32 v35, v40, v33
	v_pk_add_f32 v[32:33], v[34:35], v[40:41]
	v_mul_f32_e32 v34, v34, v40
.LBB8_114:                              ;   in Loop: Header=BB8_60 Depth=2
	s_or_b64 exec, exec, s[88:89]
	s_waitcnt lgkmcnt(0)
	; wave barrier
	ds_read_b32 v32, v9 offset:2116
	s_and_saveexec_b64 s[88:89], s[16:17]
	s_cbranch_execz .LBB8_59
; %bb.115:                              ;   in Loop: Header=BB8_60 Depth=2
	v_mov_b32_e32 v35, v33
	v_mov_b32_e32 v40, s75
	s_andn2_b64 vcc, exec, s[80:81]
	ds_write_b64 v40, v[34:35]
	s_cbranch_vccnz .LBB8_59
; %bb.116:                              ;   in Loop: Header=BB8_60 Depth=2
	v_bfe_u32 v34, v33, 16, 1
	s_mov_b32 s87, s71
	v_add3_u32 v34, v33, v34, s74
	s_lshl_b64 s[90:91], s[86:87], 1
	v_lshrrev_b32_e32 v34, 16, v34
	v_cmp_o_f32_e32 vcc, v33, v33
	s_add_u32 s90, s57, s90
	s_addc_u32 s91, s61, s91
	v_cndmask_b32_e32 v33, v77, v34, vcc
	global_store_short v9, v33, s[90:91]
	s_branch .LBB8_59
.LBB8_117:                              ;   in Loop: Header=BB8_11 Depth=1
	s_mov_b32 s40, 0x41a00000
	s_mov_b32 s41, 0x3fb8aa3b
	;; [unrolled: 1-line block ×8, first 2 shown]
.LBB8_118:                              ;   in Loop: Header=BB8_11 Depth=1
	v_bfe_u32 v0, v26, 16, 1
	v_bfe_u32 v1, v27, 16, 1
	v_add3_u32 v0, v26, v0, s74
	v_bfe_u32 v2, v24, 16, 1
	v_add3_u32 v1, v27, v1, s74
	v_lshrrev_b32_e32 v0, 16, v0
	v_cmp_o_f32_e32 vcc, v26, v26
	v_bfe_u32 v3, v25, 16, 1
	v_add3_u32 v2, v24, v2, s74
	v_lshrrev_b32_e32 v1, 16, v1
	v_cndmask_b32_e32 v0, v77, v0, vcc
	v_cmp_o_f32_e32 vcc, v27, v27
	v_add3_u32 v3, v25, v3, s74
	v_lshrrev_b32_e32 v2, 16, v2
	v_cndmask_b32_e32 v4, v77, v1, vcc
	v_cmp_o_f32_e32 vcc, v24, v24
	v_lshrrev_b32_e32 v3, 16, v3
	v_bfe_u32 v6, v20, 16, 1
	v_cndmask_b32_e32 v1, v77, v2, vcc
	v_cmp_o_f32_e32 vcc, v25, v25
	v_bfe_u32 v2, v22, 16, 1
	v_add3_u32 v2, v22, v2, s74
	v_cndmask_b32_e32 v5, v77, v3, vcc
	v_bfe_u32 v3, v23, 16, 1
	v_add3_u32 v3, v23, v3, s74
	v_lshrrev_b32_e32 v2, 16, v2
	v_cmp_o_f32_e32 vcc, v22, v22
	v_bfe_u32 v7, v21, 16, 1
	v_add3_u32 v6, v20, v6, s74
	v_lshrrev_b32_e32 v3, 16, v3
	v_cndmask_b32_e32 v2, v77, v2, vcc
	v_cmp_o_f32_e32 vcc, v23, v23
	v_add3_u32 v7, v21, v7, s74
	v_lshrrev_b32_e32 v6, 16, v6
	v_cndmask_b32_e32 v11, v77, v3, vcc
	v_cmp_o_f32_e32 vcc, v20, v20
	v_lshrrev_b32_e32 v7, 16, v7
	s_mov_b32 s36, 0x5040100
	v_cndmask_b32_e32 v3, v77, v6, vcc
	v_cmp_o_f32_e32 vcc, v21, v21
	v_perm_b32 v2, v11, v2, s36
	v_perm_b32 v1, v5, v1, s36
	v_cndmask_b32_e32 v6, v77, v7, vcc
	v_perm_b32 v3, v6, v3, s36
	v_perm_b32 v0, v4, v0, s36
	s_waitcnt lgkmcnt(0)
	; wave barrier
	ds_write_b128 v57, v[0:3]
	; wave barrier
	ds_read_u16 v11, v50 offset:128
	ds_read_u16 v7, v51 offset:256
	ds_read_u16 v6, v52 offset:384
	ds_read_u16 v5, v53 offset:512
	ds_read_u16 v4, v54 offset:640
	ds_read_u16 v3, v55 offset:768
	ds_read_u16 v2, v56 offset:896
	s_mov_b32 s67, s71
	v_lshl_add_u64 v[0:1], s[66:67], 1, v[12:13]
	s_and_saveexec_b64 s[36:37], s[18:19]
	s_cbranch_execnz .LBB8_153
; %bb.119:                              ;   in Loop: Header=BB8_11 Depth=1
	s_or_b64 exec, exec, s[36:37]
	s_and_saveexec_b64 s[36:37], s[20:21]
	s_cbranch_execnz .LBB8_154
.LBB8_120:                              ;   in Loop: Header=BB8_11 Depth=1
	s_or_b64 exec, exec, s[36:37]
	s_and_saveexec_b64 s[36:37], s[22:23]
	s_cbranch_execnz .LBB8_155
.LBB8_121:                              ;   in Loop: Header=BB8_11 Depth=1
	s_or_b64 exec, exec, s[36:37]
	s_and_saveexec_b64 s[36:37], s[24:25]
	s_cbranch_execnz .LBB8_156
.LBB8_122:                              ;   in Loop: Header=BB8_11 Depth=1
	s_or_b64 exec, exec, s[36:37]
	s_and_saveexec_b64 s[36:37], s[26:27]
	s_cbranch_execnz .LBB8_157
.LBB8_123:                              ;   in Loop: Header=BB8_11 Depth=1
	s_or_b64 exec, exec, s[36:37]
	s_and_saveexec_b64 s[36:37], s[28:29]
	s_cbranch_execnz .LBB8_158
.LBB8_124:                              ;   in Loop: Header=BB8_11 Depth=1
	s_or_b64 exec, exec, s[36:37]
	s_and_saveexec_b64 s[36:37], s[30:31]
	s_cbranch_execnz .LBB8_159
.LBB8_125:                              ;   in Loop: Header=BB8_11 Depth=1
	s_or_b64 exec, exec, s[36:37]
	s_and_saveexec_b64 s[36:37], s[34:35]
	s_cbranch_execz .LBB8_127
.LBB8_126:                              ;   in Loop: Header=BB8_11 Depth=1
	s_waitcnt lgkmcnt(0)
	global_store_short v[0:1], v2, off offset:896
.LBB8_127:                              ;   in Loop: Header=BB8_11 Depth=1
	s_or_b64 exec, exec, s[36:37]
	v_lshl_add_u64 v[0:1], s[66:67], 1, v[14:15]
	s_waitcnt lgkmcnt(0)
	v_mov_b32_e32 v2, 0
	v_mov_b32_e32 v3, 0
	s_waitcnt lgkmcnt(0)
	; wave barrier
	s_and_saveexec_b64 s[36:37], s[18:19]
	s_cbranch_execz .LBB8_129
; %bb.128:                              ;   in Loop: Header=BB8_11 Depth=1
	global_load_ushort v3, v[0:1], off
.LBB8_129:                              ;   in Loop: Header=BB8_11 Depth=1
	s_or_b64 exec, exec, s[36:37]
	s_and_saveexec_b64 s[36:37], s[20:21]
	s_cbranch_execz .LBB8_131
; %bb.130:                              ;   in Loop: Header=BB8_11 Depth=1
	global_load_ushort v2, v[0:1], off offset:128
.LBB8_131:                              ;   in Loop: Header=BB8_11 Depth=1
	s_or_b64 exec, exec, s[36:37]
	v_mov_b32_e32 v4, 0
	v_mov_b32_e32 v5, 0
	s_and_saveexec_b64 s[36:37], s[22:23]
	s_cbranch_execz .LBB8_133
; %bb.132:                              ;   in Loop: Header=BB8_11 Depth=1
	global_load_ushort v5, v[0:1], off offset:256
.LBB8_133:                              ;   in Loop: Header=BB8_11 Depth=1
	s_or_b64 exec, exec, s[36:37]
	s_and_saveexec_b64 s[36:37], s[24:25]
	s_cbranch_execz .LBB8_135
; %bb.134:                              ;   in Loop: Header=BB8_11 Depth=1
	global_load_ushort v4, v[0:1], off offset:384
.LBB8_135:                              ;   in Loop: Header=BB8_11 Depth=1
	s_or_b64 exec, exec, s[36:37]
	v_mov_b32_e32 v6, 0
	v_mov_b32_e32 v7, 0
	s_and_saveexec_b64 s[36:37], s[26:27]
	s_cbranch_execz .LBB8_137
; %bb.136:                              ;   in Loop: Header=BB8_11 Depth=1
	global_load_ushort v7, v[0:1], off offset:512
.LBB8_137:                              ;   in Loop: Header=BB8_11 Depth=1
	;; [unrolled: 14-line block ×3, first 2 shown]
	s_or_b64 exec, exec, s[36:37]
	s_and_saveexec_b64 s[36:37], s[34:35]
	s_cbranch_execz .LBB8_143
; %bb.142:                              ;   in Loop: Header=BB8_11 Depth=1
	global_load_ushort v11, v[0:1], off offset:896
.LBB8_143:                              ;   in Loop: Header=BB8_11 Depth=1
	s_or_b64 exec, exec, s[36:37]
	s_waitcnt vmcnt(0)
	ds_write_b16 v49, v3
	ds_write_b16 v50, v2 offset:128
	ds_write_b16 v51, v5 offset:256
	;; [unrolled: 1-line block ×7, first 2 shown]
	; wave barrier
	ds_read_b128 v[0:3], v57
	s_waitcnt lgkmcnt(0)
	; wave barrier
	s_waitcnt lgkmcnt(0)
	v_and_b32_e32 v6, 0xffff0000, v1
	v_mul_f32_e32 v4, 0xbfb8aa3b, v6
	v_fma_f32 v5, v6, s97, -v4
	v_rndne_f32_e32 v7, v4
	v_fmac_f32_e32 v5, 0xb2a5705f, v6
	v_sub_f32_e32 v4, v4, v7
	v_add_f32_e32 v4, v4, v5
	v_exp_f32_e32 v4, v4
	v_cvt_i32_f32_e32 v5, v7
	v_and_b32_e32 v7, 0xffff0000, v0
	v_lshlrev_b32_e32 v19, 16, v1
	v_mul_f32_e32 v1, 0xbfb8aa3b, v7
	v_lshlrev_b32_e32 v11, 16, v0
	v_ldexp_f32 v0, v4, v5
	v_fma_f32 v4, v7, s97, -v1
	v_rndne_f32_e32 v5, v1
	v_fmac_f32_e32 v4, 0xb2a5705f, v7
	v_sub_f32_e32 v1, v1, v5
	v_add_f32_e32 v1, v1, v4
	v_exp_f32_e32 v4, v1
	v_cvt_i32_f32_e32 v5, v5
	v_cmp_nlt_f32_e32 vcc, s93, v6
	s_nop 1
	v_cndmask_b32_e32 v0, 0, v0, vcc
	v_cmp_ngt_f32_e32 vcc, s95, v6
	s_nop 1
	v_cndmask_b32_e32 v1, v74, v0, vcc
	v_ldexp_f32 v0, v4, v5
	v_mul_f32_e32 v4, 0xbfb8aa3b, v19
	v_rndne_f32_e32 v5, v4
	v_sub_f32_e32 v28, v4, v5
	v_fma_f32 v4, v19, s97, -v4
	v_fmac_f32_e32 v4, 0xb2a5705f, v19
	v_add_f32_e32 v4, v28, v4
	v_exp_f32_e32 v4, v4
	v_cvt_i32_f32_e32 v28, v5
	v_cmp_nlt_f32_e32 vcc, s93, v7
	s_nop 1
	v_cndmask_b32_e32 v0, 0, v0, vcc
	v_cmp_ngt_f32_e32 vcc, s95, v7
	s_nop 1
	v_cndmask_b32_e32 v5, v74, v0, vcc
	v_ldexp_f32 v0, v4, v28
	v_mul_f32_e32 v4, 0xbfb8aa3b, v11
	v_rndne_f32_e32 v28, v4
	v_sub_f32_e32 v29, v4, v28
	v_fma_f32 v4, v11, s97, -v4
	v_fmac_f32_e32 v4, 0xb2a5705f, v11
	v_add_f32_e32 v4, v29, v4
	v_exp_f32_e32 v4, v4
	v_cvt_i32_f32_e32 v28, v28
	v_cmp_nlt_f32_e32 vcc, s93, v19
	v_ldexp_f32 v4, v4, v28
	s_nop 0
	v_cndmask_b32_e32 v0, 0, v0, vcc
	v_cmp_ngt_f32_e32 vcc, s95, v19
	s_nop 1
	v_cndmask_b32_e32 v0, v74, v0, vcc
	v_pk_add_f32 v[0:1], v[0:1], 1.0 op_sel_hi:[1,0]
	v_cmp_nlt_f32_e32 vcc, s93, v11
	v_div_scale_f32 v28, s[36:37], v1, v1, v6
	v_rcp_f32_e32 v29, v28
	v_cndmask_b32_e32 v4, 0, v4, vcc
	v_cmp_ngt_f32_e32 vcc, s95, v11
	v_fma_f32 v30, -v28, v29, 1.0
	s_nop 0
	v_cndmask_b32_e32 v4, v74, v4, vcc
	v_fmac_f32_e32 v29, v30, v29
	v_div_scale_f32 v30, vcc, v6, v1, v6
	v_mul_f32_e32 v31, v30, v29
	v_fma_f32 v32, -v28, v31, v30
	v_fmac_f32_e32 v31, v32, v29
	v_fma_f32 v28, -v28, v31, v30
	v_div_scale_f32 v30, s[36:37], v0, v0, v19
	v_rcp_f32_e32 v32, v30
	v_div_fmas_f32 v28, v28, v29, v31
	v_div_fixup_f32 v1, v28, v1, v6
	v_pk_add_f32 v[4:5], v[4:5], 1.0 op_sel_hi:[1,0]
	v_fma_f32 v6, -v30, v32, 1.0
	v_fmac_f32_e32 v32, v6, v32
	v_div_scale_f32 v6, vcc, v19, v0, v19
	v_mul_f32_e32 v28, v6, v32
	v_fma_f32 v29, -v30, v28, v6
	v_fmac_f32_e32 v28, v29, v32
	v_div_scale_f32 v29, s[36:37], v5, v5, v7
	v_fma_f32 v6, -v30, v28, v6
	v_rcp_f32_e32 v30, v29
	v_div_fmas_f32 v6, v6, v32, v28
	v_div_fixup_f32 v0, v6, v0, v19
	v_fma_f32 v6, -v29, v30, 1.0
	v_fmac_f32_e32 v30, v6, v30
	v_div_scale_f32 v6, vcc, v7, v5, v7
	v_mul_f32_e32 v19, v6, v30
	v_fma_f32 v28, -v29, v19, v6
	v_fmac_f32_e32 v19, v28, v30
	v_div_scale_f32 v28, s[36:37], v4, v4, v11
	v_fma_f32 v6, -v29, v19, v6
	v_rcp_f32_e32 v29, v28
	v_div_fmas_f32 v6, v6, v30, v19
	v_div_fixup_f32 v5, v6, v5, v7
	v_fma_f32 v6, -v28, v29, 1.0
	v_fmac_f32_e32 v29, v6, v29
	v_div_scale_f32 v6, vcc, v11, v4, v11
	v_mul_f32_e32 v7, v6, v29
	v_fma_f32 v19, -v28, v7, v6
	v_fmac_f32_e32 v7, v19, v29
	v_fma_f32 v6, -v28, v7, v6
	v_div_fmas_f32 v6, v6, v29, v7
	v_div_fixup_f32 v4, v6, v4, v11
	v_pk_mul_f32 v[4:5], v[26:27], v[4:5]
	v_pk_mul_f32 v[6:7], v[24:25], v[0:1]
	v_bfe_u32 v0, v4, 16, 1
	v_bfe_u32 v1, v5, 16, 1
	v_add3_u32 v0, v4, v0, s74
	v_bfe_u32 v11, v6, 16, 1
	v_add3_u32 v1, v5, v1, s74
	v_lshrrev_b32_e32 v0, 16, v0
	v_cmp_o_f32_e32 vcc, v4, v4
	v_add3_u32 v11, v6, v11, s74
	v_lshrrev_b32_e32 v1, 16, v1
	v_cndmask_b32_e32 v0, v77, v0, vcc
	v_cmp_o_f32_e32 vcc, v5, v5
	v_bfe_u32 v19, v7, 16, 1
	v_lshrrev_b32_e32 v11, 16, v11
	v_cndmask_b32_e32 v1, v77, v1, vcc
	v_cmp_o_f32_e32 vcc, v6, v6
	v_add3_u32 v19, v7, v19, s74
	v_lshrrev_b32_e32 v19, 16, v19
	v_cndmask_b32_e32 v6, v77, v11, vcc
	v_and_b32_e32 v11, 0xffff0000, v3
	v_cmp_o_f32_e32 vcc, v7, v7
	v_mul_f32_e32 v4, 0xbfb8aa3b, v11
	v_fma_f32 v5, v11, s97, -v4
	v_cndmask_b32_e32 v7, v77, v19, vcc
	v_rndne_f32_e32 v19, v4
	v_fmac_f32_e32 v5, 0xb2a5705f, v11
	v_sub_f32_e32 v4, v4, v19
	v_add_f32_e32 v4, v4, v5
	v_exp_f32_e32 v4, v4
	v_cvt_i32_f32_e32 v5, v19
	v_and_b32_e32 v19, 0xffff0000, v2
	v_lshlrev_b32_e32 v25, 16, v3
	v_mul_f32_e32 v3, 0xbfb8aa3b, v19
	v_lshlrev_b32_e32 v24, 16, v2
	v_ldexp_f32 v2, v4, v5
	v_fma_f32 v4, v19, s97, -v3
	v_rndne_f32_e32 v5, v3
	v_fmac_f32_e32 v4, 0xb2a5705f, v19
	v_sub_f32_e32 v3, v3, v5
	v_add_f32_e32 v3, v3, v4
	v_exp_f32_e32 v4, v3
	v_cvt_i32_f32_e32 v5, v5
	v_cmp_nlt_f32_e32 vcc, s93, v11
	s_nop 1
	v_cndmask_b32_e32 v2, 0, v2, vcc
	v_cmp_ngt_f32_e32 vcc, s95, v11
	s_nop 1
	v_cndmask_b32_e32 v3, v74, v2, vcc
	v_ldexp_f32 v2, v4, v5
	v_mul_f32_e32 v4, 0xbfb8aa3b, v25
	v_rndne_f32_e32 v5, v4
	v_sub_f32_e32 v26, v4, v5
	v_fma_f32 v4, v25, s97, -v4
	v_fmac_f32_e32 v4, 0xb2a5705f, v25
	v_add_f32_e32 v4, v26, v4
	v_exp_f32_e32 v4, v4
	v_cvt_i32_f32_e32 v26, v5
	v_cmp_nlt_f32_e32 vcc, s93, v19
	s_nop 1
	v_cndmask_b32_e32 v2, 0, v2, vcc
	v_cmp_ngt_f32_e32 vcc, s95, v19
	s_nop 1
	v_cndmask_b32_e32 v5, v74, v2, vcc
	v_ldexp_f32 v2, v4, v26
	v_mul_f32_e32 v4, 0xbfb8aa3b, v24
	v_rndne_f32_e32 v26, v4
	v_sub_f32_e32 v27, v4, v26
	v_fma_f32 v4, v24, s97, -v4
	v_fmac_f32_e32 v4, 0xb2a5705f, v24
	v_add_f32_e32 v4, v27, v4
	v_exp_f32_e32 v4, v4
	v_cvt_i32_f32_e32 v26, v26
	v_cmp_nlt_f32_e32 vcc, s93, v25
	v_ldexp_f32 v4, v4, v26
	s_nop 0
	v_cndmask_b32_e32 v2, 0, v2, vcc
	v_cmp_ngt_f32_e32 vcc, s95, v25
	s_nop 1
	v_cndmask_b32_e32 v2, v74, v2, vcc
	v_pk_add_f32 v[2:3], v[2:3], 1.0 op_sel_hi:[1,0]
	v_cmp_nlt_f32_e32 vcc, s93, v24
	v_div_scale_f32 v26, s[36:37], v3, v3, v11
	v_rcp_f32_e32 v27, v26
	v_cndmask_b32_e32 v4, 0, v4, vcc
	v_cmp_ngt_f32_e32 vcc, s95, v24
	v_fma_f32 v28, -v26, v27, 1.0
	s_nop 0
	v_cndmask_b32_e32 v4, v74, v4, vcc
	v_fmac_f32_e32 v27, v28, v27
	v_div_scale_f32 v28, vcc, v11, v3, v11
	v_mul_f32_e32 v29, v28, v27
	v_fma_f32 v30, -v26, v29, v28
	v_fmac_f32_e32 v29, v30, v27
	v_fma_f32 v26, -v26, v29, v28
	v_div_scale_f32 v28, s[36:37], v2, v2, v25
	v_rcp_f32_e32 v30, v28
	v_div_fmas_f32 v26, v26, v27, v29
	v_div_fixup_f32 v3, v26, v3, v11
	v_pk_add_f32 v[4:5], v[4:5], 1.0 op_sel_hi:[1,0]
	v_fma_f32 v11, -v28, v30, 1.0
	v_fmac_f32_e32 v30, v11, v30
	v_div_scale_f32 v11, vcc, v25, v2, v25
	v_mul_f32_e32 v26, v11, v30
	v_fma_f32 v27, -v28, v26, v11
	v_fmac_f32_e32 v26, v27, v30
	v_div_scale_f32 v27, s[36:37], v5, v5, v19
	v_fma_f32 v11, -v28, v26, v11
	v_rcp_f32_e32 v28, v27
	v_div_fmas_f32 v11, v11, v30, v26
	v_div_fixup_f32 v2, v11, v2, v25
	v_pk_mul_f32 v[2:3], v[20:21], v[2:3]
	v_fma_f32 v11, -v27, v28, 1.0
	v_fmac_f32_e32 v28, v11, v28
	v_div_scale_f32 v11, vcc, v19, v5, v19
	v_mul_f32_e32 v25, v11, v28
	v_fma_f32 v26, -v27, v25, v11
	v_fmac_f32_e32 v25, v26, v28
	v_div_scale_f32 v26, s[36:37], v4, v4, v24
	v_fma_f32 v11, -v27, v25, v11
	v_rcp_f32_e32 v27, v26
	v_div_fmas_f32 v11, v11, v28, v25
	v_div_fixup_f32 v5, v11, v5, v19
	v_bfe_u32 v20, v2, 16, 1
	v_fma_f32 v11, -v26, v27, 1.0
	v_fmac_f32_e32 v27, v11, v27
	v_div_scale_f32 v11, vcc, v24, v4, v24
	v_mul_f32_e32 v19, v11, v27
	v_fma_f32 v25, -v26, v19, v11
	v_fmac_f32_e32 v19, v25, v27
	v_fma_f32 v11, -v26, v19, v11
	v_div_fmas_f32 v11, v11, v27, v19
	v_div_fixup_f32 v4, v11, v4, v24
	v_pk_mul_f32 v[4:5], v[22:23], v[4:5]
	v_bfe_u32 v21, v3, 16, 1
	v_bfe_u32 v11, v4, 16, 1
	;; [unrolled: 1-line block ×3, first 2 shown]
	v_add3_u32 v11, v4, v11, s74
	v_add3_u32 v19, v5, v19, s74
	v_lshrrev_b32_e32 v11, 16, v11
	v_cmp_o_f32_e32 vcc, v4, v4
	v_add3_u32 v20, v2, v20, s74
	v_lshrrev_b32_e32 v19, 16, v19
	v_cndmask_b32_e32 v4, v77, v11, vcc
	v_cmp_o_f32_e32 vcc, v5, v5
	v_add3_u32 v21, v3, v21, s74
	v_lshrrev_b32_e32 v20, 16, v20
	v_cndmask_b32_e32 v11, v77, v19, vcc
	v_cmp_o_f32_e32 vcc, v2, v2
	v_lshrrev_b32_e32 v21, 16, v21
	s_mov_b32 s36, 0x5040100
	v_cndmask_b32_e32 v2, v77, v20, vcc
	v_cmp_o_f32_e32 vcc, v3, v3
	v_perm_b32 v4, v11, v4, s36
	s_nop 0
	v_cndmask_b32_e32 v3, v77, v21, vcc
	v_perm_b32 v5, v3, v2, s36
	v_perm_b32 v3, v7, v6, s36
	v_perm_b32 v2, v1, v0, s36
	ds_write_b128 v57, v[2:5]
	; wave barrier
	ds_read_u16 v11, v50 offset:128
	ds_read_u16 v7, v51 offset:256
	;; [unrolled: 1-line block ×7, first 2 shown]
	v_lshl_add_u64 v[0:1], s[66:67], 1, v[16:17]
	s_and_saveexec_b64 s[36:37], s[18:19]
	s_cbranch_execnz .LBB8_160
; %bb.144:                              ;   in Loop: Header=BB8_11 Depth=1
	s_or_b64 exec, exec, s[36:37]
	s_and_saveexec_b64 s[18:19], s[20:21]
	s_cbranch_execnz .LBB8_161
.LBB8_145:                              ;   in Loop: Header=BB8_11 Depth=1
	s_or_b64 exec, exec, s[18:19]
	s_and_saveexec_b64 s[18:19], s[22:23]
	s_cbranch_execnz .LBB8_162
.LBB8_146:                              ;   in Loop: Header=BB8_11 Depth=1
	s_or_b64 exec, exec, s[18:19]
	s_and_saveexec_b64 s[18:19], s[24:25]
	s_cbranch_execnz .LBB8_163
.LBB8_147:                              ;   in Loop: Header=BB8_11 Depth=1
	s_or_b64 exec, exec, s[18:19]
	s_and_saveexec_b64 s[18:19], s[26:27]
	s_cbranch_execnz .LBB8_164
.LBB8_148:                              ;   in Loop: Header=BB8_11 Depth=1
	s_or_b64 exec, exec, s[18:19]
	s_and_saveexec_b64 s[18:19], s[28:29]
	s_cbranch_execnz .LBB8_165
.LBB8_149:                              ;   in Loop: Header=BB8_11 Depth=1
	s_or_b64 exec, exec, s[18:19]
	s_and_saveexec_b64 s[18:19], s[30:31]
	s_cbranch_execnz .LBB8_166
.LBB8_150:                              ;   in Loop: Header=BB8_11 Depth=1
	s_or_b64 exec, exec, s[18:19]
	s_and_saveexec_b64 s[18:19], s[34:35]
	s_cbranch_execz .LBB8_10
	s_branch .LBB8_167
.LBB8_151:                              ;   in Loop: Header=BB8_11 Depth=1
	global_load_ushort v22, v[4:5], off offset:640
	s_or_b64 exec, exec, s[36:37]
	s_and_saveexec_b64 s[36:37], s[30:31]
	s_cbranch_execz .LBB8_39
.LBB8_152:                              ;   in Loop: Header=BB8_11 Depth=1
	global_load_ushort v21, v[4:5], off offset:768
	s_or_b64 exec, exec, s[36:37]
	v_mov_b32_e32 v23, 0
	s_and_saveexec_b64 s[36:37], s[34:35]
	s_cbranch_execnz .LBB8_40
	s_branch .LBB8_41
.LBB8_153:                              ;   in Loop: Header=BB8_11 Depth=1
	ds_read_u16 v19, v49
	s_waitcnt lgkmcnt(0)
	global_store_short v[0:1], v19, off
	s_or_b64 exec, exec, s[36:37]
	s_and_saveexec_b64 s[36:37], s[20:21]
	s_cbranch_execz .LBB8_120
.LBB8_154:                              ;   in Loop: Header=BB8_11 Depth=1
	s_waitcnt lgkmcnt(6)
	global_store_short v[0:1], v11, off offset:128
	s_or_b64 exec, exec, s[36:37]
	s_and_saveexec_b64 s[36:37], s[22:23]
	s_cbranch_execz .LBB8_121
.LBB8_155:                              ;   in Loop: Header=BB8_11 Depth=1
	s_waitcnt lgkmcnt(5)
	global_store_short v[0:1], v7, off offset:256
	s_or_b64 exec, exec, s[36:37]
	s_and_saveexec_b64 s[36:37], s[24:25]
	s_cbranch_execz .LBB8_122
.LBB8_156:                              ;   in Loop: Header=BB8_11 Depth=1
	s_waitcnt lgkmcnt(4)
	global_store_short v[0:1], v6, off offset:384
	s_or_b64 exec, exec, s[36:37]
	s_and_saveexec_b64 s[36:37], s[26:27]
	s_cbranch_execz .LBB8_123
.LBB8_157:                              ;   in Loop: Header=BB8_11 Depth=1
	s_waitcnt lgkmcnt(3)
	global_store_short v[0:1], v5, off offset:512
	s_or_b64 exec, exec, s[36:37]
	s_and_saveexec_b64 s[36:37], s[28:29]
	s_cbranch_execz .LBB8_124
.LBB8_158:                              ;   in Loop: Header=BB8_11 Depth=1
	s_waitcnt lgkmcnt(2)
	global_store_short v[0:1], v4, off offset:640
	s_or_b64 exec, exec, s[36:37]
	s_and_saveexec_b64 s[36:37], s[30:31]
	s_cbranch_execz .LBB8_125
.LBB8_159:                              ;   in Loop: Header=BB8_11 Depth=1
	s_waitcnt lgkmcnt(1)
	global_store_short v[0:1], v3, off offset:768
	s_or_b64 exec, exec, s[36:37]
	s_and_saveexec_b64 s[36:37], s[34:35]
	s_cbranch_execnz .LBB8_126
	s_branch .LBB8_127
.LBB8_160:                              ;   in Loop: Header=BB8_11 Depth=1
	ds_read_u16 v19, v49
	s_waitcnt lgkmcnt(0)
	global_store_short v[0:1], v19, off
	s_or_b64 exec, exec, s[36:37]
	s_and_saveexec_b64 s[18:19], s[20:21]
	s_cbranch_execz .LBB8_145
.LBB8_161:                              ;   in Loop: Header=BB8_11 Depth=1
	s_waitcnt lgkmcnt(6)
	global_store_short v[0:1], v11, off offset:128
	s_or_b64 exec, exec, s[18:19]
	s_and_saveexec_b64 s[18:19], s[22:23]
	s_cbranch_execz .LBB8_146
.LBB8_162:                              ;   in Loop: Header=BB8_11 Depth=1
	s_waitcnt lgkmcnt(5)
	global_store_short v[0:1], v7, off offset:256
	s_or_b64 exec, exec, s[18:19]
	s_and_saveexec_b64 s[18:19], s[24:25]
	s_cbranch_execz .LBB8_147
.LBB8_163:                              ;   in Loop: Header=BB8_11 Depth=1
	s_waitcnt lgkmcnt(4)
	global_store_short v[0:1], v6, off offset:384
	s_or_b64 exec, exec, s[18:19]
	s_and_saveexec_b64 s[18:19], s[26:27]
	s_cbranch_execz .LBB8_148
.LBB8_164:                              ;   in Loop: Header=BB8_11 Depth=1
	s_waitcnt lgkmcnt(3)
	global_store_short v[0:1], v5, off offset:512
	s_or_b64 exec, exec, s[18:19]
	s_and_saveexec_b64 s[18:19], s[28:29]
	s_cbranch_execz .LBB8_149
.LBB8_165:                              ;   in Loop: Header=BB8_11 Depth=1
	s_waitcnt lgkmcnt(2)
	global_store_short v[0:1], v4, off offset:640
	s_or_b64 exec, exec, s[18:19]
	s_and_saveexec_b64 s[18:19], s[30:31]
	s_cbranch_execz .LBB8_150
.LBB8_166:                              ;   in Loop: Header=BB8_11 Depth=1
	s_waitcnt lgkmcnt(1)
	global_store_short v[0:1], v3, off offset:768
	s_or_b64 exec, exec, s[18:19]
	s_and_saveexec_b64 s[18:19], s[34:35]
	s_cbranch_execz .LBB8_10
.LBB8_167:                              ;   in Loop: Header=BB8_11 Depth=1
	s_waitcnt lgkmcnt(0)
	global_store_short v[0:1], v2, off offset:896
	s_branch .LBB8_10
.LBB8_168:
	s_endpgm
.LBB8_169:
	s_mov_b64 s[68:69], 0
	s_load_dwordx2 s[6:7], s[0:1], 0x20
	s_cmp_eq_u64 s[4:5], 0
	s_cbranch_scc0 .LBB8_2
	s_branch .LBB8_3
	.section	.rodata,"a",@progbits
	.p2align	6, 0x0
	.amdhsa_kernel _Z25selective_scan_fwd_kernelI32Selective_Scan_fwd_kernel_traitsILi64ELi8ELi1ELb1ELb1ELb1ELb1ELb1EN3c108BFloat16EfS2_EEv13SSMParamsBase
		.amdhsa_group_segment_fixed_size 0
		.amdhsa_private_segment_fixed_size 36
		.amdhsa_kernarg_size 248
		.amdhsa_user_sgpr_count 2
		.amdhsa_user_sgpr_dispatch_ptr 0
		.amdhsa_user_sgpr_queue_ptr 0
		.amdhsa_user_sgpr_kernarg_segment_ptr 1
		.amdhsa_user_sgpr_dispatch_id 0
		.amdhsa_user_sgpr_kernarg_preload_length 0
		.amdhsa_user_sgpr_kernarg_preload_offset 0
		.amdhsa_user_sgpr_private_segment_size 0
		.amdhsa_uses_dynamic_stack 0
		.amdhsa_enable_private_segment 1
		.amdhsa_system_sgpr_workgroup_id_x 1
		.amdhsa_system_sgpr_workgroup_id_y 1
		.amdhsa_system_sgpr_workgroup_id_z 0
		.amdhsa_system_sgpr_workgroup_info 0
		.amdhsa_system_vgpr_workitem_id 0
		.amdhsa_next_free_vgpr 96
		.amdhsa_next_free_sgpr 100
		.amdhsa_accum_offset 96
		.amdhsa_reserve_vcc 1
		.amdhsa_float_round_mode_32 0
		.amdhsa_float_round_mode_16_64 0
		.amdhsa_float_denorm_mode_32 3
		.amdhsa_float_denorm_mode_16_64 3
		.amdhsa_dx10_clamp 1
		.amdhsa_ieee_mode 1
		.amdhsa_fp16_overflow 0
		.amdhsa_tg_split 0
		.amdhsa_exception_fp_ieee_invalid_op 0
		.amdhsa_exception_fp_denorm_src 0
		.amdhsa_exception_fp_ieee_div_zero 0
		.amdhsa_exception_fp_ieee_overflow 0
		.amdhsa_exception_fp_ieee_underflow 0
		.amdhsa_exception_fp_ieee_inexact 0
		.amdhsa_exception_int_div_zero 0
	.end_amdhsa_kernel
	.section	.text._Z25selective_scan_fwd_kernelI32Selective_Scan_fwd_kernel_traitsILi64ELi8ELi1ELb1ELb1ELb1ELb1ELb1EN3c108BFloat16EfS2_EEv13SSMParamsBase,"axG",@progbits,_Z25selective_scan_fwd_kernelI32Selective_Scan_fwd_kernel_traitsILi64ELi8ELi1ELb1ELb1ELb1ELb1ELb1EN3c108BFloat16EfS2_EEv13SSMParamsBase,comdat
.Lfunc_end8:
	.size	_Z25selective_scan_fwd_kernelI32Selective_Scan_fwd_kernel_traitsILi64ELi8ELi1ELb1ELb1ELb1ELb1ELb1EN3c108BFloat16EfS2_EEv13SSMParamsBase, .Lfunc_end8-_Z25selective_scan_fwd_kernelI32Selective_Scan_fwd_kernel_traitsILi64ELi8ELi1ELb1ELb1ELb1ELb1ELb1EN3c108BFloat16EfS2_EEv13SSMParamsBase
                                        ; -- End function
	.section	.AMDGPU.csdata,"",@progbits
; Kernel info:
; codeLenInByte = 12964
; NumSgprs: 106
; NumVgprs: 96
; NumAgprs: 0
; TotalNumVgprs: 96
; ScratchSize: 36
; MemoryBound: 0
; FloatMode: 240
; IeeeMode: 1
; LDSByteSize: 0 bytes/workgroup (compile time only)
; SGPRBlocks: 13
; VGPRBlocks: 11
; NumSGPRsForWavesPerEU: 106
; NumVGPRsForWavesPerEU: 96
; AccumOffset: 96
; Occupancy: 5
; WaveLimiterHint : 1
; COMPUTE_PGM_RSRC2:SCRATCH_EN: 1
; COMPUTE_PGM_RSRC2:USER_SGPR: 2
; COMPUTE_PGM_RSRC2:TRAP_HANDLER: 0
; COMPUTE_PGM_RSRC2:TGID_X_EN: 1
; COMPUTE_PGM_RSRC2:TGID_Y_EN: 1
; COMPUTE_PGM_RSRC2:TGID_Z_EN: 0
; COMPUTE_PGM_RSRC2:TIDIG_COMP_CNT: 0
; COMPUTE_PGM_RSRC3_GFX90A:ACCUM_OFFSET: 23
; COMPUTE_PGM_RSRC3_GFX90A:TG_SPLIT: 0
	.section	.text._Z25selective_scan_fwd_kernelI32Selective_Scan_fwd_kernel_traitsILi64ELi8ELi1ELb1ELb1ELb1ELb1ELb0EN3c108BFloat16EfS2_EEv13SSMParamsBase,"axG",@progbits,_Z25selective_scan_fwd_kernelI32Selective_Scan_fwd_kernel_traitsILi64ELi8ELi1ELb1ELb1ELb1ELb1ELb0EN3c108BFloat16EfS2_EEv13SSMParamsBase,comdat
	.protected	_Z25selective_scan_fwd_kernelI32Selective_Scan_fwd_kernel_traitsILi64ELi8ELi1ELb1ELb1ELb1ELb1ELb0EN3c108BFloat16EfS2_EEv13SSMParamsBase ; -- Begin function _Z25selective_scan_fwd_kernelI32Selective_Scan_fwd_kernel_traitsILi64ELi8ELi1ELb1ELb1ELb1ELb1ELb0EN3c108BFloat16EfS2_EEv13SSMParamsBase
	.globl	_Z25selective_scan_fwd_kernelI32Selective_Scan_fwd_kernel_traitsILi64ELi8ELi1ELb1ELb1ELb1ELb1ELb0EN3c108BFloat16EfS2_EEv13SSMParamsBase
	.p2align	8
	.type	_Z25selective_scan_fwd_kernelI32Selective_Scan_fwd_kernel_traitsILi64ELi8ELi1ELb1ELb1ELb1ELb1ELb0EN3c108BFloat16EfS2_EEv13SSMParamsBase,@function
_Z25selective_scan_fwd_kernelI32Selective_Scan_fwd_kernel_traitsILi64ELi8ELi1ELb1ELb1ELb1ELb1ELb0EN3c108BFloat16EfS2_EEv13SSMParamsBase: ; @_Z25selective_scan_fwd_kernelI32Selective_Scan_fwd_kernel_traitsILi64ELi8ELi1ELb1ELb1ELb1ELb1ELb0EN3c108BFloat16EfS2_EEv13SSMParamsBase
; %bb.0:
	s_load_dword s35, s[0:1], 0x18
	s_load_dwordx4 s[4:7], s[0:1], 0xe8
	s_mov_b32 s28, s3
	s_waitcnt lgkmcnt(0)
	s_abs_i32 s34, s35
	v_cvt_f32_u32_e32 v1, s34
	s_cmp_eq_u64 s[6:7], 0
	v_rcp_iflag_f32_e32 v1, v1
	s_nop 0
	v_mul_f32_e32 v1, 0x4f7ffffe, v1
	v_cvt_u32_f32_e32 v1, v1
	s_nop 0
	v_readfirstlane_b32 s20, v1
	s_cbranch_scc1 .LBB9_3
; %bb.1:
	s_ashr_i32 s3, s2, 31
	s_add_u32 s6, s6, s2
	s_addc_u32 s7, s7, s3
	v_mov_b32_e32 v1, 0
	global_load_ubyte v1, v1, s[6:7]
	s_waitcnt vmcnt(0)
	v_and_b32_e32 v1, 1, v1
	v_cmp_eq_u32_e64 s[38:39], 1, v1
	s_load_dwordx2 s[6:7], s[0:1], 0x20
	s_cmp_eq_u64 s[4:5], 0
	s_cbranch_scc1 .LBB9_4
.LBB9_2:
	s_ashr_i32 s3, s2, 31
	s_lshl_b64 s[8:9], s[2:3], 2
	s_add_u32 s4, s4, s8
	s_addc_u32 s5, s5, s9
	s_load_dword s30, s[4:5], 0x0
	s_waitcnt lgkmcnt(0)
	s_ashr_i32 s31, s30, 31
	s_cmp_eq_u64 s[6:7], s[30:31]
	s_cbranch_scc0 .LBB9_5
	s_branch .LBB9_60
.LBB9_3:
	s_mov_b64 s[38:39], 0
	s_load_dwordx2 s[6:7], s[0:1], 0x20
	s_cmp_eq_u64 s[4:5], 0
	s_cbranch_scc0 .LBB9_2
.LBB9_4:
	s_mov_b32 s30, s2
	s_ashr_i32 s31, s30, 31
	s_waitcnt lgkmcnt(0)
	s_cmp_eq_u64 s[6:7], s[30:31]
	s_cbranch_scc1 .LBB9_60
.LBB9_5:
	s_load_dwordx16 s[4:19], s[0:1], 0x88
	s_load_dwordx2 s[56:57], s[0:1], 0x8
	s_mov_b32 s33, 0
	s_mov_b32 s78, 0
	s_waitcnt lgkmcnt(0)
	s_cmp_eq_u64 s[10:11], 0
	s_cbranch_scc1 .LBB9_7
; %bb.6:
	s_ashr_i32 s29, s28, 31
	s_lshl_b64 s[22:23], s[28:29], 2
	s_add_u32 s10, s10, s22
	s_addc_u32 s11, s11, s23
	s_load_dword s78, s[10:11], 0x0
.LBB9_7:
	s_cmp_eq_u64 s[16:17], 0
	s_cbranch_scc1 .LBB9_9
; %bb.8:
	s_ashr_i32 s29, s28, 31
	s_lshl_b64 s[10:11], s[28:29], 2
	s_add_u32 s10, s16, s10
	s_addc_u32 s11, s17, s11
	s_load_dword s33, s[10:11], 0x0
.LBB9_9:
	s_cmp_lt_i32 s56, 1
	s_cbranch_scc1 .LBB9_60
; %bb.10:
	s_sub_i32 s3, 0, s34
	s_mul_i32 s3, s3, s20
	s_mul_hi_u32 s3, s20, s3
	s_abs_i32 s29, s28
	s_add_i32 s3, s20, s3
	s_load_dwordx8 s[40:47], s[0:1], 0x2c
	s_load_dwordx2 s[16:17], s[0:1], 0x7c
	s_load_dwordx4 s[24:27], s[0:1], 0x6c
	s_load_dwordx8 s[48:55], s[0:1], 0x4c
	s_load_dwordx2 s[10:11], s[0:1], 0xd8
	s_load_dwordx4 s[20:23], s[0:1], 0xc8
	s_load_dword s79, s[0:1], 0x84
	s_mul_hi_u32 s3, s29, s3
	s_load_dword s31, s[0:1], 0x28
	s_ashr_i32 s0, s28, 31
	s_ashr_i32 s1, s35, 31
	s_xor_b32 s0, s0, s1
	s_mul_i32 s1, s3, s34
	s_sub_i32 s1, s29, s1
	s_add_i32 s29, s3, 1
	s_sub_i32 s35, s1, s34
	s_cmp_ge_u32 s1, s34
	s_cselect_b32 s3, s29, s3
	s_cselect_b32 s1, s35, s1
	s_add_i32 s29, s3, 1
	s_cmp_ge_u32 s1, s34
	s_cselect_b32 s1, s29, s3
	s_xor_b32 s1, s1, s0
	s_waitcnt lgkmcnt(0)
	s_mul_i32 s58, s50, s2
	s_mov_b32 s59, 0
	s_sub_i32 s3, s1, s0
	s_lshl_b64 s[0:1], s[58:59], 1
	s_add_u32 s12, s12, s0
	s_mul_i32 s58, s51, s28
	s_addc_u32 s13, s13, s1
	s_lshl_b64 s[0:1], s[58:59], 1
	s_add_u32 s50, s12, s0
	s_mul_i32 s58, s52, s2
	s_addc_u32 s51, s13, s1
	;; [unrolled: 4-line block ×10, first 2 shown]
	s_lshl_b64 s[0:1], s[58:59], 1
	s_add_u32 s45, s3, s0
	s_addc_u32 s49, s4, s1
	s_add_i32 s0, s56, 0x7ff
	s_lshr_b32 s81, s0, 11
	s_bitcmp1_b32 s31, 0
	s_cselect_b64 s[60:61], -1, 0
	s_cmp_gt_i32 s57, 0
	s_cselect_b64 s[62:63], -1, 0
	s_and_b32 s3, s56, 0x1ff
	s_cmp_eq_u32 s3, 0
	s_mul_i32 s58, s24, s2
	s_cselect_b64 s[64:65], -1, 0
	s_add_i32 s82, s81, -1
	s_lshl_b64 s[4:5], s[58:59], 1
	s_add_u32 s3, s18, s4
	s_mul_i32 s58, s25, s28
	s_addc_u32 s8, s19, s5
	s_lshl_b64 s[6:7], s[58:59], 1
	s_add_u32 s6, s3, s6
	v_mov_b32_e32 v21, 0
	s_addc_u32 s7, s8, s7
	v_lshlrev_b32_e32 v20, 4, v0
	s_mul_i32 s58, s26, s2
	v_lshl_add_u64 v[22:23], s[6:7], 0, v[20:21]
	s_lshl_b64 s[6:7], s[58:59], 1
	s_add_u32 s3, s10, s6
	s_mul_i32 s58, s27, s28
	s_addc_u32 s8, s11, s7
	s_lshl_b64 s[6:7], s[58:59], 1
	s_add_u32 s6, s3, s6
	s_mul_i32 s58, s54, s2
	s_addc_u32 s7, s8, s7
	;; [unrolled: 4-line block ×3, first 2 shown]
	s_lshl_b64 s[2:3], s[58:59], 1
	s_add_u32 s2, s8, s2
	s_addc_u32 s3, s9, s3
	v_cmp_gt_u32_e64 s[0:1], 64, v0
	v_lshlrev_b32_e32 v52, 3, v0
	v_cmp_eq_u32_e64 s[36:37], 63, v0
	v_cmp_eq_u32_e64 s[4:5], 0, v0
	v_lshl_add_u64 v[24:25], s[2:3], 0, v[20:21]
	v_lshl_add_u64 v[26:27], s[6:7], 0, v[20:21]
	v_lshlrev_b32_e32 v20, 4, v0
	v_mbcnt_lo_u32_b32 v0, -1, 0
	v_or_b32_e32 v57, 5, v52
	v_or_b32_e32 v58, 6, v52
	;; [unrolled: 1-line block ×3, first 2 shown]
	s_mov_b32 s83, 0x41a00000
	s_mov_b32 s84, 0x3fb8aa3b
	;; [unrolled: 1-line block ×6, first 2 shown]
	v_mov_b32_e32 v60, 0x3ecc95a3
	s_mov_b32 s89, 0x3f317218
	s_mov_b32 s90, 0x33800000
	s_add_i32 s91, 0, 0x848
	s_mov_b32 s92, 0xc2fc0000
	s_movk_i32 s93, 0x7fff
	s_mov_b32 s94, 0x5040100
	s_mov_b32 s95, 0xbfb8aa3b
	;; [unrolled: 1-line block ×4, first 2 shown]
	v_mov_b32_e32 v61, 0x7f800000
	v_mov_b32_e32 v28, 0x3f317218
	v_mbcnt_hi_u32_b32 v62, -1, v0
	v_mov_b32_e32 v63, 0x42800000
	v_mov_b32_e32 v64, 0x1f800000
	v_mov_b32_e32 v65, 0x7fc0
	s_mov_b32 s98, 0
                                        ; implicit-def: $vgpr1
                                        ; implicit-def: $vgpr71
                                        ; implicit-def: $vgpr7
                                        ; implicit-def: $vgpr70
                                        ; implicit-def: $vgpr68
                                        ; implicit-def: $vgpr67
                                        ; implicit-def: $vgpr0
                                        ; implicit-def: $vgpr66
                                        ; implicit-def: $vgpr69
                                        ; implicit-def: $vgpr72
                                        ; implicit-def: $vgpr73
                                        ; implicit-def: $vgpr8_vgpr9
	s_branch .LBB9_12
.LBB9_11:                               ;   in Loop: Header=BB9_12 Depth=1
	s_or_b64 exec, exec, s[6:7]
	s_waitcnt vmcnt(0)
	v_and_b32_e32 v18, 0xffff0000, v8
	v_mul_f32_e32 v14, 0xbfb8aa3b, v18
	v_fma_f32 v15, v18, s95, -v14
	v_rndne_f32_e32 v16, v14
	v_fmac_f32_e32 v15, 0xb2a5705f, v18
	v_sub_f32_e32 v14, v14, v16
	v_add_f32_e32 v14, v14, v15
	v_exp_f32_e32 v14, v14
	v_cvt_i32_f32_e32 v15, v16
	v_and_b32_e32 v19, 0xffff0000, v9
	v_cmp_nlt_f32_e32 vcc, s96, v18
	v_lshlrev_b32_e32 v38, 16, v8
	v_ldexp_f32 v14, v14, v15
	v_mul_f32_e32 v15, 0xbfb8aa3b, v19
	v_fma_f32 v16, v19, s95, -v15
	v_rndne_f32_e32 v17, v15
	v_fmac_f32_e32 v16, 0xb2a5705f, v19
	v_sub_f32_e32 v15, v15, v17
	v_add_f32_e32 v15, v15, v16
	v_exp_f32_e32 v16, v15
	v_cvt_i32_f32_e32 v17, v17
	v_cndmask_b32_e32 v14, 0, v14, vcc
	v_cmp_ngt_f32_e32 vcc, s97, v18
	v_lshlrev_b32_e32 v29, 16, v9
	v_lshl_add_u64 v[12:13], s[2:3], 1, v[26:27]
	v_cndmask_b32_e32 v15, v61, v14, vcc
	v_ldexp_f32 v14, v16, v17
	v_mul_f32_e32 v16, 0xbfb8aa3b, v38
	v_rndne_f32_e32 v17, v16
	v_sub_f32_e32 v39, v16, v17
	v_fma_f32 v16, v38, s95, -v16
	v_fmac_f32_e32 v16, 0xb2a5705f, v38
	v_add_f32_e32 v16, v39, v16
	v_exp_f32_e32 v16, v16
	v_cvt_i32_f32_e32 v39, v17
	v_cmp_nlt_f32_e32 vcc, s96, v19
	s_add_u32 s52, s52, 0x400
	s_addc_u32 s53, s53, 0
	v_cndmask_b32_e32 v14, 0, v14, vcc
	v_cmp_ngt_f32_e32 vcc, s97, v19
	s_add_u32 s50, s50, 0x400
	s_addc_u32 s51, s51, 0
	v_cndmask_b32_e32 v17, v61, v14, vcc
	v_ldexp_f32 v14, v16, v39
	v_mul_f32_e32 v16, 0xbfb8aa3b, v29
	v_rndne_f32_e32 v39, v16
	v_sub_f32_e32 v40, v16, v39
	v_fma_f32 v16, v29, s95, -v16
	v_fmac_f32_e32 v16, 0xb2a5705f, v29
	v_add_f32_e32 v16, v40, v16
	v_exp_f32_e32 v16, v16
	v_cvt_i32_f32_e32 v39, v39
	v_cmp_nlt_f32_e32 vcc, s96, v38
	s_add_u32 s42, s42, 0x400
	s_addc_u32 s43, s43, 0
	v_cndmask_b32_e32 v14, 0, v14, vcc
	v_cmp_ngt_f32_e32 vcc, s97, v38
	v_ldexp_f32 v16, v16, v39
	s_add_u32 s46, s46, 0x400
	v_cndmask_b32_e32 v14, v61, v14, vcc
	v_pk_add_f32 v[14:15], v[14:15], 1.0 op_sel_hi:[1,0]
	v_cmp_nlt_f32_e32 vcc, s96, v29
	v_div_scale_f32 v39, s[2:3], v15, v15, v18
	v_rcp_f32_e32 v40, v39
	v_cndmask_b32_e32 v16, 0, v16, vcc
	v_cmp_ngt_f32_e32 vcc, s97, v29
	s_addc_u32 s47, s47, 0
	v_fma_f32 v41, -v39, v40, 1.0
	v_cndmask_b32_e32 v16, v61, v16, vcc
	v_fmac_f32_e32 v40, v41, v40
	v_div_scale_f32 v41, vcc, v18, v15, v18
	v_mul_f32_e32 v42, v41, v40
	v_fma_f32 v43, -v39, v42, v41
	v_fmac_f32_e32 v42, v43, v40
	v_fma_f32 v39, -v39, v42, v41
	v_div_scale_f32 v41, s[2:3], v14, v14, v38
	v_rcp_f32_e32 v43, v41
	v_div_fmas_f32 v39, v39, v40, v42
	v_div_fixup_f32 v15, v39, v15, v18
	v_pk_add_f32 v[16:17], v[16:17], 1.0 op_sel_hi:[1,0]
	v_fma_f32 v18, -v41, v43, 1.0
	v_fmac_f32_e32 v43, v18, v43
	v_div_scale_f32 v18, vcc, v38, v14, v38
	v_mul_f32_e32 v39, v18, v43
	v_fma_f32 v40, -v41, v39, v18
	v_fmac_f32_e32 v39, v40, v43
	v_div_scale_f32 v40, s[2:3], v17, v17, v19
	v_fma_f32 v18, -v41, v39, v18
	v_rcp_f32_e32 v41, v40
	v_div_fmas_f32 v18, v18, v43, v39
	v_div_fixup_f32 v14, v18, v14, v38
	v_pk_mul_f32 v[14:15], v[36:37], v[14:15]
	v_fma_f32 v18, -v40, v41, 1.0
	v_fmac_f32_e32 v41, v18, v41
	v_div_scale_f32 v18, vcc, v19, v17, v19
	v_mul_f32_e32 v38, v18, v41
	v_fma_f32 v39, -v40, v38, v18
	v_fmac_f32_e32 v38, v39, v41
	v_div_scale_f32 v39, s[2:3], v16, v16, v29
	v_fma_f32 v18, -v40, v38, v18
	v_rcp_f32_e32 v40, v39
	v_div_fmas_f32 v18, v18, v41, v38
	v_div_fixup_f32 v17, v18, v17, v19
	v_and_b32_e32 v36, 0xffff0000, v11
	v_fma_f32 v18, -v39, v40, 1.0
	v_fmac_f32_e32 v40, v18, v40
	v_div_scale_f32 v18, vcc, v29, v16, v29
	v_mul_f32_e32 v19, v18, v40
	v_fma_f32 v38, -v39, v19, v18
	v_fmac_f32_e32 v19, v38, v40
	v_fma_f32 v18, -v39, v19, v18
	v_div_fmas_f32 v18, v18, v40, v19
	v_div_fixup_f32 v16, v18, v16, v29
	v_pk_mul_f32 v[16:17], v[34:35], v[16:17]
	v_bfe_u32 v29, v14, 16, 1
	v_bfe_u32 v18, v16, 16, 1
	;; [unrolled: 1-line block ×3, first 2 shown]
	v_add3_u32 v18, v16, v18, s93
	v_add3_u32 v19, v17, v19, s93
	v_lshrrev_b32_e32 v18, 16, v18
	v_cmp_o_f32_e32 vcc, v16, v16
	v_add3_u32 v29, v14, v29, s93
	v_lshrrev_b32_e32 v19, 16, v19
	v_cndmask_b32_e32 v18, v65, v18, vcc
	v_cmp_o_f32_e32 vcc, v17, v17
	v_and_b32_e32 v35, 0xffff0000, v10
	v_bfe_u32 v34, v15, 16, 1
	v_lshrrev_b32_e32 v29, 16, v29
	v_cndmask_b32_e32 v19, v65, v19, vcc
	v_cmp_o_f32_e32 vcc, v14, v14
	v_mul_f32_e32 v14, 0xbfb8aa3b, v35
	v_add3_u32 v34, v15, v34, s93
	v_cndmask_b32_e32 v29, v65, v29, vcc
	v_cmp_o_f32_e32 vcc, v15, v15
	v_fma_f32 v15, v35, s95, -v14
	v_rndne_f32_e32 v16, v14
	v_fmac_f32_e32 v15, 0xb2a5705f, v35
	v_sub_f32_e32 v14, v14, v16
	v_add_f32_e32 v14, v14, v15
	v_exp_f32_e32 v14, v14
	v_cvt_i32_f32_e32 v15, v16
	v_lshrrev_b32_e32 v34, 16, v34
	v_cndmask_b32_e32 v34, v65, v34, vcc
	v_cmp_nlt_f32_e32 vcc, s96, v35
	v_ldexp_f32 v14, v14, v15
	v_mul_f32_e32 v15, 0xbfb8aa3b, v36
	v_fma_f32 v16, v36, s95, -v15
	v_rndne_f32_e32 v17, v15
	v_fmac_f32_e32 v16, 0xb2a5705f, v36
	v_sub_f32_e32 v15, v15, v17
	v_add_f32_e32 v15, v15, v16
	v_exp_f32_e32 v16, v15
	v_cvt_i32_f32_e32 v17, v17
	v_lshlrev_b32_e32 v38, 16, v10
	v_cndmask_b32_e32 v14, 0, v14, vcc
	v_cmp_ngt_f32_e32 vcc, s97, v35
	v_lshlrev_b32_e32 v37, 16, v11
	s_add_i32 s98, s98, 1
	v_cndmask_b32_e32 v15, v61, v14, vcc
	v_ldexp_f32 v14, v16, v17
	v_mul_f32_e32 v16, 0xbfb8aa3b, v38
	v_rndne_f32_e32 v17, v16
	v_sub_f32_e32 v39, v16, v17
	v_fma_f32 v16, v38, s95, -v16
	v_fmac_f32_e32 v16, 0xb2a5705f, v38
	v_add_f32_e32 v16, v39, v16
	v_exp_f32_e32 v16, v16
	v_cvt_i32_f32_e32 v39, v17
	v_cmp_nlt_f32_e32 vcc, s96, v36
	s_cmp_eq_u32 s98, s81
	s_nop 0
	v_cndmask_b32_e32 v14, 0, v14, vcc
	v_cmp_ngt_f32_e32 vcc, s97, v36
	; wave barrier
	s_nop 1
	v_cndmask_b32_e32 v17, v61, v14, vcc
	v_ldexp_f32 v14, v16, v39
	v_mul_f32_e32 v16, 0xbfb8aa3b, v37
	v_rndne_f32_e32 v39, v16
	v_sub_f32_e32 v40, v16, v39
	v_fma_f32 v16, v37, s95, -v16
	v_fmac_f32_e32 v16, 0xb2a5705f, v37
	v_add_f32_e32 v16, v40, v16
	v_exp_f32_e32 v16, v16
	v_cvt_i32_f32_e32 v39, v39
	v_cmp_nlt_f32_e32 vcc, s96, v38
	v_ldexp_f32 v16, v16, v39
	s_nop 0
	v_cndmask_b32_e32 v14, 0, v14, vcc
	v_cmp_ngt_f32_e32 vcc, s97, v38
	s_nop 1
	v_cndmask_b32_e32 v14, v61, v14, vcc
	v_pk_add_f32 v[14:15], v[14:15], 1.0 op_sel_hi:[1,0]
	v_cmp_nlt_f32_e32 vcc, s96, v37
	v_div_scale_f32 v39, s[2:3], v15, v15, v35
	v_rcp_f32_e32 v40, v39
	v_cndmask_b32_e32 v16, 0, v16, vcc
	v_cmp_ngt_f32_e32 vcc, s97, v37
	v_fma_f32 v41, -v39, v40, 1.0
	s_nop 0
	v_cndmask_b32_e32 v16, v61, v16, vcc
	v_fmac_f32_e32 v40, v41, v40
	v_div_scale_f32 v41, vcc, v35, v15, v35
	v_mul_f32_e32 v42, v41, v40
	v_fma_f32 v43, -v39, v42, v41
	v_fmac_f32_e32 v42, v43, v40
	v_fma_f32 v39, -v39, v42, v41
	v_div_scale_f32 v41, s[2:3], v14, v14, v38
	v_rcp_f32_e32 v43, v41
	v_div_fmas_f32 v39, v39, v40, v42
	v_div_fixup_f32 v15, v39, v15, v35
	v_pk_add_f32 v[16:17], v[16:17], 1.0 op_sel_hi:[1,0]
	v_fma_f32 v35, -v41, v43, 1.0
	v_fmac_f32_e32 v43, v35, v43
	v_div_scale_f32 v35, vcc, v38, v14, v38
	v_mul_f32_e32 v39, v35, v43
	v_fma_f32 v40, -v41, v39, v35
	v_fmac_f32_e32 v39, v40, v43
	v_div_scale_f32 v40, s[2:3], v17, v17, v36
	v_fma_f32 v35, -v41, v39, v35
	v_rcp_f32_e32 v41, v40
	v_div_fmas_f32 v35, v35, v43, v39
	v_div_fixup_f32 v14, v35, v14, v38
	v_pk_mul_f32 v[14:15], v[30:31], v[14:15]
	v_fma_f32 v35, -v40, v41, 1.0
	v_fmac_f32_e32 v41, v35, v41
	v_div_scale_f32 v35, vcc, v36, v17, v36
	v_mul_f32_e32 v38, v35, v41
	v_fma_f32 v39, -v40, v38, v35
	v_fmac_f32_e32 v38, v39, v41
	v_div_scale_f32 v39, s[2:3], v16, v16, v37
	v_fma_f32 v35, -v40, v38, v35
	v_rcp_f32_e32 v40, v39
	v_div_fmas_f32 v35, v35, v41, v38
	v_div_fixup_f32 v17, v35, v17, v36
	v_fma_f32 v35, -v39, v40, 1.0
	v_fmac_f32_e32 v40, v35, v40
	v_div_scale_f32 v35, vcc, v37, v16, v37
	v_mul_f32_e32 v36, v35, v40
	v_fma_f32 v38, -v39, v36, v35
	v_fmac_f32_e32 v36, v38, v40
	v_fma_f32 v35, -v39, v36, v35
	v_div_fmas_f32 v35, v35, v40, v36
	v_div_fixup_f32 v16, v35, v16, v37
	v_pk_mul_f32 v[16:17], v[32:33], v[16:17]
	v_bfe_u32 v32, v14, 16, 1
	v_bfe_u32 v30, v16, 16, 1
	;; [unrolled: 1-line block ×3, first 2 shown]
	v_add3_u32 v30, v16, v30, s93
	v_add3_u32 v31, v17, v31, s93
	v_lshrrev_b32_e32 v30, 16, v30
	v_cmp_o_f32_e32 vcc, v16, v16
	v_bfe_u32 v33, v15, 16, 1
	v_add3_u32 v32, v14, v32, s93
	v_lshrrev_b32_e32 v31, 16, v31
	v_cndmask_b32_e32 v30, v65, v30, vcc
	v_cmp_o_f32_e32 vcc, v17, v17
	v_add3_u32 v33, v15, v33, s93
	v_lshrrev_b32_e32 v32, 16, v32
	v_cndmask_b32_e32 v17, v65, v31, vcc
	v_cmp_o_f32_e32 vcc, v14, v14
	v_lshrrev_b32_e32 v33, 16, v33
	v_perm_b32 v17, v17, v30, s94
	v_cndmask_b32_e32 v14, v65, v32, vcc
	v_cmp_o_f32_e32 vcc, v15, v15
	s_nop 1
	v_cndmask_b32_e32 v15, v65, v33, vcc
	v_perm_b32 v16, v15, v14, s94
	v_perm_b32 v14, v34, v29, s94
	;; [unrolled: 1-line block ×3, first 2 shown]
	global_store_dwordx4 v[12:13], v[14:17], off
	s_cbranch_scc1 .LBB9_60
.LBB9_12:                               ; =>This Loop Header: Depth=1
                                        ;     Child Loop BB9_33 Depth 2
	s_waitcnt lgkmcnt(0)
	; wave barrier
	s_and_saveexec_b64 s[2:3], s[0:1]
	s_cbranch_execz .LBB9_14
; %bb.13:                               ;   in Loop: Header=BB9_12 Depth=1
	global_load_dwordx4 v[0:3], v20, s[50:51]
	global_load_dwordx4 v[4:7], v20, s[52:53]
	s_waitcnt vmcnt(1)
	v_lshrrev_b32_e32 v66, 16, v0
	v_lshrrev_b32_e32 v69, 16, v1
	;; [unrolled: 1-line block ×4, first 2 shown]
	s_waitcnt vmcnt(0)
	v_lshrrev_b32_e32 v67, 16, v4
	v_lshrrev_b32_e32 v68, 16, v5
	;; [unrolled: 1-line block ×4, first 2 shown]
.LBB9_14:                               ;   in Loop: Header=BB9_12 Depth=1
	s_or_b64 exec, exec, s[2:3]
	v_lshlrev_b32_e32 v12, 16, v4
	v_add_f32_e32 v74, s33, v12
	v_cmp_ge_f32_e32 vcc, s83, v74
	s_and_b64 s[2:3], s[60:61], vcc
	s_and_saveexec_b64 s[6:7], s[2:3]
	s_cbranch_execz .LBB9_16
; %bb.15:                               ;   in Loop: Header=BB9_12 Depth=1
	v_mul_f32_e32 v12, 0x3fb8aa3b, v74
	v_rndne_f32_e32 v13, v12
	v_sub_f32_e32 v14, v12, v13
	v_fma_f32 v12, v74, s84, -v12
	v_fmac_f32_e32 v12, 0x32a5705f, v74
	v_add_f32_e32 v12, v14, v12
	v_cvt_i32_f32_e32 v13, v13
	v_exp_f32_e32 v12, v12
	v_cmp_ngt_f32_e32 vcc, s85, v74
	v_ldexp_f32 v12, v12, v13
	s_nop 0
	v_cndmask_b32_e32 v12, 0, v12, vcc
	v_cmp_nlt_f32_e32 vcc, s86, v74
	s_nop 1
	v_cndmask_b32_e32 v38, v61, v12, vcc
	v_add_f32_e32 v14, 1.0, v38
	v_add_f32_e32 v12, -1.0, v14
	v_sub_f32_e32 v13, v12, v14
	v_add_f32_e32 v13, 1.0, v13
	v_sub_f32_e32 v12, v38, v12
	v_add_f32_e32 v15, v12, v13
	v_frexp_mant_f32_e32 v16, v14
	v_cvt_f64_f32_e32 v[12:13], v14
	v_frexp_exp_i32_f64_e32 v12, v[12:13]
	v_cmp_gt_f32_e32 vcc, s88, v16
	v_cmp_gt_f32_e64 s[2:3], s90, v38
	s_nop 0
	v_subbrev_co_u32_e32 v30, vcc, 0, v12, vcc
	v_sub_u32_e32 v12, 0, v30
	v_ldexp_f32 v13, v14, v12
	v_add_f32_e32 v14, -1.0, v13
	v_add_f32_e32 v16, 1.0, v13
	v_ldexp_f32 v12, v15, v12
	v_add_f32_e32 v15, 1.0, v14
	v_add_f32_e32 v17, -1.0, v16
	v_sub_f32_e32 v15, v13, v15
	v_sub_f32_e32 v13, v13, v17
	v_add_f32_e32 v15, v12, v15
	v_add_f32_e32 v12, v12, v13
	;; [unrolled: 1-line block ×3, first 2 shown]
	v_rcp_f32_e32 v32, v29
	v_sub_f32_e32 v13, v16, v29
	v_add_f32_e32 v31, v12, v13
	v_add_f32_e32 v13, v14, v15
	v_mul_f32_e32 v34, v13, v32
	v_sub_f32_e32 v12, v14, v13
	v_mul_f32_e32 v14, v29, v34
	v_fma_f32 v16, v34, v29, -v14
	v_fmac_f32_e32 v16, v34, v31
	v_add_f32_e32 v33, v15, v12
	v_add_f32_e32 v12, v14, v16
	v_sub_f32_e32 v15, v13, v12
	v_pk_add_f32 v[18:19], v[12:13], v[14:15] neg_lo:[0,1] neg_hi:[0,1]
	v_mov_b32_e32 v17, v12
	v_pk_add_f32 v[12:13], v[18:19], v[16:17] neg_lo:[0,1] neg_hi:[0,1]
	v_cmp_eq_f32_e32 vcc, s87, v38
	v_add_f32_e32 v13, v33, v13
	v_add_f32_e32 v12, v12, v13
	;; [unrolled: 1-line block ×3, first 2 shown]
	v_mul_f32_e32 v33, v32, v13
	v_mul_f32_e32 v14, v29, v33
	v_fma_f32 v16, v33, v29, -v14
	v_fmac_f32_e32 v16, v33, v31
	v_sub_f32_e32 v15, v15, v13
	v_add_f32_e32 v29, v12, v15
	v_add_f32_e32 v12, v14, v16
	v_sub_f32_e32 v15, v13, v12
	v_pk_add_f32 v[18:19], v[12:13], v[14:15] neg_lo:[0,1] neg_hi:[0,1]
	v_mov_b32_e32 v17, v12
	v_pk_add_f32 v[12:13], v[18:19], v[16:17] neg_lo:[0,1] neg_hi:[0,1]
	s_or_b64 vcc, s[2:3], vcc
	v_add_f32_e32 v13, v29, v13
	v_add_f32_e32 v12, v12, v13
	;; [unrolled: 1-line block ×4, first 2 shown]
	v_sub_f32_e32 v14, v13, v34
	v_mul_f32_e32 v12, v32, v12
	v_sub_f32_e32 v14, v33, v14
	v_add_f32_e32 v14, v14, v12
	v_add_f32_e32 v16, v13, v14
	v_mul_f32_e32 v17, v16, v16
	v_fmamk_f32 v12, v17, 0x3e9b6dac, v60
	v_fmaak_f32 v29, v17, v12, 0x3f2aaada
	v_cvt_f32_i32_e32 v12, v30
	v_sub_f32_e32 v13, v16, v13
	v_sub_f32_e32 v13, v14, v13
	v_ldexp_f32 v18, v13, 1
	v_mul_f32_e32 v13, v16, v17
	v_ldexp_f32 v15, v16, 1
	v_pk_mul_f32 v[16:17], v[12:13], v[28:29]
	s_nop 0
	v_fma_f32 v14, v12, s89, -v16
	v_fmac_f32_e32 v14, 0xb102e308, v12
	v_pk_add_f32 v[12:13], v[16:17], v[14:15]
	s_nop 0
	v_sub_f32_e32 v15, v13, v15
	v_sub_f32_e32 v15, v17, v15
	v_add_f32_e32 v19, v18, v15
	v_mov_b32_e32 v18, v16
	v_pk_add_f32 v[16:17], v[12:13], v[16:17] neg_lo:[0,1] neg_hi:[0,1]
	v_pk_add_f32 v[30:31], v[12:13], v[18:19]
	v_mov_b32_e32 v15, v12
	v_mov_b32_e32 v17, v31
	v_pk_add_f32 v[32:33], v[14:15], v[16:17] neg_lo:[0,1] neg_hi:[0,1]
	v_pk_add_f32 v[14:15], v[14:15], v[16:17]
	v_mov_b32_e32 v18, v19
	v_mov_b32_e32 v16, v15
	v_pk_add_f32 v[34:35], v[16:17], v[12:13] neg_lo:[0,1] neg_hi:[0,1]
	v_mov_b32_e32 v14, v31
	v_mov_b32_e32 v17, v34
	v_pk_add_f32 v[36:37], v[30:31], v[16:17] neg_lo:[0,1] neg_hi:[0,1]
	v_mov_b32_e32 v30, v13
	v_mov_b32_e32 v31, v34
	;; [unrolled: 1-line block ×3, first 2 shown]
	v_pk_add_f32 v[14:15], v[14:15], v[30:31] neg_lo:[0,1] neg_hi:[0,1]
	v_mov_b32_e32 v19, v12
	v_pk_add_f32 v[12:13], v[18:19], v[14:15] neg_lo:[0,1] neg_hi:[0,1]
	v_mov_b32_e32 v36, v32
	v_pk_add_f32 v[14:15], v[36:37], v[12:13]
	s_nop 0
	v_mov_b32_e32 v18, v15
	v_pk_add_f32 v[18:19], v[14:15], v[18:19]
	s_nop 0
	v_pk_add_f32 v[16:17], v[16:17], v[18:19]
	v_mov_b32_e32 v13, v18
	v_mov_b32_e32 v15, v16
	v_pk_add_f32 v[30:31], v[14:15], v[32:33] neg_lo:[0,1] neg_hi:[0,1]
	s_nop 0
	v_sub_f32_e32 v14, v14, v30
	v_pk_add_f32 v[12:13], v[12:13], v[30:31] neg_lo:[0,1] neg_hi:[0,1]
	v_sub_f32_e32 v14, v32, v14
	v_add_f32_e32 v12, v12, v14
	v_add_f32_e32 v12, v12, v13
	;; [unrolled: 1-line block ×3, first 2 shown]
	v_cndmask_b32_e32 v74, v12, v38, vcc
.LBB9_16:                               ;   in Loop: Header=BB9_12 Depth=1
	s_or_b64 exec, exec, s[6:7]
	v_lshlrev_b32_e32 v12, 16, v67
	v_add_f32_e32 v75, s33, v12
	v_cmp_ge_f32_e32 vcc, s83, v75
	s_and_b64 s[2:3], s[60:61], vcc
	s_and_saveexec_b64 s[6:7], s[2:3]
	s_cbranch_execz .LBB9_18
; %bb.17:                               ;   in Loop: Header=BB9_12 Depth=1
	v_mul_f32_e32 v12, 0x3fb8aa3b, v75
	v_rndne_f32_e32 v13, v12
	v_sub_f32_e32 v14, v12, v13
	v_fma_f32 v12, v75, s84, -v12
	v_fmac_f32_e32 v12, 0x32a5705f, v75
	v_add_f32_e32 v12, v14, v12
	v_cvt_i32_f32_e32 v13, v13
	v_exp_f32_e32 v12, v12
	v_cmp_ngt_f32_e32 vcc, s85, v75
	v_ldexp_f32 v12, v12, v13
	s_nop 0
	v_cndmask_b32_e32 v12, 0, v12, vcc
	v_cmp_nlt_f32_e32 vcc, s86, v75
	s_nop 1
	v_cndmask_b32_e32 v38, v61, v12, vcc
	v_add_f32_e32 v14, 1.0, v38
	v_add_f32_e32 v12, -1.0, v14
	v_sub_f32_e32 v13, v12, v14
	v_add_f32_e32 v13, 1.0, v13
	v_sub_f32_e32 v12, v38, v12
	v_add_f32_e32 v15, v12, v13
	v_frexp_mant_f32_e32 v16, v14
	v_cvt_f64_f32_e32 v[12:13], v14
	v_frexp_exp_i32_f64_e32 v12, v[12:13]
	v_cmp_gt_f32_e32 vcc, s88, v16
	v_cmp_gt_f32_e64 s[2:3], s90, v38
	s_nop 0
	v_subbrev_co_u32_e32 v30, vcc, 0, v12, vcc
	v_sub_u32_e32 v12, 0, v30
	v_ldexp_f32 v13, v14, v12
	v_add_f32_e32 v14, -1.0, v13
	v_add_f32_e32 v16, 1.0, v13
	v_ldexp_f32 v12, v15, v12
	v_add_f32_e32 v15, 1.0, v14
	v_add_f32_e32 v17, -1.0, v16
	v_sub_f32_e32 v15, v13, v15
	v_sub_f32_e32 v13, v13, v17
	v_add_f32_e32 v15, v12, v15
	v_add_f32_e32 v12, v12, v13
	;; [unrolled: 1-line block ×3, first 2 shown]
	v_rcp_f32_e32 v32, v29
	v_sub_f32_e32 v13, v16, v29
	v_add_f32_e32 v31, v12, v13
	v_add_f32_e32 v13, v14, v15
	v_mul_f32_e32 v34, v13, v32
	v_sub_f32_e32 v12, v14, v13
	v_mul_f32_e32 v14, v29, v34
	v_fma_f32 v16, v34, v29, -v14
	v_fmac_f32_e32 v16, v34, v31
	v_add_f32_e32 v33, v15, v12
	v_add_f32_e32 v12, v14, v16
	v_sub_f32_e32 v15, v13, v12
	v_pk_add_f32 v[18:19], v[12:13], v[14:15] neg_lo:[0,1] neg_hi:[0,1]
	v_mov_b32_e32 v17, v12
	v_pk_add_f32 v[12:13], v[18:19], v[16:17] neg_lo:[0,1] neg_hi:[0,1]
	v_cmp_eq_f32_e32 vcc, s87, v38
	v_add_f32_e32 v13, v33, v13
	v_add_f32_e32 v12, v12, v13
	;; [unrolled: 1-line block ×3, first 2 shown]
	v_mul_f32_e32 v33, v32, v13
	v_mul_f32_e32 v14, v29, v33
	v_fma_f32 v16, v33, v29, -v14
	v_fmac_f32_e32 v16, v33, v31
	v_sub_f32_e32 v15, v15, v13
	v_add_f32_e32 v29, v12, v15
	v_add_f32_e32 v12, v14, v16
	v_sub_f32_e32 v15, v13, v12
	v_pk_add_f32 v[18:19], v[12:13], v[14:15] neg_lo:[0,1] neg_hi:[0,1]
	v_mov_b32_e32 v17, v12
	v_pk_add_f32 v[12:13], v[18:19], v[16:17] neg_lo:[0,1] neg_hi:[0,1]
	s_or_b64 vcc, s[2:3], vcc
	v_add_f32_e32 v13, v29, v13
	v_add_f32_e32 v12, v12, v13
	;; [unrolled: 1-line block ×4, first 2 shown]
	v_sub_f32_e32 v14, v13, v34
	v_mul_f32_e32 v12, v32, v12
	v_sub_f32_e32 v14, v33, v14
	v_add_f32_e32 v14, v14, v12
	v_add_f32_e32 v16, v13, v14
	v_mul_f32_e32 v17, v16, v16
	v_fmamk_f32 v12, v17, 0x3e9b6dac, v60
	v_fmaak_f32 v29, v17, v12, 0x3f2aaada
	v_cvt_f32_i32_e32 v12, v30
	v_sub_f32_e32 v13, v16, v13
	v_sub_f32_e32 v13, v14, v13
	v_ldexp_f32 v18, v13, 1
	v_mul_f32_e32 v13, v16, v17
	v_ldexp_f32 v15, v16, 1
	v_pk_mul_f32 v[16:17], v[12:13], v[28:29]
	s_nop 0
	v_fma_f32 v14, v12, s89, -v16
	v_fmac_f32_e32 v14, 0xb102e308, v12
	v_pk_add_f32 v[12:13], v[16:17], v[14:15]
	s_nop 0
	v_sub_f32_e32 v15, v13, v15
	v_sub_f32_e32 v15, v17, v15
	v_add_f32_e32 v19, v18, v15
	v_mov_b32_e32 v18, v16
	v_pk_add_f32 v[16:17], v[12:13], v[16:17] neg_lo:[0,1] neg_hi:[0,1]
	v_pk_add_f32 v[30:31], v[12:13], v[18:19]
	v_mov_b32_e32 v15, v12
	v_mov_b32_e32 v17, v31
	v_pk_add_f32 v[32:33], v[14:15], v[16:17] neg_lo:[0,1] neg_hi:[0,1]
	v_pk_add_f32 v[14:15], v[14:15], v[16:17]
	v_mov_b32_e32 v18, v19
	v_mov_b32_e32 v16, v15
	v_pk_add_f32 v[34:35], v[16:17], v[12:13] neg_lo:[0,1] neg_hi:[0,1]
	v_mov_b32_e32 v14, v31
	v_mov_b32_e32 v17, v34
	v_pk_add_f32 v[36:37], v[30:31], v[16:17] neg_lo:[0,1] neg_hi:[0,1]
	v_mov_b32_e32 v30, v13
	v_mov_b32_e32 v31, v34
	v_mov_b32_e32 v33, v15
	v_pk_add_f32 v[14:15], v[14:15], v[30:31] neg_lo:[0,1] neg_hi:[0,1]
	v_mov_b32_e32 v19, v12
	v_pk_add_f32 v[12:13], v[18:19], v[14:15] neg_lo:[0,1] neg_hi:[0,1]
	v_mov_b32_e32 v36, v32
	v_pk_add_f32 v[14:15], v[36:37], v[12:13]
	s_nop 0
	v_mov_b32_e32 v18, v15
	v_pk_add_f32 v[18:19], v[14:15], v[18:19]
	s_nop 0
	v_pk_add_f32 v[16:17], v[16:17], v[18:19]
	v_mov_b32_e32 v13, v18
	v_mov_b32_e32 v15, v16
	v_pk_add_f32 v[30:31], v[14:15], v[32:33] neg_lo:[0,1] neg_hi:[0,1]
	s_nop 0
	v_sub_f32_e32 v14, v14, v30
	v_pk_add_f32 v[12:13], v[12:13], v[30:31] neg_lo:[0,1] neg_hi:[0,1]
	v_sub_f32_e32 v14, v32, v14
	v_add_f32_e32 v12, v12, v14
	v_add_f32_e32 v12, v12, v13
	v_add_f32_e32 v12, v16, v12
	v_cndmask_b32_e32 v75, v12, v38, vcc
.LBB9_18:                               ;   in Loop: Header=BB9_12 Depth=1
	s_or_b64 exec, exec, s[6:7]
	v_lshlrev_b32_e32 v12, 16, v5
	v_add_f32_e32 v76, s33, v12
	v_cmp_ge_f32_e32 vcc, s83, v76
	s_and_b64 s[2:3], s[60:61], vcc
	s_and_saveexec_b64 s[6:7], s[2:3]
	s_cbranch_execz .LBB9_20
; %bb.19:                               ;   in Loop: Header=BB9_12 Depth=1
	v_mul_f32_e32 v12, 0x3fb8aa3b, v76
	v_rndne_f32_e32 v13, v12
	v_sub_f32_e32 v14, v12, v13
	v_fma_f32 v12, v76, s84, -v12
	v_fmac_f32_e32 v12, 0x32a5705f, v76
	v_add_f32_e32 v12, v14, v12
	v_cvt_i32_f32_e32 v13, v13
	v_exp_f32_e32 v12, v12
	v_cmp_ngt_f32_e32 vcc, s85, v76
	v_ldexp_f32 v12, v12, v13
	s_nop 0
	v_cndmask_b32_e32 v12, 0, v12, vcc
	v_cmp_nlt_f32_e32 vcc, s86, v76
	s_nop 1
	v_cndmask_b32_e32 v38, v61, v12, vcc
	v_add_f32_e32 v14, 1.0, v38
	v_add_f32_e32 v12, -1.0, v14
	v_sub_f32_e32 v13, v12, v14
	v_add_f32_e32 v13, 1.0, v13
	v_sub_f32_e32 v12, v38, v12
	v_add_f32_e32 v15, v12, v13
	v_frexp_mant_f32_e32 v16, v14
	v_cvt_f64_f32_e32 v[12:13], v14
	v_frexp_exp_i32_f64_e32 v12, v[12:13]
	v_cmp_gt_f32_e32 vcc, s88, v16
	v_cmp_gt_f32_e64 s[2:3], s90, v38
	s_nop 0
	v_subbrev_co_u32_e32 v30, vcc, 0, v12, vcc
	v_sub_u32_e32 v12, 0, v30
	v_ldexp_f32 v13, v14, v12
	v_add_f32_e32 v14, -1.0, v13
	v_add_f32_e32 v16, 1.0, v13
	v_ldexp_f32 v12, v15, v12
	v_add_f32_e32 v15, 1.0, v14
	v_add_f32_e32 v17, -1.0, v16
	v_sub_f32_e32 v15, v13, v15
	v_sub_f32_e32 v13, v13, v17
	v_add_f32_e32 v15, v12, v15
	v_add_f32_e32 v12, v12, v13
	;; [unrolled: 1-line block ×3, first 2 shown]
	v_rcp_f32_e32 v32, v29
	v_sub_f32_e32 v13, v16, v29
	v_add_f32_e32 v31, v12, v13
	v_add_f32_e32 v13, v14, v15
	v_mul_f32_e32 v34, v13, v32
	v_sub_f32_e32 v12, v14, v13
	v_mul_f32_e32 v14, v29, v34
	v_fma_f32 v16, v34, v29, -v14
	v_fmac_f32_e32 v16, v34, v31
	v_add_f32_e32 v33, v15, v12
	v_add_f32_e32 v12, v14, v16
	v_sub_f32_e32 v15, v13, v12
	v_pk_add_f32 v[18:19], v[12:13], v[14:15] neg_lo:[0,1] neg_hi:[0,1]
	v_mov_b32_e32 v17, v12
	v_pk_add_f32 v[12:13], v[18:19], v[16:17] neg_lo:[0,1] neg_hi:[0,1]
	v_cmp_eq_f32_e32 vcc, s87, v38
	v_add_f32_e32 v13, v33, v13
	v_add_f32_e32 v12, v12, v13
	;; [unrolled: 1-line block ×3, first 2 shown]
	v_mul_f32_e32 v33, v32, v13
	v_mul_f32_e32 v14, v29, v33
	v_fma_f32 v16, v33, v29, -v14
	v_fmac_f32_e32 v16, v33, v31
	v_sub_f32_e32 v15, v15, v13
	v_add_f32_e32 v29, v12, v15
	v_add_f32_e32 v12, v14, v16
	v_sub_f32_e32 v15, v13, v12
	v_pk_add_f32 v[18:19], v[12:13], v[14:15] neg_lo:[0,1] neg_hi:[0,1]
	v_mov_b32_e32 v17, v12
	v_pk_add_f32 v[12:13], v[18:19], v[16:17] neg_lo:[0,1] neg_hi:[0,1]
	s_or_b64 vcc, s[2:3], vcc
	v_add_f32_e32 v13, v29, v13
	v_add_f32_e32 v12, v12, v13
	;; [unrolled: 1-line block ×4, first 2 shown]
	v_sub_f32_e32 v14, v13, v34
	v_mul_f32_e32 v12, v32, v12
	v_sub_f32_e32 v14, v33, v14
	v_add_f32_e32 v14, v14, v12
	v_add_f32_e32 v16, v13, v14
	v_mul_f32_e32 v17, v16, v16
	v_fmamk_f32 v12, v17, 0x3e9b6dac, v60
	v_fmaak_f32 v29, v17, v12, 0x3f2aaada
	v_cvt_f32_i32_e32 v12, v30
	v_sub_f32_e32 v13, v16, v13
	v_sub_f32_e32 v13, v14, v13
	v_ldexp_f32 v18, v13, 1
	v_mul_f32_e32 v13, v16, v17
	v_ldexp_f32 v15, v16, 1
	v_pk_mul_f32 v[16:17], v[12:13], v[28:29]
	s_nop 0
	v_fma_f32 v14, v12, s89, -v16
	v_fmac_f32_e32 v14, 0xb102e308, v12
	v_pk_add_f32 v[12:13], v[16:17], v[14:15]
	s_nop 0
	v_sub_f32_e32 v15, v13, v15
	v_sub_f32_e32 v15, v17, v15
	v_add_f32_e32 v19, v18, v15
	v_mov_b32_e32 v18, v16
	v_pk_add_f32 v[16:17], v[12:13], v[16:17] neg_lo:[0,1] neg_hi:[0,1]
	v_pk_add_f32 v[30:31], v[12:13], v[18:19]
	v_mov_b32_e32 v15, v12
	v_mov_b32_e32 v17, v31
	v_pk_add_f32 v[32:33], v[14:15], v[16:17] neg_lo:[0,1] neg_hi:[0,1]
	v_pk_add_f32 v[14:15], v[14:15], v[16:17]
	v_mov_b32_e32 v18, v19
	v_mov_b32_e32 v16, v15
	v_pk_add_f32 v[34:35], v[16:17], v[12:13] neg_lo:[0,1] neg_hi:[0,1]
	v_mov_b32_e32 v14, v31
	v_mov_b32_e32 v17, v34
	v_pk_add_f32 v[36:37], v[30:31], v[16:17] neg_lo:[0,1] neg_hi:[0,1]
	v_mov_b32_e32 v30, v13
	v_mov_b32_e32 v31, v34
	;; [unrolled: 1-line block ×3, first 2 shown]
	v_pk_add_f32 v[14:15], v[14:15], v[30:31] neg_lo:[0,1] neg_hi:[0,1]
	v_mov_b32_e32 v19, v12
	v_pk_add_f32 v[12:13], v[18:19], v[14:15] neg_lo:[0,1] neg_hi:[0,1]
	v_mov_b32_e32 v36, v32
	v_pk_add_f32 v[14:15], v[36:37], v[12:13]
	s_nop 0
	v_mov_b32_e32 v18, v15
	v_pk_add_f32 v[18:19], v[14:15], v[18:19]
	s_nop 0
	v_pk_add_f32 v[16:17], v[16:17], v[18:19]
	v_mov_b32_e32 v13, v18
	v_mov_b32_e32 v15, v16
	v_pk_add_f32 v[30:31], v[14:15], v[32:33] neg_lo:[0,1] neg_hi:[0,1]
	s_nop 0
	v_sub_f32_e32 v14, v14, v30
	v_pk_add_f32 v[12:13], v[12:13], v[30:31] neg_lo:[0,1] neg_hi:[0,1]
	v_sub_f32_e32 v14, v32, v14
	v_add_f32_e32 v12, v12, v14
	v_add_f32_e32 v12, v12, v13
	;; [unrolled: 1-line block ×3, first 2 shown]
	v_cndmask_b32_e32 v76, v12, v38, vcc
.LBB9_20:                               ;   in Loop: Header=BB9_12 Depth=1
	s_or_b64 exec, exec, s[6:7]
	v_lshlrev_b32_e32 v12, 16, v68
	v_add_f32_e32 v77, s33, v12
	v_cmp_ge_f32_e32 vcc, s83, v77
	s_and_b64 s[2:3], s[60:61], vcc
	s_and_saveexec_b64 s[6:7], s[2:3]
	s_cbranch_execz .LBB9_22
; %bb.21:                               ;   in Loop: Header=BB9_12 Depth=1
	v_mul_f32_e32 v12, 0x3fb8aa3b, v77
	v_rndne_f32_e32 v13, v12
	v_sub_f32_e32 v14, v12, v13
	v_fma_f32 v12, v77, s84, -v12
	v_fmac_f32_e32 v12, 0x32a5705f, v77
	v_add_f32_e32 v12, v14, v12
	v_cvt_i32_f32_e32 v13, v13
	v_exp_f32_e32 v12, v12
	v_cmp_ngt_f32_e32 vcc, s85, v77
	v_ldexp_f32 v12, v12, v13
	s_nop 0
	v_cndmask_b32_e32 v12, 0, v12, vcc
	v_cmp_nlt_f32_e32 vcc, s86, v77
	s_nop 1
	v_cndmask_b32_e32 v38, v61, v12, vcc
	v_add_f32_e32 v14, 1.0, v38
	v_add_f32_e32 v12, -1.0, v14
	v_sub_f32_e32 v13, v12, v14
	v_add_f32_e32 v13, 1.0, v13
	v_sub_f32_e32 v12, v38, v12
	v_add_f32_e32 v15, v12, v13
	v_frexp_mant_f32_e32 v16, v14
	v_cvt_f64_f32_e32 v[12:13], v14
	v_frexp_exp_i32_f64_e32 v12, v[12:13]
	v_cmp_gt_f32_e32 vcc, s88, v16
	v_cmp_gt_f32_e64 s[2:3], s90, v38
	s_nop 0
	v_subbrev_co_u32_e32 v30, vcc, 0, v12, vcc
	v_sub_u32_e32 v12, 0, v30
	v_ldexp_f32 v13, v14, v12
	v_add_f32_e32 v14, -1.0, v13
	v_add_f32_e32 v16, 1.0, v13
	v_ldexp_f32 v12, v15, v12
	v_add_f32_e32 v15, 1.0, v14
	v_add_f32_e32 v17, -1.0, v16
	v_sub_f32_e32 v15, v13, v15
	v_sub_f32_e32 v13, v13, v17
	v_add_f32_e32 v15, v12, v15
	v_add_f32_e32 v12, v12, v13
	;; [unrolled: 1-line block ×3, first 2 shown]
	v_rcp_f32_e32 v32, v29
	v_sub_f32_e32 v13, v16, v29
	v_add_f32_e32 v31, v12, v13
	v_add_f32_e32 v13, v14, v15
	v_mul_f32_e32 v34, v13, v32
	v_sub_f32_e32 v12, v14, v13
	v_mul_f32_e32 v14, v29, v34
	v_fma_f32 v16, v34, v29, -v14
	v_fmac_f32_e32 v16, v34, v31
	v_add_f32_e32 v33, v15, v12
	v_add_f32_e32 v12, v14, v16
	v_sub_f32_e32 v15, v13, v12
	v_pk_add_f32 v[18:19], v[12:13], v[14:15] neg_lo:[0,1] neg_hi:[0,1]
	v_mov_b32_e32 v17, v12
	v_pk_add_f32 v[12:13], v[18:19], v[16:17] neg_lo:[0,1] neg_hi:[0,1]
	v_cmp_eq_f32_e32 vcc, s87, v38
	v_add_f32_e32 v13, v33, v13
	v_add_f32_e32 v12, v12, v13
	;; [unrolled: 1-line block ×3, first 2 shown]
	v_mul_f32_e32 v33, v32, v13
	v_mul_f32_e32 v14, v29, v33
	v_fma_f32 v16, v33, v29, -v14
	v_fmac_f32_e32 v16, v33, v31
	v_sub_f32_e32 v15, v15, v13
	v_add_f32_e32 v29, v12, v15
	v_add_f32_e32 v12, v14, v16
	v_sub_f32_e32 v15, v13, v12
	v_pk_add_f32 v[18:19], v[12:13], v[14:15] neg_lo:[0,1] neg_hi:[0,1]
	v_mov_b32_e32 v17, v12
	v_pk_add_f32 v[12:13], v[18:19], v[16:17] neg_lo:[0,1] neg_hi:[0,1]
	s_or_b64 vcc, s[2:3], vcc
	v_add_f32_e32 v13, v29, v13
	v_add_f32_e32 v12, v12, v13
	;; [unrolled: 1-line block ×4, first 2 shown]
	v_sub_f32_e32 v14, v13, v34
	v_mul_f32_e32 v12, v32, v12
	v_sub_f32_e32 v14, v33, v14
	v_add_f32_e32 v14, v14, v12
	v_add_f32_e32 v16, v13, v14
	v_mul_f32_e32 v17, v16, v16
	v_fmamk_f32 v12, v17, 0x3e9b6dac, v60
	v_fmaak_f32 v29, v17, v12, 0x3f2aaada
	v_cvt_f32_i32_e32 v12, v30
	v_sub_f32_e32 v13, v16, v13
	v_sub_f32_e32 v13, v14, v13
	v_ldexp_f32 v18, v13, 1
	v_mul_f32_e32 v13, v16, v17
	v_ldexp_f32 v15, v16, 1
	v_pk_mul_f32 v[16:17], v[12:13], v[28:29]
	s_nop 0
	v_fma_f32 v14, v12, s89, -v16
	v_fmac_f32_e32 v14, 0xb102e308, v12
	v_pk_add_f32 v[12:13], v[16:17], v[14:15]
	s_nop 0
	v_sub_f32_e32 v15, v13, v15
	v_sub_f32_e32 v15, v17, v15
	v_add_f32_e32 v19, v18, v15
	v_mov_b32_e32 v18, v16
	v_pk_add_f32 v[16:17], v[12:13], v[16:17] neg_lo:[0,1] neg_hi:[0,1]
	v_pk_add_f32 v[30:31], v[12:13], v[18:19]
	v_mov_b32_e32 v15, v12
	v_mov_b32_e32 v17, v31
	v_pk_add_f32 v[32:33], v[14:15], v[16:17] neg_lo:[0,1] neg_hi:[0,1]
	v_pk_add_f32 v[14:15], v[14:15], v[16:17]
	v_mov_b32_e32 v18, v19
	v_mov_b32_e32 v16, v15
	v_pk_add_f32 v[34:35], v[16:17], v[12:13] neg_lo:[0,1] neg_hi:[0,1]
	v_mov_b32_e32 v14, v31
	v_mov_b32_e32 v17, v34
	v_pk_add_f32 v[36:37], v[30:31], v[16:17] neg_lo:[0,1] neg_hi:[0,1]
	v_mov_b32_e32 v30, v13
	v_mov_b32_e32 v31, v34
	;; [unrolled: 1-line block ×3, first 2 shown]
	v_pk_add_f32 v[14:15], v[14:15], v[30:31] neg_lo:[0,1] neg_hi:[0,1]
	v_mov_b32_e32 v19, v12
	v_pk_add_f32 v[12:13], v[18:19], v[14:15] neg_lo:[0,1] neg_hi:[0,1]
	v_mov_b32_e32 v36, v32
	v_pk_add_f32 v[14:15], v[36:37], v[12:13]
	s_nop 0
	v_mov_b32_e32 v18, v15
	v_pk_add_f32 v[18:19], v[14:15], v[18:19]
	s_nop 0
	v_pk_add_f32 v[16:17], v[16:17], v[18:19]
	v_mov_b32_e32 v13, v18
	v_mov_b32_e32 v15, v16
	v_pk_add_f32 v[30:31], v[14:15], v[32:33] neg_lo:[0,1] neg_hi:[0,1]
	s_nop 0
	v_sub_f32_e32 v14, v14, v30
	v_pk_add_f32 v[12:13], v[12:13], v[30:31] neg_lo:[0,1] neg_hi:[0,1]
	v_sub_f32_e32 v14, v32, v14
	v_add_f32_e32 v12, v12, v14
	v_add_f32_e32 v12, v12, v13
	;; [unrolled: 1-line block ×3, first 2 shown]
	v_cndmask_b32_e32 v77, v12, v38, vcc
.LBB9_22:                               ;   in Loop: Header=BB9_12 Depth=1
	s_or_b64 exec, exec, s[6:7]
	v_lshlrev_b32_e32 v12, 16, v6
	v_add_f32_e32 v78, s33, v12
	v_cmp_ge_f32_e32 vcc, s83, v78
	s_and_b64 s[2:3], s[60:61], vcc
	s_and_saveexec_b64 s[6:7], s[2:3]
	s_cbranch_execz .LBB9_24
; %bb.23:                               ;   in Loop: Header=BB9_12 Depth=1
	v_mul_f32_e32 v12, 0x3fb8aa3b, v78
	v_rndne_f32_e32 v13, v12
	v_sub_f32_e32 v14, v12, v13
	v_fma_f32 v12, v78, s84, -v12
	v_fmac_f32_e32 v12, 0x32a5705f, v78
	v_add_f32_e32 v12, v14, v12
	v_cvt_i32_f32_e32 v13, v13
	v_exp_f32_e32 v12, v12
	v_cmp_ngt_f32_e32 vcc, s85, v78
	v_ldexp_f32 v12, v12, v13
	s_nop 0
	v_cndmask_b32_e32 v12, 0, v12, vcc
	v_cmp_nlt_f32_e32 vcc, s86, v78
	s_nop 1
	v_cndmask_b32_e32 v38, v61, v12, vcc
	v_add_f32_e32 v14, 1.0, v38
	v_add_f32_e32 v12, -1.0, v14
	v_sub_f32_e32 v13, v12, v14
	v_add_f32_e32 v13, 1.0, v13
	v_sub_f32_e32 v12, v38, v12
	v_add_f32_e32 v15, v12, v13
	v_frexp_mant_f32_e32 v16, v14
	v_cvt_f64_f32_e32 v[12:13], v14
	v_frexp_exp_i32_f64_e32 v12, v[12:13]
	v_cmp_gt_f32_e32 vcc, s88, v16
	v_cmp_gt_f32_e64 s[2:3], s90, v38
	s_nop 0
	v_subbrev_co_u32_e32 v30, vcc, 0, v12, vcc
	v_sub_u32_e32 v12, 0, v30
	v_ldexp_f32 v13, v14, v12
	v_add_f32_e32 v14, -1.0, v13
	v_add_f32_e32 v16, 1.0, v13
	v_ldexp_f32 v12, v15, v12
	v_add_f32_e32 v15, 1.0, v14
	v_add_f32_e32 v17, -1.0, v16
	v_sub_f32_e32 v15, v13, v15
	v_sub_f32_e32 v13, v13, v17
	v_add_f32_e32 v15, v12, v15
	v_add_f32_e32 v12, v12, v13
	;; [unrolled: 1-line block ×3, first 2 shown]
	v_rcp_f32_e32 v32, v29
	v_sub_f32_e32 v13, v16, v29
	v_add_f32_e32 v31, v12, v13
	v_add_f32_e32 v13, v14, v15
	v_mul_f32_e32 v34, v13, v32
	v_sub_f32_e32 v12, v14, v13
	v_mul_f32_e32 v14, v29, v34
	v_fma_f32 v16, v34, v29, -v14
	v_fmac_f32_e32 v16, v34, v31
	v_add_f32_e32 v33, v15, v12
	v_add_f32_e32 v12, v14, v16
	v_sub_f32_e32 v15, v13, v12
	v_pk_add_f32 v[18:19], v[12:13], v[14:15] neg_lo:[0,1] neg_hi:[0,1]
	v_mov_b32_e32 v17, v12
	v_pk_add_f32 v[12:13], v[18:19], v[16:17] neg_lo:[0,1] neg_hi:[0,1]
	v_cmp_eq_f32_e32 vcc, s87, v38
	v_add_f32_e32 v13, v33, v13
	v_add_f32_e32 v12, v12, v13
	;; [unrolled: 1-line block ×3, first 2 shown]
	v_mul_f32_e32 v33, v32, v13
	v_mul_f32_e32 v14, v29, v33
	v_fma_f32 v16, v33, v29, -v14
	v_fmac_f32_e32 v16, v33, v31
	v_sub_f32_e32 v15, v15, v13
	v_add_f32_e32 v29, v12, v15
	v_add_f32_e32 v12, v14, v16
	v_sub_f32_e32 v15, v13, v12
	v_pk_add_f32 v[18:19], v[12:13], v[14:15] neg_lo:[0,1] neg_hi:[0,1]
	v_mov_b32_e32 v17, v12
	v_pk_add_f32 v[12:13], v[18:19], v[16:17] neg_lo:[0,1] neg_hi:[0,1]
	s_or_b64 vcc, s[2:3], vcc
	v_add_f32_e32 v13, v29, v13
	v_add_f32_e32 v12, v12, v13
	;; [unrolled: 1-line block ×4, first 2 shown]
	v_sub_f32_e32 v14, v13, v34
	v_mul_f32_e32 v12, v32, v12
	v_sub_f32_e32 v14, v33, v14
	v_add_f32_e32 v14, v14, v12
	v_add_f32_e32 v16, v13, v14
	v_mul_f32_e32 v17, v16, v16
	v_fmamk_f32 v12, v17, 0x3e9b6dac, v60
	v_fmaak_f32 v29, v17, v12, 0x3f2aaada
	v_cvt_f32_i32_e32 v12, v30
	v_sub_f32_e32 v13, v16, v13
	v_sub_f32_e32 v13, v14, v13
	v_ldexp_f32 v18, v13, 1
	v_mul_f32_e32 v13, v16, v17
	v_ldexp_f32 v15, v16, 1
	v_pk_mul_f32 v[16:17], v[12:13], v[28:29]
	s_nop 0
	v_fma_f32 v14, v12, s89, -v16
	v_fmac_f32_e32 v14, 0xb102e308, v12
	v_pk_add_f32 v[12:13], v[16:17], v[14:15]
	s_nop 0
	v_sub_f32_e32 v15, v13, v15
	v_sub_f32_e32 v15, v17, v15
	v_add_f32_e32 v19, v18, v15
	v_mov_b32_e32 v18, v16
	v_pk_add_f32 v[16:17], v[12:13], v[16:17] neg_lo:[0,1] neg_hi:[0,1]
	v_pk_add_f32 v[30:31], v[12:13], v[18:19]
	v_mov_b32_e32 v15, v12
	v_mov_b32_e32 v17, v31
	v_pk_add_f32 v[32:33], v[14:15], v[16:17] neg_lo:[0,1] neg_hi:[0,1]
	v_pk_add_f32 v[14:15], v[14:15], v[16:17]
	v_mov_b32_e32 v18, v19
	v_mov_b32_e32 v16, v15
	v_pk_add_f32 v[34:35], v[16:17], v[12:13] neg_lo:[0,1] neg_hi:[0,1]
	v_mov_b32_e32 v14, v31
	v_mov_b32_e32 v17, v34
	v_pk_add_f32 v[36:37], v[30:31], v[16:17] neg_lo:[0,1] neg_hi:[0,1]
	v_mov_b32_e32 v30, v13
	v_mov_b32_e32 v31, v34
	;; [unrolled: 1-line block ×3, first 2 shown]
	v_pk_add_f32 v[14:15], v[14:15], v[30:31] neg_lo:[0,1] neg_hi:[0,1]
	v_mov_b32_e32 v19, v12
	v_pk_add_f32 v[12:13], v[18:19], v[14:15] neg_lo:[0,1] neg_hi:[0,1]
	v_mov_b32_e32 v36, v32
	v_pk_add_f32 v[14:15], v[36:37], v[12:13]
	s_nop 0
	v_mov_b32_e32 v18, v15
	v_pk_add_f32 v[18:19], v[14:15], v[18:19]
	s_nop 0
	v_pk_add_f32 v[16:17], v[16:17], v[18:19]
	v_mov_b32_e32 v13, v18
	v_mov_b32_e32 v15, v16
	v_pk_add_f32 v[30:31], v[14:15], v[32:33] neg_lo:[0,1] neg_hi:[0,1]
	s_nop 0
	v_sub_f32_e32 v14, v14, v30
	v_pk_add_f32 v[12:13], v[12:13], v[30:31] neg_lo:[0,1] neg_hi:[0,1]
	v_sub_f32_e32 v14, v32, v14
	v_add_f32_e32 v12, v12, v14
	v_add_f32_e32 v12, v12, v13
	;; [unrolled: 1-line block ×3, first 2 shown]
	v_cndmask_b32_e32 v78, v12, v38, vcc
.LBB9_24:                               ;   in Loop: Header=BB9_12 Depth=1
	s_or_b64 exec, exec, s[6:7]
	v_lshlrev_b32_e32 v12, 16, v70
	v_add_f32_e32 v79, s33, v12
	v_cmp_ge_f32_e32 vcc, s83, v79
	s_and_b64 s[2:3], s[60:61], vcc
	s_and_saveexec_b64 s[6:7], s[2:3]
	s_cbranch_execz .LBB9_26
; %bb.25:                               ;   in Loop: Header=BB9_12 Depth=1
	v_mul_f32_e32 v12, 0x3fb8aa3b, v79
	v_rndne_f32_e32 v13, v12
	v_sub_f32_e32 v14, v12, v13
	v_fma_f32 v12, v79, s84, -v12
	v_fmac_f32_e32 v12, 0x32a5705f, v79
	v_add_f32_e32 v12, v14, v12
	v_cvt_i32_f32_e32 v13, v13
	v_exp_f32_e32 v12, v12
	v_cmp_ngt_f32_e32 vcc, s85, v79
	v_ldexp_f32 v12, v12, v13
	s_nop 0
	v_cndmask_b32_e32 v12, 0, v12, vcc
	v_cmp_nlt_f32_e32 vcc, s86, v79
	s_nop 1
	v_cndmask_b32_e32 v38, v61, v12, vcc
	v_add_f32_e32 v14, 1.0, v38
	v_add_f32_e32 v12, -1.0, v14
	v_sub_f32_e32 v13, v12, v14
	v_add_f32_e32 v13, 1.0, v13
	v_sub_f32_e32 v12, v38, v12
	v_add_f32_e32 v15, v12, v13
	v_frexp_mant_f32_e32 v16, v14
	v_cvt_f64_f32_e32 v[12:13], v14
	v_frexp_exp_i32_f64_e32 v12, v[12:13]
	v_cmp_gt_f32_e32 vcc, s88, v16
	v_cmp_gt_f32_e64 s[2:3], s90, v38
	s_nop 0
	v_subbrev_co_u32_e32 v30, vcc, 0, v12, vcc
	v_sub_u32_e32 v12, 0, v30
	v_ldexp_f32 v13, v14, v12
	v_add_f32_e32 v14, -1.0, v13
	v_add_f32_e32 v16, 1.0, v13
	v_ldexp_f32 v12, v15, v12
	v_add_f32_e32 v15, 1.0, v14
	v_add_f32_e32 v17, -1.0, v16
	v_sub_f32_e32 v15, v13, v15
	v_sub_f32_e32 v13, v13, v17
	v_add_f32_e32 v15, v12, v15
	v_add_f32_e32 v12, v12, v13
	;; [unrolled: 1-line block ×3, first 2 shown]
	v_rcp_f32_e32 v32, v29
	v_sub_f32_e32 v13, v16, v29
	v_add_f32_e32 v31, v12, v13
	v_add_f32_e32 v13, v14, v15
	v_mul_f32_e32 v34, v13, v32
	v_sub_f32_e32 v12, v14, v13
	v_mul_f32_e32 v14, v29, v34
	v_fma_f32 v16, v34, v29, -v14
	v_fmac_f32_e32 v16, v34, v31
	v_add_f32_e32 v33, v15, v12
	v_add_f32_e32 v12, v14, v16
	v_sub_f32_e32 v15, v13, v12
	v_pk_add_f32 v[18:19], v[12:13], v[14:15] neg_lo:[0,1] neg_hi:[0,1]
	v_mov_b32_e32 v17, v12
	v_pk_add_f32 v[12:13], v[18:19], v[16:17] neg_lo:[0,1] neg_hi:[0,1]
	v_cmp_eq_f32_e32 vcc, s87, v38
	v_add_f32_e32 v13, v33, v13
	v_add_f32_e32 v12, v12, v13
	;; [unrolled: 1-line block ×3, first 2 shown]
	v_mul_f32_e32 v33, v32, v13
	v_mul_f32_e32 v14, v29, v33
	v_fma_f32 v16, v33, v29, -v14
	v_fmac_f32_e32 v16, v33, v31
	v_sub_f32_e32 v15, v15, v13
	v_add_f32_e32 v29, v12, v15
	v_add_f32_e32 v12, v14, v16
	v_sub_f32_e32 v15, v13, v12
	v_pk_add_f32 v[18:19], v[12:13], v[14:15] neg_lo:[0,1] neg_hi:[0,1]
	v_mov_b32_e32 v17, v12
	v_pk_add_f32 v[12:13], v[18:19], v[16:17] neg_lo:[0,1] neg_hi:[0,1]
	s_or_b64 vcc, s[2:3], vcc
	v_add_f32_e32 v13, v29, v13
	v_add_f32_e32 v12, v12, v13
	;; [unrolled: 1-line block ×4, first 2 shown]
	v_sub_f32_e32 v14, v13, v34
	v_mul_f32_e32 v12, v32, v12
	v_sub_f32_e32 v14, v33, v14
	v_add_f32_e32 v14, v14, v12
	v_add_f32_e32 v16, v13, v14
	v_mul_f32_e32 v17, v16, v16
	v_fmamk_f32 v12, v17, 0x3e9b6dac, v60
	v_fmaak_f32 v29, v17, v12, 0x3f2aaada
	v_cvt_f32_i32_e32 v12, v30
	v_sub_f32_e32 v13, v16, v13
	v_sub_f32_e32 v13, v14, v13
	v_ldexp_f32 v18, v13, 1
	v_mul_f32_e32 v13, v16, v17
	v_ldexp_f32 v15, v16, 1
	v_pk_mul_f32 v[16:17], v[12:13], v[28:29]
	s_nop 0
	v_fma_f32 v14, v12, s89, -v16
	v_fmac_f32_e32 v14, 0xb102e308, v12
	v_pk_add_f32 v[12:13], v[16:17], v[14:15]
	s_nop 0
	v_sub_f32_e32 v15, v13, v15
	v_sub_f32_e32 v15, v17, v15
	v_add_f32_e32 v19, v18, v15
	v_mov_b32_e32 v18, v16
	v_pk_add_f32 v[16:17], v[12:13], v[16:17] neg_lo:[0,1] neg_hi:[0,1]
	v_pk_add_f32 v[30:31], v[12:13], v[18:19]
	v_mov_b32_e32 v15, v12
	v_mov_b32_e32 v17, v31
	v_pk_add_f32 v[32:33], v[14:15], v[16:17] neg_lo:[0,1] neg_hi:[0,1]
	v_pk_add_f32 v[14:15], v[14:15], v[16:17]
	v_mov_b32_e32 v18, v19
	v_mov_b32_e32 v16, v15
	v_pk_add_f32 v[34:35], v[16:17], v[12:13] neg_lo:[0,1] neg_hi:[0,1]
	v_mov_b32_e32 v14, v31
	v_mov_b32_e32 v17, v34
	v_pk_add_f32 v[36:37], v[30:31], v[16:17] neg_lo:[0,1] neg_hi:[0,1]
	v_mov_b32_e32 v30, v13
	v_mov_b32_e32 v31, v34
	;; [unrolled: 1-line block ×3, first 2 shown]
	v_pk_add_f32 v[14:15], v[14:15], v[30:31] neg_lo:[0,1] neg_hi:[0,1]
	v_mov_b32_e32 v19, v12
	v_pk_add_f32 v[12:13], v[18:19], v[14:15] neg_lo:[0,1] neg_hi:[0,1]
	v_mov_b32_e32 v36, v32
	v_pk_add_f32 v[14:15], v[36:37], v[12:13]
	s_nop 0
	v_mov_b32_e32 v18, v15
	v_pk_add_f32 v[18:19], v[14:15], v[18:19]
	s_nop 0
	v_pk_add_f32 v[16:17], v[16:17], v[18:19]
	v_mov_b32_e32 v13, v18
	v_mov_b32_e32 v15, v16
	v_pk_add_f32 v[30:31], v[14:15], v[32:33] neg_lo:[0,1] neg_hi:[0,1]
	s_nop 0
	v_sub_f32_e32 v14, v14, v30
	v_pk_add_f32 v[12:13], v[12:13], v[30:31] neg_lo:[0,1] neg_hi:[0,1]
	v_sub_f32_e32 v14, v32, v14
	v_add_f32_e32 v12, v12, v14
	v_add_f32_e32 v12, v12, v13
	;; [unrolled: 1-line block ×3, first 2 shown]
	v_cndmask_b32_e32 v79, v12, v38, vcc
.LBB9_26:                               ;   in Loop: Header=BB9_12 Depth=1
	s_or_b64 exec, exec, s[6:7]
	v_lshlrev_b32_e32 v12, 16, v7
	v_add_f32_e32 v80, s33, v12
	v_cmp_ge_f32_e32 vcc, s83, v80
	s_and_b64 s[2:3], s[60:61], vcc
	s_and_saveexec_b64 s[6:7], s[2:3]
	s_cbranch_execz .LBB9_28
; %bb.27:                               ;   in Loop: Header=BB9_12 Depth=1
	v_mul_f32_e32 v12, 0x3fb8aa3b, v80
	v_rndne_f32_e32 v13, v12
	v_sub_f32_e32 v14, v12, v13
	v_fma_f32 v12, v80, s84, -v12
	v_fmac_f32_e32 v12, 0x32a5705f, v80
	v_add_f32_e32 v12, v14, v12
	v_cvt_i32_f32_e32 v13, v13
	v_exp_f32_e32 v12, v12
	v_cmp_ngt_f32_e32 vcc, s85, v80
	v_ldexp_f32 v12, v12, v13
	s_nop 0
	v_cndmask_b32_e32 v12, 0, v12, vcc
	v_cmp_nlt_f32_e32 vcc, s86, v80
	s_nop 1
	v_cndmask_b32_e32 v38, v61, v12, vcc
	v_add_f32_e32 v14, 1.0, v38
	v_add_f32_e32 v12, -1.0, v14
	v_sub_f32_e32 v13, v12, v14
	v_add_f32_e32 v13, 1.0, v13
	v_sub_f32_e32 v12, v38, v12
	v_add_f32_e32 v15, v12, v13
	v_frexp_mant_f32_e32 v16, v14
	v_cvt_f64_f32_e32 v[12:13], v14
	v_frexp_exp_i32_f64_e32 v12, v[12:13]
	v_cmp_gt_f32_e32 vcc, s88, v16
	v_cmp_gt_f32_e64 s[2:3], s90, v38
	s_nop 0
	v_subbrev_co_u32_e32 v30, vcc, 0, v12, vcc
	v_sub_u32_e32 v12, 0, v30
	v_ldexp_f32 v13, v14, v12
	v_add_f32_e32 v14, -1.0, v13
	v_add_f32_e32 v16, 1.0, v13
	v_ldexp_f32 v12, v15, v12
	v_add_f32_e32 v15, 1.0, v14
	v_add_f32_e32 v17, -1.0, v16
	v_sub_f32_e32 v15, v13, v15
	v_sub_f32_e32 v13, v13, v17
	v_add_f32_e32 v15, v12, v15
	v_add_f32_e32 v12, v12, v13
	v_add_f32_e32 v29, v16, v12
	v_rcp_f32_e32 v32, v29
	v_sub_f32_e32 v13, v16, v29
	v_add_f32_e32 v31, v12, v13
	v_add_f32_e32 v13, v14, v15
	v_mul_f32_e32 v34, v13, v32
	v_sub_f32_e32 v12, v14, v13
	v_mul_f32_e32 v14, v29, v34
	v_fma_f32 v16, v34, v29, -v14
	v_fmac_f32_e32 v16, v34, v31
	v_add_f32_e32 v33, v15, v12
	v_add_f32_e32 v12, v14, v16
	v_sub_f32_e32 v15, v13, v12
	v_pk_add_f32 v[18:19], v[12:13], v[14:15] neg_lo:[0,1] neg_hi:[0,1]
	v_mov_b32_e32 v17, v12
	v_pk_add_f32 v[12:13], v[18:19], v[16:17] neg_lo:[0,1] neg_hi:[0,1]
	v_cmp_eq_f32_e32 vcc, s87, v38
	v_add_f32_e32 v13, v33, v13
	v_add_f32_e32 v12, v12, v13
	;; [unrolled: 1-line block ×3, first 2 shown]
	v_mul_f32_e32 v33, v32, v13
	v_mul_f32_e32 v14, v29, v33
	v_fma_f32 v16, v33, v29, -v14
	v_fmac_f32_e32 v16, v33, v31
	v_sub_f32_e32 v15, v15, v13
	v_add_f32_e32 v29, v12, v15
	v_add_f32_e32 v12, v14, v16
	v_sub_f32_e32 v15, v13, v12
	v_pk_add_f32 v[18:19], v[12:13], v[14:15] neg_lo:[0,1] neg_hi:[0,1]
	v_mov_b32_e32 v17, v12
	v_pk_add_f32 v[12:13], v[18:19], v[16:17] neg_lo:[0,1] neg_hi:[0,1]
	s_or_b64 vcc, s[2:3], vcc
	v_add_f32_e32 v13, v29, v13
	v_add_f32_e32 v12, v12, v13
	;; [unrolled: 1-line block ×4, first 2 shown]
	v_sub_f32_e32 v14, v13, v34
	v_mul_f32_e32 v12, v32, v12
	v_sub_f32_e32 v14, v33, v14
	v_add_f32_e32 v14, v14, v12
	v_add_f32_e32 v16, v13, v14
	v_mul_f32_e32 v17, v16, v16
	v_fmamk_f32 v12, v17, 0x3e9b6dac, v60
	v_fmaak_f32 v29, v17, v12, 0x3f2aaada
	v_cvt_f32_i32_e32 v12, v30
	v_sub_f32_e32 v13, v16, v13
	v_sub_f32_e32 v13, v14, v13
	v_ldexp_f32 v18, v13, 1
	v_mul_f32_e32 v13, v16, v17
	v_ldexp_f32 v15, v16, 1
	v_pk_mul_f32 v[16:17], v[12:13], v[28:29]
	s_nop 0
	v_fma_f32 v14, v12, s89, -v16
	v_fmac_f32_e32 v14, 0xb102e308, v12
	v_pk_add_f32 v[12:13], v[16:17], v[14:15]
	s_nop 0
	v_sub_f32_e32 v15, v13, v15
	v_sub_f32_e32 v15, v17, v15
	v_add_f32_e32 v19, v18, v15
	v_mov_b32_e32 v18, v16
	v_pk_add_f32 v[16:17], v[12:13], v[16:17] neg_lo:[0,1] neg_hi:[0,1]
	v_pk_add_f32 v[30:31], v[12:13], v[18:19]
	v_mov_b32_e32 v15, v12
	v_mov_b32_e32 v17, v31
	v_pk_add_f32 v[32:33], v[14:15], v[16:17] neg_lo:[0,1] neg_hi:[0,1]
	v_pk_add_f32 v[14:15], v[14:15], v[16:17]
	v_mov_b32_e32 v18, v19
	v_mov_b32_e32 v16, v15
	v_pk_add_f32 v[34:35], v[16:17], v[12:13] neg_lo:[0,1] neg_hi:[0,1]
	v_mov_b32_e32 v14, v31
	v_mov_b32_e32 v17, v34
	v_pk_add_f32 v[36:37], v[30:31], v[16:17] neg_lo:[0,1] neg_hi:[0,1]
	v_mov_b32_e32 v30, v13
	v_mov_b32_e32 v31, v34
	v_mov_b32_e32 v33, v15
	v_pk_add_f32 v[14:15], v[14:15], v[30:31] neg_lo:[0,1] neg_hi:[0,1]
	v_mov_b32_e32 v19, v12
	v_pk_add_f32 v[12:13], v[18:19], v[14:15] neg_lo:[0,1] neg_hi:[0,1]
	v_mov_b32_e32 v36, v32
	v_pk_add_f32 v[14:15], v[36:37], v[12:13]
	s_nop 0
	v_mov_b32_e32 v18, v15
	v_pk_add_f32 v[18:19], v[14:15], v[18:19]
	s_nop 0
	v_pk_add_f32 v[16:17], v[16:17], v[18:19]
	v_mov_b32_e32 v13, v18
	v_mov_b32_e32 v15, v16
	v_pk_add_f32 v[30:31], v[14:15], v[32:33] neg_lo:[0,1] neg_hi:[0,1]
	s_nop 0
	v_sub_f32_e32 v14, v14, v30
	v_pk_add_f32 v[12:13], v[12:13], v[30:31] neg_lo:[0,1] neg_hi:[0,1]
	v_sub_f32_e32 v14, v32, v14
	v_add_f32_e32 v12, v12, v14
	v_add_f32_e32 v12, v12, v13
	;; [unrolled: 1-line block ×3, first 2 shown]
	v_cndmask_b32_e32 v80, v12, v38, vcc
.LBB9_28:                               ;   in Loop: Header=BB9_12 Depth=1
	s_or_b64 exec, exec, s[6:7]
	v_lshlrev_b32_e32 v12, 16, v71
	v_add_f32_e32 v29, s33, v12
	v_cmp_ge_f32_e32 vcc, s83, v29
	s_and_b64 s[2:3], s[60:61], vcc
	s_and_saveexec_b64 s[6:7], s[2:3]
	s_cbranch_execz .LBB9_30
; %bb.29:                               ;   in Loop: Header=BB9_12 Depth=1
	v_mul_f32_e32 v12, 0x3fb8aa3b, v29
	v_rndne_f32_e32 v13, v12
	v_sub_f32_e32 v14, v12, v13
	v_fma_f32 v12, v29, s84, -v12
	v_fmac_f32_e32 v12, 0x32a5705f, v29
	v_add_f32_e32 v12, v14, v12
	v_cvt_i32_f32_e32 v13, v13
	v_exp_f32_e32 v12, v12
	v_cmp_ngt_f32_e32 vcc, s85, v29
	v_ldexp_f32 v12, v12, v13
	s_nop 0
	v_cndmask_b32_e32 v12, 0, v12, vcc
	v_cmp_nlt_f32_e32 vcc, s86, v29
	s_nop 1
	v_cndmask_b32_e32 v38, v61, v12, vcc
	v_add_f32_e32 v14, 1.0, v38
	v_add_f32_e32 v12, -1.0, v14
	v_sub_f32_e32 v13, v12, v14
	v_add_f32_e32 v13, 1.0, v13
	v_sub_f32_e32 v12, v38, v12
	v_add_f32_e32 v15, v12, v13
	v_frexp_mant_f32_e32 v16, v14
	v_cvt_f64_f32_e32 v[12:13], v14
	v_frexp_exp_i32_f64_e32 v12, v[12:13]
	v_cmp_gt_f32_e32 vcc, s88, v16
	v_cmp_gt_f32_e64 s[2:3], s90, v38
	s_nop 0
	v_subbrev_co_u32_e32 v30, vcc, 0, v12, vcc
	v_sub_u32_e32 v12, 0, v30
	v_ldexp_f32 v13, v14, v12
	v_add_f32_e32 v14, -1.0, v13
	v_add_f32_e32 v16, 1.0, v13
	v_ldexp_f32 v12, v15, v12
	v_add_f32_e32 v15, 1.0, v14
	v_add_f32_e32 v17, -1.0, v16
	v_sub_f32_e32 v15, v13, v15
	v_sub_f32_e32 v13, v13, v17
	v_add_f32_e32 v15, v12, v15
	v_add_f32_e32 v12, v12, v13
	v_add_f32_e32 v29, v16, v12
	v_rcp_f32_e32 v32, v29
	v_sub_f32_e32 v13, v16, v29
	v_add_f32_e32 v31, v12, v13
	v_add_f32_e32 v13, v14, v15
	v_mul_f32_e32 v34, v13, v32
	v_sub_f32_e32 v12, v14, v13
	v_mul_f32_e32 v14, v29, v34
	v_fma_f32 v16, v34, v29, -v14
	v_fmac_f32_e32 v16, v34, v31
	v_add_f32_e32 v33, v15, v12
	v_add_f32_e32 v12, v14, v16
	v_sub_f32_e32 v15, v13, v12
	v_pk_add_f32 v[18:19], v[12:13], v[14:15] neg_lo:[0,1] neg_hi:[0,1]
	v_mov_b32_e32 v17, v12
	v_pk_add_f32 v[12:13], v[18:19], v[16:17] neg_lo:[0,1] neg_hi:[0,1]
	v_cmp_eq_f32_e32 vcc, s87, v38
	v_add_f32_e32 v13, v33, v13
	v_add_f32_e32 v12, v12, v13
	;; [unrolled: 1-line block ×3, first 2 shown]
	v_mul_f32_e32 v33, v32, v13
	v_mul_f32_e32 v14, v29, v33
	v_fma_f32 v16, v33, v29, -v14
	v_fmac_f32_e32 v16, v33, v31
	v_sub_f32_e32 v15, v15, v13
	v_add_f32_e32 v29, v12, v15
	v_add_f32_e32 v12, v14, v16
	v_sub_f32_e32 v15, v13, v12
	v_pk_add_f32 v[18:19], v[12:13], v[14:15] neg_lo:[0,1] neg_hi:[0,1]
	v_mov_b32_e32 v17, v12
	v_pk_add_f32 v[12:13], v[18:19], v[16:17] neg_lo:[0,1] neg_hi:[0,1]
	s_or_b64 vcc, s[2:3], vcc
	v_add_f32_e32 v13, v29, v13
	v_add_f32_e32 v12, v12, v13
	;; [unrolled: 1-line block ×4, first 2 shown]
	v_sub_f32_e32 v14, v13, v34
	v_mul_f32_e32 v12, v32, v12
	v_sub_f32_e32 v14, v33, v14
	v_add_f32_e32 v14, v14, v12
	v_add_f32_e32 v16, v13, v14
	v_mul_f32_e32 v17, v16, v16
	v_fmamk_f32 v12, v17, 0x3e9b6dac, v60
	v_fmaak_f32 v29, v17, v12, 0x3f2aaada
	v_cvt_f32_i32_e32 v12, v30
	v_sub_f32_e32 v13, v16, v13
	v_sub_f32_e32 v13, v14, v13
	v_ldexp_f32 v18, v13, 1
	v_mul_f32_e32 v13, v16, v17
	v_ldexp_f32 v15, v16, 1
	v_pk_mul_f32 v[16:17], v[12:13], v[28:29]
	s_nop 0
	v_fma_f32 v14, v12, s89, -v16
	v_fmac_f32_e32 v14, 0xb102e308, v12
	v_pk_add_f32 v[12:13], v[16:17], v[14:15]
	s_nop 0
	v_sub_f32_e32 v15, v13, v15
	v_sub_f32_e32 v15, v17, v15
	v_add_f32_e32 v19, v18, v15
	v_mov_b32_e32 v18, v16
	v_pk_add_f32 v[16:17], v[12:13], v[16:17] neg_lo:[0,1] neg_hi:[0,1]
	v_pk_add_f32 v[30:31], v[12:13], v[18:19]
	v_mov_b32_e32 v15, v12
	v_mov_b32_e32 v17, v31
	v_pk_add_f32 v[32:33], v[14:15], v[16:17] neg_lo:[0,1] neg_hi:[0,1]
	v_pk_add_f32 v[14:15], v[14:15], v[16:17]
	v_mov_b32_e32 v18, v19
	v_mov_b32_e32 v16, v15
	v_pk_add_f32 v[34:35], v[16:17], v[12:13] neg_lo:[0,1] neg_hi:[0,1]
	v_mov_b32_e32 v14, v31
	v_mov_b32_e32 v17, v34
	v_pk_add_f32 v[36:37], v[30:31], v[16:17] neg_lo:[0,1] neg_hi:[0,1]
	v_mov_b32_e32 v30, v13
	v_mov_b32_e32 v31, v34
	;; [unrolled: 1-line block ×3, first 2 shown]
	v_pk_add_f32 v[14:15], v[14:15], v[30:31] neg_lo:[0,1] neg_hi:[0,1]
	v_mov_b32_e32 v19, v12
	v_pk_add_f32 v[12:13], v[18:19], v[14:15] neg_lo:[0,1] neg_hi:[0,1]
	v_mov_b32_e32 v36, v32
	v_pk_add_f32 v[14:15], v[36:37], v[12:13]
	s_nop 0
	v_mov_b32_e32 v18, v15
	v_pk_add_f32 v[18:19], v[14:15], v[18:19]
	s_nop 0
	v_pk_add_f32 v[16:17], v[16:17], v[18:19]
	v_mov_b32_e32 v13, v18
	v_mov_b32_e32 v15, v16
	v_pk_add_f32 v[30:31], v[14:15], v[32:33] neg_lo:[0,1] neg_hi:[0,1]
	s_nop 0
	v_sub_f32_e32 v14, v14, v30
	v_pk_add_f32 v[12:13], v[12:13], v[30:31] neg_lo:[0,1] neg_hi:[0,1]
	v_sub_f32_e32 v14, v32, v14
	v_add_f32_e32 v12, v12, v14
	v_add_f32_e32 v12, v12, v13
	;; [unrolled: 1-line block ×3, first 2 shown]
	v_cndmask_b32_e32 v29, v12, v38, vcc
.LBB9_30:                               ;   in Loop: Header=BB9_12 Depth=1
	s_or_b64 exec, exec, s[6:7]
	v_lshlrev_b32_e32 v12, 16, v3
	v_lshlrev_b32_e32 v14, 16, v73
	;; [unrolled: 1-line block ×8, first 2 shown]
	v_mul_f32_e32 v32, s78, v12
	v_mul_f32_e32 v31, s78, v13
	;; [unrolled: 1-line block ×7, first 2 shown]
	s_lshl_b32 s2, s98, 9
	v_mul_f32_e32 v33, s78, v14
	s_and_b64 vcc, exec, s[62:63]
	s_waitcnt lgkmcnt(0)
	; wave barrier
	s_cbranch_vccz .LBB9_58
; %bb.31:                               ;   in Loop: Header=BB9_12 Depth=1
	v_mul_f32_e32 v82, v80, v12
	v_and_b32_e32 v12, 15, v62
	v_cmp_ne_u32_e64 s[6:7], 0, v12
	v_cmp_lt_u32_e64 s[8:9], 1, v12
	v_cmp_lt_u32_e64 s[10:11], 3, v12
	v_cmp_lt_u32_e64 s[12:13], 7, v12
	v_and_b32_e32 v12, 16, v62
	v_mul_f32_e32 v83, v79, v13
	v_cmp_ne_u32_e64 s[14:15], 0, v12
	v_add_u32_e32 v12, -1, v62
	v_and_b32_e32 v13, 64, v62
	s_sub_i32 s3, s56, s2
	v_cmp_lt_i32_e32 vcc, v12, v13
	s_cmp_lg_u32 s98, 0
	s_cselect_b64 s[54:55], -1, 0
	v_cndmask_b32_e32 v12, v12, v62, vcc
	v_lshlrev_b32_e32 v89, 2, v12
	s_cmp_eq_u32 s98, s82
	v_cmp_gt_u32_e32 vcc, s3, v52
	v_or_b32_e32 v12, 1, v52
	s_cselect_b64 s[66:67], -1, 0
	s_or_b64 s[18:19], s[64:65], vcc
	v_cmp_gt_u32_e32 vcc, s3, v12
	v_or_b32_e32 v12, 2, v52
	s_or_b64 s[20:21], s[64:65], vcc
	v_cmp_gt_u32_e32 vcc, s3, v12
	v_or_b32_e32 v12, 3, v52
	;; [unrolled: 3-line block ×3, first 2 shown]
	s_or_b64 s[24:25], s[64:65], vcc
	v_cmp_gt_u32_e32 vcc, s3, v12
	s_or_b64 s[26:27], s[64:65], vcc
	v_cmp_gt_u32_e32 vcc, s3, v57
	;; [unrolled: 2-line block ×3, first 2 shown]
	s_mov_b32 s58, 0
	s_or_b64 s[30:31], s[64:65], vcc
	v_cmp_gt_u32_e32 vcc, s3, v59
	v_mul_f32_e32 v81, v29, v14
	v_mul_f32_e32 v84, v78, v15
	;; [unrolled: 1-line block ×6, first 2 shown]
	v_lshl_add_u64 v[38:39], s[42:43], 0, v[20:21]
	v_lshl_add_u64 v[40:41], s[46:47], 0, v[20:21]
	v_cmp_lt_u32_e64 s[16:17], 31, v62
	s_or_b64 s[34:35], s[64:65], vcc
	s_mov_b32 s68, s58
	s_mov_b32 s70, s58
	;; [unrolled: 1-line block ×5, first 2 shown]
	s_branch .LBB9_33
.LBB9_32:                               ;   in Loop: Header=BB9_33 Depth=2
	s_or_b64 exec, exec, s[74:75]
	v_mul_f32_e32 v43, v90, v55
	v_fma_f32 v44, v90, v56, v16
	v_cndmask_b32_e64 v16, v44, v16, s[4:5]
	v_cndmask_b32_e64 v43, v43, v90, s[4:5]
	s_waitcnt lgkmcnt(0)
	v_fmac_f32_e32 v16, v42, v43
	v_fmac_f32_e32 v17, v16, v91
	;; [unrolled: 1-line block ×8, first 2 shown]
	s_waitcnt vmcnt(0)
	v_and_b32_e32 v43, 0xffff0000, v12
	v_and_b32_e32 v45, 0xffff0000, v13
	v_lshlrev_b32_e32 v42, 16, v12
	v_lshlrev_b32_e32 v44, 16, v13
	v_and_b32_e32 v13, 0xffff0000, v14
	v_and_b32_e32 v51, 0xffff0000, v15
	v_lshlrev_b32_e32 v12, 16, v14
	v_lshlrev_b32_e32 v50, 16, v15
	s_add_i32 s99, s99, 8
	s_add_i32 s3, s3, -1
	s_add_i32 s72, s72, s79
	s_add_i32 s70, s70, s48
	;; [unrolled: 1-line block ×4, first 2 shown]
	v_pk_fma_f32 v[34:35], v[46:47], v[44:45], v[34:35]
	v_pk_fma_f32 v[36:37], v[16:17], v[42:43], v[36:37]
	;; [unrolled: 1-line block ×3, first 2 shown]
	s_cmp_eq_u32 s3, 0
	v_pk_fma_f32 v[30:31], v[18:19], v[12:13], v[30:31]
	s_cbranch_scc1 .LBB9_58
.LBB9_33:                               ;   Parent Loop BB9_12 Depth=1
                                        ; =>  This Inner Loop Header: Depth=2
	s_lshl_b64 s[74:75], s[58:59], 2
	s_mov_b32 s69, s59
	s_add_u32 s74, s40, s74
	v_lshl_add_u64 v[12:13], s[68:69], 1, v[38:39]
	s_mov_b32 s71, s59
	s_addc_u32 s75, s80, s75
	global_load_dwordx4 v[16:19], v[12:13], off
	v_lshl_add_u64 v[12:13], s[70:71], 1, v[40:41]
	global_load_dword v42, v21, s[74:75]
	s_andn2_b64 vcc, exec, s[54:55]
	global_load_dwordx4 v[12:15], v[12:13], off
	s_cbranch_vccnz .LBB9_35
; %bb.34:                               ;   in Loop: Header=BB9_33 Depth=2
	v_mov_b32_e32 v43, s99
	ds_read_b64 v[44:45], v43
	s_waitcnt lgkmcnt(0)
	v_mov_b32_e32 v43, v45
	s_cbranch_execz .LBB9_36
	s_branch .LBB9_39
.LBB9_35:                               ;   in Loop: Header=BB9_33 Depth=2
                                        ; implicit-def: $vgpr44
                                        ; implicit-def: $vgpr43
.LBB9_36:                               ;   in Loop: Header=BB9_33 Depth=2
	s_andn2_b64 vcc, exec, s[38:39]
	v_mov_b32_e32 v43, 0
	s_cbranch_vccnz .LBB9_38
; %bb.37:                               ;   in Loop: Header=BB9_33 Depth=2
	s_mov_b32 s73, s59
	s_lshl_b64 s[74:75], s[72:73], 1
	s_add_u32 s74, s45, s74
	s_addc_u32 s75, s49, s75
	global_load_ushort v43, v21, s[74:75]
	s_waitcnt vmcnt(0)
	v_lshlrev_b32_e32 v43, 16, v43
.LBB9_38:                               ;   in Loop: Header=BB9_33 Depth=2
	v_mov_b32_e32 v44, 1.0
.LBB9_39:                               ;   in Loop: Header=BB9_33 Depth=2
	s_waitcnt vmcnt(1)
	v_mul_f32_e32 v42, 0x3fb8aa3b, v42
	v_lshlrev_b32_e32 v45, 16, v16
	v_and_b32_e32 v46, 0xffff0000, v16
	v_mul_f32_e32 v16, v42, v74
	v_cmp_gt_f32_e32 vcc, s92, v16
	v_lshlrev_b32_e32 v49, 16, v18
	v_and_b32_e32 v50, 0xffff0000, v18
	v_cndmask_b32_e32 v16, 0, v63, vcc
	v_mul_f32_e32 v18, v42, v75
	v_lshlrev_b32_e32 v47, 16, v17
	v_and_b32_e32 v48, 0xffff0000, v17
	v_fmac_f32_e32 v16, v42, v74
	v_cndmask_b32_e32 v17, 1.0, v64, vcc
	v_cmp_gt_f32_e32 vcc, s92, v18
	v_exp_f32_e32 v16, v16
	v_lshlrev_b32_e32 v51, 16, v19
	v_cndmask_b32_e32 v18, 0, v63, vcc
	v_fmac_f32_e32 v18, v42, v75
	v_exp_f32_e32 v18, v18
	v_and_b32_e32 v54, 0xffff0000, v19
	v_mul_f32_e32 v17, v16, v17
	v_mul_f32_e32 v19, v42, v76
	v_cndmask_b32_e64 v90, 1.0, v17, s[18:19]
	v_cndmask_b32_e32 v17, 1.0, v64, vcc
	v_cmp_gt_f32_e32 vcc, s92, v19
	v_mul_f32_e32 v16, v88, v45
	v_mul_f32_e32 v18, v18, v17
	v_cndmask_b32_e32 v19, 0, v63, vcc
	v_mul_f32_e32 v45, v42, v77
	v_fmac_f32_e32 v19, v42, v76
	v_cndmask_b32_e64 v91, 1.0, v18, s[20:21]
	v_cndmask_b32_e32 v18, 1.0, v64, vcc
	v_cmp_gt_f32_e32 vcc, s92, v45
	v_exp_f32_e32 v19, v19
	v_mul_f32_e32 v17, v87, v46
	v_cndmask_b32_e32 v45, 0, v63, vcc
	v_fmac_f32_e32 v45, v42, v77
	v_exp_f32_e32 v45, v45
	v_mul_f32_e32 v18, v19, v18
	v_cndmask_b32_e64 v92, 1.0, v18, s[22:23]
	v_cndmask_b32_e32 v18, 1.0, v64, vcc
	v_mul_f32_e32 v18, v45, v18
	v_mul_f32_e32 v45, v42, v78
	v_cmp_gt_f32_e32 vcc, s92, v45
	v_mul_f32_e32 v19, v86, v47
	v_cndmask_b32_e64 v46, 0, v19, s[22:23]
	v_cndmask_b32_e32 v45, 0, v63, vcc
	v_fmac_f32_e32 v45, v42, v78
	v_exp_f32_e32 v45, v45
	v_mul_f32_e32 v19, v85, v48
	v_cndmask_b32_e64 v93, 1.0, v18, s[24:25]
	v_cndmask_b32_e32 v18, 1.0, v64, vcc
	v_cndmask_b32_e64 v47, 0, v19, s[24:25]
	v_mul_f32_e32 v19, v45, v18
	v_mul_f32_e32 v45, v42, v79
	v_cmp_gt_f32_e32 vcc, s92, v45
	v_mul_f32_e32 v48, v42, v80
	v_cndmask_b32_e64 v94, 1.0, v19, s[26:27]
	v_cndmask_b32_e32 v45, 0, v63, vcc
	v_fmac_f32_e32 v45, v42, v79
	v_exp_f32_e32 v45, v45
	v_cndmask_b32_e32 v19, 1.0, v64, vcc
	v_cmp_gt_f32_e32 vcc, s92, v48
	v_mul_f32_e32 v18, v84, v49
	v_mul_f32_e32 v45, v45, v19
	v_cndmask_b32_e32 v48, 0, v63, vcc
	v_mul_f32_e32 v49, v42, v29
	v_fmac_f32_e32 v48, v42, v80
	v_cndmask_b32_e64 v95, 1.0, v45, s[28:29]
	v_cndmask_b32_e32 v45, 1.0, v64, vcc
	v_cmp_gt_f32_e32 vcc, s92, v49
	v_exp_f32_e32 v48, v48
	v_cndmask_b32_e64 v16, 0, v16, s[18:19]
	v_cndmask_b32_e32 v49, 0, v63, vcc
	v_fmac_f32_e32 v49, v42, v29
	v_exp_f32_e32 v42, v49
	v_mul_f32_e32 v45, v48, v45
	v_cndmask_b32_e64 v53, 1.0, v45, s[30:31]
	v_cndmask_b32_e32 v45, 1.0, v64, vcc
	v_cndmask_b32_e64 v17, 0, v17, s[20:21]
	v_mul_f32_e32 v42, v42, v45
	v_mul_f32_e32 v45, v81, v54
	v_cndmask_b32_e64 v49, 0, v45, s[34:35]
	v_cndmask_b32_e64 v54, 1.0, v42, s[34:35]
	v_mul_f32_e32 v42, v91, v90
	v_fma_f32 v45, v91, v16, v17
	v_mul_f32_e32 v42, v42, v92
	v_fma_f32 v45, v45, v92, v46
	v_cndmask_b32_e64 v18, 0, v18, s[26:27]
	v_mul_f32_e32 v19, v83, v50
	v_mul_f32_e32 v42, v42, v93
	v_fma_f32 v45, v45, v93, v47
	v_cndmask_b32_e64 v19, 0, v19, s[28:29]
	v_mul_f32_e32 v48, v82, v51
	;; [unrolled: 4-line block ×3, first 2 shown]
	v_fma_f32 v45, v45, v95, v19
	v_mul_f32_e32 v42, v42, v53
	v_fma_f32 v50, v45, v53, v48
	v_mul_f32_e32 v45, v42, v54
	v_fma_f32 v42, v50, v54, v49
	s_nop 0
	v_mov_b32_dpp v51, v45 row_shr:1 row_mask:0xf bank_mask:0xf
	v_mov_b32_dpp v50, v42 row_shr:1 row_mask:0xf bank_mask:0xf
	s_and_saveexec_b64 s[74:75], s[6:7]
; %bb.40:                               ;   in Loop: Header=BB9_33 Depth=2
	v_mul_f32_e32 v51, v45, v51
	v_fmac_f32_e32 v42, v45, v50
	v_mov_b32_e32 v45, v51
; %bb.41:                               ;   in Loop: Header=BB9_33 Depth=2
	s_or_b64 exec, exec, s[74:75]
	s_nop 0
	v_mov_b32_dpp v50, v45 row_shr:2 row_mask:0xf bank_mask:0xf
	v_mov_b32_dpp v51, v42 row_shr:2 row_mask:0xf bank_mask:0xf
	s_and_saveexec_b64 s[74:75], s[8:9]
; %bb.42:                               ;   in Loop: Header=BB9_33 Depth=2
	v_fmac_f32_e32 v42, v45, v51
	v_mul_f32_e32 v45, v45, v50
; %bb.43:                               ;   in Loop: Header=BB9_33 Depth=2
	s_or_b64 exec, exec, s[74:75]
	s_nop 0
	v_mov_b32_dpp v50, v45 row_shr:4 row_mask:0xf bank_mask:0xf
	v_mov_b32_dpp v51, v42 row_shr:4 row_mask:0xf bank_mask:0xf
	s_and_saveexec_b64 s[74:75], s[10:11]
; %bb.44:                               ;   in Loop: Header=BB9_33 Depth=2
	v_fmac_f32_e32 v42, v45, v51
	v_mul_f32_e32 v45, v45, v50
	;; [unrolled: 9-line block ×3, first 2 shown]
; %bb.47:                               ;   in Loop: Header=BB9_33 Depth=2
	s_or_b64 exec, exec, s[74:75]
	s_nop 0
	v_mov_b32_dpp v50, v45 row_bcast:15 row_mask:0xf bank_mask:0xf
	v_mov_b32_dpp v51, v42 row_bcast:15 row_mask:0xf bank_mask:0xf
	s_and_saveexec_b64 s[74:75], s[14:15]
; %bb.48:                               ;   in Loop: Header=BB9_33 Depth=2
	v_fmac_f32_e32 v42, v45, v51
	v_mul_f32_e32 v45, v45, v50
; %bb.49:                               ;   in Loop: Header=BB9_33 Depth=2
	s_or_b64 exec, exec, s[74:75]
	s_nop 0
	v_mov_b32_dpp v50, v45 row_bcast:31 row_mask:0xf bank_mask:0xf
	v_mov_b32_dpp v51, v42 row_bcast:31 row_mask:0xf bank_mask:0xf
	v_mov_b32_e32 v55, v42
	v_mul_f32_e32 v50, v45, v50
	v_fmac_f32_e32 v55, v45, v51
	v_cndmask_b32_e64 v50, v45, v50, s[16:17]
	v_cndmask_b32_e64 v51, v42, v55, s[16:17]
	s_and_saveexec_b64 s[74:75], s[36:37]
	s_cbranch_execz .LBB9_51
; %bb.50:                               ;   in Loop: Header=BB9_33 Depth=2
	ds_write_b64 v21, v[50:51] offset:2112
.LBB9_51:                               ;   in Loop: Header=BB9_33 Depth=2
	s_or_b64 exec, exec, s[74:75]
	ds_bpermute_b32 v55, v89, v50
	ds_bpermute_b32 v56, v89, v51
	s_waitcnt lgkmcnt(0)
	; wave barrier
	s_waitcnt lgkmcnt(0)
	s_and_saveexec_b64 s[74:75], s[0:1]
	s_cbranch_execz .LBB9_55
; %bb.52:                               ;   in Loop: Header=BB9_33 Depth=2
	ds_read_b64 v[50:51], v21 offset:2112
	s_and_saveexec_b64 s[76:77], s[4:5]
	s_cbranch_execz .LBB9_54
; %bb.53:                               ;   in Loop: Header=BB9_33 Depth=2
	v_mov_b32_e32 v45, v43
	ds_write_b64 v21, v[44:45] offset:2112
.LBB9_54:                               ;   in Loop: Header=BB9_33 Depth=2
	s_or_b64 exec, exec, s[76:77]
	s_waitcnt lgkmcnt(0)
	v_mul_f32_e32 v45, v50, v43
	v_pk_add_f32 v[42:43], v[44:45], v[50:51]
	v_mul_f32_e32 v44, v44, v50
.LBB9_55:                               ;   in Loop: Header=BB9_33 Depth=2
	s_or_b64 exec, exec, s[74:75]
	s_waitcnt lgkmcnt(0)
	; wave barrier
	ds_read_b32 v42, v21 offset:2116
	s_and_saveexec_b64 s[74:75], s[4:5]
	s_cbranch_execz .LBB9_32
; %bb.56:                               ;   in Loop: Header=BB9_33 Depth=2
	v_mov_b32_e32 v45, v43
	v_mov_b32_e32 v50, s99
	s_andn2_b64 vcc, exec, s[66:67]
	ds_write_b64 v50, v[44:45]
	s_cbranch_vccnz .LBB9_32
; %bb.57:                               ;   in Loop: Header=BB9_33 Depth=2
	v_bfe_u32 v44, v43, 16, 1
	s_mov_b32 s73, s59
	v_add3_u32 v44, v43, v44, s93
	s_lshl_b64 s[76:77], s[72:73], 1
	v_lshrrev_b32_e32 v44, 16, v44
	v_cmp_o_f32_e32 vcc, v43, v43
	s_add_u32 s76, s45, s76
	s_addc_u32 s77, s49, s77
	v_cndmask_b32_e32 v43, v65, v44, vcc
	global_store_short v21, v43, s[76:77]
	s_branch .LBB9_32
.LBB9_58:                               ;   in Loop: Header=BB9_12 Depth=1
	v_bfe_u32 v12, v36, 16, 1
	v_bfe_u32 v13, v37, 16, 1
	v_add3_u32 v12, v36, v12, s93
	v_bfe_u32 v14, v34, 16, 1
	v_add3_u32 v13, v37, v13, s93
	v_lshrrev_b32_e32 v12, 16, v12
	v_cmp_o_f32_e32 vcc, v36, v36
	v_bfe_u32 v15, v35, 16, 1
	v_add3_u32 v14, v34, v14, s93
	v_lshrrev_b32_e32 v13, 16, v13
	v_cndmask_b32_e32 v12, v65, v12, vcc
	v_cmp_o_f32_e32 vcc, v37, v37
	v_add3_u32 v15, v35, v15, s93
	v_lshrrev_b32_e32 v14, 16, v14
	v_cndmask_b32_e32 v18, v65, v13, vcc
	v_cmp_o_f32_e32 vcc, v34, v34
	v_lshrrev_b32_e32 v15, 16, v15
	v_bfe_u32 v29, v32, 16, 1
	v_cndmask_b32_e32 v13, v65, v14, vcc
	v_cmp_o_f32_e32 vcc, v35, v35
	v_bfe_u32 v14, v30, 16, 1
	v_add3_u32 v14, v30, v14, s93
	v_cndmask_b32_e32 v19, v65, v15, vcc
	v_bfe_u32 v15, v31, 16, 1
	v_add3_u32 v15, v31, v15, s93
	v_lshrrev_b32_e32 v14, 16, v14
	v_cmp_o_f32_e32 vcc, v30, v30
	v_bfe_u32 v38, v33, 16, 1
	v_add3_u32 v29, v32, v29, s93
	v_lshrrev_b32_e32 v15, 16, v15
	v_cndmask_b32_e32 v14, v65, v14, vcc
	v_cmp_o_f32_e32 vcc, v31, v31
	v_add3_u32 v38, v33, v38, s93
	v_lshrrev_b32_e32 v29, 16, v29
	v_cndmask_b32_e32 v39, v65, v15, vcc
	v_cmp_o_f32_e32 vcc, v32, v32
	v_lshrrev_b32_e32 v38, 16, v38
	s_mov_b32 s3, s59
	v_cndmask_b32_e32 v15, v65, v29, vcc
	v_cmp_o_f32_e32 vcc, v33, v33
	v_lshl_add_u64 v[16:17], s[2:3], 1, v[22:23]
	v_perm_b32 v14, v39, v14, s94
	v_cndmask_b32_e32 v29, v65, v38, vcc
	v_perm_b32 v15, v29, v15, s94
	v_perm_b32 v13, v19, v13, s94
	;; [unrolled: 1-line block ×3, first 2 shown]
	s_waitcnt lgkmcnt(0)
	; wave barrier
	global_store_dwordx4 v[16:17], v[12:15], off
	s_waitcnt lgkmcnt(0)
	; wave barrier
	s_and_saveexec_b64 s[6:7], s[0:1]
	s_cbranch_execz .LBB9_11
; %bb.59:                               ;   in Loop: Header=BB9_12 Depth=1
	v_lshl_add_u64 v[8:9], s[2:3], 1, v[24:25]
	global_load_dwordx4 v[8:11], v[8:9], off
	s_branch .LBB9_11
.LBB9_60:
	s_endpgm
	.section	.rodata,"a",@progbits
	.p2align	6, 0x0
	.amdhsa_kernel _Z25selective_scan_fwd_kernelI32Selective_Scan_fwd_kernel_traitsILi64ELi8ELi1ELb1ELb1ELb1ELb1ELb0EN3c108BFloat16EfS2_EEv13SSMParamsBase
		.amdhsa_group_segment_fixed_size 0
		.amdhsa_private_segment_fixed_size 0
		.amdhsa_kernarg_size 248
		.amdhsa_user_sgpr_count 2
		.amdhsa_user_sgpr_dispatch_ptr 0
		.amdhsa_user_sgpr_queue_ptr 0
		.amdhsa_user_sgpr_kernarg_segment_ptr 1
		.amdhsa_user_sgpr_dispatch_id 0
		.amdhsa_user_sgpr_kernarg_preload_length 0
		.amdhsa_user_sgpr_kernarg_preload_offset 0
		.amdhsa_user_sgpr_private_segment_size 0
		.amdhsa_uses_dynamic_stack 0
		.amdhsa_enable_private_segment 0
		.amdhsa_system_sgpr_workgroup_id_x 1
		.amdhsa_system_sgpr_workgroup_id_y 1
		.amdhsa_system_sgpr_workgroup_id_z 0
		.amdhsa_system_sgpr_workgroup_info 0
		.amdhsa_system_vgpr_workitem_id 0
		.amdhsa_next_free_vgpr 96
		.amdhsa_next_free_sgpr 100
		.amdhsa_accum_offset 96
		.amdhsa_reserve_vcc 1
		.amdhsa_float_round_mode_32 0
		.amdhsa_float_round_mode_16_64 0
		.amdhsa_float_denorm_mode_32 3
		.amdhsa_float_denorm_mode_16_64 3
		.amdhsa_dx10_clamp 1
		.amdhsa_ieee_mode 1
		.amdhsa_fp16_overflow 0
		.amdhsa_tg_split 0
		.amdhsa_exception_fp_ieee_invalid_op 0
		.amdhsa_exception_fp_denorm_src 0
		.amdhsa_exception_fp_ieee_div_zero 0
		.amdhsa_exception_fp_ieee_overflow 0
		.amdhsa_exception_fp_ieee_underflow 0
		.amdhsa_exception_fp_ieee_inexact 0
		.amdhsa_exception_int_div_zero 0
	.end_amdhsa_kernel
	.section	.text._Z25selective_scan_fwd_kernelI32Selective_Scan_fwd_kernel_traitsILi64ELi8ELi1ELb1ELb1ELb1ELb1ELb0EN3c108BFloat16EfS2_EEv13SSMParamsBase,"axG",@progbits,_Z25selective_scan_fwd_kernelI32Selective_Scan_fwd_kernel_traitsILi64ELi8ELi1ELb1ELb1ELb1ELb1ELb0EN3c108BFloat16EfS2_EEv13SSMParamsBase,comdat
.Lfunc_end9:
	.size	_Z25selective_scan_fwd_kernelI32Selective_Scan_fwd_kernel_traitsILi64ELi8ELi1ELb1ELb1ELb1ELb1ELb0EN3c108BFloat16EfS2_EEv13SSMParamsBase, .Lfunc_end9-_Z25selective_scan_fwd_kernelI32Selective_Scan_fwd_kernel_traitsILi64ELi8ELi1ELb1ELb1ELb1ELb1ELb0EN3c108BFloat16EfS2_EEv13SSMParamsBase
                                        ; -- End function
	.section	.AMDGPU.csdata,"",@progbits
; Kernel info:
; codeLenInByte = 10292
; NumSgprs: 106
; NumVgprs: 96
; NumAgprs: 0
; TotalNumVgprs: 96
; ScratchSize: 0
; MemoryBound: 1
; FloatMode: 240
; IeeeMode: 1
; LDSByteSize: 0 bytes/workgroup (compile time only)
; SGPRBlocks: 13
; VGPRBlocks: 11
; NumSGPRsForWavesPerEU: 106
; NumVGPRsForWavesPerEU: 96
; AccumOffset: 96
; Occupancy: 5
; WaveLimiterHint : 0
; COMPUTE_PGM_RSRC2:SCRATCH_EN: 0
; COMPUTE_PGM_RSRC2:USER_SGPR: 2
; COMPUTE_PGM_RSRC2:TRAP_HANDLER: 0
; COMPUTE_PGM_RSRC2:TGID_X_EN: 1
; COMPUTE_PGM_RSRC2:TGID_Y_EN: 1
; COMPUTE_PGM_RSRC2:TGID_Z_EN: 0
; COMPUTE_PGM_RSRC2:TIDIG_COMP_CNT: 0
; COMPUTE_PGM_RSRC3_GFX90A:ACCUM_OFFSET: 23
; COMPUTE_PGM_RSRC3_GFX90A:TG_SPLIT: 0
	.section	.text._Z25selective_scan_fwd_kernelI32Selective_Scan_fwd_kernel_traitsILi64ELi8ELi1ELb1ELb1ELb1ELb0ELb1EN3c108BFloat16EfS2_EEv13SSMParamsBase,"axG",@progbits,_Z25selective_scan_fwd_kernelI32Selective_Scan_fwd_kernel_traitsILi64ELi8ELi1ELb1ELb1ELb1ELb0ELb1EN3c108BFloat16EfS2_EEv13SSMParamsBase,comdat
	.protected	_Z25selective_scan_fwd_kernelI32Selective_Scan_fwd_kernel_traitsILi64ELi8ELi1ELb1ELb1ELb1ELb0ELb1EN3c108BFloat16EfS2_EEv13SSMParamsBase ; -- Begin function _Z25selective_scan_fwd_kernelI32Selective_Scan_fwd_kernel_traitsILi64ELi8ELi1ELb1ELb1ELb1ELb0ELb1EN3c108BFloat16EfS2_EEv13SSMParamsBase
	.globl	_Z25selective_scan_fwd_kernelI32Selective_Scan_fwd_kernel_traitsILi64ELi8ELi1ELb1ELb1ELb1ELb0ELb1EN3c108BFloat16EfS2_EEv13SSMParamsBase
	.p2align	8
	.type	_Z25selective_scan_fwd_kernelI32Selective_Scan_fwd_kernel_traitsILi64ELi8ELi1ELb1ELb1ELb1ELb0ELb1EN3c108BFloat16EfS2_EEv13SSMParamsBase,@function
_Z25selective_scan_fwd_kernelI32Selective_Scan_fwd_kernel_traitsILi64ELi8ELi1ELb1ELb1ELb1ELb0ELb1EN3c108BFloat16EfS2_EEv13SSMParamsBase: ; @_Z25selective_scan_fwd_kernelI32Selective_Scan_fwd_kernel_traitsILi64ELi8ELi1ELb1ELb1ELb1ELb0ELb1EN3c108BFloat16EfS2_EEv13SSMParamsBase
; %bb.0:
	s_load_dword s27, s[0:1], 0x18
	s_load_dwordx4 s[4:7], s[0:1], 0xe0
	s_load_dwordx2 s[10:11], s[0:1], 0xf0
	s_mov_b32 s20, s3
	s_ashr_i32 s3, s2, 31
	s_waitcnt lgkmcnt(0)
	s_abs_i32 s26, s27
	v_cvt_f32_u32_e32 v1, s26
	s_lshl_b64 s[8:9], s[2:3], 2
	s_add_u32 s24, s4, s8
	s_addc_u32 s25, s5, s9
	v_rcp_iflag_f32_e32 v1, v1
	s_cmp_eq_u64 s[10:11], 0
	v_mul_f32_e32 v1, 0x4f7ffffe, v1
	v_cvt_u32_f32_e32 v1, v1
	s_nop 0
	v_readfirstlane_b32 s28, v1
	s_cbranch_scc1 .LBB10_137
; %bb.1:
	s_add_u32 s4, s10, s2
	s_addc_u32 s5, s11, s3
	v_mov_b32_e32 v1, 0
	global_load_ubyte v1, v1, s[4:5]
	s_waitcnt vmcnt(0)
	v_and_b32_e32 v1, 1, v1
	v_cmp_eq_u32_e64 s[68:69], 1, v1
	s_load_dwordx2 s[4:5], s[0:1], 0x20
	s_cmp_eq_u64 s[6:7], 0
	s_cbranch_scc1 .LBB10_3
.LBB10_2:
	s_add_u32 s2, s6, s8
	s_addc_u32 s3, s7, s9
	s_load_dword s2, s[2:3], 0x0
	s_waitcnt lgkmcnt(0)
	s_ashr_i32 s3, s2, 31
.LBB10_3:
	s_waitcnt lgkmcnt(0)
	s_cmp_eq_u64 s[4:5], s[2:3]
	s_cbranch_scc1 .LBB10_136
; %bb.4:
	s_load_dwordx16 s[4:19], s[0:1], 0x88
	s_load_dwordx2 s[22:23], s[24:25], 0x0
	s_mov_b32 s33, 0
	s_mov_b32 s94, 0
	s_waitcnt lgkmcnt(0)
	s_cmp_eq_u64 s[10:11], 0
	s_cbranch_scc1 .LBB10_6
; %bb.5:
	s_ashr_i32 s21, s20, 31
	s_lshl_b64 s[24:25], s[20:21], 2
	s_add_u32 s10, s10, s24
	s_addc_u32 s11, s11, s25
	s_load_dword s94, s[10:11], 0x0
.LBB10_6:
	s_cmp_eq_u64 s[16:17], 0
	s_cbranch_scc1 .LBB10_8
; %bb.7:
	s_ashr_i32 s21, s20, 31
	s_lshl_b64 s[10:11], s[20:21], 2
	s_add_u32 s10, s16, s10
	s_addc_u32 s11, s17, s11
	s_load_dword s33, s[10:11], 0x0
.LBB10_8:
	s_sub_i32 s29, s23, s22
	s_cmp_lt_i32 s29, 1
	s_cbranch_scc1 .LBB10_136
; %bb.9:
	s_sub_i32 s3, 0, s26
	s_mul_i32 s3, s3, s28
	s_mul_hi_u32 s3, s28, s3
	s_abs_i32 s21, s20
	s_add_i32 s28, s28, s3
	s_load_dwordx8 s[52:59], s[0:1], 0x2c
	s_load_dwordx2 s[10:11], s[0:1], 0x5c
	s_load_dwordx4 s[60:63], s[0:1], 0x4c
	s_load_dwordx4 s[64:67], s[0:1], 0x7c
	s_load_dwordx2 s[24:25], s[0:1], 0x6c
	s_load_dwordx2 s[16:17], s[0:1], 0xc8
	s_mul_hi_u32 s3, s21, s28
	s_load_dword s28, s[0:1], 0xc
	s_load_dword s23, s[0:1], 0x28
	s_ashr_i32 s0, s20, 31
	s_ashr_i32 s1, s27, 31
	s_xor_b32 s0, s0, s1
	s_mul_i32 s1, s3, s26
	s_sub_i32 s1, s21, s1
	s_add_i32 s21, s3, 1
	s_sub_i32 s27, s1, s26
	s_cmp_ge_u32 s1, s26
	s_cselect_b32 s3, s21, s3
	s_cselect_b32 s1, s27, s1
	s_add_i32 s21, s3, 1
	s_cmp_ge_u32 s1, s26
	s_cselect_b32 s1, s21, s3
	s_xor_b32 s1, s1, s0
	s_waitcnt lgkmcnt(0)
	s_mul_i32 s70, s22, s62
	s_mov_b32 s71, 0
	s_sub_i32 s3, s1, s0
	s_lshl_b64 s[0:1], s[70:71], 1
	s_add_u32 s12, s12, s0
	s_mul_i32 s70, s63, s20
	s_addc_u32 s13, s13, s1
	s_lshl_b64 s[0:1], s[70:71], 1
	s_add_u32 s62, s12, s0
	s_mul_i32 s70, s22, s10
	s_addc_u32 s63, s13, s1
	;; [unrolled: 4-line block ×10, first 2 shown]
	s_lshl_b64 s[0:1], s[70:71], 1
	s_add_u32 s57, s2, s0
	v_mbcnt_lo_u32_b32 v1, -1, 0
	s_addc_u32 s61, s3, s1
	s_add_i32 s0, s29, 0x7ff
	v_mbcnt_hi_u32_b32 v10, -1, v1
	s_lshr_b32 s12, s0, 11
	v_lshrrev_b32_e32 v1, 5, v10
	v_and_b32_e32 v1, 2, v1
	s_bitcmp1_b32 s23, 0
	v_add_u32_e32 v38, 64, v10
	v_or_b32_e32 v39, 0x80, v10
	v_add_u32_e32 v40, 0xc0, v10
	v_or_b32_e32 v41, 0x100, v10
	;; [unrolled: 2-line block ×3, first 2 shown]
	v_add_u32_e32 v44, 0x1c0, v10
	v_add_u32_e32 v1, v1, v10
	s_cselect_b64 s[64:65], -1, 0
                                        ; implicit-def: $vgpr95 : SGPR spill to VGPR lane
	s_cmp_gt_i32 s28, 0
	v_lshl_add_u32 v45, v1, 1, 0
	v_lshrrev_b32_e32 v1, 5, v38
	v_lshrrev_b32_e32 v2, 5, v39
	;; [unrolled: 1-line block ×7, first 2 shown]
	v_writelane_b32 v95, s28, 0
	s_cselect_b64 s[0:1], -1, 0
	v_and_b32_e32 v1, 6, v1
	v_and_b32_e32 v2, 6, v2
	;; [unrolled: 1-line block ×7, first 2 shown]
	v_writelane_b32 v95, s0, 1
	v_add_lshl_u32 v1, v1, v10, 1
	v_add_lshl_u32 v2, v2, v10, 1
	;; [unrolled: 1-line block ×7, first 2 shown]
	v_writelane_b32 v95, s1, 2
	s_add_i32 s0, 0, 0x420
	v_add_u32_e32 v54, s0, v1
	v_add_u32_e32 v55, s0, v2
	;; [unrolled: 1-line block ×7, first 2 shown]
	s_and_b32 s0, s29, 0x1ff
	v_writelane_b32 v95, s29, 3
	s_cmp_eq_u32 s0, 0
	s_cselect_b64 s[76:77], -1, 0
	v_writelane_b32 v95, s12, 4
	s_add_i32 s12, s12, -1
	s_mul_i32 s70, s22, s24
	v_writelane_b32 v95, s12, 5
	s_lshl_b64 s[12:13], s[70:71], 1
	v_add_u32_e32 v46, 0, v1
	v_lshrrev_b32_e32 v8, 2, v10
	v_and_b32_e32 v1, 15, v10
	s_add_u32 s21, s18, s12
	s_mul_i32 s70, s25, s20
	v_and_b32_e32 v8, 30, v8
	v_cmp_ne_u32_e64 s[0:1], 0, v1
	v_cmp_lt_u32_e64 s[2:3], 1, v1
	v_cmp_lt_u32_e64 s[4:5], 3, v1
	;; [unrolled: 1-line block ×3, first 2 shown]
	v_and_b32_e32 v1, 16, v10
	s_addc_u32 s22, s19, s13
	s_lshl_b64 s[18:19], s[70:71], 1
	v_add_u32_e32 v47, 0, v2
	v_lshl_add_u32 v8, v10, 3, v8
	v_cmp_ne_u32_e64 s[8:9], 0, v1
	v_add_u32_e32 v1, -1, v10
	v_and_b32_e32 v2, 64, v10
	s_add_u32 s18, s21, s18
	v_mov_b32_e32 v9, 0
	v_lshl_add_u32 v53, v8, 1, 0
	v_cmp_lt_i32_e32 vcc, v1, v2
	s_addc_u32 s19, s22, s19
	v_lshlrev_b32_e32 v8, 1, v10
	v_lshlrev_b32_e32 v11, 3, v0
	v_cndmask_b32_e32 v1, v1, v10, vcc
	v_lshl_add_u64 v[12:13], s[18:19], 0, v[8:9]
	s_add_i32 s18, 0, 0x848
	v_add_u32_e32 v48, 0, v3
	v_add_u32_e32 v49, 0, v4
	;; [unrolled: 1-line block ×5, first 2 shown]
	v_cmp_lt_u32_e64 s[10:11], 31, v10
	v_cmp_eq_u32_e64 s[12:13], 63, v0
	v_lshlrev_b32_e32 v61, 2, v1
	v_cmp_gt_u32_e64 s[14:15], 64, v0
	v_cmp_eq_u32_e64 s[16:17], 0, v0
	v_or_b32_e32 v66, 5, v11
	v_or_b32_e32 v67, 6, v11
	;; [unrolled: 1-line block ×3, first 2 shown]
	v_lshlrev_b32_e32 v8, 1, v10
	s_mov_b32 s99, 0x41a00000
	s_mov_b32 s40, 0x3fb8aa3b
	;; [unrolled: 1-line block ×6, first 2 shown]
	v_mov_b32_e32 v69, 0x3ecc95a3
	s_mov_b32 s45, 0x3f317218
	s_mov_b32 s67, 0x33800000
	v_writelane_b32 v95, s18, 6
	s_mov_b32 s98, 0xc2fc0000
	s_movk_i32 s74, 0x7fff
	s_mov_b32 s75, 0x5040100
	v_mov_b32_e32 v70, 0x7f800000
	v_mov_b32_e32 v14, 0x3f317218
	;; [unrolled: 1-line block ×5, first 2 shown]
	s_mov_b32 s97, 0
                                        ; implicit-def: $vgpr0
	s_branch .LBB10_11
.LBB10_10:                              ;   in Loop: Header=BB10_11 Depth=1
	s_or_b64 exec, exec, s[18:19]
	s_add_u32 s72, s72, 0x400
	s_addc_u32 s73, s73, 0
	s_add_u32 s62, s62, 0x400
	s_addc_u32 s63, s63, 0
	s_add_u32 s54, s54, 0x400
	s_addc_u32 s55, s55, 0
	s_add_u32 s58, s58, 0x400
	s_addc_u32 s59, s59, 0
	s_add_i32 s97, s97, 1
	v_readlane_b32 s18, v95, 4
	s_cmp_eq_u32 s97, s18
	s_cbranch_scc1 .LBB10_136
.LBB10_11:                              ; =>This Loop Header: Depth=1
                                        ;     Child Loop BB10_60 Depth 2
	s_lshl_b32 s78, s97, 9
	v_readlane_b32 s18, v95, 3
	s_sub_i32 s50, s18, s78
	v_lshl_add_u64 v[0:1], s[62:63], 0, v[8:9]
	v_cmp_gt_u32_e64 s[18:19], s50, v10
	s_waitcnt lgkmcnt(0)
	v_mov_b32_e32 v2, 0
	s_waitcnt lgkmcnt(0)
	; wave barrier
	s_and_saveexec_b64 s[20:21], s[18:19]
	s_cbranch_execz .LBB10_13
; %bb.12:                               ;   in Loop: Header=BB10_11 Depth=1
	global_load_ushort v2, v[0:1], off
.LBB10_13:                              ;   in Loop: Header=BB10_11 Depth=1
	s_or_b64 exec, exec, s[20:21]
	v_cmp_gt_u32_e64 s[20:21], s50, v38
	v_mov_b32_e32 v3, 0
	v_mov_b32_e32 v4, 0
	s_and_saveexec_b64 s[22:23], s[20:21]
	s_cbranch_execz .LBB10_15
; %bb.14:                               ;   in Loop: Header=BB10_11 Depth=1
	global_load_ushort v4, v[0:1], off offset:128
.LBB10_15:                              ;   in Loop: Header=BB10_11 Depth=1
	s_or_b64 exec, exec, s[22:23]
	v_cmp_gt_u32_e64 s[22:23], s50, v39
	s_and_saveexec_b64 s[24:25], s[22:23]
	s_cbranch_execz .LBB10_17
; %bb.16:                               ;   in Loop: Header=BB10_11 Depth=1
	global_load_ushort v3, v[0:1], off offset:256
.LBB10_17:                              ;   in Loop: Header=BB10_11 Depth=1
	s_or_b64 exec, exec, s[24:25]
	v_cmp_gt_u32_e64 s[24:25], s50, v40
	v_mov_b32_e32 v5, 0
	v_mov_b32_e32 v7, 0
	s_and_saveexec_b64 s[26:27], s[24:25]
	s_cbranch_execz .LBB10_19
; %bb.18:                               ;   in Loop: Header=BB10_11 Depth=1
	global_load_ushort v7, v[0:1], off offset:384
.LBB10_19:                              ;   in Loop: Header=BB10_11 Depth=1
	s_or_b64 exec, exec, s[26:27]
	v_cmp_gt_u32_e64 s[26:27], s50, v41
	s_and_saveexec_b64 s[28:29], s[26:27]
	s_cbranch_execz .LBB10_21
; %bb.20:                               ;   in Loop: Header=BB10_11 Depth=1
	global_load_ushort v5, v[0:1], off offset:512
.LBB10_21:                              ;   in Loop: Header=BB10_11 Depth=1
	;; [unrolled: 16-line block ×3, first 2 shown]
	s_or_b64 exec, exec, s[34:35]
	v_cmp_gt_u32_e64 s[34:35], s50, v44
	v_mov_b32_e32 v6, 0
	v_mov_b32_e32 v17, 0
	s_and_saveexec_b64 s[36:37], s[34:35]
	s_cbranch_execz .LBB10_27
; %bb.26:                               ;   in Loop: Header=BB10_11 Depth=1
	global_load_ushort v17, v[0:1], off offset:896
.LBB10_27:                              ;   in Loop: Header=BB10_11 Depth=1
	s_or_b64 exec, exec, s[36:37]
	s_waitcnt vmcnt(0)
	ds_write_b16 v45, v2
	ds_write_b16 v46, v4 offset:128
	ds_write_b16 v47, v3 offset:256
	ds_write_b16 v48, v7 offset:384
	ds_write_b16 v49, v5 offset:512
	ds_write_b16 v50, v16 offset:640
	ds_write_b16 v51, v15 offset:768
	ds_write_b16 v52, v17 offset:896
	; wave barrier
	ds_read_b128 v[0:3], v53
	v_lshl_add_u64 v[4:5], s[72:73], 0, v[8:9]
	s_waitcnt lgkmcnt(0)
	; wave barrier
	s_waitcnt lgkmcnt(0)
	s_and_saveexec_b64 s[36:37], s[18:19]
	s_cbranch_execz .LBB10_29
; %bb.28:                               ;   in Loop: Header=BB10_11 Depth=1
	global_load_ushort v6, v[4:5], off
.LBB10_29:                              ;   in Loop: Header=BB10_11 Depth=1
	s_or_b64 exec, exec, s[36:37]
	v_mov_b32_e32 v7, 0
	v_mov_b32_e32 v15, 0
	s_and_saveexec_b64 s[36:37], s[20:21]
	s_cbranch_execz .LBB10_31
; %bb.30:                               ;   in Loop: Header=BB10_11 Depth=1
	global_load_ushort v15, v[4:5], off offset:128
.LBB10_31:                              ;   in Loop: Header=BB10_11 Depth=1
	s_or_b64 exec, exec, s[36:37]
	s_and_saveexec_b64 s[36:37], s[22:23]
	s_cbranch_execz .LBB10_33
; %bb.32:                               ;   in Loop: Header=BB10_11 Depth=1
	global_load_ushort v7, v[4:5], off offset:256
.LBB10_33:                              ;   in Loop: Header=BB10_11 Depth=1
	s_or_b64 exec, exec, s[36:37]
	v_mov_b32_e32 v16, 0
	v_mov_b32_e32 v17, 0
	s_and_saveexec_b64 s[36:37], s[24:25]
	s_cbranch_execz .LBB10_35
; %bb.34:                               ;   in Loop: Header=BB10_11 Depth=1
	global_load_ushort v17, v[4:5], off offset:384
.LBB10_35:                              ;   in Loop: Header=BB10_11 Depth=1
	s_or_b64 exec, exec, s[36:37]
	s_and_saveexec_b64 s[36:37], s[26:27]
	s_cbranch_execz .LBB10_37
; %bb.36:                               ;   in Loop: Header=BB10_11 Depth=1
	global_load_ushort v16, v[4:5], off offset:512
.LBB10_37:                              ;   in Loop: Header=BB10_11 Depth=1
	s_or_b64 exec, exec, s[36:37]
	v_mov_b32_e32 v18, 0
	v_mov_b32_e32 v19, 0
	s_and_saveexec_b64 s[36:37], s[28:29]
	s_cbranch_execnz .LBB10_126
; %bb.38:                               ;   in Loop: Header=BB10_11 Depth=1
	s_or_b64 exec, exec, s[36:37]
	s_and_saveexec_b64 s[36:37], s[30:31]
	s_cbranch_execnz .LBB10_127
.LBB10_39:                              ;   in Loop: Header=BB10_11 Depth=1
	s_or_b64 exec, exec, s[36:37]
	v_mov_b32_e32 v20, 0
	s_and_saveexec_b64 s[36:37], s[34:35]
	s_cbranch_execz .LBB10_41
.LBB10_40:                              ;   in Loop: Header=BB10_11 Depth=1
	global_load_ushort v20, v[4:5], off offset:896
.LBB10_41:                              ;   in Loop: Header=BB10_11 Depth=1
	s_or_b64 exec, exec, s[36:37]
	s_waitcnt vmcnt(0)
	ds_write_b16 v45, v6
	ds_write_b16 v46, v15 offset:128
	ds_write_b16 v47, v7 offset:256
	;; [unrolled: 1-line block ×7, first 2 shown]
	; wave barrier
	ds_read_b128 v[4:7], v53
	s_waitcnt lgkmcnt(0)
	v_lshlrev_b32_e32 v15, 16, v4
	v_add_f32_e32 v74, s33, v15
	v_cmp_ge_f32_e32 vcc, s99, v74
	s_and_b64 s[36:37], s[64:65], vcc
	s_and_saveexec_b64 s[38:39], s[36:37]
	s_cbranch_execz .LBB10_43
; %bb.42:                               ;   in Loop: Header=BB10_11 Depth=1
	v_mul_f32_e32 v15, 0x3fb8aa3b, v74
	v_rndne_f32_e32 v16, v15
	v_sub_f32_e32 v17, v15, v16
	v_fma_f32 v15, v74, s40, -v15
	v_fmac_f32_e32 v15, 0x32a5705f, v74
	v_add_f32_e32 v15, v17, v15
	v_cvt_i32_f32_e32 v16, v16
	v_exp_f32_e32 v15, v15
	v_cmp_ngt_f32_e32 vcc, s41, v74
	v_ldexp_f32 v15, v15, v16
	s_nop 0
	v_cndmask_b32_e32 v15, 0, v15, vcc
	v_cmp_nlt_f32_e32 vcc, s42, v74
	s_nop 1
	v_cndmask_b32_e32 v32, v70, v15, vcc
	v_add_f32_e32 v15, 1.0, v32
	v_add_f32_e32 v16, -1.0, v15
	v_sub_f32_e32 v17, v16, v15
	v_add_f32_e32 v17, 1.0, v17
	v_sub_f32_e32 v16, v32, v16
	v_add_f32_e32 v18, v16, v17
	v_frexp_mant_f32_e32 v19, v15
	v_cvt_f64_f32_e32 v[16:17], v15
	v_frexp_exp_i32_f64_e32 v16, v[16:17]
	v_cmp_gt_f32_e32 vcc, s44, v19
	v_cmp_gt_f32_e64 s[36:37], s67, v32
	s_nop 0
	v_subbrev_co_u32_e32 v24, vcc, 0, v16, vcc
	v_sub_u32_e32 v16, 0, v24
	v_ldexp_f32 v15, v15, v16
	v_ldexp_f32 v16, v18, v16
	v_add_f32_e32 v18, -1.0, v15
	v_add_f32_e32 v17, 1.0, v18
	v_sub_f32_e32 v17, v15, v17
	v_add_f32_e32 v19, v16, v17
	v_add_f32_e32 v17, 1.0, v15
	v_add_f32_e32 v20, -1.0, v17
	v_sub_f32_e32 v15, v15, v20
	v_add_f32_e32 v15, v16, v15
	v_add_f32_e32 v25, v17, v15
	v_rcp_f32_e32 v26, v25
	v_sub_f32_e32 v16, v17, v25
	v_add_f32_e32 v17, v18, v19
	v_add_f32_e32 v15, v15, v16
	v_mul_f32_e32 v28, v17, v26
	v_sub_f32_e32 v16, v18, v17
	v_mul_f32_e32 v18, v25, v28
	v_fma_f32 v20, v28, v25, -v18
	v_fmac_f32_e32 v20, v28, v15
	v_add_f32_e32 v27, v19, v16
	v_add_f32_e32 v16, v18, v20
	v_sub_f32_e32 v19, v17, v16
	v_pk_add_f32 v[22:23], v[16:17], v[18:19] neg_lo:[0,1] neg_hi:[0,1]
	v_mov_b32_e32 v21, v16
	v_pk_add_f32 v[16:17], v[22:23], v[20:21] neg_lo:[0,1] neg_hi:[0,1]
	v_cmp_eq_f32_e32 vcc, s43, v32
	v_add_f32_e32 v17, v27, v17
	v_add_f32_e32 v16, v16, v17
	;; [unrolled: 1-line block ×3, first 2 shown]
	v_mul_f32_e32 v27, v26, v17
	v_mul_f32_e32 v18, v25, v27
	v_fma_f32 v20, v27, v25, -v18
	v_fmac_f32_e32 v20, v27, v15
	v_sub_f32_e32 v15, v19, v17
	v_add_f32_e32 v15, v16, v15
	v_add_f32_e32 v16, v18, v20
	v_sub_f32_e32 v19, v17, v16
	v_pk_add_f32 v[22:23], v[16:17], v[18:19] neg_lo:[0,1] neg_hi:[0,1]
	v_mov_b32_e32 v21, v16
	v_pk_add_f32 v[16:17], v[22:23], v[20:21] neg_lo:[0,1] neg_hi:[0,1]
	s_or_b64 vcc, s[36:37], vcc
	v_add_f32_e32 v15, v15, v17
	v_add_f32_e32 v15, v16, v15
	;; [unrolled: 1-line block ×4, first 2 shown]
	v_sub_f32_e32 v16, v17, v28
	v_mul_f32_e32 v15, v26, v15
	v_sub_f32_e32 v16, v27, v16
	v_add_f32_e32 v18, v16, v15
	v_add_f32_e32 v20, v17, v18
	v_cvt_f32_i32_e32 v16, v24
	v_mul_f32_e32 v21, v20, v20
	v_sub_f32_e32 v17, v20, v17
	v_fmamk_f32 v15, v21, 0x3e9b6dac, v69
	v_sub_f32_e32 v17, v18, v17
	v_fmaak_f32 v15, v21, v15, 0x3f2aaada
	v_ldexp_f32 v22, v17, 1
	v_mul_f32_e32 v17, v20, v21
	v_ldexp_f32 v19, v20, 1
	v_pk_mul_f32 v[20:21], v[16:17], v[14:15]
	s_nop 0
	v_fma_f32 v18, v16, s45, -v20
	v_fmac_f32_e32 v18, 0xb102e308, v16
	v_pk_add_f32 v[16:17], v[20:21], v[18:19]
	s_nop 0
	v_sub_f32_e32 v15, v17, v19
	v_sub_f32_e32 v15, v21, v15
	v_add_f32_e32 v23, v22, v15
	v_mov_b32_e32 v22, v20
	v_pk_add_f32 v[20:21], v[16:17], v[20:21] neg_lo:[0,1] neg_hi:[0,1]
	v_pk_add_f32 v[24:25], v[16:17], v[22:23]
	v_mov_b32_e32 v19, v16
	v_mov_b32_e32 v21, v25
	v_pk_add_f32 v[26:27], v[18:19], v[20:21] neg_lo:[0,1] neg_hi:[0,1]
	v_pk_add_f32 v[18:19], v[18:19], v[20:21]
	v_mov_b32_e32 v22, v23
	v_mov_b32_e32 v20, v19
	v_pk_add_f32 v[28:29], v[20:21], v[16:17] neg_lo:[0,1] neg_hi:[0,1]
	v_mov_b32_e32 v18, v25
	v_mov_b32_e32 v15, v28
	v_pk_add_f32 v[30:31], v[24:25], v[14:15] neg_lo:[0,1] neg_hi:[0,1]
	v_mov_b32_e32 v24, v17
	v_mov_b32_e32 v25, v28
	;; [unrolled: 1-line block ×3, first 2 shown]
	v_pk_add_f32 v[18:19], v[18:19], v[24:25] neg_lo:[0,1] neg_hi:[0,1]
	v_mov_b32_e32 v23, v16
	v_pk_add_f32 v[16:17], v[22:23], v[18:19] neg_lo:[0,1] neg_hi:[0,1]
	v_mov_b32_e32 v30, v26
	v_pk_add_f32 v[18:19], v[30:31], v[16:17]
	s_nop 0
	v_mov_b32_e32 v22, v19
	v_pk_add_f32 v[22:23], v[18:19], v[22:23]
	s_nop 0
	v_pk_add_f32 v[20:21], v[20:21], v[22:23]
	v_mov_b32_e32 v17, v22
	v_mov_b32_e32 v19, v20
	v_pk_add_f32 v[24:25], v[18:19], v[26:27] neg_lo:[0,1] neg_hi:[0,1]
	s_nop 0
	v_sub_f32_e32 v15, v18, v24
	v_pk_add_f32 v[16:17], v[16:17], v[24:25] neg_lo:[0,1] neg_hi:[0,1]
	v_sub_f32_e32 v15, v26, v15
	v_add_f32_e32 v15, v16, v15
	v_add_f32_e32 v15, v15, v17
	v_add_f32_e32 v15, v20, v15
	v_cndmask_b32_e32 v74, v15, v32, vcc
.LBB10_43:                              ;   in Loop: Header=BB10_11 Depth=1
	s_or_b64 exec, exec, s[38:39]
	v_and_b32_e32 v4, 0xffff0000, v4
	v_add_f32_e32 v75, s33, v4
	v_cmp_ge_f32_e32 vcc, s99, v75
	s_and_b64 s[36:37], s[64:65], vcc
	s_and_saveexec_b64 s[38:39], s[36:37]
	s_cbranch_execz .LBB10_45
; %bb.44:                               ;   in Loop: Header=BB10_11 Depth=1
	v_mul_f32_e32 v4, 0x3fb8aa3b, v75
	v_rndne_f32_e32 v15, v4
	v_sub_f32_e32 v16, v4, v15
	v_fma_f32 v4, v75, s40, -v4
	v_fmac_f32_e32 v4, 0x32a5705f, v75
	v_add_f32_e32 v4, v16, v4
	v_cvt_i32_f32_e32 v15, v15
	v_exp_f32_e32 v4, v4
	v_cmp_ngt_f32_e32 vcc, s41, v75
	v_ldexp_f32 v4, v4, v15
	s_nop 0
	v_cndmask_b32_e32 v4, 0, v4, vcc
	v_cmp_nlt_f32_e32 vcc, s42, v75
	s_nop 1
	v_cndmask_b32_e32 v30, v70, v4, vcc
	v_add_f32_e32 v4, 1.0, v30
	v_add_f32_e32 v15, -1.0, v4
	v_sub_f32_e32 v16, v15, v4
	v_add_f32_e32 v16, 1.0, v16
	v_sub_f32_e32 v15, v30, v15
	v_add_f32_e32 v15, v15, v16
	v_frexp_mant_f32_e32 v18, v4
	v_cvt_f64_f32_e32 v[16:17], v4
	v_frexp_exp_i32_f64_e32 v16, v[16:17]
	v_cmp_gt_f32_e32 vcc, s44, v18
	v_cmp_gt_f32_e64 s[36:37], s67, v30
	s_nop 0
	v_subbrev_co_u32_e32 v24, vcc, 0, v16, vcc
	v_sub_u32_e32 v16, 0, v24
	v_ldexp_f32 v4, v4, v16
	v_ldexp_f32 v15, v15, v16
	v_add_f32_e32 v16, -1.0, v4
	v_add_f32_e32 v17, 1.0, v16
	v_sub_f32_e32 v17, v4, v17
	v_add_f32_e32 v18, v15, v17
	v_add_f32_e32 v17, 1.0, v4
	v_add_f32_e32 v19, -1.0, v17
	v_sub_f32_e32 v4, v4, v19
	v_add_f32_e32 v4, v15, v4
	v_add_f32_e32 v15, v17, v4
	v_rcp_f32_e32 v25, v15
	v_sub_f32_e32 v17, v17, v15
	v_add_f32_e32 v4, v4, v17
	v_add_f32_e32 v17, v16, v18
	v_sub_f32_e32 v16, v16, v17
	v_mul_f32_e32 v27, v17, v25
	v_add_f32_e32 v26, v18, v16
	v_mul_f32_e32 v18, v15, v27
	v_fma_f32 v20, v27, v15, -v18
	v_fmac_f32_e32 v20, v27, v4
	v_add_f32_e32 v16, v18, v20
	v_sub_f32_e32 v19, v17, v16
	v_pk_add_f32 v[22:23], v[16:17], v[18:19] neg_lo:[0,1] neg_hi:[0,1]
	v_mov_b32_e32 v21, v16
	v_pk_add_f32 v[16:17], v[22:23], v[20:21] neg_lo:[0,1] neg_hi:[0,1]
	v_cmp_eq_f32_e32 vcc, s43, v30
	v_add_f32_e32 v17, v26, v17
	v_add_f32_e32 v16, v16, v17
	;; [unrolled: 1-line block ×3, first 2 shown]
	v_mul_f32_e32 v26, v25, v17
	v_mul_f32_e32 v18, v15, v26
	v_fma_f32 v20, v26, v15, -v18
	v_fmac_f32_e32 v20, v26, v4
	v_sub_f32_e32 v4, v19, v17
	v_add_f32_e32 v4, v16, v4
	v_add_f32_e32 v16, v18, v20
	v_sub_f32_e32 v19, v17, v16
	v_pk_add_f32 v[22:23], v[16:17], v[18:19] neg_lo:[0,1] neg_hi:[0,1]
	v_mov_b32_e32 v21, v16
	v_pk_add_f32 v[16:17], v[22:23], v[20:21] neg_lo:[0,1] neg_hi:[0,1]
	s_or_b64 vcc, s[36:37], vcc
	v_add_f32_e32 v4, v4, v17
	v_add_f32_e32 v4, v16, v4
	;; [unrolled: 1-line block ×4, first 2 shown]
	v_sub_f32_e32 v15, v17, v27
	v_mul_f32_e32 v4, v25, v4
	v_sub_f32_e32 v15, v26, v15
	v_add_f32_e32 v4, v15, v4
	v_add_f32_e32 v18, v17, v4
	v_cvt_f32_i32_e32 v16, v24
	v_mul_f32_e32 v20, v18, v18
	v_fmamk_f32 v15, v20, 0x3e9b6dac, v69
	v_sub_f32_e32 v17, v18, v17
	v_fmaak_f32 v15, v20, v15, 0x3f2aaada
	v_sub_f32_e32 v4, v4, v17
	v_mul_f32_e32 v17, v18, v20
	v_pk_mul_f32 v[20:21], v[16:17], v[14:15]
	v_ldexp_f32 v19, v18, 1
	v_fma_f32 v18, v16, s45, -v20
	v_fmac_f32_e32 v18, 0xb102e308, v16
	v_pk_add_f32 v[16:17], v[20:21], v[18:19]
	v_ldexp_f32 v4, v4, 1
	v_sub_f32_e32 v15, v17, v19
	v_sub_f32_e32 v15, v21, v15
	v_add_f32_e32 v23, v4, v15
	v_mov_b32_e32 v22, v20
	v_pk_add_f32 v[20:21], v[16:17], v[20:21] neg_lo:[0,1] neg_hi:[0,1]
	v_pk_add_f32 v[24:25], v[16:17], v[22:23]
	v_mov_b32_e32 v19, v16
	v_mov_b32_e32 v21, v25
	v_pk_add_f32 v[26:27], v[18:19], v[20:21] neg_lo:[0,1] neg_hi:[0,1]
	v_pk_add_f32 v[18:19], v[18:19], v[20:21]
	s_nop 0
	v_mov_b32_e32 v4, v19
	v_pk_add_f32 v[20:21], v[4:5], v[16:17] neg_lo:[0,1] neg_hi:[0,1]
	v_mov_b32_e32 v18, v25
	v_mov_b32_e32 v15, v20
	v_pk_add_f32 v[28:29], v[24:25], v[14:15] neg_lo:[0,1] neg_hi:[0,1]
	v_mov_b32_e32 v24, v17
	v_mov_b32_e32 v25, v20
	;; [unrolled: 1-line block ×3, first 2 shown]
	v_pk_add_f32 v[18:19], v[18:19], v[24:25] neg_lo:[0,1] neg_hi:[0,1]
	v_mov_b32_e32 v20, v23
	v_mov_b32_e32 v21, v16
	v_pk_add_f32 v[16:17], v[20:21], v[18:19] neg_lo:[0,1] neg_hi:[0,1]
	v_mov_b32_e32 v28, v26
	v_pk_add_f32 v[18:19], v[28:29], v[16:17]
	s_nop 0
	v_mov_b32_e32 v20, v19
	v_pk_add_f32 v[20:21], v[18:19], v[20:21]
	s_nop 0
	v_pk_add_f32 v[22:23], v[4:5], v[20:21]
	v_mov_b32_e32 v17, v20
	v_mov_b32_e32 v19, v22
	v_pk_add_f32 v[24:25], v[18:19], v[26:27] neg_lo:[0,1] neg_hi:[0,1]
	s_nop 0
	v_sub_f32_e32 v4, v18, v24
	v_pk_add_f32 v[16:17], v[16:17], v[24:25] neg_lo:[0,1] neg_hi:[0,1]
	v_sub_f32_e32 v4, v26, v4
	v_add_f32_e32 v4, v16, v4
	v_add_f32_e32 v4, v4, v17
	;; [unrolled: 1-line block ×3, first 2 shown]
	v_cndmask_b32_e32 v75, v4, v30, vcc
.LBB10_45:                              ;   in Loop: Header=BB10_11 Depth=1
	s_or_b64 exec, exec, s[38:39]
	v_lshlrev_b32_e32 v4, 16, v5
	v_add_f32_e32 v76, s33, v4
	v_cmp_ge_f32_e32 vcc, s99, v76
	s_and_b64 s[36:37], s[64:65], vcc
	s_and_saveexec_b64 s[38:39], s[36:37]
	s_cbranch_execz .LBB10_47
; %bb.46:                               ;   in Loop: Header=BB10_11 Depth=1
	v_mul_f32_e32 v4, 0x3fb8aa3b, v76
	v_rndne_f32_e32 v15, v4
	v_sub_f32_e32 v16, v4, v15
	v_fma_f32 v4, v76, s40, -v4
	v_fmac_f32_e32 v4, 0x32a5705f, v76
	v_add_f32_e32 v4, v16, v4
	v_cvt_i32_f32_e32 v15, v15
	v_exp_f32_e32 v4, v4
	v_cmp_ngt_f32_e32 vcc, s41, v76
	v_ldexp_f32 v4, v4, v15
	s_nop 0
	v_cndmask_b32_e32 v4, 0, v4, vcc
	v_cmp_nlt_f32_e32 vcc, s42, v76
	s_nop 1
	v_cndmask_b32_e32 v30, v70, v4, vcc
	v_add_f32_e32 v4, 1.0, v30
	v_add_f32_e32 v15, -1.0, v4
	v_sub_f32_e32 v16, v15, v4
	v_add_f32_e32 v16, 1.0, v16
	v_sub_f32_e32 v15, v30, v15
	v_add_f32_e32 v15, v15, v16
	v_frexp_mant_f32_e32 v18, v4
	v_cvt_f64_f32_e32 v[16:17], v4
	v_frexp_exp_i32_f64_e32 v16, v[16:17]
	v_cmp_gt_f32_e32 vcc, s44, v18
	v_cmp_gt_f32_e64 s[36:37], s67, v30
	s_nop 0
	v_subbrev_co_u32_e32 v24, vcc, 0, v16, vcc
	v_sub_u32_e32 v16, 0, v24
	v_ldexp_f32 v4, v4, v16
	v_ldexp_f32 v15, v15, v16
	v_add_f32_e32 v16, -1.0, v4
	v_add_f32_e32 v17, 1.0, v16
	v_sub_f32_e32 v17, v4, v17
	v_add_f32_e32 v18, v15, v17
	v_add_f32_e32 v17, 1.0, v4
	v_add_f32_e32 v19, -1.0, v17
	v_sub_f32_e32 v4, v4, v19
	v_add_f32_e32 v4, v15, v4
	v_add_f32_e32 v15, v17, v4
	v_rcp_f32_e32 v25, v15
	v_sub_f32_e32 v17, v17, v15
	v_add_f32_e32 v4, v4, v17
	v_add_f32_e32 v17, v16, v18
	v_sub_f32_e32 v16, v16, v17
	v_mul_f32_e32 v27, v17, v25
	v_add_f32_e32 v26, v18, v16
	v_mul_f32_e32 v18, v15, v27
	v_fma_f32 v20, v27, v15, -v18
	v_fmac_f32_e32 v20, v27, v4
	v_add_f32_e32 v16, v18, v20
	v_sub_f32_e32 v19, v17, v16
	v_pk_add_f32 v[22:23], v[16:17], v[18:19] neg_lo:[0,1] neg_hi:[0,1]
	v_mov_b32_e32 v21, v16
	v_pk_add_f32 v[16:17], v[22:23], v[20:21] neg_lo:[0,1] neg_hi:[0,1]
	v_cmp_eq_f32_e32 vcc, s43, v30
	v_add_f32_e32 v17, v26, v17
	v_add_f32_e32 v16, v16, v17
	;; [unrolled: 1-line block ×3, first 2 shown]
	v_mul_f32_e32 v26, v25, v17
	v_mul_f32_e32 v18, v15, v26
	v_fma_f32 v20, v26, v15, -v18
	v_fmac_f32_e32 v20, v26, v4
	v_sub_f32_e32 v4, v19, v17
	v_add_f32_e32 v4, v16, v4
	v_add_f32_e32 v16, v18, v20
	v_sub_f32_e32 v19, v17, v16
	v_pk_add_f32 v[22:23], v[16:17], v[18:19] neg_lo:[0,1] neg_hi:[0,1]
	v_mov_b32_e32 v21, v16
	v_pk_add_f32 v[16:17], v[22:23], v[20:21] neg_lo:[0,1] neg_hi:[0,1]
	s_or_b64 vcc, s[36:37], vcc
	v_add_f32_e32 v4, v4, v17
	v_add_f32_e32 v4, v16, v4
	;; [unrolled: 1-line block ×4, first 2 shown]
	v_sub_f32_e32 v15, v17, v27
	v_mul_f32_e32 v4, v25, v4
	v_sub_f32_e32 v15, v26, v15
	v_add_f32_e32 v4, v15, v4
	v_add_f32_e32 v18, v17, v4
	v_cvt_f32_i32_e32 v16, v24
	v_mul_f32_e32 v20, v18, v18
	v_fmamk_f32 v15, v20, 0x3e9b6dac, v69
	v_sub_f32_e32 v17, v18, v17
	v_fmaak_f32 v15, v20, v15, 0x3f2aaada
	v_sub_f32_e32 v4, v4, v17
	v_mul_f32_e32 v17, v18, v20
	v_pk_mul_f32 v[20:21], v[16:17], v[14:15]
	v_ldexp_f32 v19, v18, 1
	v_fma_f32 v18, v16, s45, -v20
	v_fmac_f32_e32 v18, 0xb102e308, v16
	v_pk_add_f32 v[16:17], v[20:21], v[18:19]
	v_ldexp_f32 v4, v4, 1
	v_sub_f32_e32 v15, v17, v19
	v_sub_f32_e32 v15, v21, v15
	v_add_f32_e32 v23, v4, v15
	v_mov_b32_e32 v22, v20
	v_pk_add_f32 v[20:21], v[16:17], v[20:21] neg_lo:[0,1] neg_hi:[0,1]
	v_pk_add_f32 v[24:25], v[16:17], v[22:23]
	v_mov_b32_e32 v19, v16
	v_mov_b32_e32 v21, v25
	v_pk_add_f32 v[26:27], v[18:19], v[20:21] neg_lo:[0,1] neg_hi:[0,1]
	v_pk_add_f32 v[18:19], v[18:19], v[20:21]
	s_nop 0
	v_mov_b32_e32 v4, v19
	v_pk_add_f32 v[20:21], v[4:5], v[16:17] neg_lo:[0,1] neg_hi:[0,1]
	v_mov_b32_e32 v18, v25
	v_mov_b32_e32 v15, v20
	v_pk_add_f32 v[28:29], v[24:25], v[14:15] neg_lo:[0,1] neg_hi:[0,1]
	v_mov_b32_e32 v24, v17
	v_mov_b32_e32 v25, v20
	;; [unrolled: 1-line block ×3, first 2 shown]
	v_pk_add_f32 v[18:19], v[18:19], v[24:25] neg_lo:[0,1] neg_hi:[0,1]
	v_mov_b32_e32 v20, v23
	v_mov_b32_e32 v21, v16
	v_pk_add_f32 v[16:17], v[20:21], v[18:19] neg_lo:[0,1] neg_hi:[0,1]
	v_mov_b32_e32 v28, v26
	v_pk_add_f32 v[18:19], v[28:29], v[16:17]
	s_nop 0
	v_mov_b32_e32 v20, v19
	v_pk_add_f32 v[20:21], v[18:19], v[20:21]
	s_nop 0
	v_pk_add_f32 v[22:23], v[4:5], v[20:21]
	v_mov_b32_e32 v17, v20
	v_mov_b32_e32 v19, v22
	v_pk_add_f32 v[24:25], v[18:19], v[26:27] neg_lo:[0,1] neg_hi:[0,1]
	s_nop 0
	v_sub_f32_e32 v4, v18, v24
	v_pk_add_f32 v[16:17], v[16:17], v[24:25] neg_lo:[0,1] neg_hi:[0,1]
	v_sub_f32_e32 v4, v26, v4
	v_add_f32_e32 v4, v16, v4
	v_add_f32_e32 v4, v4, v17
	v_add_f32_e32 v4, v22, v4
	v_cndmask_b32_e32 v76, v4, v30, vcc
.LBB10_47:                              ;   in Loop: Header=BB10_11 Depth=1
	s_or_b64 exec, exec, s[38:39]
	v_and_b32_e32 v4, 0xffff0000, v5
	v_add_f32_e32 v77, s33, v4
	v_cmp_ge_f32_e32 vcc, s99, v77
	s_and_b64 s[36:37], s[64:65], vcc
	s_and_saveexec_b64 s[38:39], s[36:37]
	s_cbranch_execz .LBB10_49
; %bb.48:                               ;   in Loop: Header=BB10_11 Depth=1
	v_mul_f32_e32 v4, 0x3fb8aa3b, v77
	v_rndne_f32_e32 v5, v4
	v_sub_f32_e32 v15, v4, v5
	v_fma_f32 v4, v77, s40, -v4
	v_fmac_f32_e32 v4, 0x32a5705f, v77
	v_add_f32_e32 v4, v15, v4
	v_cvt_i32_f32_e32 v5, v5
	v_exp_f32_e32 v4, v4
	v_cmp_ngt_f32_e32 vcc, s41, v77
	v_ldexp_f32 v4, v4, v5
	s_nop 0
	v_cndmask_b32_e32 v4, 0, v4, vcc
	v_cmp_nlt_f32_e32 vcc, s42, v77
	s_nop 1
	v_cndmask_b32_e32 v30, v70, v4, vcc
	v_add_f32_e32 v15, 1.0, v30
	v_add_f32_e32 v4, -1.0, v15
	v_sub_f32_e32 v5, v4, v15
	v_add_f32_e32 v5, 1.0, v5
	v_sub_f32_e32 v4, v30, v4
	v_add_f32_e32 v16, v4, v5
	v_frexp_mant_f32_e32 v17, v15
	v_cvt_f64_f32_e32 v[4:5], v15
	v_frexp_exp_i32_f64_e32 v4, v[4:5]
	v_cmp_gt_f32_e32 vcc, s44, v17
	v_cmp_gt_f32_e64 s[36:37], s67, v30
	s_nop 0
	v_subbrev_co_u32_e32 v22, vcc, 0, v4, vcc
	v_sub_u32_e32 v4, 0, v22
	v_ldexp_f32 v5, v15, v4
	v_add_f32_e32 v15, -1.0, v5
	v_add_f32_e32 v17, 1.0, v5
	v_ldexp_f32 v4, v16, v4
	v_add_f32_e32 v16, 1.0, v15
	v_add_f32_e32 v18, -1.0, v17
	v_sub_f32_e32 v16, v5, v16
	v_sub_f32_e32 v5, v5, v18
	v_add_f32_e32 v16, v4, v16
	v_add_f32_e32 v4, v4, v5
	;; [unrolled: 1-line block ×3, first 2 shown]
	v_rcp_f32_e32 v25, v23
	v_sub_f32_e32 v5, v17, v23
	v_add_f32_e32 v24, v4, v5
	v_add_f32_e32 v5, v15, v16
	v_sub_f32_e32 v4, v15, v5
	v_mul_f32_e32 v26, v5, v25
	v_add_f32_e32 v15, v16, v4
	v_mul_f32_e32 v16, v23, v26
	v_fma_f32 v18, v26, v23, -v16
	v_fmac_f32_e32 v18, v26, v24
	v_add_f32_e32 v4, v16, v18
	v_sub_f32_e32 v17, v5, v4
	v_pk_add_f32 v[20:21], v[4:5], v[16:17] neg_lo:[0,1] neg_hi:[0,1]
	v_mov_b32_e32 v19, v4
	v_pk_add_f32 v[4:5], v[20:21], v[18:19] neg_lo:[0,1] neg_hi:[0,1]
	v_cmp_eq_f32_e32 vcc, s43, v30
	v_add_f32_e32 v5, v15, v5
	v_add_f32_e32 v4, v4, v5
	;; [unrolled: 1-line block ×3, first 2 shown]
	v_mul_f32_e32 v15, v25, v5
	v_mul_f32_e32 v16, v23, v15
	v_fma_f32 v18, v15, v23, -v16
	v_fmac_f32_e32 v18, v15, v24
	v_sub_f32_e32 v17, v17, v5
	v_add_f32_e32 v23, v4, v17
	v_add_f32_e32 v4, v16, v18
	v_sub_f32_e32 v17, v5, v4
	v_pk_add_f32 v[20:21], v[4:5], v[16:17] neg_lo:[0,1] neg_hi:[0,1]
	v_mov_b32_e32 v19, v4
	v_pk_add_f32 v[4:5], v[20:21], v[18:19] neg_lo:[0,1] neg_hi:[0,1]
	s_or_b64 vcc, s[36:37], vcc
	v_add_f32_e32 v5, v23, v5
	v_add_f32_e32 v4, v4, v5
	;; [unrolled: 1-line block ×4, first 2 shown]
	v_sub_f32_e32 v16, v5, v26
	v_mul_f32_e32 v4, v25, v4
	v_sub_f32_e32 v15, v15, v16
	v_add_f32_e32 v16, v15, v4
	v_add_f32_e32 v18, v5, v16
	v_mul_f32_e32 v19, v18, v18
	v_fmamk_f32 v4, v19, 0x3e9b6dac, v69
	v_fmaak_f32 v15, v19, v4, 0x3f2aaada
	v_cvt_f32_i32_e32 v4, v22
	v_sub_f32_e32 v5, v18, v5
	v_sub_f32_e32 v5, v16, v5
	v_ldexp_f32 v20, v5, 1
	v_mul_f32_e32 v5, v18, v19
	v_ldexp_f32 v17, v18, 1
	v_pk_mul_f32 v[18:19], v[4:5], v[14:15]
	s_nop 0
	v_fma_f32 v16, v4, s45, -v18
	v_fmac_f32_e32 v16, 0xb102e308, v4
	v_pk_add_f32 v[4:5], v[18:19], v[16:17]
	s_nop 0
	v_sub_f32_e32 v15, v5, v17
	v_sub_f32_e32 v15, v19, v15
	v_add_f32_e32 v21, v20, v15
	v_mov_b32_e32 v20, v18
	v_pk_add_f32 v[18:19], v[4:5], v[18:19] neg_lo:[0,1] neg_hi:[0,1]
	v_pk_add_f32 v[22:23], v[4:5], v[20:21]
	v_mov_b32_e32 v17, v4
	v_mov_b32_e32 v19, v23
	v_pk_add_f32 v[24:25], v[16:17], v[18:19] neg_lo:[0,1] neg_hi:[0,1]
	v_pk_add_f32 v[16:17], v[16:17], v[18:19]
	v_mov_b32_e32 v20, v21
	v_mov_b32_e32 v18, v17
	v_pk_add_f32 v[26:27], v[18:19], v[4:5] neg_lo:[0,1] neg_hi:[0,1]
	v_mov_b32_e32 v16, v23
	v_mov_b32_e32 v15, v26
	v_pk_add_f32 v[28:29], v[22:23], v[14:15] neg_lo:[0,1] neg_hi:[0,1]
	v_mov_b32_e32 v22, v5
	v_mov_b32_e32 v23, v26
	;; [unrolled: 1-line block ×3, first 2 shown]
	v_pk_add_f32 v[16:17], v[16:17], v[22:23] neg_lo:[0,1] neg_hi:[0,1]
	v_mov_b32_e32 v21, v4
	v_pk_add_f32 v[4:5], v[20:21], v[16:17] neg_lo:[0,1] neg_hi:[0,1]
	v_mov_b32_e32 v28, v24
	v_pk_add_f32 v[16:17], v[28:29], v[4:5]
	s_nop 0
	v_mov_b32_e32 v20, v17
	v_pk_add_f32 v[20:21], v[16:17], v[20:21]
	s_nop 0
	v_pk_add_f32 v[18:19], v[18:19], v[20:21]
	v_mov_b32_e32 v5, v20
	v_mov_b32_e32 v17, v18
	v_pk_add_f32 v[22:23], v[16:17], v[24:25] neg_lo:[0,1] neg_hi:[0,1]
	s_nop 0
	v_sub_f32_e32 v15, v16, v22
	v_pk_add_f32 v[4:5], v[4:5], v[22:23] neg_lo:[0,1] neg_hi:[0,1]
	v_sub_f32_e32 v15, v24, v15
	v_add_f32_e32 v4, v4, v15
	v_add_f32_e32 v4, v4, v5
	;; [unrolled: 1-line block ×3, first 2 shown]
	v_cndmask_b32_e32 v77, v4, v30, vcc
.LBB10_49:                              ;   in Loop: Header=BB10_11 Depth=1
	s_or_b64 exec, exec, s[38:39]
	v_lshlrev_b32_e32 v4, 16, v6
	v_add_f32_e32 v78, s33, v4
	v_cmp_ge_f32_e32 vcc, s99, v78
	s_and_b64 s[36:37], s[64:65], vcc
	s_and_saveexec_b64 s[38:39], s[36:37]
	s_cbranch_execz .LBB10_51
; %bb.50:                               ;   in Loop: Header=BB10_11 Depth=1
	v_mul_f32_e32 v4, 0x3fb8aa3b, v78
	v_rndne_f32_e32 v5, v4
	v_sub_f32_e32 v15, v4, v5
	v_fma_f32 v4, v78, s40, -v4
	v_fmac_f32_e32 v4, 0x32a5705f, v78
	v_add_f32_e32 v4, v15, v4
	v_cvt_i32_f32_e32 v5, v5
	v_exp_f32_e32 v4, v4
	v_cmp_ngt_f32_e32 vcc, s41, v78
	v_ldexp_f32 v4, v4, v5
	s_nop 0
	v_cndmask_b32_e32 v4, 0, v4, vcc
	v_cmp_nlt_f32_e32 vcc, s42, v78
	s_nop 1
	v_cndmask_b32_e32 v30, v70, v4, vcc
	v_add_f32_e32 v15, 1.0, v30
	v_add_f32_e32 v4, -1.0, v15
	v_sub_f32_e32 v5, v4, v15
	v_add_f32_e32 v5, 1.0, v5
	v_sub_f32_e32 v4, v30, v4
	v_add_f32_e32 v16, v4, v5
	v_frexp_mant_f32_e32 v17, v15
	v_cvt_f64_f32_e32 v[4:5], v15
	v_frexp_exp_i32_f64_e32 v4, v[4:5]
	v_cmp_gt_f32_e32 vcc, s44, v17
	v_cmp_gt_f32_e64 s[36:37], s67, v30
	s_nop 0
	v_subbrev_co_u32_e32 v22, vcc, 0, v4, vcc
	v_sub_u32_e32 v4, 0, v22
	v_ldexp_f32 v5, v15, v4
	v_add_f32_e32 v15, -1.0, v5
	v_add_f32_e32 v17, 1.0, v5
	v_ldexp_f32 v4, v16, v4
	v_add_f32_e32 v16, 1.0, v15
	v_add_f32_e32 v18, -1.0, v17
	v_sub_f32_e32 v16, v5, v16
	v_sub_f32_e32 v5, v5, v18
	v_add_f32_e32 v16, v4, v16
	v_add_f32_e32 v4, v4, v5
	;; [unrolled: 1-line block ×3, first 2 shown]
	v_rcp_f32_e32 v25, v23
	v_sub_f32_e32 v5, v17, v23
	v_add_f32_e32 v24, v4, v5
	v_add_f32_e32 v5, v15, v16
	v_sub_f32_e32 v4, v15, v5
	v_mul_f32_e32 v26, v5, v25
	v_add_f32_e32 v15, v16, v4
	v_mul_f32_e32 v16, v23, v26
	v_fma_f32 v18, v26, v23, -v16
	v_fmac_f32_e32 v18, v26, v24
	v_add_f32_e32 v4, v16, v18
	v_sub_f32_e32 v17, v5, v4
	v_pk_add_f32 v[20:21], v[4:5], v[16:17] neg_lo:[0,1] neg_hi:[0,1]
	v_mov_b32_e32 v19, v4
	v_pk_add_f32 v[4:5], v[20:21], v[18:19] neg_lo:[0,1] neg_hi:[0,1]
	v_cmp_eq_f32_e32 vcc, s43, v30
	v_add_f32_e32 v5, v15, v5
	v_add_f32_e32 v4, v4, v5
	;; [unrolled: 1-line block ×3, first 2 shown]
	v_mul_f32_e32 v15, v25, v5
	v_mul_f32_e32 v16, v23, v15
	v_fma_f32 v18, v15, v23, -v16
	v_fmac_f32_e32 v18, v15, v24
	v_sub_f32_e32 v17, v17, v5
	v_add_f32_e32 v23, v4, v17
	v_add_f32_e32 v4, v16, v18
	v_sub_f32_e32 v17, v5, v4
	v_pk_add_f32 v[20:21], v[4:5], v[16:17] neg_lo:[0,1] neg_hi:[0,1]
	v_mov_b32_e32 v19, v4
	v_pk_add_f32 v[4:5], v[20:21], v[18:19] neg_lo:[0,1] neg_hi:[0,1]
	s_or_b64 vcc, s[36:37], vcc
	v_add_f32_e32 v5, v23, v5
	v_add_f32_e32 v4, v4, v5
	;; [unrolled: 1-line block ×4, first 2 shown]
	v_sub_f32_e32 v16, v5, v26
	v_mul_f32_e32 v4, v25, v4
	v_sub_f32_e32 v15, v15, v16
	v_add_f32_e32 v16, v15, v4
	v_add_f32_e32 v18, v5, v16
	v_mul_f32_e32 v19, v18, v18
	v_fmamk_f32 v4, v19, 0x3e9b6dac, v69
	v_fmaak_f32 v15, v19, v4, 0x3f2aaada
	v_cvt_f32_i32_e32 v4, v22
	v_sub_f32_e32 v5, v18, v5
	v_sub_f32_e32 v5, v16, v5
	v_ldexp_f32 v20, v5, 1
	v_mul_f32_e32 v5, v18, v19
	v_ldexp_f32 v17, v18, 1
	v_pk_mul_f32 v[18:19], v[4:5], v[14:15]
	s_nop 0
	v_fma_f32 v16, v4, s45, -v18
	v_fmac_f32_e32 v16, 0xb102e308, v4
	v_pk_add_f32 v[4:5], v[18:19], v[16:17]
	s_nop 0
	v_sub_f32_e32 v15, v5, v17
	v_sub_f32_e32 v15, v19, v15
	v_add_f32_e32 v21, v20, v15
	v_mov_b32_e32 v20, v18
	v_pk_add_f32 v[18:19], v[4:5], v[18:19] neg_lo:[0,1] neg_hi:[0,1]
	v_pk_add_f32 v[22:23], v[4:5], v[20:21]
	v_mov_b32_e32 v17, v4
	v_mov_b32_e32 v19, v23
	v_pk_add_f32 v[24:25], v[16:17], v[18:19] neg_lo:[0,1] neg_hi:[0,1]
	v_pk_add_f32 v[16:17], v[16:17], v[18:19]
	v_mov_b32_e32 v20, v21
	v_mov_b32_e32 v18, v17
	v_pk_add_f32 v[26:27], v[18:19], v[4:5] neg_lo:[0,1] neg_hi:[0,1]
	v_mov_b32_e32 v16, v23
	v_mov_b32_e32 v15, v26
	v_pk_add_f32 v[28:29], v[22:23], v[14:15] neg_lo:[0,1] neg_hi:[0,1]
	v_mov_b32_e32 v22, v5
	v_mov_b32_e32 v23, v26
	;; [unrolled: 1-line block ×3, first 2 shown]
	v_pk_add_f32 v[16:17], v[16:17], v[22:23] neg_lo:[0,1] neg_hi:[0,1]
	v_mov_b32_e32 v21, v4
	v_pk_add_f32 v[4:5], v[20:21], v[16:17] neg_lo:[0,1] neg_hi:[0,1]
	v_mov_b32_e32 v28, v24
	v_pk_add_f32 v[16:17], v[28:29], v[4:5]
	s_nop 0
	v_mov_b32_e32 v20, v17
	v_pk_add_f32 v[20:21], v[16:17], v[20:21]
	s_nop 0
	v_pk_add_f32 v[18:19], v[18:19], v[20:21]
	v_mov_b32_e32 v5, v20
	v_mov_b32_e32 v17, v18
	v_pk_add_f32 v[22:23], v[16:17], v[24:25] neg_lo:[0,1] neg_hi:[0,1]
	s_nop 0
	v_sub_f32_e32 v15, v16, v22
	v_pk_add_f32 v[4:5], v[4:5], v[22:23] neg_lo:[0,1] neg_hi:[0,1]
	v_sub_f32_e32 v15, v24, v15
	v_add_f32_e32 v4, v4, v15
	v_add_f32_e32 v4, v4, v5
	;; [unrolled: 1-line block ×3, first 2 shown]
	v_cndmask_b32_e32 v78, v4, v30, vcc
.LBB10_51:                              ;   in Loop: Header=BB10_11 Depth=1
	s_or_b64 exec, exec, s[38:39]
	v_and_b32_e32 v4, 0xffff0000, v6
	v_add_f32_e32 v79, s33, v4
	v_cmp_ge_f32_e32 vcc, s99, v79
	s_and_b64 s[36:37], s[64:65], vcc
	s_and_saveexec_b64 s[38:39], s[36:37]
	s_cbranch_execz .LBB10_53
; %bb.52:                               ;   in Loop: Header=BB10_11 Depth=1
	v_mul_f32_e32 v4, 0x3fb8aa3b, v79
	v_rndne_f32_e32 v5, v4
	v_sub_f32_e32 v6, v4, v5
	v_fma_f32 v4, v79, s40, -v4
	v_fmac_f32_e32 v4, 0x32a5705f, v79
	v_add_f32_e32 v4, v6, v4
	v_cvt_i32_f32_e32 v5, v5
	v_exp_f32_e32 v4, v4
	v_cmp_ngt_f32_e32 vcc, s41, v79
	v_ldexp_f32 v4, v4, v5
	s_nop 0
	v_cndmask_b32_e32 v4, 0, v4, vcc
	v_cmp_nlt_f32_e32 vcc, s42, v79
	s_nop 1
	v_cndmask_b32_e32 v28, v70, v4, vcc
	v_add_f32_e32 v6, 1.0, v28
	v_add_f32_e32 v4, -1.0, v6
	v_sub_f32_e32 v5, v4, v6
	v_add_f32_e32 v5, 1.0, v5
	v_sub_f32_e32 v4, v28, v4
	v_add_f32_e32 v15, v4, v5
	v_frexp_mant_f32_e32 v16, v6
	v_cvt_f64_f32_e32 v[4:5], v6
	v_frexp_exp_i32_f64_e32 v4, v[4:5]
	v_cmp_gt_f32_e32 vcc, s44, v16
	v_cmp_gt_f32_e64 s[36:37], s67, v28
	s_nop 0
	v_subbrev_co_u32_e32 v22, vcc, 0, v4, vcc
	v_sub_u32_e32 v4, 0, v22
	v_ldexp_f32 v5, v6, v4
	v_add_f32_e32 v6, -1.0, v5
	v_add_f32_e32 v16, 1.0, v5
	v_ldexp_f32 v4, v15, v4
	v_add_f32_e32 v15, 1.0, v6
	v_add_f32_e32 v17, -1.0, v16
	v_sub_f32_e32 v15, v5, v15
	v_sub_f32_e32 v5, v5, v17
	v_add_f32_e32 v15, v4, v15
	v_add_f32_e32 v4, v4, v5
	;; [unrolled: 1-line block ×3, first 2 shown]
	v_rcp_f32_e32 v25, v23
	v_sub_f32_e32 v5, v16, v23
	v_add_f32_e32 v24, v4, v5
	v_add_f32_e32 v5, v6, v15
	v_sub_f32_e32 v4, v6, v5
	v_add_f32_e32 v6, v15, v4
	v_mul_f32_e32 v15, v5, v25
	v_mul_f32_e32 v16, v23, v15
	v_fma_f32 v18, v15, v23, -v16
	v_fmac_f32_e32 v18, v15, v24
	v_add_f32_e32 v4, v16, v18
	v_sub_f32_e32 v17, v5, v4
	v_pk_add_f32 v[20:21], v[4:5], v[16:17] neg_lo:[0,1] neg_hi:[0,1]
	v_mov_b32_e32 v19, v4
	v_pk_add_f32 v[4:5], v[20:21], v[18:19] neg_lo:[0,1] neg_hi:[0,1]
	v_cmp_eq_f32_e32 vcc, s43, v28
	v_add_f32_e32 v5, v6, v5
	v_add_f32_e32 v4, v4, v5
	;; [unrolled: 1-line block ×3, first 2 shown]
	v_mul_f32_e32 v6, v25, v5
	v_mul_f32_e32 v16, v23, v6
	v_fma_f32 v18, v6, v23, -v16
	v_fmac_f32_e32 v18, v6, v24
	v_sub_f32_e32 v17, v17, v5
	v_add_f32_e32 v23, v4, v17
	v_add_f32_e32 v4, v16, v18
	v_sub_f32_e32 v17, v5, v4
	v_pk_add_f32 v[20:21], v[4:5], v[16:17] neg_lo:[0,1] neg_hi:[0,1]
	v_mov_b32_e32 v19, v4
	v_pk_add_f32 v[4:5], v[20:21], v[18:19] neg_lo:[0,1] neg_hi:[0,1]
	s_or_b64 vcc, s[36:37], vcc
	v_add_f32_e32 v5, v23, v5
	v_add_f32_e32 v4, v4, v5
	;; [unrolled: 1-line block ×4, first 2 shown]
	v_sub_f32_e32 v15, v5, v15
	v_mul_f32_e32 v4, v25, v4
	v_sub_f32_e32 v6, v6, v15
	v_add_f32_e32 v6, v6, v4
	v_add_f32_e32 v16, v5, v6
	v_mul_f32_e32 v18, v16, v16
	v_fmamk_f32 v4, v18, 0x3e9b6dac, v69
	v_fmaak_f32 v15, v18, v4, 0x3f2aaada
	v_cvt_f32_i32_e32 v4, v22
	v_sub_f32_e32 v5, v16, v5
	v_sub_f32_e32 v5, v6, v5
	v_ldexp_f32 v6, v5, 1
	v_mul_f32_e32 v5, v16, v18
	v_pk_mul_f32 v[18:19], v[4:5], v[14:15]
	v_ldexp_f32 v17, v16, 1
	v_fma_f32 v16, v4, s45, -v18
	v_fmac_f32_e32 v16, 0xb102e308, v4
	v_pk_add_f32 v[4:5], v[18:19], v[16:17]
	v_mov_b32_e32 v20, v18
	v_sub_f32_e32 v15, v5, v17
	v_sub_f32_e32 v15, v19, v15
	v_add_f32_e32 v21, v6, v15
	v_pk_add_f32 v[18:19], v[4:5], v[18:19] neg_lo:[0,1] neg_hi:[0,1]
	v_pk_add_f32 v[22:23], v[4:5], v[20:21]
	v_mov_b32_e32 v17, v4
	v_mov_b32_e32 v19, v23
	v_pk_add_f32 v[24:25], v[16:17], v[18:19] neg_lo:[0,1] neg_hi:[0,1]
	v_pk_add_f32 v[16:17], v[16:17], v[18:19]
	s_nop 0
	v_mov_b32_e32 v6, v17
	v_pk_add_f32 v[18:19], v[6:7], v[4:5] neg_lo:[0,1] neg_hi:[0,1]
	v_mov_b32_e32 v16, v23
	v_mov_b32_e32 v15, v18
	v_pk_add_f32 v[26:27], v[22:23], v[14:15] neg_lo:[0,1] neg_hi:[0,1]
	v_mov_b32_e32 v22, v5
	v_mov_b32_e32 v23, v18
	;; [unrolled: 1-line block ×3, first 2 shown]
	v_pk_add_f32 v[16:17], v[16:17], v[22:23] neg_lo:[0,1] neg_hi:[0,1]
	v_mov_b32_e32 v18, v21
	v_mov_b32_e32 v19, v4
	v_pk_add_f32 v[4:5], v[18:19], v[16:17] neg_lo:[0,1] neg_hi:[0,1]
	v_mov_b32_e32 v26, v24
	v_pk_add_f32 v[16:17], v[26:27], v[4:5]
	s_nop 0
	v_mov_b32_e32 v18, v17
	v_pk_add_f32 v[18:19], v[16:17], v[18:19]
	s_nop 0
	v_pk_add_f32 v[20:21], v[6:7], v[18:19]
	v_mov_b32_e32 v5, v18
	v_mov_b32_e32 v17, v20
	v_pk_add_f32 v[22:23], v[16:17], v[24:25] neg_lo:[0,1] neg_hi:[0,1]
	s_nop 0
	v_sub_f32_e32 v6, v16, v22
	v_pk_add_f32 v[4:5], v[4:5], v[22:23] neg_lo:[0,1] neg_hi:[0,1]
	v_sub_f32_e32 v6, v24, v6
	v_add_f32_e32 v4, v4, v6
	v_add_f32_e32 v4, v4, v5
	;; [unrolled: 1-line block ×3, first 2 shown]
	v_cndmask_b32_e32 v79, v4, v28, vcc
.LBB10_53:                              ;   in Loop: Header=BB10_11 Depth=1
	s_or_b64 exec, exec, s[38:39]
	v_lshlrev_b32_e32 v4, 16, v7
	v_add_f32_e32 v80, s33, v4
	v_cmp_ge_f32_e32 vcc, s99, v80
	s_and_b64 s[36:37], s[64:65], vcc
	s_and_saveexec_b64 s[38:39], s[36:37]
	s_cbranch_execz .LBB10_55
; %bb.54:                               ;   in Loop: Header=BB10_11 Depth=1
	v_mul_f32_e32 v4, 0x3fb8aa3b, v80
	v_rndne_f32_e32 v5, v4
	v_sub_f32_e32 v6, v4, v5
	v_fma_f32 v4, v80, s40, -v4
	v_fmac_f32_e32 v4, 0x32a5705f, v80
	v_add_f32_e32 v4, v6, v4
	v_cvt_i32_f32_e32 v5, v5
	v_exp_f32_e32 v4, v4
	v_cmp_ngt_f32_e32 vcc, s41, v80
	v_ldexp_f32 v4, v4, v5
	s_nop 0
	v_cndmask_b32_e32 v4, 0, v4, vcc
	v_cmp_nlt_f32_e32 vcc, s42, v80
	s_nop 1
	v_cndmask_b32_e32 v28, v70, v4, vcc
	v_add_f32_e32 v6, 1.0, v28
	v_add_f32_e32 v4, -1.0, v6
	v_sub_f32_e32 v5, v4, v6
	v_add_f32_e32 v5, 1.0, v5
	v_sub_f32_e32 v4, v28, v4
	v_add_f32_e32 v15, v4, v5
	v_frexp_mant_f32_e32 v16, v6
	v_cvt_f64_f32_e32 v[4:5], v6
	v_frexp_exp_i32_f64_e32 v4, v[4:5]
	v_cmp_gt_f32_e32 vcc, s44, v16
	v_cmp_gt_f32_e64 s[36:37], s67, v28
	s_nop 0
	v_subbrev_co_u32_e32 v22, vcc, 0, v4, vcc
	v_sub_u32_e32 v4, 0, v22
	v_ldexp_f32 v5, v6, v4
	v_add_f32_e32 v6, -1.0, v5
	v_add_f32_e32 v16, 1.0, v5
	v_ldexp_f32 v4, v15, v4
	v_add_f32_e32 v15, 1.0, v6
	v_add_f32_e32 v17, -1.0, v16
	v_sub_f32_e32 v15, v5, v15
	v_sub_f32_e32 v5, v5, v17
	v_add_f32_e32 v15, v4, v15
	v_add_f32_e32 v4, v4, v5
	;; [unrolled: 1-line block ×3, first 2 shown]
	v_rcp_f32_e32 v25, v23
	v_sub_f32_e32 v5, v16, v23
	v_add_f32_e32 v24, v4, v5
	v_add_f32_e32 v5, v6, v15
	v_sub_f32_e32 v4, v6, v5
	v_add_f32_e32 v6, v15, v4
	v_mul_f32_e32 v15, v5, v25
	v_mul_f32_e32 v16, v23, v15
	v_fma_f32 v18, v15, v23, -v16
	v_fmac_f32_e32 v18, v15, v24
	v_add_f32_e32 v4, v16, v18
	v_sub_f32_e32 v17, v5, v4
	v_pk_add_f32 v[20:21], v[4:5], v[16:17] neg_lo:[0,1] neg_hi:[0,1]
	v_mov_b32_e32 v19, v4
	v_pk_add_f32 v[4:5], v[20:21], v[18:19] neg_lo:[0,1] neg_hi:[0,1]
	v_cmp_eq_f32_e32 vcc, s43, v28
	v_add_f32_e32 v5, v6, v5
	v_add_f32_e32 v4, v4, v5
	;; [unrolled: 1-line block ×3, first 2 shown]
	v_mul_f32_e32 v6, v25, v5
	v_mul_f32_e32 v16, v23, v6
	v_fma_f32 v18, v6, v23, -v16
	v_fmac_f32_e32 v18, v6, v24
	v_sub_f32_e32 v17, v17, v5
	v_add_f32_e32 v23, v4, v17
	v_add_f32_e32 v4, v16, v18
	v_sub_f32_e32 v17, v5, v4
	v_pk_add_f32 v[20:21], v[4:5], v[16:17] neg_lo:[0,1] neg_hi:[0,1]
	v_mov_b32_e32 v19, v4
	v_pk_add_f32 v[4:5], v[20:21], v[18:19] neg_lo:[0,1] neg_hi:[0,1]
	s_or_b64 vcc, s[36:37], vcc
	v_add_f32_e32 v5, v23, v5
	v_add_f32_e32 v4, v4, v5
	;; [unrolled: 1-line block ×4, first 2 shown]
	v_sub_f32_e32 v15, v5, v15
	v_mul_f32_e32 v4, v25, v4
	v_sub_f32_e32 v6, v6, v15
	v_add_f32_e32 v6, v6, v4
	v_add_f32_e32 v16, v5, v6
	v_mul_f32_e32 v18, v16, v16
	v_fmamk_f32 v4, v18, 0x3e9b6dac, v69
	v_fmaak_f32 v15, v18, v4, 0x3f2aaada
	v_cvt_f32_i32_e32 v4, v22
	v_sub_f32_e32 v5, v16, v5
	v_sub_f32_e32 v5, v6, v5
	v_ldexp_f32 v6, v5, 1
	v_mul_f32_e32 v5, v16, v18
	v_pk_mul_f32 v[18:19], v[4:5], v[14:15]
	v_ldexp_f32 v17, v16, 1
	v_fma_f32 v16, v4, s45, -v18
	v_fmac_f32_e32 v16, 0xb102e308, v4
	v_pk_add_f32 v[4:5], v[18:19], v[16:17]
	v_mov_b32_e32 v20, v18
	v_sub_f32_e32 v15, v5, v17
	v_sub_f32_e32 v15, v19, v15
	v_add_f32_e32 v21, v6, v15
	v_pk_add_f32 v[18:19], v[4:5], v[18:19] neg_lo:[0,1] neg_hi:[0,1]
	v_pk_add_f32 v[22:23], v[4:5], v[20:21]
	v_mov_b32_e32 v17, v4
	v_mov_b32_e32 v19, v23
	v_pk_add_f32 v[24:25], v[16:17], v[18:19] neg_lo:[0,1] neg_hi:[0,1]
	v_pk_add_f32 v[16:17], v[16:17], v[18:19]
	s_nop 0
	v_mov_b32_e32 v6, v17
	v_pk_add_f32 v[18:19], v[6:7], v[4:5] neg_lo:[0,1] neg_hi:[0,1]
	v_mov_b32_e32 v16, v23
	v_mov_b32_e32 v15, v18
	v_pk_add_f32 v[26:27], v[22:23], v[14:15] neg_lo:[0,1] neg_hi:[0,1]
	v_mov_b32_e32 v22, v5
	v_mov_b32_e32 v23, v18
	;; [unrolled: 1-line block ×3, first 2 shown]
	v_pk_add_f32 v[16:17], v[16:17], v[22:23] neg_lo:[0,1] neg_hi:[0,1]
	v_mov_b32_e32 v18, v21
	v_mov_b32_e32 v19, v4
	v_pk_add_f32 v[4:5], v[18:19], v[16:17] neg_lo:[0,1] neg_hi:[0,1]
	v_mov_b32_e32 v26, v24
	v_pk_add_f32 v[16:17], v[26:27], v[4:5]
	s_nop 0
	v_mov_b32_e32 v18, v17
	v_pk_add_f32 v[18:19], v[16:17], v[18:19]
	s_nop 0
	v_pk_add_f32 v[20:21], v[6:7], v[18:19]
	v_mov_b32_e32 v5, v18
	v_mov_b32_e32 v17, v20
	v_pk_add_f32 v[22:23], v[16:17], v[24:25] neg_lo:[0,1] neg_hi:[0,1]
	s_nop 0
	v_sub_f32_e32 v6, v16, v22
	v_pk_add_f32 v[4:5], v[4:5], v[22:23] neg_lo:[0,1] neg_hi:[0,1]
	v_sub_f32_e32 v6, v24, v6
	v_add_f32_e32 v4, v4, v6
	v_add_f32_e32 v4, v4, v5
	;; [unrolled: 1-line block ×3, first 2 shown]
	v_cndmask_b32_e32 v80, v4, v28, vcc
.LBB10_55:                              ;   in Loop: Header=BB10_11 Depth=1
	s_or_b64 exec, exec, s[38:39]
	v_and_b32_e32 v4, 0xffff0000, v7
	v_add_f32_e32 v15, s33, v4
	v_cmp_ge_f32_e32 vcc, s99, v15
	s_and_b64 s[36:37], s[64:65], vcc
	s_and_saveexec_b64 s[38:39], s[36:37]
	s_cbranch_execz .LBB10_57
; %bb.56:                               ;   in Loop: Header=BB10_11 Depth=1
	v_mul_f32_e32 v4, 0x3fb8aa3b, v15
	v_rndne_f32_e32 v5, v4
	v_sub_f32_e32 v6, v4, v5
	v_fma_f32 v4, v15, s40, -v4
	v_fmac_f32_e32 v4, 0x32a5705f, v15
	v_add_f32_e32 v4, v6, v4
	v_cvt_i32_f32_e32 v5, v5
	v_exp_f32_e32 v4, v4
	v_cmp_ngt_f32_e32 vcc, s41, v15
	v_ldexp_f32 v4, v4, v5
	s_nop 0
	v_cndmask_b32_e32 v4, 0, v4, vcc
	v_cmp_nlt_f32_e32 vcc, s42, v15
	s_nop 1
	v_cndmask_b32_e32 v28, v70, v4, vcc
	v_add_f32_e32 v6, 1.0, v28
	v_add_f32_e32 v4, -1.0, v6
	v_sub_f32_e32 v5, v4, v6
	v_add_f32_e32 v5, 1.0, v5
	v_sub_f32_e32 v4, v28, v4
	v_add_f32_e32 v7, v4, v5
	v_frexp_mant_f32_e32 v15, v6
	v_cvt_f64_f32_e32 v[4:5], v6
	v_frexp_exp_i32_f64_e32 v4, v[4:5]
	v_cmp_gt_f32_e32 vcc, s44, v15
	v_cmp_gt_f32_e64 s[36:37], s67, v28
	s_nop 0
	v_subbrev_co_u32_e32 v20, vcc, 0, v4, vcc
	v_sub_u32_e32 v4, 0, v20
	v_ldexp_f32 v5, v6, v4
	v_add_f32_e32 v6, -1.0, v5
	v_add_f32_e32 v15, 1.0, v5
	v_ldexp_f32 v4, v7, v4
	v_add_f32_e32 v7, 1.0, v6
	v_add_f32_e32 v16, -1.0, v15
	v_sub_f32_e32 v7, v5, v7
	v_sub_f32_e32 v5, v5, v16
	v_add_f32_e32 v7, v4, v7
	v_add_f32_e32 v4, v4, v5
	;; [unrolled: 1-line block ×3, first 2 shown]
	v_rcp_f32_e32 v22, v21
	v_sub_f32_e32 v5, v15, v21
	v_add_f32_e32 v15, v4, v5
	v_add_f32_e32 v5, v6, v7
	v_mul_f32_e32 v24, v5, v22
	v_sub_f32_e32 v4, v6, v5
	v_mul_f32_e32 v6, v21, v24
	v_fma_f32 v16, v24, v21, -v6
	v_fmac_f32_e32 v16, v24, v15
	v_add_f32_e32 v23, v7, v4
	v_add_f32_e32 v4, v6, v16
	v_sub_f32_e32 v7, v5, v4
	v_pk_add_f32 v[18:19], v[4:5], v[6:7] neg_lo:[0,1] neg_hi:[0,1]
	v_mov_b32_e32 v17, v4
	v_pk_add_f32 v[4:5], v[18:19], v[16:17] neg_lo:[0,1] neg_hi:[0,1]
	v_cmp_eq_f32_e32 vcc, s43, v28
	v_add_f32_e32 v5, v23, v5
	v_add_f32_e32 v4, v4, v5
	v_add_f32_e32 v5, v7, v4
	v_mul_f32_e32 v23, v22, v5
	v_mul_f32_e32 v6, v21, v23
	v_fma_f32 v16, v23, v21, -v6
	v_fmac_f32_e32 v16, v23, v15
	v_sub_f32_e32 v7, v7, v5
	v_add_f32_e32 v15, v4, v7
	v_add_f32_e32 v4, v6, v16
	v_sub_f32_e32 v7, v5, v4
	v_pk_add_f32 v[18:19], v[4:5], v[6:7] neg_lo:[0,1] neg_hi:[0,1]
	v_mov_b32_e32 v17, v4
	v_pk_add_f32 v[4:5], v[18:19], v[16:17] neg_lo:[0,1] neg_hi:[0,1]
	s_or_b64 vcc, s[36:37], vcc
	v_add_f32_e32 v5, v15, v5
	v_add_f32_e32 v4, v4, v5
	;; [unrolled: 1-line block ×4, first 2 shown]
	v_sub_f32_e32 v6, v5, v24
	v_mul_f32_e32 v4, v22, v4
	v_sub_f32_e32 v6, v23, v6
	v_add_f32_e32 v6, v6, v4
	v_add_f32_e32 v16, v5, v6
	v_mul_f32_e32 v17, v16, v16
	v_fmamk_f32 v4, v17, 0x3e9b6dac, v69
	v_fmaak_f32 v15, v17, v4, 0x3f2aaada
	v_cvt_f32_i32_e32 v4, v20
	v_sub_f32_e32 v5, v16, v5
	v_sub_f32_e32 v5, v6, v5
	v_ldexp_f32 v18, v5, 1
	v_mul_f32_e32 v5, v16, v17
	v_ldexp_f32 v7, v16, 1
	v_pk_mul_f32 v[16:17], v[4:5], v[14:15]
	s_nop 0
	v_fma_f32 v6, v4, s45, -v16
	v_fmac_f32_e32 v6, 0xb102e308, v4
	v_pk_add_f32 v[4:5], v[16:17], v[6:7]
	s_nop 0
	v_sub_f32_e32 v7, v5, v7
	v_sub_f32_e32 v7, v17, v7
	v_add_f32_e32 v19, v18, v7
	v_mov_b32_e32 v18, v16
	v_pk_add_f32 v[16:17], v[4:5], v[16:17] neg_lo:[0,1] neg_hi:[0,1]
	v_pk_add_f32 v[20:21], v[4:5], v[18:19]
	v_mov_b32_e32 v7, v4
	v_mov_b32_e32 v17, v21
	v_pk_add_f32 v[22:23], v[6:7], v[16:17] neg_lo:[0,1] neg_hi:[0,1]
	v_pk_add_f32 v[6:7], v[6:7], v[16:17]
	v_mov_b32_e32 v18, v19
	v_mov_b32_e32 v16, v7
	v_pk_add_f32 v[24:25], v[16:17], v[4:5] neg_lo:[0,1] neg_hi:[0,1]
	v_mov_b32_e32 v6, v21
	v_mov_b32_e32 v15, v24
	v_pk_add_f32 v[26:27], v[20:21], v[14:15] neg_lo:[0,1] neg_hi:[0,1]
	v_mov_b32_e32 v20, v5
	v_mov_b32_e32 v21, v24
	;; [unrolled: 1-line block ×3, first 2 shown]
	v_pk_add_f32 v[6:7], v[6:7], v[20:21] neg_lo:[0,1] neg_hi:[0,1]
	v_mov_b32_e32 v19, v4
	v_pk_add_f32 v[4:5], v[18:19], v[6:7] neg_lo:[0,1] neg_hi:[0,1]
	v_mov_b32_e32 v26, v22
	v_pk_add_f32 v[6:7], v[26:27], v[4:5]
	s_nop 0
	v_mov_b32_e32 v18, v7
	v_pk_add_f32 v[18:19], v[6:7], v[18:19]
	s_nop 0
	v_pk_add_f32 v[16:17], v[16:17], v[18:19]
	v_mov_b32_e32 v5, v18
	v_mov_b32_e32 v7, v16
	v_pk_add_f32 v[20:21], v[6:7], v[22:23] neg_lo:[0,1] neg_hi:[0,1]
	s_nop 0
	v_sub_f32_e32 v6, v6, v20
	v_pk_add_f32 v[4:5], v[4:5], v[20:21] neg_lo:[0,1] neg_hi:[0,1]
	v_sub_f32_e32 v6, v22, v6
	v_add_f32_e32 v4, v4, v6
	v_add_f32_e32 v4, v4, v5
	;; [unrolled: 1-line block ×3, first 2 shown]
	v_cndmask_b32_e32 v15, v4, v28, vcc
.LBB10_57:                              ;   in Loop: Header=BB10_11 Depth=1
	s_or_b64 exec, exec, s[38:39]
	v_readlane_b32 s36, v95, 1
	v_lshlrev_b32_e32 v4, 16, v3
	v_and_b32_e32 v7, 0xffff0000, v3
	v_and_b32_e32 v3, 0xffff0000, v2
	v_lshlrev_b32_e32 v2, 16, v2
	v_and_b32_e32 v5, 0xffff0000, v1
	v_lshlrev_b32_e32 v1, 16, v1
	;; [unrolled: 2-line block ×3, first 2 shown]
	v_readlane_b32 s37, v95, 2
	v_mul_f32_e32 v16, s94, v4
	v_mul_f32_e32 v19, s94, v3
	;; [unrolled: 1-line block ×8, first 2 shown]
	s_and_b64 vcc, exec, s[36:37]
	s_waitcnt lgkmcnt(0)
	; wave barrier
	s_cbranch_vccz .LBB10_118
; %bb.58:                               ;   in Loop: Header=BB10_11 Depth=1
	s_cmp_lg_u32 s97, 0
	v_readlane_b32 s36, v95, 5
	v_mul_f32_e32 v88, v74, v0
	s_cselect_b64 s[80:81], -1, 0
	s_cmp_eq_u32 s97, s36
	v_cmp_gt_u32_e32 vcc, s50, v11
	v_or_b32_e32 v0, 1, v11
	s_cselect_b64 s[82:83], -1, 0
	s_or_b64 s[36:37], s[76:77], vcc
	v_cmp_gt_u32_e32 vcc, s50, v0
	v_or_b32_e32 v0, 2, v11
	s_or_b64 s[38:39], s[76:77], vcc
	v_cmp_gt_u32_e32 vcc, s50, v0
	v_or_b32_e32 v0, 3, v11
	;; [unrolled: 3-line block ×3, first 2 shown]
	s_or_b64 s[42:43], s[76:77], vcc
	v_cmp_gt_u32_e32 vcc, s50, v0
	s_or_b64 s[44:45], s[76:77], vcc
	v_cmp_gt_u32_e32 vcc, s50, v66
	;; [unrolled: 2-line block ×3, first 2 shown]
	s_mov_b32 s70, 0
	s_or_b64 s[48:49], s[76:77], vcc
	v_cmp_gt_u32_e32 vcc, s50, v68
	v_mul_f32_e32 v81, v15, v7
	v_lshl_add_u64 v[24:25], s[54:55], 0, v[8:9]
	v_lshl_add_u64 v[26:27], s[58:59], 0, v[8:9]
	v_mul_f32_e32 v82, v80, v4
	v_mul_f32_e32 v83, v79, v3
	;; [unrolled: 1-line block ×6, first 2 shown]
	s_or_b64 s[50:51], s[76:77], vcc
	s_mov_b32 s84, s70
	s_mov_b32 s86, s70
	;; [unrolled: 1-line block ×3, first 2 shown]
	v_readlane_b32 s79, v95, 0
	v_readlane_b32 s95, v95, 6
	s_branch .LBB10_60
.LBB10_59:                              ;   in Loop: Header=BB10_60 Depth=2
	s_or_b64 exec, exec, s[90:91]
	v_mul_f32_e32 v29, v89, v64
	v_fma_f32 v30, v89, v65, v4
	v_cndmask_b32_e64 v4, v30, v4, s[16:17]
	v_cndmask_b32_e64 v29, v29, v89, s[16:17]
	s_waitcnt lgkmcnt(0)
	v_fmac_f32_e32 v4, v28, v29
	v_fmac_f32_e32 v5, v4, v90
	;; [unrolled: 1-line block ×8, first 2 shown]
	v_and_b32_e32 v29, 0xffff0000, v0
	v_and_b32_e32 v31, 0xffff0000, v1
	v_lshlrev_b32_e32 v28, 16, v0
	v_lshlrev_b32_e32 v30, 16, v1
	v_and_b32_e32 v1, 0xffff0000, v2
	v_and_b32_e32 v37, 0xffff0000, v3
	v_lshlrev_b32_e32 v0, 16, v2
	v_lshlrev_b32_e32 v36, 16, v3
	s_add_i32 s95, s95, 8
	s_add_i32 s79, s79, -1
	s_add_i32 s88, s88, s66
	s_add_i32 s86, s86, s60
	;; [unrolled: 1-line block ×4, first 2 shown]
	v_pk_fma_f32 v[20:21], v[32:33], v[30:31], v[20:21]
	v_pk_fma_f32 v[22:23], v[4:5], v[28:29], v[22:23]
	;; [unrolled: 1-line block ×3, first 2 shown]
	s_cmp_eq_u32 s79, 0
	v_pk_fma_f32 v[18:19], v[6:7], v[0:1], v[18:19]
	s_cbranch_scc1 .LBB10_117
.LBB10_60:                              ;   Parent Loop BB10_11 Depth=1
                                        ; =>  This Inner Loop Header: Depth=2
	s_lshl_b64 s[90:91], s[70:71], 2
	s_add_u32 s90, s52, s90
	s_addc_u32 s91, s96, s91
	global_load_dword v28, v9, s[90:91]
	s_mov_b32 s85, s71
	v_lshl_add_u64 v[0:1], s[84:85], 1, v[24:25]
	v_mov_b32_e32 v2, 0
	v_mov_b32_e32 v3, 0
	s_and_saveexec_b64 s[90:91], s[18:19]
	s_cbranch_execz .LBB10_62
; %bb.61:                               ;   in Loop: Header=BB10_60 Depth=2
	global_load_ushort v3, v[0:1], off
.LBB10_62:                              ;   in Loop: Header=BB10_60 Depth=2
	s_or_b64 exec, exec, s[90:91]
	s_and_saveexec_b64 s[90:91], s[20:21]
	s_cbranch_execz .LBB10_64
; %bb.63:                               ;   in Loop: Header=BB10_60 Depth=2
	global_load_ushort v2, v[0:1], off offset:128
.LBB10_64:                              ;   in Loop: Header=BB10_60 Depth=2
	s_or_b64 exec, exec, s[90:91]
	v_mov_b32_e32 v4, 0
	v_mov_b32_e32 v5, 0
	s_and_saveexec_b64 s[90:91], s[22:23]
	s_cbranch_execz .LBB10_66
; %bb.65:                               ;   in Loop: Header=BB10_60 Depth=2
	global_load_ushort v5, v[0:1], off offset:256
.LBB10_66:                              ;   in Loop: Header=BB10_60 Depth=2
	s_or_b64 exec, exec, s[90:91]
	s_and_saveexec_b64 s[90:91], s[24:25]
	s_cbranch_execz .LBB10_68
; %bb.67:                               ;   in Loop: Header=BB10_60 Depth=2
	global_load_ushort v4, v[0:1], off offset:384
.LBB10_68:                              ;   in Loop: Header=BB10_60 Depth=2
	s_or_b64 exec, exec, s[90:91]
	v_mov_b32_e32 v6, 0
	v_mov_b32_e32 v7, 0
	s_and_saveexec_b64 s[90:91], s[26:27]
	s_cbranch_execz .LBB10_70
; %bb.69:                               ;   in Loop: Header=BB10_60 Depth=2
	global_load_ushort v7, v[0:1], off offset:512
.LBB10_70:                              ;   in Loop: Header=BB10_60 Depth=2
	;; [unrolled: 14-line block ×3, first 2 shown]
	s_or_b64 exec, exec, s[90:91]
	s_and_saveexec_b64 s[90:91], s[34:35]
	s_cbranch_execz .LBB10_76
; %bb.75:                               ;   in Loop: Header=BB10_60 Depth=2
	global_load_ushort v29, v[0:1], off offset:896
.LBB10_76:                              ;   in Loop: Header=BB10_60 Depth=2
	s_or_b64 exec, exec, s[90:91]
	s_waitcnt vmcnt(0)
	ds_write_b16 v45, v3
	ds_write_b16 v46, v2 offset:128
	ds_write_b16 v47, v5 offset:256
	;; [unrolled: 1-line block ×7, first 2 shown]
	; wave barrier
	ds_read_b128 v[4:7], v53
	s_mov_b32 s87, s71
	v_lshl_add_u64 v[0:1], s[86:87], 1, v[26:27]
	v_mov_b32_e32 v2, 0
	v_mov_b32_e32 v3, 0
	s_and_saveexec_b64 s[90:91], s[18:19]
	s_cbranch_execz .LBB10_78
; %bb.77:                               ;   in Loop: Header=BB10_60 Depth=2
	global_load_ushort v3, v[0:1], off
.LBB10_78:                              ;   in Loop: Header=BB10_60 Depth=2
	s_or_b64 exec, exec, s[90:91]
	s_and_saveexec_b64 s[90:91], s[20:21]
	s_cbranch_execz .LBB10_80
; %bb.79:                               ;   in Loop: Header=BB10_60 Depth=2
	global_load_ushort v2, v[0:1], off offset:128
.LBB10_80:                              ;   in Loop: Header=BB10_60 Depth=2
	s_or_b64 exec, exec, s[90:91]
	v_mov_b32_e32 v29, 0
	v_mov_b32_e32 v30, 0
	s_and_saveexec_b64 s[90:91], s[22:23]
	s_cbranch_execz .LBB10_82
; %bb.81:                               ;   in Loop: Header=BB10_60 Depth=2
	global_load_ushort v30, v[0:1], off offset:256
.LBB10_82:                              ;   in Loop: Header=BB10_60 Depth=2
	s_or_b64 exec, exec, s[90:91]
	s_and_saveexec_b64 s[90:91], s[24:25]
	s_cbranch_execz .LBB10_84
; %bb.83:                               ;   in Loop: Header=BB10_60 Depth=2
	global_load_ushort v29, v[0:1], off offset:384
.LBB10_84:                              ;   in Loop: Header=BB10_60 Depth=2
	s_or_b64 exec, exec, s[90:91]
	v_mov_b32_e32 v31, 0
	v_mov_b32_e32 v32, 0
	s_and_saveexec_b64 s[90:91], s[26:27]
	s_cbranch_execz .LBB10_86
; %bb.85:                               ;   in Loop: Header=BB10_60 Depth=2
	global_load_ushort v32, v[0:1], off offset:512
.LBB10_86:                              ;   in Loop: Header=BB10_60 Depth=2
	;; [unrolled: 14-line block ×3, first 2 shown]
	s_or_b64 exec, exec, s[90:91]
	s_and_saveexec_b64 s[90:91], s[34:35]
	s_cbranch_execz .LBB10_92
; %bb.91:                               ;   in Loop: Header=BB10_60 Depth=2
	global_load_ushort v33, v[0:1], off offset:896
.LBB10_92:                              ;   in Loop: Header=BB10_60 Depth=2
	s_or_b64 exec, exec, s[90:91]
	s_waitcnt vmcnt(0)
	ds_write_b16 v45, v3 offset:1056
	ds_write_b16 v54, v2 offset:128
	;; [unrolled: 1-line block ×8, first 2 shown]
	; wave barrier
	ds_read_b128 v[0:3], v53 offset:1056
	s_andn2_b64 vcc, exec, s[80:81]
	s_cbranch_vccnz .LBB10_94
; %bb.93:                               ;   in Loop: Header=BB10_60 Depth=2
	v_mov_b32_e32 v29, s95
	ds_read_b64 v[30:31], v29
	s_waitcnt lgkmcnt(0)
	v_mov_b32_e32 v29, v31
	s_cbranch_execz .LBB10_95
	s_branch .LBB10_98
.LBB10_94:                              ;   in Loop: Header=BB10_60 Depth=2
                                        ; implicit-def: $vgpr30
                                        ; implicit-def: $vgpr29
.LBB10_95:                              ;   in Loop: Header=BB10_60 Depth=2
	s_andn2_b64 vcc, exec, s[68:69]
	v_mov_b32_e32 v29, 0
	s_cbranch_vccnz .LBB10_97
; %bb.96:                               ;   in Loop: Header=BB10_60 Depth=2
	s_mov_b32 s89, s71
	s_lshl_b64 s[90:91], s[88:89], 1
	s_add_u32 s90, s57, s90
	s_addc_u32 s91, s61, s91
	global_load_ushort v29, v9, s[90:91]
	s_waitcnt vmcnt(0)
	v_lshlrev_b32_e32 v29, 16, v29
.LBB10_97:                              ;   in Loop: Header=BB10_60 Depth=2
	v_mov_b32_e32 v30, 1.0
.LBB10_98:                              ;   in Loop: Header=BB10_60 Depth=2
	v_mul_f32_e32 v28, 0x3fb8aa3b, v28
	s_waitcnt lgkmcnt(9)
	v_lshlrev_b32_e32 v31, 16, v4
	v_and_b32_e32 v32, 0xffff0000, v4
	v_mul_f32_e32 v4, v28, v74
	v_cmp_gt_f32_e32 vcc, s98, v4
	v_lshlrev_b32_e32 v35, 16, v6
	v_and_b32_e32 v36, 0xffff0000, v6
	v_cndmask_b32_e32 v4, 0, v71, vcc
	v_mul_f32_e32 v6, v28, v75
	v_lshlrev_b32_e32 v33, 16, v5
	v_and_b32_e32 v34, 0xffff0000, v5
	v_fmac_f32_e32 v4, v28, v74
	v_cndmask_b32_e32 v5, 1.0, v72, vcc
	v_cmp_gt_f32_e32 vcc, s98, v6
	v_exp_f32_e32 v4, v4
	v_lshlrev_b32_e32 v37, 16, v7
	v_cndmask_b32_e32 v6, 0, v71, vcc
	v_fmac_f32_e32 v6, v28, v75
	v_exp_f32_e32 v6, v6
	v_and_b32_e32 v63, 0xffff0000, v7
	v_mul_f32_e32 v5, v4, v5
	v_mul_f32_e32 v7, v28, v76
	v_cndmask_b32_e64 v89, 1.0, v5, s[36:37]
	v_cndmask_b32_e32 v5, 1.0, v72, vcc
	v_cmp_gt_f32_e32 vcc, s98, v7
	v_mul_f32_e32 v4, v88, v31
	v_mul_f32_e32 v6, v6, v5
	v_cndmask_b32_e32 v7, 0, v71, vcc
	v_mul_f32_e32 v31, v28, v77
	v_fmac_f32_e32 v7, v28, v76
	v_cndmask_b32_e64 v90, 1.0, v6, s[38:39]
	v_cndmask_b32_e32 v6, 1.0, v72, vcc
	v_cmp_gt_f32_e32 vcc, s98, v31
	v_exp_f32_e32 v7, v7
	v_mul_f32_e32 v5, v87, v32
	v_cndmask_b32_e32 v31, 0, v71, vcc
	v_fmac_f32_e32 v31, v28, v77
	v_exp_f32_e32 v31, v31
	v_mul_f32_e32 v6, v7, v6
	v_cndmask_b32_e64 v91, 1.0, v6, s[40:41]
	v_cndmask_b32_e32 v6, 1.0, v72, vcc
	v_mul_f32_e32 v6, v31, v6
	v_mul_f32_e32 v31, v28, v78
	v_cmp_gt_f32_e32 vcc, s98, v31
	v_mul_f32_e32 v7, v86, v33
	v_cndmask_b32_e64 v32, 0, v7, s[40:41]
	v_cndmask_b32_e32 v31, 0, v71, vcc
	v_fmac_f32_e32 v31, v28, v78
	v_exp_f32_e32 v31, v31
	v_mul_f32_e32 v7, v85, v34
	v_cndmask_b32_e64 v92, 1.0, v6, s[42:43]
	v_cndmask_b32_e32 v6, 1.0, v72, vcc
	v_cndmask_b32_e64 v33, 0, v7, s[42:43]
	v_mul_f32_e32 v7, v31, v6
	v_mul_f32_e32 v31, v28, v79
	v_cmp_gt_f32_e32 vcc, s98, v31
	v_mul_f32_e32 v34, v28, v80
	v_cndmask_b32_e64 v93, 1.0, v7, s[44:45]
	v_cndmask_b32_e32 v31, 0, v71, vcc
	v_fmac_f32_e32 v31, v28, v79
	v_exp_f32_e32 v31, v31
	v_cndmask_b32_e32 v7, 1.0, v72, vcc
	v_cmp_gt_f32_e32 vcc, s98, v34
	v_mul_f32_e32 v6, v84, v35
	v_mul_f32_e32 v31, v31, v7
	v_cndmask_b32_e32 v34, 0, v71, vcc
	v_mul_f32_e32 v35, v28, v15
	v_fmac_f32_e32 v34, v28, v80
	v_cndmask_b32_e64 v94, 1.0, v31, s[46:47]
	v_cndmask_b32_e32 v31, 1.0, v72, vcc
	v_cmp_gt_f32_e32 vcc, s98, v35
	v_exp_f32_e32 v34, v34
	v_cndmask_b32_e64 v4, 0, v4, s[36:37]
	v_cndmask_b32_e32 v35, 0, v71, vcc
	v_fmac_f32_e32 v35, v28, v15
	v_exp_f32_e32 v28, v35
	v_mul_f32_e32 v31, v34, v31
	v_cndmask_b32_e64 v62, 1.0, v31, s[48:49]
	v_cndmask_b32_e32 v31, 1.0, v72, vcc
	v_cndmask_b32_e64 v5, 0, v5, s[38:39]
	v_mul_f32_e32 v28, v28, v31
	v_mul_f32_e32 v31, v81, v63
	v_cndmask_b32_e64 v35, 0, v31, s[50:51]
	v_cndmask_b32_e64 v63, 1.0, v28, s[50:51]
	v_mul_f32_e32 v28, v90, v89
	v_fma_f32 v31, v90, v4, v5
	v_mul_f32_e32 v28, v28, v91
	v_fma_f32 v31, v31, v91, v32
	v_cndmask_b32_e64 v6, 0, v6, s[44:45]
	v_mul_f32_e32 v7, v83, v36
	v_mul_f32_e32 v28, v28, v92
	v_fma_f32 v31, v31, v92, v33
	v_cndmask_b32_e64 v7, 0, v7, s[46:47]
	v_mul_f32_e32 v34, v82, v37
	;; [unrolled: 4-line block ×3, first 2 shown]
	v_fma_f32 v31, v31, v94, v7
	v_mul_f32_e32 v28, v28, v62
	v_fma_f32 v36, v31, v62, v34
	v_mul_f32_e32 v31, v28, v63
	v_fma_f32 v28, v36, v63, v35
	s_nop 0
	v_mov_b32_dpp v37, v31 row_shr:1 row_mask:0xf bank_mask:0xf
	v_mov_b32_dpp v36, v28 row_shr:1 row_mask:0xf bank_mask:0xf
	s_and_saveexec_b64 s[90:91], s[0:1]
; %bb.99:                               ;   in Loop: Header=BB10_60 Depth=2
	v_mul_f32_e32 v37, v31, v37
	v_fmac_f32_e32 v28, v31, v36
	v_mov_b32_e32 v31, v37
; %bb.100:                              ;   in Loop: Header=BB10_60 Depth=2
	s_or_b64 exec, exec, s[90:91]
	s_nop 0
	v_mov_b32_dpp v36, v31 row_shr:2 row_mask:0xf bank_mask:0xf
	v_mov_b32_dpp v37, v28 row_shr:2 row_mask:0xf bank_mask:0xf
	s_and_saveexec_b64 s[90:91], s[2:3]
; %bb.101:                              ;   in Loop: Header=BB10_60 Depth=2
	v_fmac_f32_e32 v28, v31, v37
	v_mul_f32_e32 v31, v31, v36
; %bb.102:                              ;   in Loop: Header=BB10_60 Depth=2
	s_or_b64 exec, exec, s[90:91]
	s_nop 0
	v_mov_b32_dpp v36, v31 row_shr:4 row_mask:0xf bank_mask:0xf
	v_mov_b32_dpp v37, v28 row_shr:4 row_mask:0xf bank_mask:0xf
	s_and_saveexec_b64 s[90:91], s[4:5]
; %bb.103:                              ;   in Loop: Header=BB10_60 Depth=2
	v_fmac_f32_e32 v28, v31, v37
	v_mul_f32_e32 v31, v31, v36
	;; [unrolled: 9-line block ×3, first 2 shown]
; %bb.106:                              ;   in Loop: Header=BB10_60 Depth=2
	s_or_b64 exec, exec, s[90:91]
	s_nop 0
	v_mov_b32_dpp v36, v31 row_bcast:15 row_mask:0xf bank_mask:0xf
	v_mov_b32_dpp v37, v28 row_bcast:15 row_mask:0xf bank_mask:0xf
	s_and_saveexec_b64 s[90:91], s[8:9]
; %bb.107:                              ;   in Loop: Header=BB10_60 Depth=2
	v_fmac_f32_e32 v28, v31, v37
	v_mul_f32_e32 v31, v31, v36
; %bb.108:                              ;   in Loop: Header=BB10_60 Depth=2
	s_or_b64 exec, exec, s[90:91]
	s_nop 0
	v_mov_b32_dpp v36, v31 row_bcast:31 row_mask:0xf bank_mask:0xf
	v_mov_b32_dpp v37, v28 row_bcast:31 row_mask:0xf bank_mask:0xf
	v_mov_b32_e32 v64, v28
	v_mul_f32_e32 v36, v31, v36
	v_fmac_f32_e32 v64, v31, v37
	v_cndmask_b32_e64 v36, v31, v36, s[10:11]
	v_cndmask_b32_e64 v37, v28, v64, s[10:11]
	s_and_saveexec_b64 s[90:91], s[12:13]
	s_cbranch_execz .LBB10_110
; %bb.109:                              ;   in Loop: Header=BB10_60 Depth=2
	ds_write_b64 v9, v[36:37] offset:2112
.LBB10_110:                             ;   in Loop: Header=BB10_60 Depth=2
	s_or_b64 exec, exec, s[90:91]
	ds_bpermute_b32 v64, v61, v36
	ds_bpermute_b32 v65, v61, v37
	s_waitcnt lgkmcnt(0)
	; wave barrier
	s_waitcnt lgkmcnt(0)
	s_and_saveexec_b64 s[90:91], s[14:15]
	s_cbranch_execz .LBB10_114
; %bb.111:                              ;   in Loop: Header=BB10_60 Depth=2
	ds_read_b64 v[36:37], v9 offset:2112
	s_and_saveexec_b64 s[92:93], s[16:17]
	s_cbranch_execz .LBB10_113
; %bb.112:                              ;   in Loop: Header=BB10_60 Depth=2
	v_mov_b32_e32 v31, v29
	ds_write_b64 v9, v[30:31] offset:2112
.LBB10_113:                             ;   in Loop: Header=BB10_60 Depth=2
	s_or_b64 exec, exec, s[92:93]
	s_waitcnt lgkmcnt(0)
	v_mul_f32_e32 v31, v36, v29
	v_pk_add_f32 v[28:29], v[30:31], v[36:37]
	v_mul_f32_e32 v30, v30, v36
.LBB10_114:                             ;   in Loop: Header=BB10_60 Depth=2
	s_or_b64 exec, exec, s[90:91]
	s_waitcnt lgkmcnt(0)
	; wave barrier
	ds_read_b32 v28, v9 offset:2116
	s_and_saveexec_b64 s[90:91], s[16:17]
	s_cbranch_execz .LBB10_59
; %bb.115:                              ;   in Loop: Header=BB10_60 Depth=2
	v_mov_b32_e32 v31, v29
	v_mov_b32_e32 v36, s95
	s_andn2_b64 vcc, exec, s[82:83]
	ds_write_b64 v36, v[30:31]
	s_cbranch_vccnz .LBB10_59
; %bb.116:                              ;   in Loop: Header=BB10_60 Depth=2
	v_bfe_u32 v30, v29, 16, 1
	s_mov_b32 s89, s71
	v_add3_u32 v30, v29, v30, s74
	s_lshl_b64 s[92:93], s[88:89], 1
	v_lshrrev_b32_e32 v30, 16, v30
	v_cmp_o_f32_e32 vcc, v29, v29
	s_add_u32 s92, s57, s92
	s_addc_u32 s93, s61, s93
	v_cndmask_b32_e32 v29, v73, v30, vcc
	global_store_short v9, v29, s[92:93]
	s_branch .LBB10_59
.LBB10_117:                             ;   in Loop: Header=BB10_11 Depth=1
	s_mov_b32 s40, 0x3fb8aa3b
	s_mov_b32 s41, 0xc2ce8ed0
	;; [unrolled: 1-line block ×6, first 2 shown]
.LBB10_118:                             ;   in Loop: Header=BB10_11 Depth=1
	v_bfe_u32 v0, v22, 16, 1
	v_bfe_u32 v1, v23, 16, 1
	v_add3_u32 v0, v22, v0, s74
	v_bfe_u32 v2, v20, 16, 1
	v_add3_u32 v1, v23, v1, s74
	v_lshrrev_b32_e32 v0, 16, v0
	v_cmp_o_f32_e32 vcc, v22, v22
	v_bfe_u32 v3, v21, 16, 1
	v_add3_u32 v2, v20, v2, s74
	v_lshrrev_b32_e32 v1, 16, v1
	v_cndmask_b32_e32 v0, v73, v0, vcc
	v_cmp_o_f32_e32 vcc, v23, v23
	v_add3_u32 v3, v21, v3, s74
	v_lshrrev_b32_e32 v2, 16, v2
	v_cndmask_b32_e32 v4, v73, v1, vcc
	v_cmp_o_f32_e32 vcc, v20, v20
	v_lshrrev_b32_e32 v3, 16, v3
	v_bfe_u32 v6, v16, 16, 1
	v_cndmask_b32_e32 v1, v73, v2, vcc
	v_cmp_o_f32_e32 vcc, v21, v21
	v_bfe_u32 v2, v18, 16, 1
	v_add3_u32 v2, v18, v2, s74
	v_cndmask_b32_e32 v5, v73, v3, vcc
	v_bfe_u32 v3, v19, 16, 1
	v_add3_u32 v3, v19, v3, s74
	v_lshrrev_b32_e32 v2, 16, v2
	v_cmp_o_f32_e32 vcc, v18, v18
	v_bfe_u32 v7, v17, 16, 1
	v_add3_u32 v6, v16, v6, s74
	v_lshrrev_b32_e32 v3, 16, v3
	v_cndmask_b32_e32 v2, v73, v2, vcc
	v_cmp_o_f32_e32 vcc, v19, v19
	v_add3_u32 v7, v17, v7, s74
	v_lshrrev_b32_e32 v6, 16, v6
	v_cndmask_b32_e32 v15, v73, v3, vcc
	v_cmp_o_f32_e32 vcc, v16, v16
	v_lshrrev_b32_e32 v7, 16, v7
	v_perm_b32 v2, v15, v2, s75
	v_cndmask_b32_e32 v3, v73, v6, vcc
	v_cmp_o_f32_e32 vcc, v17, v17
	v_perm_b32 v1, v5, v1, s75
	v_perm_b32 v0, v4, v0, s75
	v_cndmask_b32_e32 v6, v73, v7, vcc
	v_perm_b32 v3, v6, v3, s75
	s_waitcnt lgkmcnt(0)
	; wave barrier
	ds_write_b128 v53, v[0:3]
	; wave barrier
	ds_read_u16 v15, v46 offset:128
	ds_read_u16 v7, v47 offset:256
	;; [unrolled: 1-line block ×7, first 2 shown]
	s_mov_b32 s79, s71
	v_lshl_add_u64 v[0:1], s[78:79], 1, v[12:13]
	s_and_saveexec_b64 s[36:37], s[18:19]
	s_cbranch_execnz .LBB10_128
; %bb.119:                              ;   in Loop: Header=BB10_11 Depth=1
	s_or_b64 exec, exec, s[36:37]
	s_and_saveexec_b64 s[18:19], s[20:21]
	s_cbranch_execnz .LBB10_129
.LBB10_120:                             ;   in Loop: Header=BB10_11 Depth=1
	s_or_b64 exec, exec, s[18:19]
	s_and_saveexec_b64 s[18:19], s[22:23]
	s_cbranch_execnz .LBB10_130
.LBB10_121:                             ;   in Loop: Header=BB10_11 Depth=1
	s_or_b64 exec, exec, s[18:19]
	s_and_saveexec_b64 s[18:19], s[24:25]
	s_cbranch_execnz .LBB10_131
.LBB10_122:                             ;   in Loop: Header=BB10_11 Depth=1
	s_or_b64 exec, exec, s[18:19]
	s_and_saveexec_b64 s[18:19], s[26:27]
	s_cbranch_execnz .LBB10_132
.LBB10_123:                             ;   in Loop: Header=BB10_11 Depth=1
	s_or_b64 exec, exec, s[18:19]
	s_and_saveexec_b64 s[18:19], s[28:29]
	s_cbranch_execnz .LBB10_133
.LBB10_124:                             ;   in Loop: Header=BB10_11 Depth=1
	s_or_b64 exec, exec, s[18:19]
	s_and_saveexec_b64 s[18:19], s[30:31]
	s_cbranch_execnz .LBB10_134
.LBB10_125:                             ;   in Loop: Header=BB10_11 Depth=1
	s_or_b64 exec, exec, s[18:19]
	s_and_saveexec_b64 s[18:19], s[34:35]
	s_cbranch_execz .LBB10_10
	s_branch .LBB10_135
.LBB10_126:                             ;   in Loop: Header=BB10_11 Depth=1
	global_load_ushort v19, v[4:5], off offset:640
	s_or_b64 exec, exec, s[36:37]
	s_and_saveexec_b64 s[36:37], s[30:31]
	s_cbranch_execz .LBB10_39
.LBB10_127:                             ;   in Loop: Header=BB10_11 Depth=1
	global_load_ushort v18, v[4:5], off offset:768
	s_or_b64 exec, exec, s[36:37]
	v_mov_b32_e32 v20, 0
	s_and_saveexec_b64 s[36:37], s[34:35]
	s_cbranch_execnz .LBB10_40
	s_branch .LBB10_41
.LBB10_128:                             ;   in Loop: Header=BB10_11 Depth=1
	ds_read_u16 v16, v45
	s_waitcnt lgkmcnt(0)
	global_store_short v[0:1], v16, off
	s_or_b64 exec, exec, s[36:37]
	s_and_saveexec_b64 s[18:19], s[20:21]
	s_cbranch_execz .LBB10_120
.LBB10_129:                             ;   in Loop: Header=BB10_11 Depth=1
	s_waitcnt lgkmcnt(6)
	global_store_short v[0:1], v15, off offset:128
	s_or_b64 exec, exec, s[18:19]
	s_and_saveexec_b64 s[18:19], s[22:23]
	s_cbranch_execz .LBB10_121
.LBB10_130:                             ;   in Loop: Header=BB10_11 Depth=1
	s_waitcnt lgkmcnt(5)
	global_store_short v[0:1], v7, off offset:256
	s_or_b64 exec, exec, s[18:19]
	s_and_saveexec_b64 s[18:19], s[24:25]
	s_cbranch_execz .LBB10_122
.LBB10_131:                             ;   in Loop: Header=BB10_11 Depth=1
	s_waitcnt lgkmcnt(4)
	global_store_short v[0:1], v6, off offset:384
	s_or_b64 exec, exec, s[18:19]
	s_and_saveexec_b64 s[18:19], s[26:27]
	s_cbranch_execz .LBB10_123
.LBB10_132:                             ;   in Loop: Header=BB10_11 Depth=1
	s_waitcnt lgkmcnt(3)
	global_store_short v[0:1], v5, off offset:512
	s_or_b64 exec, exec, s[18:19]
	s_and_saveexec_b64 s[18:19], s[28:29]
	s_cbranch_execz .LBB10_124
.LBB10_133:                             ;   in Loop: Header=BB10_11 Depth=1
	s_waitcnt lgkmcnt(2)
	global_store_short v[0:1], v4, off offset:640
	s_or_b64 exec, exec, s[18:19]
	s_and_saveexec_b64 s[18:19], s[30:31]
	s_cbranch_execz .LBB10_125
.LBB10_134:                             ;   in Loop: Header=BB10_11 Depth=1
	s_waitcnt lgkmcnt(1)
	global_store_short v[0:1], v3, off offset:768
	s_or_b64 exec, exec, s[18:19]
	s_and_saveexec_b64 s[18:19], s[34:35]
	s_cbranch_execz .LBB10_10
.LBB10_135:                             ;   in Loop: Header=BB10_11 Depth=1
	s_waitcnt lgkmcnt(0)
	global_store_short v[0:1], v2, off offset:896
	s_branch .LBB10_10
.LBB10_136:
	s_endpgm
.LBB10_137:
	s_mov_b64 s[68:69], 0
	s_load_dwordx2 s[4:5], s[0:1], 0x20
	s_cmp_eq_u64 s[6:7], 0
	s_cbranch_scc0 .LBB10_2
	s_branch .LBB10_3
	.section	.rodata,"a",@progbits
	.p2align	6, 0x0
	.amdhsa_kernel _Z25selective_scan_fwd_kernelI32Selective_Scan_fwd_kernel_traitsILi64ELi8ELi1ELb1ELb1ELb1ELb0ELb1EN3c108BFloat16EfS2_EEv13SSMParamsBase
		.amdhsa_group_segment_fixed_size 0
		.amdhsa_private_segment_fixed_size 0
		.amdhsa_kernarg_size 248
		.amdhsa_user_sgpr_count 2
		.amdhsa_user_sgpr_dispatch_ptr 0
		.amdhsa_user_sgpr_queue_ptr 0
		.amdhsa_user_sgpr_kernarg_segment_ptr 1
		.amdhsa_user_sgpr_dispatch_id 0
		.amdhsa_user_sgpr_kernarg_preload_length 0
		.amdhsa_user_sgpr_kernarg_preload_offset 0
		.amdhsa_user_sgpr_private_segment_size 0
		.amdhsa_uses_dynamic_stack 0
		.amdhsa_enable_private_segment 0
		.amdhsa_system_sgpr_workgroup_id_x 1
		.amdhsa_system_sgpr_workgroup_id_y 1
		.amdhsa_system_sgpr_workgroup_id_z 0
		.amdhsa_system_sgpr_workgroup_info 0
		.amdhsa_system_vgpr_workitem_id 0
		.amdhsa_next_free_vgpr 96
		.amdhsa_next_free_sgpr 100
		.amdhsa_accum_offset 96
		.amdhsa_reserve_vcc 1
		.amdhsa_float_round_mode_32 0
		.amdhsa_float_round_mode_16_64 0
		.amdhsa_float_denorm_mode_32 3
		.amdhsa_float_denorm_mode_16_64 3
		.amdhsa_dx10_clamp 1
		.amdhsa_ieee_mode 1
		.amdhsa_fp16_overflow 0
		.amdhsa_tg_split 0
		.amdhsa_exception_fp_ieee_invalid_op 0
		.amdhsa_exception_fp_denorm_src 0
		.amdhsa_exception_fp_ieee_div_zero 0
		.amdhsa_exception_fp_ieee_overflow 0
		.amdhsa_exception_fp_ieee_underflow 0
		.amdhsa_exception_fp_ieee_inexact 0
		.amdhsa_exception_int_div_zero 0
	.end_amdhsa_kernel
	.section	.text._Z25selective_scan_fwd_kernelI32Selective_Scan_fwd_kernel_traitsILi64ELi8ELi1ELb1ELb1ELb1ELb0ELb1EN3c108BFloat16EfS2_EEv13SSMParamsBase,"axG",@progbits,_Z25selective_scan_fwd_kernelI32Selective_Scan_fwd_kernel_traitsILi64ELi8ELi1ELb1ELb1ELb1ELb0ELb1EN3c108BFloat16EfS2_EEv13SSMParamsBase,comdat
.Lfunc_end10:
	.size	_Z25selective_scan_fwd_kernelI32Selective_Scan_fwd_kernel_traitsILi64ELi8ELi1ELb1ELb1ELb1ELb0ELb1EN3c108BFloat16EfS2_EEv13SSMParamsBase, .Lfunc_end10-_Z25selective_scan_fwd_kernelI32Selective_Scan_fwd_kernel_traitsILi64ELi8ELi1ELb1ELb1ELb1ELb0ELb1EN3c108BFloat16EfS2_EEv13SSMParamsBase
                                        ; -- End function
	.section	.AMDGPU.csdata,"",@progbits
; Kernel info:
; codeLenInByte = 10516
; NumSgprs: 106
; NumVgprs: 96
; NumAgprs: 0
; TotalNumVgprs: 96
; ScratchSize: 0
; MemoryBound: 0
; FloatMode: 240
; IeeeMode: 1
; LDSByteSize: 0 bytes/workgroup (compile time only)
; SGPRBlocks: 13
; VGPRBlocks: 11
; NumSGPRsForWavesPerEU: 106
; NumVGPRsForWavesPerEU: 96
; AccumOffset: 96
; Occupancy: 5
; WaveLimiterHint : 1
; COMPUTE_PGM_RSRC2:SCRATCH_EN: 0
; COMPUTE_PGM_RSRC2:USER_SGPR: 2
; COMPUTE_PGM_RSRC2:TRAP_HANDLER: 0
; COMPUTE_PGM_RSRC2:TGID_X_EN: 1
; COMPUTE_PGM_RSRC2:TGID_Y_EN: 1
; COMPUTE_PGM_RSRC2:TGID_Z_EN: 0
; COMPUTE_PGM_RSRC2:TIDIG_COMP_CNT: 0
; COMPUTE_PGM_RSRC3_GFX90A:ACCUM_OFFSET: 23
; COMPUTE_PGM_RSRC3_GFX90A:TG_SPLIT: 0
	.section	.text._Z25selective_scan_fwd_kernelI32Selective_Scan_fwd_kernel_traitsILi64ELi8ELi1ELb1ELb1ELb1ELb0ELb0EN3c108BFloat16EfS2_EEv13SSMParamsBase,"axG",@progbits,_Z25selective_scan_fwd_kernelI32Selective_Scan_fwd_kernel_traitsILi64ELi8ELi1ELb1ELb1ELb1ELb0ELb0EN3c108BFloat16EfS2_EEv13SSMParamsBase,comdat
	.protected	_Z25selective_scan_fwd_kernelI32Selective_Scan_fwd_kernel_traitsILi64ELi8ELi1ELb1ELb1ELb1ELb0ELb0EN3c108BFloat16EfS2_EEv13SSMParamsBase ; -- Begin function _Z25selective_scan_fwd_kernelI32Selective_Scan_fwd_kernel_traitsILi64ELi8ELi1ELb1ELb1ELb1ELb0ELb0EN3c108BFloat16EfS2_EEv13SSMParamsBase
	.globl	_Z25selective_scan_fwd_kernelI32Selective_Scan_fwd_kernel_traitsILi64ELi8ELi1ELb1ELb1ELb1ELb0ELb0EN3c108BFloat16EfS2_EEv13SSMParamsBase
	.p2align	8
	.type	_Z25selective_scan_fwd_kernelI32Selective_Scan_fwd_kernel_traitsILi64ELi8ELi1ELb1ELb1ELb1ELb0ELb0EN3c108BFloat16EfS2_EEv13SSMParamsBase,@function
_Z25selective_scan_fwd_kernelI32Selective_Scan_fwd_kernel_traitsILi64ELi8ELi1ELb1ELb1ELb1ELb0ELb0EN3c108BFloat16EfS2_EEv13SSMParamsBase: ; @_Z25selective_scan_fwd_kernelI32Selective_Scan_fwd_kernel_traitsILi64ELi8ELi1ELb1ELb1ELb1ELb0ELb0EN3c108BFloat16EfS2_EEv13SSMParamsBase
; %bb.0:
	s_load_dword s25, s[0:1], 0x18
	s_load_dwordx4 s[4:7], s[0:1], 0xe8
	s_mov_b32 s20, s3
	s_waitcnt lgkmcnt(0)
	s_abs_i32 s24, s25
	v_cvt_f32_u32_e32 v1, s24
	s_cmp_eq_u64 s[6:7], 0
	v_rcp_iflag_f32_e32 v1, v1
	s_nop 0
	v_mul_f32_e32 v1, 0x4f7ffffe, v1
	v_cvt_u32_f32_e32 v1, v1
	s_nop 0
	v_readfirstlane_b32 s26, v1
	s_cbranch_scc1 .LBB11_3
; %bb.1:
	s_ashr_i32 s3, s2, 31
	s_add_u32 s6, s6, s2
	s_addc_u32 s7, s7, s3
	v_mov_b32_e32 v1, 0
	global_load_ubyte v1, v1, s[6:7]
	s_waitcnt vmcnt(0)
	v_and_b32_e32 v1, 1, v1
	v_cmp_eq_u32_e64 s[52:53], 1, v1
	s_load_dwordx2 s[6:7], s[0:1], 0x20
	s_cmp_eq_u64 s[4:5], 0
	s_cbranch_scc1 .LBB11_4
.LBB11_2:
	s_ashr_i32 s3, s2, 31
	s_lshl_b64 s[8:9], s[2:3], 2
	s_add_u32 s4, s4, s8
	s_addc_u32 s5, s5, s9
	s_load_dword s22, s[4:5], 0x0
	s_waitcnt lgkmcnt(0)
	s_ashr_i32 s23, s22, 31
	s_cmp_eq_u64 s[6:7], s[22:23]
	s_cbranch_scc0 .LBB11_5
	s_branch .LBB11_58
.LBB11_3:
	s_mov_b64 s[52:53], 0
	s_load_dwordx2 s[6:7], s[0:1], 0x20
	s_cmp_eq_u64 s[4:5], 0
	s_cbranch_scc0 .LBB11_2
.LBB11_4:
	s_mov_b32 s22, s2
	s_ashr_i32 s23, s22, 31
	s_waitcnt lgkmcnt(0)
	s_cmp_eq_u64 s[6:7], s[22:23]
	s_cbranch_scc1 .LBB11_58
.LBB11_5:
	s_load_dwordx16 s[4:19], s[0:1], 0x88
	s_load_dwordx2 s[54:55], s[0:1], 0x8
	s_mov_b32 s33, 0
	s_mov_b32 s80, 0
	s_waitcnt lgkmcnt(0)
	s_cmp_eq_u64 s[10:11], 0
	s_cbranch_scc1 .LBB11_7
; %bb.6:
	s_ashr_i32 s21, s20, 31
	s_lshl_b64 s[28:29], s[20:21], 2
	s_add_u32 s10, s10, s28
	s_addc_u32 s11, s11, s29
	s_load_dword s80, s[10:11], 0x0
.LBB11_7:
	s_cmp_eq_u64 s[16:17], 0
	s_cbranch_scc1 .LBB11_9
; %bb.8:
	s_ashr_i32 s21, s20, 31
	s_lshl_b64 s[10:11], s[20:21], 2
	s_add_u32 s10, s16, s10
	s_addc_u32 s11, s17, s11
	s_load_dword s33, s[10:11], 0x0
.LBB11_9:
	s_cmp_lt_i32 s54, 1
	s_cbranch_scc1 .LBB11_58
; %bb.10:
	s_sub_i32 s3, 0, s24
	s_mul_i32 s3, s3, s26
	s_mul_hi_u32 s3, s26, s3
	s_abs_i32 s21, s20
	s_add_i32 s3, s26, s3
	s_load_dwordx8 s[40:47], s[0:1], 0x2c
	s_load_dwordx2 s[16:17], s[0:1], 0x5c
	s_load_dwordx4 s[48:51], s[0:1], 0x4c
	s_load_dwordx4 s[36:39], s[0:1], 0x7c
	s_load_dwordx2 s[10:11], s[0:1], 0x6c
	s_load_dwordx2 s[26:27], s[0:1], 0xc8
	s_mul_hi_u32 s3, s21, s3
	s_load_dword s23, s[0:1], 0x28
	s_ashr_i32 s0, s20, 31
	s_ashr_i32 s1, s25, 31
	s_xor_b32 s0, s0, s1
	s_mul_i32 s1, s3, s24
	s_sub_i32 s1, s21, s1
	s_add_i32 s21, s3, 1
	s_sub_i32 s25, s1, s24
	s_cmp_ge_u32 s1, s24
	s_cselect_b32 s3, s21, s3
	s_cselect_b32 s1, s25, s1
	s_add_i32 s21, s3, 1
	s_cmp_ge_u32 s1, s24
	s_cselect_b32 s1, s21, s3
	s_xor_b32 s1, s1, s0
	s_waitcnt lgkmcnt(0)
	s_mul_i32 s56, s50, s2
	s_mov_b32 s57, 0
	s_sub_i32 s3, s1, s0
	s_lshl_b64 s[0:1], s[56:57], 1
	s_add_u32 s12, s12, s0
	s_mul_i32 s56, s51, s20
	s_addc_u32 s13, s13, s1
	s_lshl_b64 s[0:1], s[56:57], 1
	s_add_u32 s50, s12, s0
	s_mul_i32 s56, s16, s2
	s_addc_u32 s51, s13, s1
	;; [unrolled: 4-line block ×10, first 2 shown]
	s_lshl_b64 s[0:1], s[56:57], 1
	s_add_u32 s45, s3, s0
	s_addc_u32 s49, s4, s1
	s_add_i32 s0, s54, 0x7ff
	s_lshr_b32 s81, s0, 11
	s_bitcmp1_b32 s23, 0
	s_cselect_b64 s[60:61], -1, 0
	s_cmp_gt_i32 s55, 0
	s_cselect_b64 s[62:63], -1, 0
	s_and_b32 s3, s54, 0x1ff
	s_cmp_eq_u32 s3, 0
	s_mul_i32 s56, s10, s2
	s_cselect_b64 s[64:65], -1, 0
	s_add_i32 s82, s81, -1
	s_lshl_b64 s[2:3], s[56:57], 1
	s_add_u32 s6, s18, s2
	s_mul_i32 s56, s11, s20
	s_addc_u32 s7, s19, s3
	s_lshl_b64 s[2:3], s[56:57], 1
	s_add_u32 s2, s6, s2
	v_mov_b32_e32 v17, 0
	s_addc_u32 s3, s7, s3
	v_lshlrev_b32_e32 v16, 4, v0
	v_cmp_gt_u32_e64 s[0:1], 64, v0
	v_lshlrev_b32_e32 v44, 3, v0
	v_cmp_eq_u32_e64 s[36:37], 63, v0
	v_cmp_eq_u32_e64 s[4:5], 0, v0
	v_lshl_add_u64 v[18:19], s[2:3], 0, v[16:17]
	v_lshlrev_b32_e32 v16, 4, v0
	v_mbcnt_lo_u32_b32 v0, -1, 0
	v_or_b32_e32 v45, 1, v44
	v_or_b32_e32 v46, 2, v44
	;; [unrolled: 1-line block ×7, first 2 shown]
	s_mov_b32 s83, 0x41a00000
	s_mov_b32 s84, 0x3fb8aa3b
	;; [unrolled: 1-line block ×6, first 2 shown]
	v_mov_b32_e32 v52, 0x3ecc95a3
	s_mov_b32 s89, 0x3f317218
	s_mov_b32 s90, 0x33800000
	s_add_i32 s91, 0, 0x848
	s_mov_b32 s92, 0xc2fc0000
	s_movk_i32 s93, 0x7fff
	s_mov_b32 s94, 0x5040100
	v_mov_b32_e32 v53, 0x7f800000
	v_mov_b32_e32 v20, 0x3f317218
	v_mbcnt_hi_u32_b32 v54, -1, v0
	v_mov_b32_e32 v55, 0x42800000
	v_mov_b32_e32 v56, 0x1f800000
	;; [unrolled: 1-line block ×3, first 2 shown]
	s_mov_b32 s95, 0
                                        ; implicit-def: $vgpr1
                                        ; implicit-def: $vgpr63
                                        ; implicit-def: $vgpr7
                                        ; implicit-def: $vgpr62
                                        ; implicit-def: $vgpr60
                                        ; implicit-def: $vgpr59
                                        ; implicit-def: $vgpr0
                                        ; implicit-def: $vgpr58
                                        ; implicit-def: $vgpr61
                                        ; implicit-def: $vgpr64
                                        ; implicit-def: $vgpr65
	s_branch .LBB11_12
.LBB11_11:                              ;   in Loop: Header=BB11_12 Depth=1
	v_bfe_u32 v8, v28, 16, 1
	v_bfe_u32 v9, v29, 16, 1
	v_add3_u32 v8, v28, v8, s93
	v_bfe_u32 v10, v26, 16, 1
	v_add3_u32 v9, v29, v9, s93
	v_lshrrev_b32_e32 v8, 16, v8
	v_cmp_o_f32_e32 vcc, v28, v28
	v_bfe_u32 v11, v27, 16, 1
	v_add3_u32 v10, v26, v10, s93
	v_lshrrev_b32_e32 v9, 16, v9
	v_cndmask_b32_e32 v8, v57, v8, vcc
	v_cmp_o_f32_e32 vcc, v29, v29
	s_add_u32 s58, s58, 0x400
	v_add3_u32 v11, v27, v11, s93
	v_lshrrev_b32_e32 v10, 16, v10
	v_cndmask_b32_e32 v14, v57, v9, vcc
	v_cmp_o_f32_e32 vcc, v26, v26
	s_addc_u32 s59, s59, 0
	v_lshrrev_b32_e32 v11, 16, v11
	v_cndmask_b32_e32 v9, v57, v10, vcc
	v_cmp_o_f32_e32 vcc, v27, v27
	v_bfe_u32 v10, v24, 16, 1
	s_add_u32 s50, s50, 0x400
	v_cndmask_b32_e32 v15, v57, v11, vcc
	v_bfe_u32 v11, v25, 16, 1
	v_add3_u32 v10, v24, v10, s93
	s_addc_u32 s51, s51, 0
	v_bfe_u32 v21, v22, 16, 1
	v_add3_u32 v11, v25, v11, s93
	v_lshrrev_b32_e32 v10, 16, v10
	v_cmp_o_f32_e32 vcc, v24, v24
	v_bfe_u32 v26, v23, 16, 1
	v_add3_u32 v21, v22, v21, s93
	v_lshrrev_b32_e32 v11, 16, v11
	v_cndmask_b32_e32 v10, v57, v10, vcc
	v_cmp_o_f32_e32 vcc, v25, v25
	s_add_u32 s42, s42, 0x400
	v_add3_u32 v26, v23, v26, s93
	v_lshrrev_b32_e32 v21, 16, v21
	v_cndmask_b32_e32 v24, v57, v11, vcc
	v_cmp_o_f32_e32 vcc, v22, v22
	s_addc_u32 s43, s43, 0
	v_lshrrev_b32_e32 v26, 16, v26
	v_cndmask_b32_e32 v11, v57, v21, vcc
	v_cmp_o_f32_e32 vcc, v23, v23
	s_add_u32 s46, s46, 0x400
	s_mov_b32 s3, s57
	v_cndmask_b32_e32 v21, v57, v26, vcc
	s_addc_u32 s47, s47, 0
	s_add_i32 s95, s95, 1
	v_lshl_add_u64 v[12:13], s[2:3], 1, v[18:19]
	v_perm_b32 v11, v21, v11, s94
	v_perm_b32 v10, v24, v10, s94
	;; [unrolled: 1-line block ×4, first 2 shown]
	s_cmp_eq_u32 s95, s81
	s_waitcnt lgkmcnt(0)
	; wave barrier
	global_store_dwordx4 v[12:13], v[8:11], off
	s_cbranch_scc1 .LBB11_58
.LBB11_12:                              ; =>This Loop Header: Depth=1
                                        ;     Child Loop BB11_33 Depth 2
	s_waitcnt lgkmcnt(0)
	; wave barrier
	s_and_saveexec_b64 s[2:3], s[0:1]
	s_cbranch_execz .LBB11_14
; %bb.13:                               ;   in Loop: Header=BB11_12 Depth=1
	global_load_dwordx4 v[0:3], v16, s[50:51]
	global_load_dwordx4 v[4:7], v16, s[58:59]
	s_waitcnt vmcnt(1)
	v_lshrrev_b32_e32 v58, 16, v0
	v_lshrrev_b32_e32 v61, 16, v1
	;; [unrolled: 1-line block ×4, first 2 shown]
	s_waitcnt vmcnt(0)
	v_lshrrev_b32_e32 v59, 16, v4
	v_lshrrev_b32_e32 v60, 16, v5
	;; [unrolled: 1-line block ×4, first 2 shown]
.LBB11_14:                              ;   in Loop: Header=BB11_12 Depth=1
	s_or_b64 exec, exec, s[2:3]
	v_lshlrev_b32_e32 v8, 16, v4
	v_add_f32_e32 v66, s33, v8
	v_cmp_ge_f32_e32 vcc, s83, v66
	s_and_b64 s[2:3], s[60:61], vcc
	s_and_saveexec_b64 s[6:7], s[2:3]
	s_cbranch_execz .LBB11_16
; %bb.15:                               ;   in Loop: Header=BB11_12 Depth=1
	v_mul_f32_e32 v8, 0x3fb8aa3b, v66
	v_rndne_f32_e32 v9, v8
	v_sub_f32_e32 v10, v8, v9
	v_fma_f32 v8, v66, s84, -v8
	v_fmac_f32_e32 v8, 0x32a5705f, v66
	v_add_f32_e32 v8, v10, v8
	v_cvt_i32_f32_e32 v9, v9
	v_exp_f32_e32 v8, v8
	v_cmp_ngt_f32_e32 vcc, s85, v66
	v_ldexp_f32 v8, v8, v9
	s_nop 0
	v_cndmask_b32_e32 v8, 0, v8, vcc
	v_cmp_nlt_f32_e32 vcc, s86, v66
	s_nop 1
	v_cndmask_b32_e32 v30, v53, v8, vcc
	v_add_f32_e32 v10, 1.0, v30
	v_add_f32_e32 v8, -1.0, v10
	v_sub_f32_e32 v9, v8, v10
	v_add_f32_e32 v9, 1.0, v9
	v_sub_f32_e32 v8, v30, v8
	v_add_f32_e32 v11, v8, v9
	v_frexp_mant_f32_e32 v12, v10
	v_cvt_f64_f32_e32 v[8:9], v10
	v_frexp_exp_i32_f64_e32 v8, v[8:9]
	v_cmp_gt_f32_e32 vcc, s88, v12
	v_cmp_gt_f32_e64 s[2:3], s90, v30
	s_nop 0
	v_subbrev_co_u32_e32 v22, vcc, 0, v8, vcc
	v_sub_u32_e32 v8, 0, v22
	v_ldexp_f32 v9, v10, v8
	v_add_f32_e32 v10, -1.0, v9
	v_add_f32_e32 v12, 1.0, v9
	v_ldexp_f32 v8, v11, v8
	v_add_f32_e32 v11, 1.0, v10
	v_add_f32_e32 v13, -1.0, v12
	v_sub_f32_e32 v11, v9, v11
	v_sub_f32_e32 v9, v9, v13
	v_add_f32_e32 v11, v8, v11
	v_add_f32_e32 v8, v8, v9
	;; [unrolled: 1-line block ×3, first 2 shown]
	v_rcp_f32_e32 v24, v21
	v_sub_f32_e32 v9, v12, v21
	v_add_f32_e32 v23, v8, v9
	v_add_f32_e32 v9, v10, v11
	v_mul_f32_e32 v26, v9, v24
	v_sub_f32_e32 v8, v10, v9
	v_mul_f32_e32 v10, v21, v26
	v_fma_f32 v12, v26, v21, -v10
	v_fmac_f32_e32 v12, v26, v23
	v_add_f32_e32 v25, v11, v8
	v_add_f32_e32 v8, v10, v12
	v_sub_f32_e32 v11, v9, v8
	v_pk_add_f32 v[14:15], v[8:9], v[10:11] neg_lo:[0,1] neg_hi:[0,1]
	v_mov_b32_e32 v13, v8
	v_pk_add_f32 v[8:9], v[14:15], v[12:13] neg_lo:[0,1] neg_hi:[0,1]
	v_cmp_eq_f32_e32 vcc, s87, v30
	v_add_f32_e32 v9, v25, v9
	v_add_f32_e32 v8, v8, v9
	;; [unrolled: 1-line block ×3, first 2 shown]
	v_mul_f32_e32 v25, v24, v9
	v_mul_f32_e32 v10, v21, v25
	v_fma_f32 v12, v25, v21, -v10
	v_fmac_f32_e32 v12, v25, v23
	v_sub_f32_e32 v11, v11, v9
	v_add_f32_e32 v21, v8, v11
	v_add_f32_e32 v8, v10, v12
	v_sub_f32_e32 v11, v9, v8
	v_pk_add_f32 v[14:15], v[8:9], v[10:11] neg_lo:[0,1] neg_hi:[0,1]
	v_mov_b32_e32 v13, v8
	v_pk_add_f32 v[8:9], v[14:15], v[12:13] neg_lo:[0,1] neg_hi:[0,1]
	s_or_b64 vcc, s[2:3], vcc
	v_add_f32_e32 v9, v21, v9
	v_add_f32_e32 v8, v8, v9
	;; [unrolled: 1-line block ×4, first 2 shown]
	v_sub_f32_e32 v10, v9, v26
	v_mul_f32_e32 v8, v24, v8
	v_sub_f32_e32 v10, v25, v10
	v_add_f32_e32 v10, v10, v8
	v_add_f32_e32 v12, v9, v10
	v_mul_f32_e32 v13, v12, v12
	v_fmamk_f32 v8, v13, 0x3e9b6dac, v52
	v_fmaak_f32 v21, v13, v8, 0x3f2aaada
	v_cvt_f32_i32_e32 v8, v22
	v_sub_f32_e32 v9, v12, v9
	v_sub_f32_e32 v9, v10, v9
	v_ldexp_f32 v14, v9, 1
	v_mul_f32_e32 v9, v12, v13
	v_ldexp_f32 v11, v12, 1
	v_pk_mul_f32 v[12:13], v[8:9], v[20:21]
	s_nop 0
	v_fma_f32 v10, v8, s89, -v12
	v_fmac_f32_e32 v10, 0xb102e308, v8
	v_pk_add_f32 v[8:9], v[12:13], v[10:11]
	s_nop 0
	v_sub_f32_e32 v11, v9, v11
	v_sub_f32_e32 v11, v13, v11
	v_add_f32_e32 v15, v14, v11
	v_mov_b32_e32 v14, v12
	v_pk_add_f32 v[12:13], v[8:9], v[12:13] neg_lo:[0,1] neg_hi:[0,1]
	v_pk_add_f32 v[22:23], v[8:9], v[14:15]
	v_mov_b32_e32 v11, v8
	v_mov_b32_e32 v13, v23
	v_pk_add_f32 v[24:25], v[10:11], v[12:13] neg_lo:[0,1] neg_hi:[0,1]
	v_pk_add_f32 v[10:11], v[10:11], v[12:13]
	v_mov_b32_e32 v14, v15
	v_mov_b32_e32 v12, v11
	v_pk_add_f32 v[26:27], v[12:13], v[8:9] neg_lo:[0,1] neg_hi:[0,1]
	v_mov_b32_e32 v10, v23
	v_mov_b32_e32 v13, v26
	v_pk_add_f32 v[28:29], v[22:23], v[12:13] neg_lo:[0,1] neg_hi:[0,1]
	v_mov_b32_e32 v22, v9
	v_mov_b32_e32 v23, v26
	;; [unrolled: 1-line block ×3, first 2 shown]
	v_pk_add_f32 v[10:11], v[10:11], v[22:23] neg_lo:[0,1] neg_hi:[0,1]
	v_mov_b32_e32 v15, v8
	v_pk_add_f32 v[8:9], v[14:15], v[10:11] neg_lo:[0,1] neg_hi:[0,1]
	v_mov_b32_e32 v28, v24
	v_pk_add_f32 v[10:11], v[28:29], v[8:9]
	s_nop 0
	v_mov_b32_e32 v14, v11
	v_pk_add_f32 v[14:15], v[10:11], v[14:15]
	s_nop 0
	v_pk_add_f32 v[12:13], v[12:13], v[14:15]
	v_mov_b32_e32 v9, v14
	v_mov_b32_e32 v11, v12
	v_pk_add_f32 v[22:23], v[10:11], v[24:25] neg_lo:[0,1] neg_hi:[0,1]
	s_nop 0
	v_sub_f32_e32 v10, v10, v22
	v_pk_add_f32 v[8:9], v[8:9], v[22:23] neg_lo:[0,1] neg_hi:[0,1]
	v_sub_f32_e32 v10, v24, v10
	v_add_f32_e32 v8, v8, v10
	v_add_f32_e32 v8, v8, v9
	;; [unrolled: 1-line block ×3, first 2 shown]
	v_cndmask_b32_e32 v66, v8, v30, vcc
.LBB11_16:                              ;   in Loop: Header=BB11_12 Depth=1
	s_or_b64 exec, exec, s[6:7]
	v_lshlrev_b32_e32 v8, 16, v59
	v_add_f32_e32 v67, s33, v8
	v_cmp_ge_f32_e32 vcc, s83, v67
	s_and_b64 s[2:3], s[60:61], vcc
	s_and_saveexec_b64 s[6:7], s[2:3]
	s_cbranch_execz .LBB11_18
; %bb.17:                               ;   in Loop: Header=BB11_12 Depth=1
	v_mul_f32_e32 v8, 0x3fb8aa3b, v67
	v_rndne_f32_e32 v9, v8
	v_sub_f32_e32 v10, v8, v9
	v_fma_f32 v8, v67, s84, -v8
	v_fmac_f32_e32 v8, 0x32a5705f, v67
	v_add_f32_e32 v8, v10, v8
	v_cvt_i32_f32_e32 v9, v9
	v_exp_f32_e32 v8, v8
	v_cmp_ngt_f32_e32 vcc, s85, v67
	v_ldexp_f32 v8, v8, v9
	s_nop 0
	v_cndmask_b32_e32 v8, 0, v8, vcc
	v_cmp_nlt_f32_e32 vcc, s86, v67
	s_nop 1
	v_cndmask_b32_e32 v30, v53, v8, vcc
	v_add_f32_e32 v10, 1.0, v30
	v_add_f32_e32 v8, -1.0, v10
	v_sub_f32_e32 v9, v8, v10
	v_add_f32_e32 v9, 1.0, v9
	v_sub_f32_e32 v8, v30, v8
	v_add_f32_e32 v11, v8, v9
	v_frexp_mant_f32_e32 v12, v10
	v_cvt_f64_f32_e32 v[8:9], v10
	v_frexp_exp_i32_f64_e32 v8, v[8:9]
	v_cmp_gt_f32_e32 vcc, s88, v12
	v_cmp_gt_f32_e64 s[2:3], s90, v30
	s_nop 0
	v_subbrev_co_u32_e32 v22, vcc, 0, v8, vcc
	v_sub_u32_e32 v8, 0, v22
	v_ldexp_f32 v9, v10, v8
	v_add_f32_e32 v10, -1.0, v9
	v_add_f32_e32 v12, 1.0, v9
	v_ldexp_f32 v8, v11, v8
	v_add_f32_e32 v11, 1.0, v10
	v_add_f32_e32 v13, -1.0, v12
	v_sub_f32_e32 v11, v9, v11
	v_sub_f32_e32 v9, v9, v13
	v_add_f32_e32 v11, v8, v11
	v_add_f32_e32 v8, v8, v9
	v_add_f32_e32 v21, v12, v8
	v_rcp_f32_e32 v24, v21
	v_sub_f32_e32 v9, v12, v21
	v_add_f32_e32 v23, v8, v9
	v_add_f32_e32 v9, v10, v11
	v_mul_f32_e32 v26, v9, v24
	v_sub_f32_e32 v8, v10, v9
	v_mul_f32_e32 v10, v21, v26
	v_fma_f32 v12, v26, v21, -v10
	v_fmac_f32_e32 v12, v26, v23
	v_add_f32_e32 v25, v11, v8
	v_add_f32_e32 v8, v10, v12
	v_sub_f32_e32 v11, v9, v8
	v_pk_add_f32 v[14:15], v[8:9], v[10:11] neg_lo:[0,1] neg_hi:[0,1]
	v_mov_b32_e32 v13, v8
	v_pk_add_f32 v[8:9], v[14:15], v[12:13] neg_lo:[0,1] neg_hi:[0,1]
	v_cmp_eq_f32_e32 vcc, s87, v30
	v_add_f32_e32 v9, v25, v9
	v_add_f32_e32 v8, v8, v9
	;; [unrolled: 1-line block ×3, first 2 shown]
	v_mul_f32_e32 v25, v24, v9
	v_mul_f32_e32 v10, v21, v25
	v_fma_f32 v12, v25, v21, -v10
	v_fmac_f32_e32 v12, v25, v23
	v_sub_f32_e32 v11, v11, v9
	v_add_f32_e32 v21, v8, v11
	v_add_f32_e32 v8, v10, v12
	v_sub_f32_e32 v11, v9, v8
	v_pk_add_f32 v[14:15], v[8:9], v[10:11] neg_lo:[0,1] neg_hi:[0,1]
	v_mov_b32_e32 v13, v8
	v_pk_add_f32 v[8:9], v[14:15], v[12:13] neg_lo:[0,1] neg_hi:[0,1]
	s_or_b64 vcc, s[2:3], vcc
	v_add_f32_e32 v9, v21, v9
	v_add_f32_e32 v8, v8, v9
	;; [unrolled: 1-line block ×4, first 2 shown]
	v_sub_f32_e32 v10, v9, v26
	v_mul_f32_e32 v8, v24, v8
	v_sub_f32_e32 v10, v25, v10
	v_add_f32_e32 v10, v10, v8
	v_add_f32_e32 v12, v9, v10
	v_mul_f32_e32 v13, v12, v12
	v_fmamk_f32 v8, v13, 0x3e9b6dac, v52
	v_fmaak_f32 v21, v13, v8, 0x3f2aaada
	v_cvt_f32_i32_e32 v8, v22
	v_sub_f32_e32 v9, v12, v9
	v_sub_f32_e32 v9, v10, v9
	v_ldexp_f32 v14, v9, 1
	v_mul_f32_e32 v9, v12, v13
	v_ldexp_f32 v11, v12, 1
	v_pk_mul_f32 v[12:13], v[8:9], v[20:21]
	s_nop 0
	v_fma_f32 v10, v8, s89, -v12
	v_fmac_f32_e32 v10, 0xb102e308, v8
	v_pk_add_f32 v[8:9], v[12:13], v[10:11]
	s_nop 0
	v_sub_f32_e32 v11, v9, v11
	v_sub_f32_e32 v11, v13, v11
	v_add_f32_e32 v15, v14, v11
	v_mov_b32_e32 v14, v12
	v_pk_add_f32 v[12:13], v[8:9], v[12:13] neg_lo:[0,1] neg_hi:[0,1]
	v_pk_add_f32 v[22:23], v[8:9], v[14:15]
	v_mov_b32_e32 v11, v8
	v_mov_b32_e32 v13, v23
	v_pk_add_f32 v[24:25], v[10:11], v[12:13] neg_lo:[0,1] neg_hi:[0,1]
	v_pk_add_f32 v[10:11], v[10:11], v[12:13]
	v_mov_b32_e32 v14, v15
	v_mov_b32_e32 v12, v11
	v_pk_add_f32 v[26:27], v[12:13], v[8:9] neg_lo:[0,1] neg_hi:[0,1]
	v_mov_b32_e32 v10, v23
	v_mov_b32_e32 v13, v26
	v_pk_add_f32 v[28:29], v[22:23], v[12:13] neg_lo:[0,1] neg_hi:[0,1]
	v_mov_b32_e32 v22, v9
	v_mov_b32_e32 v23, v26
	;; [unrolled: 1-line block ×3, first 2 shown]
	v_pk_add_f32 v[10:11], v[10:11], v[22:23] neg_lo:[0,1] neg_hi:[0,1]
	v_mov_b32_e32 v15, v8
	v_pk_add_f32 v[8:9], v[14:15], v[10:11] neg_lo:[0,1] neg_hi:[0,1]
	v_mov_b32_e32 v28, v24
	v_pk_add_f32 v[10:11], v[28:29], v[8:9]
	s_nop 0
	v_mov_b32_e32 v14, v11
	v_pk_add_f32 v[14:15], v[10:11], v[14:15]
	s_nop 0
	v_pk_add_f32 v[12:13], v[12:13], v[14:15]
	v_mov_b32_e32 v9, v14
	v_mov_b32_e32 v11, v12
	v_pk_add_f32 v[22:23], v[10:11], v[24:25] neg_lo:[0,1] neg_hi:[0,1]
	s_nop 0
	v_sub_f32_e32 v10, v10, v22
	v_pk_add_f32 v[8:9], v[8:9], v[22:23] neg_lo:[0,1] neg_hi:[0,1]
	v_sub_f32_e32 v10, v24, v10
	v_add_f32_e32 v8, v8, v10
	v_add_f32_e32 v8, v8, v9
	;; [unrolled: 1-line block ×3, first 2 shown]
	v_cndmask_b32_e32 v67, v8, v30, vcc
.LBB11_18:                              ;   in Loop: Header=BB11_12 Depth=1
	s_or_b64 exec, exec, s[6:7]
	v_lshlrev_b32_e32 v8, 16, v5
	v_add_f32_e32 v68, s33, v8
	v_cmp_ge_f32_e32 vcc, s83, v68
	s_and_b64 s[2:3], s[60:61], vcc
	s_and_saveexec_b64 s[6:7], s[2:3]
	s_cbranch_execz .LBB11_20
; %bb.19:                               ;   in Loop: Header=BB11_12 Depth=1
	v_mul_f32_e32 v8, 0x3fb8aa3b, v68
	v_rndne_f32_e32 v9, v8
	v_sub_f32_e32 v10, v8, v9
	v_fma_f32 v8, v68, s84, -v8
	v_fmac_f32_e32 v8, 0x32a5705f, v68
	v_add_f32_e32 v8, v10, v8
	v_cvt_i32_f32_e32 v9, v9
	v_exp_f32_e32 v8, v8
	v_cmp_ngt_f32_e32 vcc, s85, v68
	v_ldexp_f32 v8, v8, v9
	s_nop 0
	v_cndmask_b32_e32 v8, 0, v8, vcc
	v_cmp_nlt_f32_e32 vcc, s86, v68
	s_nop 1
	v_cndmask_b32_e32 v30, v53, v8, vcc
	v_add_f32_e32 v10, 1.0, v30
	v_add_f32_e32 v8, -1.0, v10
	v_sub_f32_e32 v9, v8, v10
	v_add_f32_e32 v9, 1.0, v9
	v_sub_f32_e32 v8, v30, v8
	v_add_f32_e32 v11, v8, v9
	v_frexp_mant_f32_e32 v12, v10
	v_cvt_f64_f32_e32 v[8:9], v10
	v_frexp_exp_i32_f64_e32 v8, v[8:9]
	v_cmp_gt_f32_e32 vcc, s88, v12
	v_cmp_gt_f32_e64 s[2:3], s90, v30
	s_nop 0
	v_subbrev_co_u32_e32 v22, vcc, 0, v8, vcc
	v_sub_u32_e32 v8, 0, v22
	v_ldexp_f32 v9, v10, v8
	v_add_f32_e32 v10, -1.0, v9
	v_add_f32_e32 v12, 1.0, v9
	v_ldexp_f32 v8, v11, v8
	v_add_f32_e32 v11, 1.0, v10
	v_add_f32_e32 v13, -1.0, v12
	v_sub_f32_e32 v11, v9, v11
	v_sub_f32_e32 v9, v9, v13
	v_add_f32_e32 v11, v8, v11
	v_add_f32_e32 v8, v8, v9
	;; [unrolled: 1-line block ×3, first 2 shown]
	v_rcp_f32_e32 v24, v21
	v_sub_f32_e32 v9, v12, v21
	v_add_f32_e32 v23, v8, v9
	v_add_f32_e32 v9, v10, v11
	v_mul_f32_e32 v26, v9, v24
	v_sub_f32_e32 v8, v10, v9
	v_mul_f32_e32 v10, v21, v26
	v_fma_f32 v12, v26, v21, -v10
	v_fmac_f32_e32 v12, v26, v23
	v_add_f32_e32 v25, v11, v8
	v_add_f32_e32 v8, v10, v12
	v_sub_f32_e32 v11, v9, v8
	v_pk_add_f32 v[14:15], v[8:9], v[10:11] neg_lo:[0,1] neg_hi:[0,1]
	v_mov_b32_e32 v13, v8
	v_pk_add_f32 v[8:9], v[14:15], v[12:13] neg_lo:[0,1] neg_hi:[0,1]
	v_cmp_eq_f32_e32 vcc, s87, v30
	v_add_f32_e32 v9, v25, v9
	v_add_f32_e32 v8, v8, v9
	;; [unrolled: 1-line block ×3, first 2 shown]
	v_mul_f32_e32 v25, v24, v9
	v_mul_f32_e32 v10, v21, v25
	v_fma_f32 v12, v25, v21, -v10
	v_fmac_f32_e32 v12, v25, v23
	v_sub_f32_e32 v11, v11, v9
	v_add_f32_e32 v21, v8, v11
	v_add_f32_e32 v8, v10, v12
	v_sub_f32_e32 v11, v9, v8
	v_pk_add_f32 v[14:15], v[8:9], v[10:11] neg_lo:[0,1] neg_hi:[0,1]
	v_mov_b32_e32 v13, v8
	v_pk_add_f32 v[8:9], v[14:15], v[12:13] neg_lo:[0,1] neg_hi:[0,1]
	s_or_b64 vcc, s[2:3], vcc
	v_add_f32_e32 v9, v21, v9
	v_add_f32_e32 v8, v8, v9
	;; [unrolled: 1-line block ×4, first 2 shown]
	v_sub_f32_e32 v10, v9, v26
	v_mul_f32_e32 v8, v24, v8
	v_sub_f32_e32 v10, v25, v10
	v_add_f32_e32 v10, v10, v8
	v_add_f32_e32 v12, v9, v10
	v_mul_f32_e32 v13, v12, v12
	v_fmamk_f32 v8, v13, 0x3e9b6dac, v52
	v_fmaak_f32 v21, v13, v8, 0x3f2aaada
	v_cvt_f32_i32_e32 v8, v22
	v_sub_f32_e32 v9, v12, v9
	v_sub_f32_e32 v9, v10, v9
	v_ldexp_f32 v14, v9, 1
	v_mul_f32_e32 v9, v12, v13
	v_ldexp_f32 v11, v12, 1
	v_pk_mul_f32 v[12:13], v[8:9], v[20:21]
	s_nop 0
	v_fma_f32 v10, v8, s89, -v12
	v_fmac_f32_e32 v10, 0xb102e308, v8
	v_pk_add_f32 v[8:9], v[12:13], v[10:11]
	s_nop 0
	v_sub_f32_e32 v11, v9, v11
	v_sub_f32_e32 v11, v13, v11
	v_add_f32_e32 v15, v14, v11
	v_mov_b32_e32 v14, v12
	v_pk_add_f32 v[12:13], v[8:9], v[12:13] neg_lo:[0,1] neg_hi:[0,1]
	v_pk_add_f32 v[22:23], v[8:9], v[14:15]
	v_mov_b32_e32 v11, v8
	v_mov_b32_e32 v13, v23
	v_pk_add_f32 v[24:25], v[10:11], v[12:13] neg_lo:[0,1] neg_hi:[0,1]
	v_pk_add_f32 v[10:11], v[10:11], v[12:13]
	v_mov_b32_e32 v14, v15
	v_mov_b32_e32 v12, v11
	v_pk_add_f32 v[26:27], v[12:13], v[8:9] neg_lo:[0,1] neg_hi:[0,1]
	v_mov_b32_e32 v10, v23
	v_mov_b32_e32 v13, v26
	v_pk_add_f32 v[28:29], v[22:23], v[12:13] neg_lo:[0,1] neg_hi:[0,1]
	v_mov_b32_e32 v22, v9
	v_mov_b32_e32 v23, v26
	v_mov_b32_e32 v25, v11
	v_pk_add_f32 v[10:11], v[10:11], v[22:23] neg_lo:[0,1] neg_hi:[0,1]
	v_mov_b32_e32 v15, v8
	v_pk_add_f32 v[8:9], v[14:15], v[10:11] neg_lo:[0,1] neg_hi:[0,1]
	v_mov_b32_e32 v28, v24
	v_pk_add_f32 v[10:11], v[28:29], v[8:9]
	s_nop 0
	v_mov_b32_e32 v14, v11
	v_pk_add_f32 v[14:15], v[10:11], v[14:15]
	s_nop 0
	v_pk_add_f32 v[12:13], v[12:13], v[14:15]
	v_mov_b32_e32 v9, v14
	v_mov_b32_e32 v11, v12
	v_pk_add_f32 v[22:23], v[10:11], v[24:25] neg_lo:[0,1] neg_hi:[0,1]
	s_nop 0
	v_sub_f32_e32 v10, v10, v22
	v_pk_add_f32 v[8:9], v[8:9], v[22:23] neg_lo:[0,1] neg_hi:[0,1]
	v_sub_f32_e32 v10, v24, v10
	v_add_f32_e32 v8, v8, v10
	v_add_f32_e32 v8, v8, v9
	v_add_f32_e32 v8, v12, v8
	v_cndmask_b32_e32 v68, v8, v30, vcc
.LBB11_20:                              ;   in Loop: Header=BB11_12 Depth=1
	s_or_b64 exec, exec, s[6:7]
	v_lshlrev_b32_e32 v8, 16, v60
	v_add_f32_e32 v69, s33, v8
	v_cmp_ge_f32_e32 vcc, s83, v69
	s_and_b64 s[2:3], s[60:61], vcc
	s_and_saveexec_b64 s[6:7], s[2:3]
	s_cbranch_execz .LBB11_22
; %bb.21:                               ;   in Loop: Header=BB11_12 Depth=1
	v_mul_f32_e32 v8, 0x3fb8aa3b, v69
	v_rndne_f32_e32 v9, v8
	v_sub_f32_e32 v10, v8, v9
	v_fma_f32 v8, v69, s84, -v8
	v_fmac_f32_e32 v8, 0x32a5705f, v69
	v_add_f32_e32 v8, v10, v8
	v_cvt_i32_f32_e32 v9, v9
	v_exp_f32_e32 v8, v8
	v_cmp_ngt_f32_e32 vcc, s85, v69
	v_ldexp_f32 v8, v8, v9
	s_nop 0
	v_cndmask_b32_e32 v8, 0, v8, vcc
	v_cmp_nlt_f32_e32 vcc, s86, v69
	s_nop 1
	v_cndmask_b32_e32 v30, v53, v8, vcc
	v_add_f32_e32 v10, 1.0, v30
	v_add_f32_e32 v8, -1.0, v10
	v_sub_f32_e32 v9, v8, v10
	v_add_f32_e32 v9, 1.0, v9
	v_sub_f32_e32 v8, v30, v8
	v_add_f32_e32 v11, v8, v9
	v_frexp_mant_f32_e32 v12, v10
	v_cvt_f64_f32_e32 v[8:9], v10
	v_frexp_exp_i32_f64_e32 v8, v[8:9]
	v_cmp_gt_f32_e32 vcc, s88, v12
	v_cmp_gt_f32_e64 s[2:3], s90, v30
	s_nop 0
	v_subbrev_co_u32_e32 v22, vcc, 0, v8, vcc
	v_sub_u32_e32 v8, 0, v22
	v_ldexp_f32 v9, v10, v8
	v_add_f32_e32 v10, -1.0, v9
	v_add_f32_e32 v12, 1.0, v9
	v_ldexp_f32 v8, v11, v8
	v_add_f32_e32 v11, 1.0, v10
	v_add_f32_e32 v13, -1.0, v12
	v_sub_f32_e32 v11, v9, v11
	v_sub_f32_e32 v9, v9, v13
	v_add_f32_e32 v11, v8, v11
	v_add_f32_e32 v8, v8, v9
	;; [unrolled: 1-line block ×3, first 2 shown]
	v_rcp_f32_e32 v24, v21
	v_sub_f32_e32 v9, v12, v21
	v_add_f32_e32 v23, v8, v9
	v_add_f32_e32 v9, v10, v11
	v_mul_f32_e32 v26, v9, v24
	v_sub_f32_e32 v8, v10, v9
	v_mul_f32_e32 v10, v21, v26
	v_fma_f32 v12, v26, v21, -v10
	v_fmac_f32_e32 v12, v26, v23
	v_add_f32_e32 v25, v11, v8
	v_add_f32_e32 v8, v10, v12
	v_sub_f32_e32 v11, v9, v8
	v_pk_add_f32 v[14:15], v[8:9], v[10:11] neg_lo:[0,1] neg_hi:[0,1]
	v_mov_b32_e32 v13, v8
	v_pk_add_f32 v[8:9], v[14:15], v[12:13] neg_lo:[0,1] neg_hi:[0,1]
	v_cmp_eq_f32_e32 vcc, s87, v30
	v_add_f32_e32 v9, v25, v9
	v_add_f32_e32 v8, v8, v9
	;; [unrolled: 1-line block ×3, first 2 shown]
	v_mul_f32_e32 v25, v24, v9
	v_mul_f32_e32 v10, v21, v25
	v_fma_f32 v12, v25, v21, -v10
	v_fmac_f32_e32 v12, v25, v23
	v_sub_f32_e32 v11, v11, v9
	v_add_f32_e32 v21, v8, v11
	v_add_f32_e32 v8, v10, v12
	v_sub_f32_e32 v11, v9, v8
	v_pk_add_f32 v[14:15], v[8:9], v[10:11] neg_lo:[0,1] neg_hi:[0,1]
	v_mov_b32_e32 v13, v8
	v_pk_add_f32 v[8:9], v[14:15], v[12:13] neg_lo:[0,1] neg_hi:[0,1]
	s_or_b64 vcc, s[2:3], vcc
	v_add_f32_e32 v9, v21, v9
	v_add_f32_e32 v8, v8, v9
	;; [unrolled: 1-line block ×4, first 2 shown]
	v_sub_f32_e32 v10, v9, v26
	v_mul_f32_e32 v8, v24, v8
	v_sub_f32_e32 v10, v25, v10
	v_add_f32_e32 v10, v10, v8
	v_add_f32_e32 v12, v9, v10
	v_mul_f32_e32 v13, v12, v12
	v_fmamk_f32 v8, v13, 0x3e9b6dac, v52
	v_fmaak_f32 v21, v13, v8, 0x3f2aaada
	v_cvt_f32_i32_e32 v8, v22
	v_sub_f32_e32 v9, v12, v9
	v_sub_f32_e32 v9, v10, v9
	v_ldexp_f32 v14, v9, 1
	v_mul_f32_e32 v9, v12, v13
	v_ldexp_f32 v11, v12, 1
	v_pk_mul_f32 v[12:13], v[8:9], v[20:21]
	s_nop 0
	v_fma_f32 v10, v8, s89, -v12
	v_fmac_f32_e32 v10, 0xb102e308, v8
	v_pk_add_f32 v[8:9], v[12:13], v[10:11]
	s_nop 0
	v_sub_f32_e32 v11, v9, v11
	v_sub_f32_e32 v11, v13, v11
	v_add_f32_e32 v15, v14, v11
	v_mov_b32_e32 v14, v12
	v_pk_add_f32 v[12:13], v[8:9], v[12:13] neg_lo:[0,1] neg_hi:[0,1]
	v_pk_add_f32 v[22:23], v[8:9], v[14:15]
	v_mov_b32_e32 v11, v8
	v_mov_b32_e32 v13, v23
	v_pk_add_f32 v[24:25], v[10:11], v[12:13] neg_lo:[0,1] neg_hi:[0,1]
	v_pk_add_f32 v[10:11], v[10:11], v[12:13]
	v_mov_b32_e32 v14, v15
	v_mov_b32_e32 v12, v11
	v_pk_add_f32 v[26:27], v[12:13], v[8:9] neg_lo:[0,1] neg_hi:[0,1]
	v_mov_b32_e32 v10, v23
	v_mov_b32_e32 v13, v26
	v_pk_add_f32 v[28:29], v[22:23], v[12:13] neg_lo:[0,1] neg_hi:[0,1]
	v_mov_b32_e32 v22, v9
	v_mov_b32_e32 v23, v26
	;; [unrolled: 1-line block ×3, first 2 shown]
	v_pk_add_f32 v[10:11], v[10:11], v[22:23] neg_lo:[0,1] neg_hi:[0,1]
	v_mov_b32_e32 v15, v8
	v_pk_add_f32 v[8:9], v[14:15], v[10:11] neg_lo:[0,1] neg_hi:[0,1]
	v_mov_b32_e32 v28, v24
	v_pk_add_f32 v[10:11], v[28:29], v[8:9]
	s_nop 0
	v_mov_b32_e32 v14, v11
	v_pk_add_f32 v[14:15], v[10:11], v[14:15]
	s_nop 0
	v_pk_add_f32 v[12:13], v[12:13], v[14:15]
	v_mov_b32_e32 v9, v14
	v_mov_b32_e32 v11, v12
	v_pk_add_f32 v[22:23], v[10:11], v[24:25] neg_lo:[0,1] neg_hi:[0,1]
	s_nop 0
	v_sub_f32_e32 v10, v10, v22
	v_pk_add_f32 v[8:9], v[8:9], v[22:23] neg_lo:[0,1] neg_hi:[0,1]
	v_sub_f32_e32 v10, v24, v10
	v_add_f32_e32 v8, v8, v10
	v_add_f32_e32 v8, v8, v9
	;; [unrolled: 1-line block ×3, first 2 shown]
	v_cndmask_b32_e32 v69, v8, v30, vcc
.LBB11_22:                              ;   in Loop: Header=BB11_12 Depth=1
	s_or_b64 exec, exec, s[6:7]
	v_lshlrev_b32_e32 v8, 16, v6
	v_add_f32_e32 v70, s33, v8
	v_cmp_ge_f32_e32 vcc, s83, v70
	s_and_b64 s[2:3], s[60:61], vcc
	s_and_saveexec_b64 s[6:7], s[2:3]
	s_cbranch_execz .LBB11_24
; %bb.23:                               ;   in Loop: Header=BB11_12 Depth=1
	v_mul_f32_e32 v8, 0x3fb8aa3b, v70
	v_rndne_f32_e32 v9, v8
	v_sub_f32_e32 v10, v8, v9
	v_fma_f32 v8, v70, s84, -v8
	v_fmac_f32_e32 v8, 0x32a5705f, v70
	v_add_f32_e32 v8, v10, v8
	v_cvt_i32_f32_e32 v9, v9
	v_exp_f32_e32 v8, v8
	v_cmp_ngt_f32_e32 vcc, s85, v70
	v_ldexp_f32 v8, v8, v9
	s_nop 0
	v_cndmask_b32_e32 v8, 0, v8, vcc
	v_cmp_nlt_f32_e32 vcc, s86, v70
	s_nop 1
	v_cndmask_b32_e32 v30, v53, v8, vcc
	v_add_f32_e32 v10, 1.0, v30
	v_add_f32_e32 v8, -1.0, v10
	v_sub_f32_e32 v9, v8, v10
	v_add_f32_e32 v9, 1.0, v9
	v_sub_f32_e32 v8, v30, v8
	v_add_f32_e32 v11, v8, v9
	v_frexp_mant_f32_e32 v12, v10
	v_cvt_f64_f32_e32 v[8:9], v10
	v_frexp_exp_i32_f64_e32 v8, v[8:9]
	v_cmp_gt_f32_e32 vcc, s88, v12
	v_cmp_gt_f32_e64 s[2:3], s90, v30
	s_nop 0
	v_subbrev_co_u32_e32 v22, vcc, 0, v8, vcc
	v_sub_u32_e32 v8, 0, v22
	v_ldexp_f32 v9, v10, v8
	v_add_f32_e32 v10, -1.0, v9
	v_add_f32_e32 v12, 1.0, v9
	v_ldexp_f32 v8, v11, v8
	v_add_f32_e32 v11, 1.0, v10
	v_add_f32_e32 v13, -1.0, v12
	v_sub_f32_e32 v11, v9, v11
	v_sub_f32_e32 v9, v9, v13
	v_add_f32_e32 v11, v8, v11
	v_add_f32_e32 v8, v8, v9
	;; [unrolled: 1-line block ×3, first 2 shown]
	v_rcp_f32_e32 v24, v21
	v_sub_f32_e32 v9, v12, v21
	v_add_f32_e32 v23, v8, v9
	v_add_f32_e32 v9, v10, v11
	v_mul_f32_e32 v26, v9, v24
	v_sub_f32_e32 v8, v10, v9
	v_mul_f32_e32 v10, v21, v26
	v_fma_f32 v12, v26, v21, -v10
	v_fmac_f32_e32 v12, v26, v23
	v_add_f32_e32 v25, v11, v8
	v_add_f32_e32 v8, v10, v12
	v_sub_f32_e32 v11, v9, v8
	v_pk_add_f32 v[14:15], v[8:9], v[10:11] neg_lo:[0,1] neg_hi:[0,1]
	v_mov_b32_e32 v13, v8
	v_pk_add_f32 v[8:9], v[14:15], v[12:13] neg_lo:[0,1] neg_hi:[0,1]
	v_cmp_eq_f32_e32 vcc, s87, v30
	v_add_f32_e32 v9, v25, v9
	v_add_f32_e32 v8, v8, v9
	;; [unrolled: 1-line block ×3, first 2 shown]
	v_mul_f32_e32 v25, v24, v9
	v_mul_f32_e32 v10, v21, v25
	v_fma_f32 v12, v25, v21, -v10
	v_fmac_f32_e32 v12, v25, v23
	v_sub_f32_e32 v11, v11, v9
	v_add_f32_e32 v21, v8, v11
	v_add_f32_e32 v8, v10, v12
	v_sub_f32_e32 v11, v9, v8
	v_pk_add_f32 v[14:15], v[8:9], v[10:11] neg_lo:[0,1] neg_hi:[0,1]
	v_mov_b32_e32 v13, v8
	v_pk_add_f32 v[8:9], v[14:15], v[12:13] neg_lo:[0,1] neg_hi:[0,1]
	s_or_b64 vcc, s[2:3], vcc
	v_add_f32_e32 v9, v21, v9
	v_add_f32_e32 v8, v8, v9
	;; [unrolled: 1-line block ×4, first 2 shown]
	v_sub_f32_e32 v10, v9, v26
	v_mul_f32_e32 v8, v24, v8
	v_sub_f32_e32 v10, v25, v10
	v_add_f32_e32 v10, v10, v8
	v_add_f32_e32 v12, v9, v10
	v_mul_f32_e32 v13, v12, v12
	v_fmamk_f32 v8, v13, 0x3e9b6dac, v52
	v_fmaak_f32 v21, v13, v8, 0x3f2aaada
	v_cvt_f32_i32_e32 v8, v22
	v_sub_f32_e32 v9, v12, v9
	v_sub_f32_e32 v9, v10, v9
	v_ldexp_f32 v14, v9, 1
	v_mul_f32_e32 v9, v12, v13
	v_ldexp_f32 v11, v12, 1
	v_pk_mul_f32 v[12:13], v[8:9], v[20:21]
	s_nop 0
	v_fma_f32 v10, v8, s89, -v12
	v_fmac_f32_e32 v10, 0xb102e308, v8
	v_pk_add_f32 v[8:9], v[12:13], v[10:11]
	s_nop 0
	v_sub_f32_e32 v11, v9, v11
	v_sub_f32_e32 v11, v13, v11
	v_add_f32_e32 v15, v14, v11
	v_mov_b32_e32 v14, v12
	v_pk_add_f32 v[12:13], v[8:9], v[12:13] neg_lo:[0,1] neg_hi:[0,1]
	v_pk_add_f32 v[22:23], v[8:9], v[14:15]
	v_mov_b32_e32 v11, v8
	v_mov_b32_e32 v13, v23
	v_pk_add_f32 v[24:25], v[10:11], v[12:13] neg_lo:[0,1] neg_hi:[0,1]
	v_pk_add_f32 v[10:11], v[10:11], v[12:13]
	v_mov_b32_e32 v14, v15
	v_mov_b32_e32 v12, v11
	v_pk_add_f32 v[26:27], v[12:13], v[8:9] neg_lo:[0,1] neg_hi:[0,1]
	v_mov_b32_e32 v10, v23
	v_mov_b32_e32 v13, v26
	v_pk_add_f32 v[28:29], v[22:23], v[12:13] neg_lo:[0,1] neg_hi:[0,1]
	v_mov_b32_e32 v22, v9
	v_mov_b32_e32 v23, v26
	;; [unrolled: 1-line block ×3, first 2 shown]
	v_pk_add_f32 v[10:11], v[10:11], v[22:23] neg_lo:[0,1] neg_hi:[0,1]
	v_mov_b32_e32 v15, v8
	v_pk_add_f32 v[8:9], v[14:15], v[10:11] neg_lo:[0,1] neg_hi:[0,1]
	v_mov_b32_e32 v28, v24
	v_pk_add_f32 v[10:11], v[28:29], v[8:9]
	s_nop 0
	v_mov_b32_e32 v14, v11
	v_pk_add_f32 v[14:15], v[10:11], v[14:15]
	s_nop 0
	v_pk_add_f32 v[12:13], v[12:13], v[14:15]
	v_mov_b32_e32 v9, v14
	v_mov_b32_e32 v11, v12
	v_pk_add_f32 v[22:23], v[10:11], v[24:25] neg_lo:[0,1] neg_hi:[0,1]
	s_nop 0
	v_sub_f32_e32 v10, v10, v22
	v_pk_add_f32 v[8:9], v[8:9], v[22:23] neg_lo:[0,1] neg_hi:[0,1]
	v_sub_f32_e32 v10, v24, v10
	v_add_f32_e32 v8, v8, v10
	v_add_f32_e32 v8, v8, v9
	;; [unrolled: 1-line block ×3, first 2 shown]
	v_cndmask_b32_e32 v70, v8, v30, vcc
.LBB11_24:                              ;   in Loop: Header=BB11_12 Depth=1
	s_or_b64 exec, exec, s[6:7]
	v_lshlrev_b32_e32 v8, 16, v62
	v_add_f32_e32 v71, s33, v8
	v_cmp_ge_f32_e32 vcc, s83, v71
	s_and_b64 s[2:3], s[60:61], vcc
	s_and_saveexec_b64 s[6:7], s[2:3]
	s_cbranch_execz .LBB11_26
; %bb.25:                               ;   in Loop: Header=BB11_12 Depth=1
	v_mul_f32_e32 v8, 0x3fb8aa3b, v71
	v_rndne_f32_e32 v9, v8
	v_sub_f32_e32 v10, v8, v9
	v_fma_f32 v8, v71, s84, -v8
	v_fmac_f32_e32 v8, 0x32a5705f, v71
	v_add_f32_e32 v8, v10, v8
	v_cvt_i32_f32_e32 v9, v9
	v_exp_f32_e32 v8, v8
	v_cmp_ngt_f32_e32 vcc, s85, v71
	v_ldexp_f32 v8, v8, v9
	s_nop 0
	v_cndmask_b32_e32 v8, 0, v8, vcc
	v_cmp_nlt_f32_e32 vcc, s86, v71
	s_nop 1
	v_cndmask_b32_e32 v30, v53, v8, vcc
	v_add_f32_e32 v10, 1.0, v30
	v_add_f32_e32 v8, -1.0, v10
	v_sub_f32_e32 v9, v8, v10
	v_add_f32_e32 v9, 1.0, v9
	v_sub_f32_e32 v8, v30, v8
	v_add_f32_e32 v11, v8, v9
	v_frexp_mant_f32_e32 v12, v10
	v_cvt_f64_f32_e32 v[8:9], v10
	v_frexp_exp_i32_f64_e32 v8, v[8:9]
	v_cmp_gt_f32_e32 vcc, s88, v12
	v_cmp_gt_f32_e64 s[2:3], s90, v30
	s_nop 0
	v_subbrev_co_u32_e32 v22, vcc, 0, v8, vcc
	v_sub_u32_e32 v8, 0, v22
	v_ldexp_f32 v9, v10, v8
	v_add_f32_e32 v10, -1.0, v9
	v_add_f32_e32 v12, 1.0, v9
	v_ldexp_f32 v8, v11, v8
	v_add_f32_e32 v11, 1.0, v10
	v_add_f32_e32 v13, -1.0, v12
	v_sub_f32_e32 v11, v9, v11
	v_sub_f32_e32 v9, v9, v13
	v_add_f32_e32 v11, v8, v11
	v_add_f32_e32 v8, v8, v9
	;; [unrolled: 1-line block ×3, first 2 shown]
	v_rcp_f32_e32 v24, v21
	v_sub_f32_e32 v9, v12, v21
	v_add_f32_e32 v23, v8, v9
	v_add_f32_e32 v9, v10, v11
	v_mul_f32_e32 v26, v9, v24
	v_sub_f32_e32 v8, v10, v9
	v_mul_f32_e32 v10, v21, v26
	v_fma_f32 v12, v26, v21, -v10
	v_fmac_f32_e32 v12, v26, v23
	v_add_f32_e32 v25, v11, v8
	v_add_f32_e32 v8, v10, v12
	v_sub_f32_e32 v11, v9, v8
	v_pk_add_f32 v[14:15], v[8:9], v[10:11] neg_lo:[0,1] neg_hi:[0,1]
	v_mov_b32_e32 v13, v8
	v_pk_add_f32 v[8:9], v[14:15], v[12:13] neg_lo:[0,1] neg_hi:[0,1]
	v_cmp_eq_f32_e32 vcc, s87, v30
	v_add_f32_e32 v9, v25, v9
	v_add_f32_e32 v8, v8, v9
	;; [unrolled: 1-line block ×3, first 2 shown]
	v_mul_f32_e32 v25, v24, v9
	v_mul_f32_e32 v10, v21, v25
	v_fma_f32 v12, v25, v21, -v10
	v_fmac_f32_e32 v12, v25, v23
	v_sub_f32_e32 v11, v11, v9
	v_add_f32_e32 v21, v8, v11
	v_add_f32_e32 v8, v10, v12
	v_sub_f32_e32 v11, v9, v8
	v_pk_add_f32 v[14:15], v[8:9], v[10:11] neg_lo:[0,1] neg_hi:[0,1]
	v_mov_b32_e32 v13, v8
	v_pk_add_f32 v[8:9], v[14:15], v[12:13] neg_lo:[0,1] neg_hi:[0,1]
	s_or_b64 vcc, s[2:3], vcc
	v_add_f32_e32 v9, v21, v9
	v_add_f32_e32 v8, v8, v9
	;; [unrolled: 1-line block ×4, first 2 shown]
	v_sub_f32_e32 v10, v9, v26
	v_mul_f32_e32 v8, v24, v8
	v_sub_f32_e32 v10, v25, v10
	v_add_f32_e32 v10, v10, v8
	v_add_f32_e32 v12, v9, v10
	v_mul_f32_e32 v13, v12, v12
	v_fmamk_f32 v8, v13, 0x3e9b6dac, v52
	v_fmaak_f32 v21, v13, v8, 0x3f2aaada
	v_cvt_f32_i32_e32 v8, v22
	v_sub_f32_e32 v9, v12, v9
	v_sub_f32_e32 v9, v10, v9
	v_ldexp_f32 v14, v9, 1
	v_mul_f32_e32 v9, v12, v13
	v_ldexp_f32 v11, v12, 1
	v_pk_mul_f32 v[12:13], v[8:9], v[20:21]
	s_nop 0
	v_fma_f32 v10, v8, s89, -v12
	v_fmac_f32_e32 v10, 0xb102e308, v8
	v_pk_add_f32 v[8:9], v[12:13], v[10:11]
	s_nop 0
	v_sub_f32_e32 v11, v9, v11
	v_sub_f32_e32 v11, v13, v11
	v_add_f32_e32 v15, v14, v11
	v_mov_b32_e32 v14, v12
	v_pk_add_f32 v[12:13], v[8:9], v[12:13] neg_lo:[0,1] neg_hi:[0,1]
	v_pk_add_f32 v[22:23], v[8:9], v[14:15]
	v_mov_b32_e32 v11, v8
	v_mov_b32_e32 v13, v23
	v_pk_add_f32 v[24:25], v[10:11], v[12:13] neg_lo:[0,1] neg_hi:[0,1]
	v_pk_add_f32 v[10:11], v[10:11], v[12:13]
	v_mov_b32_e32 v14, v15
	v_mov_b32_e32 v12, v11
	v_pk_add_f32 v[26:27], v[12:13], v[8:9] neg_lo:[0,1] neg_hi:[0,1]
	v_mov_b32_e32 v10, v23
	v_mov_b32_e32 v13, v26
	v_pk_add_f32 v[28:29], v[22:23], v[12:13] neg_lo:[0,1] neg_hi:[0,1]
	v_mov_b32_e32 v22, v9
	v_mov_b32_e32 v23, v26
	;; [unrolled: 1-line block ×3, first 2 shown]
	v_pk_add_f32 v[10:11], v[10:11], v[22:23] neg_lo:[0,1] neg_hi:[0,1]
	v_mov_b32_e32 v15, v8
	v_pk_add_f32 v[8:9], v[14:15], v[10:11] neg_lo:[0,1] neg_hi:[0,1]
	v_mov_b32_e32 v28, v24
	v_pk_add_f32 v[10:11], v[28:29], v[8:9]
	s_nop 0
	v_mov_b32_e32 v14, v11
	v_pk_add_f32 v[14:15], v[10:11], v[14:15]
	s_nop 0
	v_pk_add_f32 v[12:13], v[12:13], v[14:15]
	v_mov_b32_e32 v9, v14
	v_mov_b32_e32 v11, v12
	v_pk_add_f32 v[22:23], v[10:11], v[24:25] neg_lo:[0,1] neg_hi:[0,1]
	s_nop 0
	v_sub_f32_e32 v10, v10, v22
	v_pk_add_f32 v[8:9], v[8:9], v[22:23] neg_lo:[0,1] neg_hi:[0,1]
	v_sub_f32_e32 v10, v24, v10
	v_add_f32_e32 v8, v8, v10
	v_add_f32_e32 v8, v8, v9
	;; [unrolled: 1-line block ×3, first 2 shown]
	v_cndmask_b32_e32 v71, v8, v30, vcc
.LBB11_26:                              ;   in Loop: Header=BB11_12 Depth=1
	s_or_b64 exec, exec, s[6:7]
	v_lshlrev_b32_e32 v8, 16, v7
	v_add_f32_e32 v72, s33, v8
	v_cmp_ge_f32_e32 vcc, s83, v72
	s_and_b64 s[2:3], s[60:61], vcc
	s_and_saveexec_b64 s[6:7], s[2:3]
	s_cbranch_execz .LBB11_28
; %bb.27:                               ;   in Loop: Header=BB11_12 Depth=1
	v_mul_f32_e32 v8, 0x3fb8aa3b, v72
	v_rndne_f32_e32 v9, v8
	v_sub_f32_e32 v10, v8, v9
	v_fma_f32 v8, v72, s84, -v8
	v_fmac_f32_e32 v8, 0x32a5705f, v72
	v_add_f32_e32 v8, v10, v8
	v_cvt_i32_f32_e32 v9, v9
	v_exp_f32_e32 v8, v8
	v_cmp_ngt_f32_e32 vcc, s85, v72
	v_ldexp_f32 v8, v8, v9
	s_nop 0
	v_cndmask_b32_e32 v8, 0, v8, vcc
	v_cmp_nlt_f32_e32 vcc, s86, v72
	s_nop 1
	v_cndmask_b32_e32 v30, v53, v8, vcc
	v_add_f32_e32 v10, 1.0, v30
	v_add_f32_e32 v8, -1.0, v10
	v_sub_f32_e32 v9, v8, v10
	v_add_f32_e32 v9, 1.0, v9
	v_sub_f32_e32 v8, v30, v8
	v_add_f32_e32 v11, v8, v9
	v_frexp_mant_f32_e32 v12, v10
	v_cvt_f64_f32_e32 v[8:9], v10
	v_frexp_exp_i32_f64_e32 v8, v[8:9]
	v_cmp_gt_f32_e32 vcc, s88, v12
	v_cmp_gt_f32_e64 s[2:3], s90, v30
	s_nop 0
	v_subbrev_co_u32_e32 v22, vcc, 0, v8, vcc
	v_sub_u32_e32 v8, 0, v22
	v_ldexp_f32 v9, v10, v8
	v_add_f32_e32 v10, -1.0, v9
	v_add_f32_e32 v12, 1.0, v9
	v_ldexp_f32 v8, v11, v8
	v_add_f32_e32 v11, 1.0, v10
	v_add_f32_e32 v13, -1.0, v12
	v_sub_f32_e32 v11, v9, v11
	v_sub_f32_e32 v9, v9, v13
	v_add_f32_e32 v11, v8, v11
	v_add_f32_e32 v8, v8, v9
	;; [unrolled: 1-line block ×3, first 2 shown]
	v_rcp_f32_e32 v24, v21
	v_sub_f32_e32 v9, v12, v21
	v_add_f32_e32 v23, v8, v9
	v_add_f32_e32 v9, v10, v11
	v_mul_f32_e32 v26, v9, v24
	v_sub_f32_e32 v8, v10, v9
	v_mul_f32_e32 v10, v21, v26
	v_fma_f32 v12, v26, v21, -v10
	v_fmac_f32_e32 v12, v26, v23
	v_add_f32_e32 v25, v11, v8
	v_add_f32_e32 v8, v10, v12
	v_sub_f32_e32 v11, v9, v8
	v_pk_add_f32 v[14:15], v[8:9], v[10:11] neg_lo:[0,1] neg_hi:[0,1]
	v_mov_b32_e32 v13, v8
	v_pk_add_f32 v[8:9], v[14:15], v[12:13] neg_lo:[0,1] neg_hi:[0,1]
	v_cmp_eq_f32_e32 vcc, s87, v30
	v_add_f32_e32 v9, v25, v9
	v_add_f32_e32 v8, v8, v9
	;; [unrolled: 1-line block ×3, first 2 shown]
	v_mul_f32_e32 v25, v24, v9
	v_mul_f32_e32 v10, v21, v25
	v_fma_f32 v12, v25, v21, -v10
	v_fmac_f32_e32 v12, v25, v23
	v_sub_f32_e32 v11, v11, v9
	v_add_f32_e32 v21, v8, v11
	v_add_f32_e32 v8, v10, v12
	v_sub_f32_e32 v11, v9, v8
	v_pk_add_f32 v[14:15], v[8:9], v[10:11] neg_lo:[0,1] neg_hi:[0,1]
	v_mov_b32_e32 v13, v8
	v_pk_add_f32 v[8:9], v[14:15], v[12:13] neg_lo:[0,1] neg_hi:[0,1]
	s_or_b64 vcc, s[2:3], vcc
	v_add_f32_e32 v9, v21, v9
	v_add_f32_e32 v8, v8, v9
	;; [unrolled: 1-line block ×4, first 2 shown]
	v_sub_f32_e32 v10, v9, v26
	v_mul_f32_e32 v8, v24, v8
	v_sub_f32_e32 v10, v25, v10
	v_add_f32_e32 v10, v10, v8
	v_add_f32_e32 v12, v9, v10
	v_mul_f32_e32 v13, v12, v12
	v_fmamk_f32 v8, v13, 0x3e9b6dac, v52
	v_fmaak_f32 v21, v13, v8, 0x3f2aaada
	v_cvt_f32_i32_e32 v8, v22
	v_sub_f32_e32 v9, v12, v9
	v_sub_f32_e32 v9, v10, v9
	v_ldexp_f32 v14, v9, 1
	v_mul_f32_e32 v9, v12, v13
	v_ldexp_f32 v11, v12, 1
	v_pk_mul_f32 v[12:13], v[8:9], v[20:21]
	s_nop 0
	v_fma_f32 v10, v8, s89, -v12
	v_fmac_f32_e32 v10, 0xb102e308, v8
	v_pk_add_f32 v[8:9], v[12:13], v[10:11]
	s_nop 0
	v_sub_f32_e32 v11, v9, v11
	v_sub_f32_e32 v11, v13, v11
	v_add_f32_e32 v15, v14, v11
	v_mov_b32_e32 v14, v12
	v_pk_add_f32 v[12:13], v[8:9], v[12:13] neg_lo:[0,1] neg_hi:[0,1]
	v_pk_add_f32 v[22:23], v[8:9], v[14:15]
	v_mov_b32_e32 v11, v8
	v_mov_b32_e32 v13, v23
	v_pk_add_f32 v[24:25], v[10:11], v[12:13] neg_lo:[0,1] neg_hi:[0,1]
	v_pk_add_f32 v[10:11], v[10:11], v[12:13]
	v_mov_b32_e32 v14, v15
	v_mov_b32_e32 v12, v11
	v_pk_add_f32 v[26:27], v[12:13], v[8:9] neg_lo:[0,1] neg_hi:[0,1]
	v_mov_b32_e32 v10, v23
	v_mov_b32_e32 v13, v26
	v_pk_add_f32 v[28:29], v[22:23], v[12:13] neg_lo:[0,1] neg_hi:[0,1]
	v_mov_b32_e32 v22, v9
	v_mov_b32_e32 v23, v26
	;; [unrolled: 1-line block ×3, first 2 shown]
	v_pk_add_f32 v[10:11], v[10:11], v[22:23] neg_lo:[0,1] neg_hi:[0,1]
	v_mov_b32_e32 v15, v8
	v_pk_add_f32 v[8:9], v[14:15], v[10:11] neg_lo:[0,1] neg_hi:[0,1]
	v_mov_b32_e32 v28, v24
	v_pk_add_f32 v[10:11], v[28:29], v[8:9]
	s_nop 0
	v_mov_b32_e32 v14, v11
	v_pk_add_f32 v[14:15], v[10:11], v[14:15]
	s_nop 0
	v_pk_add_f32 v[12:13], v[12:13], v[14:15]
	v_mov_b32_e32 v9, v14
	v_mov_b32_e32 v11, v12
	v_pk_add_f32 v[22:23], v[10:11], v[24:25] neg_lo:[0,1] neg_hi:[0,1]
	s_nop 0
	v_sub_f32_e32 v10, v10, v22
	v_pk_add_f32 v[8:9], v[8:9], v[22:23] neg_lo:[0,1] neg_hi:[0,1]
	v_sub_f32_e32 v10, v24, v10
	v_add_f32_e32 v8, v8, v10
	v_add_f32_e32 v8, v8, v9
	v_add_f32_e32 v8, v12, v8
	v_cndmask_b32_e32 v72, v8, v30, vcc
.LBB11_28:                              ;   in Loop: Header=BB11_12 Depth=1
	s_or_b64 exec, exec, s[6:7]
	v_lshlrev_b32_e32 v8, 16, v63
	v_add_f32_e32 v21, s33, v8
	v_cmp_ge_f32_e32 vcc, s83, v21
	s_and_b64 s[2:3], s[60:61], vcc
	s_and_saveexec_b64 s[6:7], s[2:3]
	s_cbranch_execz .LBB11_30
; %bb.29:                               ;   in Loop: Header=BB11_12 Depth=1
	v_mul_f32_e32 v8, 0x3fb8aa3b, v21
	v_rndne_f32_e32 v9, v8
	v_sub_f32_e32 v10, v8, v9
	v_fma_f32 v8, v21, s84, -v8
	v_fmac_f32_e32 v8, 0x32a5705f, v21
	v_add_f32_e32 v8, v10, v8
	v_cvt_i32_f32_e32 v9, v9
	v_exp_f32_e32 v8, v8
	v_cmp_ngt_f32_e32 vcc, s85, v21
	v_ldexp_f32 v8, v8, v9
	s_nop 0
	v_cndmask_b32_e32 v8, 0, v8, vcc
	v_cmp_nlt_f32_e32 vcc, s86, v21
	s_nop 1
	v_cndmask_b32_e32 v30, v53, v8, vcc
	v_add_f32_e32 v10, 1.0, v30
	v_add_f32_e32 v8, -1.0, v10
	v_sub_f32_e32 v9, v8, v10
	v_add_f32_e32 v9, 1.0, v9
	v_sub_f32_e32 v8, v30, v8
	v_add_f32_e32 v11, v8, v9
	v_frexp_mant_f32_e32 v12, v10
	v_cvt_f64_f32_e32 v[8:9], v10
	v_frexp_exp_i32_f64_e32 v8, v[8:9]
	v_cmp_gt_f32_e32 vcc, s88, v12
	v_cmp_gt_f32_e64 s[2:3], s90, v30
	s_nop 0
	v_subbrev_co_u32_e32 v22, vcc, 0, v8, vcc
	v_sub_u32_e32 v8, 0, v22
	v_ldexp_f32 v9, v10, v8
	v_add_f32_e32 v10, -1.0, v9
	v_add_f32_e32 v12, 1.0, v9
	v_ldexp_f32 v8, v11, v8
	v_add_f32_e32 v11, 1.0, v10
	v_add_f32_e32 v13, -1.0, v12
	v_sub_f32_e32 v11, v9, v11
	v_sub_f32_e32 v9, v9, v13
	v_add_f32_e32 v11, v8, v11
	v_add_f32_e32 v8, v8, v9
	;; [unrolled: 1-line block ×3, first 2 shown]
	v_rcp_f32_e32 v24, v21
	v_sub_f32_e32 v9, v12, v21
	v_add_f32_e32 v23, v8, v9
	v_add_f32_e32 v9, v10, v11
	v_mul_f32_e32 v26, v9, v24
	v_sub_f32_e32 v8, v10, v9
	v_mul_f32_e32 v10, v21, v26
	v_fma_f32 v12, v26, v21, -v10
	v_fmac_f32_e32 v12, v26, v23
	v_add_f32_e32 v25, v11, v8
	v_add_f32_e32 v8, v10, v12
	v_sub_f32_e32 v11, v9, v8
	v_pk_add_f32 v[14:15], v[8:9], v[10:11] neg_lo:[0,1] neg_hi:[0,1]
	v_mov_b32_e32 v13, v8
	v_pk_add_f32 v[8:9], v[14:15], v[12:13] neg_lo:[0,1] neg_hi:[0,1]
	v_cmp_eq_f32_e32 vcc, s87, v30
	v_add_f32_e32 v9, v25, v9
	v_add_f32_e32 v8, v8, v9
	;; [unrolled: 1-line block ×3, first 2 shown]
	v_mul_f32_e32 v25, v24, v9
	v_mul_f32_e32 v10, v21, v25
	v_fma_f32 v12, v25, v21, -v10
	v_fmac_f32_e32 v12, v25, v23
	v_sub_f32_e32 v11, v11, v9
	v_add_f32_e32 v21, v8, v11
	v_add_f32_e32 v8, v10, v12
	v_sub_f32_e32 v11, v9, v8
	v_pk_add_f32 v[14:15], v[8:9], v[10:11] neg_lo:[0,1] neg_hi:[0,1]
	v_mov_b32_e32 v13, v8
	v_pk_add_f32 v[8:9], v[14:15], v[12:13] neg_lo:[0,1] neg_hi:[0,1]
	s_or_b64 vcc, s[2:3], vcc
	v_add_f32_e32 v9, v21, v9
	v_add_f32_e32 v8, v8, v9
	;; [unrolled: 1-line block ×4, first 2 shown]
	v_sub_f32_e32 v10, v9, v26
	v_mul_f32_e32 v8, v24, v8
	v_sub_f32_e32 v10, v25, v10
	v_add_f32_e32 v10, v10, v8
	v_add_f32_e32 v12, v9, v10
	v_mul_f32_e32 v13, v12, v12
	v_fmamk_f32 v8, v13, 0x3e9b6dac, v52
	v_fmaak_f32 v21, v13, v8, 0x3f2aaada
	v_cvt_f32_i32_e32 v8, v22
	v_sub_f32_e32 v9, v12, v9
	v_sub_f32_e32 v9, v10, v9
	v_ldexp_f32 v14, v9, 1
	v_mul_f32_e32 v9, v12, v13
	v_ldexp_f32 v11, v12, 1
	v_pk_mul_f32 v[12:13], v[8:9], v[20:21]
	s_nop 0
	v_fma_f32 v10, v8, s89, -v12
	v_fmac_f32_e32 v10, 0xb102e308, v8
	v_pk_add_f32 v[8:9], v[12:13], v[10:11]
	s_nop 0
	v_sub_f32_e32 v11, v9, v11
	v_sub_f32_e32 v11, v13, v11
	v_add_f32_e32 v15, v14, v11
	v_mov_b32_e32 v14, v12
	v_pk_add_f32 v[12:13], v[8:9], v[12:13] neg_lo:[0,1] neg_hi:[0,1]
	v_pk_add_f32 v[22:23], v[8:9], v[14:15]
	v_mov_b32_e32 v11, v8
	v_mov_b32_e32 v13, v23
	v_pk_add_f32 v[24:25], v[10:11], v[12:13] neg_lo:[0,1] neg_hi:[0,1]
	v_pk_add_f32 v[10:11], v[10:11], v[12:13]
	v_mov_b32_e32 v14, v15
	v_mov_b32_e32 v12, v11
	v_pk_add_f32 v[26:27], v[12:13], v[8:9] neg_lo:[0,1] neg_hi:[0,1]
	v_mov_b32_e32 v10, v23
	v_mov_b32_e32 v13, v26
	v_pk_add_f32 v[28:29], v[22:23], v[12:13] neg_lo:[0,1] neg_hi:[0,1]
	v_mov_b32_e32 v22, v9
	v_mov_b32_e32 v23, v26
	;; [unrolled: 1-line block ×3, first 2 shown]
	v_pk_add_f32 v[10:11], v[10:11], v[22:23] neg_lo:[0,1] neg_hi:[0,1]
	v_mov_b32_e32 v15, v8
	v_pk_add_f32 v[8:9], v[14:15], v[10:11] neg_lo:[0,1] neg_hi:[0,1]
	v_mov_b32_e32 v28, v24
	v_pk_add_f32 v[10:11], v[28:29], v[8:9]
	s_nop 0
	v_mov_b32_e32 v14, v11
	v_pk_add_f32 v[14:15], v[10:11], v[14:15]
	s_nop 0
	v_pk_add_f32 v[12:13], v[12:13], v[14:15]
	v_mov_b32_e32 v9, v14
	v_mov_b32_e32 v11, v12
	v_pk_add_f32 v[22:23], v[10:11], v[24:25] neg_lo:[0,1] neg_hi:[0,1]
	s_nop 0
	v_sub_f32_e32 v10, v10, v22
	v_pk_add_f32 v[8:9], v[8:9], v[22:23] neg_lo:[0,1] neg_hi:[0,1]
	v_sub_f32_e32 v10, v24, v10
	v_add_f32_e32 v8, v8, v10
	v_add_f32_e32 v8, v8, v9
	;; [unrolled: 1-line block ×3, first 2 shown]
	v_cndmask_b32_e32 v21, v8, v30, vcc
.LBB11_30:                              ;   in Loop: Header=BB11_12 Depth=1
	s_or_b64 exec, exec, s[6:7]
	v_lshlrev_b32_e32 v8, 16, v3
	v_lshlrev_b32_e32 v10, 16, v65
	;; [unrolled: 1-line block ×8, first 2 shown]
	v_mul_f32_e32 v22, s80, v8
	v_mul_f32_e32 v25, s80, v9
	;; [unrolled: 1-line block ×7, first 2 shown]
	s_lshl_b32 s2, s95, 9
	v_mul_f32_e32 v23, s80, v10
	s_and_b64 vcc, exec, s[62:63]
	s_waitcnt lgkmcnt(0)
	; wave barrier
	s_cbranch_vccz .LBB11_11
; %bb.31:                               ;   in Loop: Header=BB11_12 Depth=1
	v_mul_f32_e32 v74, v72, v8
	v_and_b32_e32 v8, 15, v54
	v_cmp_ne_u32_e64 s[6:7], 0, v8
	v_cmp_lt_u32_e64 s[8:9], 1, v8
	v_cmp_lt_u32_e64 s[10:11], 3, v8
	;; [unrolled: 1-line block ×3, first 2 shown]
	v_and_b32_e32 v8, 16, v54
	v_mul_f32_e32 v75, v71, v9
	s_sub_i32 s3, s54, s2
	v_cmp_ne_u32_e64 s[14:15], 0, v8
	v_add_u32_e32 v8, -1, v54
	v_and_b32_e32 v9, 64, v54
	s_cmp_lg_u32 s95, 0
	v_cmp_lt_i32_e32 vcc, v8, v9
	s_cselect_b64 s[66:67], -1, 0
	s_cmp_eq_u32 s95, s82
	v_cndmask_b32_e32 v8, v8, v54, vcc
	v_cmp_gt_u32_e32 vcc, s3, v44
	s_cselect_b64 s[68:69], -1, 0
	s_or_b64 s[18:19], s[64:65], vcc
	v_cmp_gt_u32_e32 vcc, s3, v45
	s_or_b64 s[20:21], s[64:65], vcc
	v_cmp_gt_u32_e32 vcc, s3, v46
	;; [unrolled: 2-line block ×6, first 2 shown]
	s_mov_b32 s56, 0
	s_or_b64 s[30:31], s[64:65], vcc
	v_cmp_gt_u32_e32 vcc, s3, v51
	v_mul_f32_e32 v73, v21, v10
	v_mul_f32_e32 v76, v70, v11
	;; [unrolled: 1-line block ×6, first 2 shown]
	v_lshl_add_u64 v[30:31], s[42:43], 0, v[16:17]
	v_lshl_add_u64 v[32:33], s[46:47], 0, v[16:17]
	v_cmp_lt_u32_e64 s[16:17], 31, v54
	v_lshlrev_b32_e32 v81, 2, v8
	s_or_b64 s[34:35], s[64:65], vcc
	s_mov_b32 s70, s56
	s_mov_b32 s72, s56
	;; [unrolled: 1-line block ×5, first 2 shown]
	s_branch .LBB11_33
.LBB11_32:                              ;   in Loop: Header=BB11_33 Depth=2
	s_or_b64 exec, exec, s[76:77]
	v_mul_f32_e32 v35, v82, v90
	v_fma_f32 v36, v82, v91, v12
	v_cndmask_b32_e64 v12, v36, v12, s[4:5]
	v_cndmask_b32_e64 v35, v35, v82, s[4:5]
	s_waitcnt lgkmcnt(0)
	v_fmac_f32_e32 v12, v34, v35
	v_fmac_f32_e32 v13, v12, v83
	;; [unrolled: 1-line block ×8, first 2 shown]
	s_waitcnt vmcnt(0)
	v_and_b32_e32 v35, 0xffff0000, v8
	v_and_b32_e32 v37, 0xffff0000, v9
	v_lshlrev_b32_e32 v34, 16, v8
	v_lshlrev_b32_e32 v36, 16, v9
	v_and_b32_e32 v9, 0xffff0000, v10
	v_and_b32_e32 v43, 0xffff0000, v11
	v_lshlrev_b32_e32 v8, 16, v10
	v_lshlrev_b32_e32 v42, 16, v11
	s_add_i32 s96, s96, 8
	s_add_i32 s3, s3, -1
	s_add_i32 s74, s74, s38
	s_add_i32 s72, s72, s48
	;; [unrolled: 1-line block ×4, first 2 shown]
	v_pk_fma_f32 v[26:27], v[38:39], v[36:37], v[26:27]
	v_pk_fma_f32 v[28:29], v[12:13], v[34:35], v[28:29]
	;; [unrolled: 1-line block ×3, first 2 shown]
	s_cmp_eq_u32 s3, 0
	v_pk_fma_f32 v[24:25], v[14:15], v[8:9], v[24:25]
	s_cbranch_scc1 .LBB11_11
.LBB11_33:                              ;   Parent Loop BB11_12 Depth=1
                                        ; =>  This Inner Loop Header: Depth=2
	s_lshl_b64 s[76:77], s[56:57], 2
	s_mov_b32 s71, s57
	s_add_u32 s76, s39, s76
	v_lshl_add_u64 v[8:9], s[70:71], 1, v[30:31]
	s_mov_b32 s73, s57
	s_addc_u32 s77, s40, s77
	global_load_dwordx4 v[12:15], v[8:9], off
	v_lshl_add_u64 v[8:9], s[72:73], 1, v[32:33]
	global_load_dword v34, v17, s[76:77]
	s_andn2_b64 vcc, exec, s[66:67]
	global_load_dwordx4 v[8:11], v[8:9], off
	s_cbranch_vccnz .LBB11_35
; %bb.34:                               ;   in Loop: Header=BB11_33 Depth=2
	v_mov_b32_e32 v35, s96
	ds_read_b64 v[36:37], v35
	s_waitcnt lgkmcnt(0)
	v_mov_b32_e32 v35, v37
	s_cbranch_execz .LBB11_36
	s_branch .LBB11_39
.LBB11_35:                              ;   in Loop: Header=BB11_33 Depth=2
                                        ; implicit-def: $vgpr36
                                        ; implicit-def: $vgpr35
.LBB11_36:                              ;   in Loop: Header=BB11_33 Depth=2
	s_andn2_b64 vcc, exec, s[52:53]
	v_mov_b32_e32 v35, 0
	s_cbranch_vccnz .LBB11_38
; %bb.37:                               ;   in Loop: Header=BB11_33 Depth=2
	s_mov_b32 s75, s57
	s_lshl_b64 s[76:77], s[74:75], 1
	s_add_u32 s76, s45, s76
	s_addc_u32 s77, s49, s77
	global_load_ushort v35, v17, s[76:77]
	s_waitcnt vmcnt(0)
	v_lshlrev_b32_e32 v35, 16, v35
.LBB11_38:                              ;   in Loop: Header=BB11_33 Depth=2
	v_mov_b32_e32 v36, 1.0
.LBB11_39:                              ;   in Loop: Header=BB11_33 Depth=2
	s_waitcnt vmcnt(1)
	v_mul_f32_e32 v34, 0x3fb8aa3b, v34
	v_lshlrev_b32_e32 v37, 16, v12
	v_and_b32_e32 v38, 0xffff0000, v12
	v_mul_f32_e32 v12, v34, v66
	v_cmp_gt_f32_e32 vcc, s92, v12
	v_lshlrev_b32_e32 v41, 16, v14
	v_and_b32_e32 v42, 0xffff0000, v14
	v_cndmask_b32_e32 v12, 0, v55, vcc
	v_mul_f32_e32 v14, v34, v67
	v_lshlrev_b32_e32 v39, 16, v13
	v_and_b32_e32 v40, 0xffff0000, v13
	v_fmac_f32_e32 v12, v34, v66
	v_cndmask_b32_e32 v13, 1.0, v56, vcc
	v_cmp_gt_f32_e32 vcc, s92, v14
	v_exp_f32_e32 v12, v12
	v_lshlrev_b32_e32 v43, 16, v15
	v_cndmask_b32_e32 v14, 0, v55, vcc
	v_fmac_f32_e32 v14, v34, v67
	v_exp_f32_e32 v14, v14
	v_and_b32_e32 v89, 0xffff0000, v15
	v_mul_f32_e32 v13, v12, v13
	v_mul_f32_e32 v15, v34, v68
	v_cndmask_b32_e64 v82, 1.0, v13, s[18:19]
	v_cndmask_b32_e32 v13, 1.0, v56, vcc
	v_cmp_gt_f32_e32 vcc, s92, v15
	v_mul_f32_e32 v12, v80, v37
	v_mul_f32_e32 v14, v14, v13
	v_cndmask_b32_e32 v15, 0, v55, vcc
	v_mul_f32_e32 v37, v34, v69
	v_fmac_f32_e32 v15, v34, v68
	v_cndmask_b32_e64 v83, 1.0, v14, s[20:21]
	v_cndmask_b32_e32 v14, 1.0, v56, vcc
	v_cmp_gt_f32_e32 vcc, s92, v37
	v_exp_f32_e32 v15, v15
	v_mul_f32_e32 v13, v79, v38
	v_cndmask_b32_e32 v37, 0, v55, vcc
	v_fmac_f32_e32 v37, v34, v69
	v_exp_f32_e32 v37, v37
	v_mul_f32_e32 v14, v15, v14
	v_cndmask_b32_e64 v84, 1.0, v14, s[22:23]
	v_cndmask_b32_e32 v14, 1.0, v56, vcc
	v_mul_f32_e32 v14, v37, v14
	v_mul_f32_e32 v37, v34, v70
	v_cmp_gt_f32_e32 vcc, s92, v37
	v_mul_f32_e32 v15, v78, v39
	v_cndmask_b32_e64 v38, 0, v15, s[22:23]
	v_cndmask_b32_e32 v37, 0, v55, vcc
	v_fmac_f32_e32 v37, v34, v70
	v_exp_f32_e32 v37, v37
	v_mul_f32_e32 v15, v77, v40
	v_cndmask_b32_e64 v85, 1.0, v14, s[24:25]
	v_cndmask_b32_e32 v14, 1.0, v56, vcc
	v_cndmask_b32_e64 v39, 0, v15, s[24:25]
	v_mul_f32_e32 v15, v37, v14
	v_mul_f32_e32 v37, v34, v71
	v_cmp_gt_f32_e32 vcc, s92, v37
	v_mul_f32_e32 v40, v34, v72
	v_cndmask_b32_e64 v86, 1.0, v15, s[26:27]
	v_cndmask_b32_e32 v37, 0, v55, vcc
	v_fmac_f32_e32 v37, v34, v71
	v_exp_f32_e32 v37, v37
	v_cndmask_b32_e32 v15, 1.0, v56, vcc
	v_cmp_gt_f32_e32 vcc, s92, v40
	v_mul_f32_e32 v14, v76, v41
	v_mul_f32_e32 v37, v37, v15
	v_cndmask_b32_e32 v40, 0, v55, vcc
	v_mul_f32_e32 v41, v34, v21
	v_fmac_f32_e32 v40, v34, v72
	v_cndmask_b32_e64 v87, 1.0, v37, s[28:29]
	v_cndmask_b32_e32 v37, 1.0, v56, vcc
	v_cmp_gt_f32_e32 vcc, s92, v41
	v_exp_f32_e32 v40, v40
	v_cndmask_b32_e64 v12, 0, v12, s[18:19]
	v_cndmask_b32_e32 v41, 0, v55, vcc
	v_fmac_f32_e32 v41, v34, v21
	v_exp_f32_e32 v34, v41
	v_mul_f32_e32 v37, v40, v37
	v_cndmask_b32_e64 v88, 1.0, v37, s[30:31]
	v_cndmask_b32_e32 v37, 1.0, v56, vcc
	v_cndmask_b32_e64 v13, 0, v13, s[20:21]
	v_mul_f32_e32 v34, v34, v37
	v_mul_f32_e32 v37, v73, v89
	v_cndmask_b32_e64 v41, 0, v37, s[34:35]
	v_cndmask_b32_e64 v89, 1.0, v34, s[34:35]
	v_mul_f32_e32 v34, v83, v82
	v_fma_f32 v37, v83, v12, v13
	v_mul_f32_e32 v34, v34, v84
	v_fma_f32 v37, v37, v84, v38
	v_cndmask_b32_e64 v14, 0, v14, s[26:27]
	v_mul_f32_e32 v15, v75, v42
	v_mul_f32_e32 v34, v34, v85
	v_fma_f32 v37, v37, v85, v39
	v_cndmask_b32_e64 v15, 0, v15, s[28:29]
	v_mul_f32_e32 v40, v74, v43
	;; [unrolled: 4-line block ×3, first 2 shown]
	v_fma_f32 v37, v37, v87, v15
	v_mul_f32_e32 v34, v34, v88
	v_fma_f32 v42, v37, v88, v40
	v_mul_f32_e32 v37, v34, v89
	v_fma_f32 v34, v42, v89, v41
	s_nop 0
	v_mov_b32_dpp v43, v37 row_shr:1 row_mask:0xf bank_mask:0xf
	v_mov_b32_dpp v42, v34 row_shr:1 row_mask:0xf bank_mask:0xf
	s_and_saveexec_b64 s[76:77], s[6:7]
; %bb.40:                               ;   in Loop: Header=BB11_33 Depth=2
	v_mul_f32_e32 v43, v37, v43
	v_fmac_f32_e32 v34, v37, v42
	v_mov_b32_e32 v37, v43
; %bb.41:                               ;   in Loop: Header=BB11_33 Depth=2
	s_or_b64 exec, exec, s[76:77]
	s_nop 0
	v_mov_b32_dpp v42, v37 row_shr:2 row_mask:0xf bank_mask:0xf
	v_mov_b32_dpp v43, v34 row_shr:2 row_mask:0xf bank_mask:0xf
	s_and_saveexec_b64 s[76:77], s[8:9]
; %bb.42:                               ;   in Loop: Header=BB11_33 Depth=2
	v_fmac_f32_e32 v34, v37, v43
	v_mul_f32_e32 v37, v37, v42
; %bb.43:                               ;   in Loop: Header=BB11_33 Depth=2
	s_or_b64 exec, exec, s[76:77]
	s_nop 0
	v_mov_b32_dpp v42, v37 row_shr:4 row_mask:0xf bank_mask:0xf
	v_mov_b32_dpp v43, v34 row_shr:4 row_mask:0xf bank_mask:0xf
	s_and_saveexec_b64 s[76:77], s[10:11]
; %bb.44:                               ;   in Loop: Header=BB11_33 Depth=2
	v_fmac_f32_e32 v34, v37, v43
	v_mul_f32_e32 v37, v37, v42
	;; [unrolled: 9-line block ×3, first 2 shown]
; %bb.47:                               ;   in Loop: Header=BB11_33 Depth=2
	s_or_b64 exec, exec, s[76:77]
	s_nop 0
	v_mov_b32_dpp v42, v37 row_bcast:15 row_mask:0xf bank_mask:0xf
	v_mov_b32_dpp v43, v34 row_bcast:15 row_mask:0xf bank_mask:0xf
	s_and_saveexec_b64 s[76:77], s[14:15]
; %bb.48:                               ;   in Loop: Header=BB11_33 Depth=2
	v_fmac_f32_e32 v34, v37, v43
	v_mul_f32_e32 v37, v37, v42
; %bb.49:                               ;   in Loop: Header=BB11_33 Depth=2
	s_or_b64 exec, exec, s[76:77]
	s_nop 0
	v_mov_b32_dpp v42, v37 row_bcast:31 row_mask:0xf bank_mask:0xf
	v_mov_b32_dpp v43, v34 row_bcast:31 row_mask:0xf bank_mask:0xf
	v_mov_b32_e32 v90, v34
	v_mul_f32_e32 v42, v37, v42
	v_fmac_f32_e32 v90, v37, v43
	v_cndmask_b32_e64 v42, v37, v42, s[16:17]
	v_cndmask_b32_e64 v43, v34, v90, s[16:17]
	s_and_saveexec_b64 s[76:77], s[36:37]
	s_cbranch_execz .LBB11_51
; %bb.50:                               ;   in Loop: Header=BB11_33 Depth=2
	ds_write_b64 v17, v[42:43] offset:2112
.LBB11_51:                              ;   in Loop: Header=BB11_33 Depth=2
	s_or_b64 exec, exec, s[76:77]
	ds_bpermute_b32 v90, v81, v42
	ds_bpermute_b32 v91, v81, v43
	s_waitcnt lgkmcnt(0)
	; wave barrier
	s_waitcnt lgkmcnt(0)
	s_and_saveexec_b64 s[76:77], s[0:1]
	s_cbranch_execz .LBB11_55
; %bb.52:                               ;   in Loop: Header=BB11_33 Depth=2
	ds_read_b64 v[42:43], v17 offset:2112
	s_and_saveexec_b64 s[78:79], s[4:5]
	s_cbranch_execz .LBB11_54
; %bb.53:                               ;   in Loop: Header=BB11_33 Depth=2
	v_mov_b32_e32 v37, v35
	ds_write_b64 v17, v[36:37] offset:2112
.LBB11_54:                              ;   in Loop: Header=BB11_33 Depth=2
	s_or_b64 exec, exec, s[78:79]
	s_waitcnt lgkmcnt(0)
	v_mul_f32_e32 v37, v42, v35
	v_pk_add_f32 v[34:35], v[36:37], v[42:43]
	v_mul_f32_e32 v36, v36, v42
.LBB11_55:                              ;   in Loop: Header=BB11_33 Depth=2
	s_or_b64 exec, exec, s[76:77]
	s_waitcnt lgkmcnt(0)
	; wave barrier
	ds_read_b32 v34, v17 offset:2116
	s_and_saveexec_b64 s[76:77], s[4:5]
	s_cbranch_execz .LBB11_32
; %bb.56:                               ;   in Loop: Header=BB11_33 Depth=2
	v_mov_b32_e32 v37, v35
	v_mov_b32_e32 v42, s96
	s_andn2_b64 vcc, exec, s[68:69]
	ds_write_b64 v42, v[36:37]
	s_cbranch_vccnz .LBB11_32
; %bb.57:                               ;   in Loop: Header=BB11_33 Depth=2
	v_bfe_u32 v36, v35, 16, 1
	s_mov_b32 s75, s57
	v_add3_u32 v36, v35, v36, s93
	s_lshl_b64 s[78:79], s[74:75], 1
	v_lshrrev_b32_e32 v36, 16, v36
	v_cmp_o_f32_e32 vcc, v35, v35
	s_add_u32 s78, s45, s78
	s_addc_u32 s79, s49, s79
	v_cndmask_b32_e32 v35, v57, v36, vcc
	global_store_short v17, v35, s[78:79]
	s_branch .LBB11_32
.LBB11_58:
	s_endpgm
	.section	.rodata,"a",@progbits
	.p2align	6, 0x0
	.amdhsa_kernel _Z25selective_scan_fwd_kernelI32Selective_Scan_fwd_kernel_traitsILi64ELi8ELi1ELb1ELb1ELb1ELb0ELb0EN3c108BFloat16EfS2_EEv13SSMParamsBase
		.amdhsa_group_segment_fixed_size 0
		.amdhsa_private_segment_fixed_size 0
		.amdhsa_kernarg_size 248
		.amdhsa_user_sgpr_count 2
		.amdhsa_user_sgpr_dispatch_ptr 0
		.amdhsa_user_sgpr_queue_ptr 0
		.amdhsa_user_sgpr_kernarg_segment_ptr 1
		.amdhsa_user_sgpr_dispatch_id 0
		.amdhsa_user_sgpr_kernarg_preload_length 0
		.amdhsa_user_sgpr_kernarg_preload_offset 0
		.amdhsa_user_sgpr_private_segment_size 0
		.amdhsa_uses_dynamic_stack 0
		.amdhsa_enable_private_segment 0
		.amdhsa_system_sgpr_workgroup_id_x 1
		.amdhsa_system_sgpr_workgroup_id_y 1
		.amdhsa_system_sgpr_workgroup_id_z 0
		.amdhsa_system_sgpr_workgroup_info 0
		.amdhsa_system_vgpr_workitem_id 0
		.amdhsa_next_free_vgpr 92
		.amdhsa_next_free_sgpr 97
		.amdhsa_accum_offset 92
		.amdhsa_reserve_vcc 1
		.amdhsa_float_round_mode_32 0
		.amdhsa_float_round_mode_16_64 0
		.amdhsa_float_denorm_mode_32 3
		.amdhsa_float_denorm_mode_16_64 3
		.amdhsa_dx10_clamp 1
		.amdhsa_ieee_mode 1
		.amdhsa_fp16_overflow 0
		.amdhsa_tg_split 0
		.amdhsa_exception_fp_ieee_invalid_op 0
		.amdhsa_exception_fp_denorm_src 0
		.amdhsa_exception_fp_ieee_div_zero 0
		.amdhsa_exception_fp_ieee_overflow 0
		.amdhsa_exception_fp_ieee_underflow 0
		.amdhsa_exception_fp_ieee_inexact 0
		.amdhsa_exception_int_div_zero 0
	.end_amdhsa_kernel
	.section	.text._Z25selective_scan_fwd_kernelI32Selective_Scan_fwd_kernel_traitsILi64ELi8ELi1ELb1ELb1ELb1ELb0ELb0EN3c108BFloat16EfS2_EEv13SSMParamsBase,"axG",@progbits,_Z25selective_scan_fwd_kernelI32Selective_Scan_fwd_kernel_traitsILi64ELi8ELi1ELb1ELb1ELb1ELb0ELb0EN3c108BFloat16EfS2_EEv13SSMParamsBase,comdat
.Lfunc_end11:
	.size	_Z25selective_scan_fwd_kernelI32Selective_Scan_fwd_kernel_traitsILi64ELi8ELi1ELb1ELb1ELb1ELb0ELb0EN3c108BFloat16EfS2_EEv13SSMParamsBase, .Lfunc_end11-_Z25selective_scan_fwd_kernelI32Selective_Scan_fwd_kernel_traitsILi64ELi8ELi1ELb1ELb1ELb1ELb0ELb0EN3c108BFloat16EfS2_EEv13SSMParamsBase
                                        ; -- End function
	.section	.AMDGPU.csdata,"",@progbits
; Kernel info:
; codeLenInByte = 8612
; NumSgprs: 103
; NumVgprs: 92
; NumAgprs: 0
; TotalNumVgprs: 92
; ScratchSize: 0
; MemoryBound: 0
; FloatMode: 240
; IeeeMode: 1
; LDSByteSize: 0 bytes/workgroup (compile time only)
; SGPRBlocks: 12
; VGPRBlocks: 11
; NumSGPRsForWavesPerEU: 103
; NumVGPRsForWavesPerEU: 92
; AccumOffset: 92
; Occupancy: 5
; WaveLimiterHint : 0
; COMPUTE_PGM_RSRC2:SCRATCH_EN: 0
; COMPUTE_PGM_RSRC2:USER_SGPR: 2
; COMPUTE_PGM_RSRC2:TRAP_HANDLER: 0
; COMPUTE_PGM_RSRC2:TGID_X_EN: 1
; COMPUTE_PGM_RSRC2:TGID_Y_EN: 1
; COMPUTE_PGM_RSRC2:TGID_Z_EN: 0
; COMPUTE_PGM_RSRC2:TIDIG_COMP_CNT: 0
; COMPUTE_PGM_RSRC3_GFX90A:ACCUM_OFFSET: 22
; COMPUTE_PGM_RSRC3_GFX90A:TG_SPLIT: 0
	.section	.text._Z25selective_scan_fwd_kernelI32Selective_Scan_fwd_kernel_traitsILi64ELi8ELi1ELb0ELb1ELb1ELb1ELb1EN3c108BFloat16EfS2_EEv13SSMParamsBase,"axG",@progbits,_Z25selective_scan_fwd_kernelI32Selective_Scan_fwd_kernel_traitsILi64ELi8ELi1ELb0ELb1ELb1ELb1ELb1EN3c108BFloat16EfS2_EEv13SSMParamsBase,comdat
	.protected	_Z25selective_scan_fwd_kernelI32Selective_Scan_fwd_kernel_traitsILi64ELi8ELi1ELb0ELb1ELb1ELb1ELb1EN3c108BFloat16EfS2_EEv13SSMParamsBase ; -- Begin function _Z25selective_scan_fwd_kernelI32Selective_Scan_fwd_kernel_traitsILi64ELi8ELi1ELb0ELb1ELb1ELb1ELb1EN3c108BFloat16EfS2_EEv13SSMParamsBase
	.globl	_Z25selective_scan_fwd_kernelI32Selective_Scan_fwd_kernel_traitsILi64ELi8ELi1ELb0ELb1ELb1ELb1ELb1EN3c108BFloat16EfS2_EEv13SSMParamsBase
	.p2align	8
	.type	_Z25selective_scan_fwd_kernelI32Selective_Scan_fwd_kernel_traitsILi64ELi8ELi1ELb0ELb1ELb1ELb1ELb1EN3c108BFloat16EfS2_EEv13SSMParamsBase,@function
_Z25selective_scan_fwd_kernelI32Selective_Scan_fwd_kernel_traitsILi64ELi8ELi1ELb0ELb1ELb1ELb1ELb1EN3c108BFloat16EfS2_EEv13SSMParamsBase: ; @_Z25selective_scan_fwd_kernelI32Selective_Scan_fwd_kernel_traitsILi64ELi8ELi1ELb0ELb1ELb1ELb1ELb1EN3c108BFloat16EfS2_EEv13SSMParamsBase
; %bb.0:
	s_load_dword s37, s[0:1], 0x18
	s_load_dwordx4 s[4:7], s[0:1], 0xe8
	s_load_dwordx8 s[20:27], s[0:1], 0xc8
	s_mov_b32 s34, s3
	s_ashr_i32 s3, s2, 31
	s_lshl_b64 s[8:9], s[2:3], 2
	s_waitcnt lgkmcnt(0)
	s_abs_i32 s36, s37
	v_cvt_f32_u32_e32 v1, s36
	s_add_u32 s28, s26, s8
	s_addc_u32 s29, s27, s9
	s_cmp_eq_u64 s[6:7], 0
	v_rcp_iflag_f32_e32 v1, v1
	s_nop 0
	v_mul_f32_e32 v1, 0x4f7ffffe, v1
	v_cvt_u32_f32_e32 v1, v1
	s_nop 0
	v_readfirstlane_b32 s38, v1
	s_cbranch_scc1 .LBB12_169
; %bb.1:
	s_add_u32 s6, s6, s2
	s_addc_u32 s7, s7, s3
	v_mov_b32_e32 v1, 0
	global_load_ubyte v1, v1, s[6:7]
	s_waitcnt vmcnt(0)
	v_and_b32_e32 v1, 1, v1
	v_cmp_eq_u32_e64 s[68:69], 1, v1
	s_load_dwordx2 s[6:7], s[0:1], 0x20
	s_cmp_eq_u64 s[4:5], 0
	s_cbranch_scc1 .LBB12_3
.LBB12_2:
	s_add_u32 s2, s4, s8
	s_addc_u32 s3, s5, s9
	s_load_dword s2, s[2:3], 0x0
	s_waitcnt lgkmcnt(0)
	s_ashr_i32 s3, s2, 31
.LBB12_3:
	s_waitcnt lgkmcnt(0)
	s_cmp_eq_u64 s[6:7], s[2:3]
	s_cbranch_scc1 .LBB12_168
; %bb.4:
	s_load_dwordx16 s[4:19], s[0:1], 0x88
	s_load_dwordx2 s[26:27], s[28:29], 0x0
	s_mov_b32 s33, 0
	s_mov_b32 s92, 0
	s_waitcnt lgkmcnt(0)
	s_cmp_eq_u64 s[10:11], 0
	s_cbranch_scc1 .LBB12_6
; %bb.5:
	s_ashr_i32 s35, s34, 31
	s_lshl_b64 s[28:29], s[34:35], 2
	s_add_u32 s10, s10, s28
	s_addc_u32 s11, s11, s29
	s_load_dword s92, s[10:11], 0x0
.LBB12_6:
	s_cmp_eq_u64 s[16:17], 0
	s_cbranch_scc1 .LBB12_8
; %bb.7:
	s_ashr_i32 s35, s34, 31
	s_lshl_b64 s[10:11], s[34:35], 2
	s_add_u32 s10, s16, s10
	s_addc_u32 s11, s17, s11
	s_load_dword s33, s[10:11], 0x0
.LBB12_8:
	s_sub_i32 s35, s27, s26
	s_cmp_lt_i32 s35, 1
	s_cbranch_scc1 .LBB12_168
; %bb.9:
	s_sub_i32 s3, 0, s36
	s_mul_i32 s3, s3, s38
	s_mul_hi_u32 s3, s38, s3
	s_abs_i32 s16, s34
	s_add_i32 s38, s38, s3
	s_load_dwordx8 s[52:59], s[0:1], 0x2c
	s_load_dwordx2 s[10:11], s[0:1], 0x7c
	s_load_dwordx4 s[28:31], s[0:1], 0x6c
	s_load_dwordx8 s[60:67], s[0:1], 0x4c
	s_load_dword s94, s[0:1], 0x84
	s_mul_hi_u32 s3, s16, s38
	s_load_dword s38, s[0:1], 0xc
	s_load_dword s17, s[0:1], 0x28
	s_ashr_i32 s0, s34, 31
	s_ashr_i32 s1, s37, 31
	s_xor_b32 s0, s0, s1
	s_mul_i32 s1, s3, s36
	s_sub_i32 s1, s16, s1
	s_add_i32 s16, s3, 1
	s_sub_i32 s27, s1, s36
	s_cmp_ge_u32 s1, s36
	s_cselect_b32 s3, s16, s3
	s_cselect_b32 s1, s27, s1
	s_add_i32 s16, s3, 1
	s_cmp_ge_u32 s1, s36
	s_cselect_b32 s1, s16, s3
	s_xor_b32 s1, s1, s0
	s_waitcnt lgkmcnt(0)
	s_mul_i32 s70, s26, s62
	s_mov_b32 s71, 0
	s_sub_i32 s3, s1, s0
	s_lshl_b64 s[0:1], s[70:71], 1
	s_add_u32 s12, s12, s0
	s_mul_i32 s70, s63, s34
	s_addc_u32 s13, s13, s1
	s_lshl_b64 s[0:1], s[70:71], 1
	s_add_u32 s62, s12, s0
	s_mul_i32 s70, s26, s64
	s_addc_u32 s63, s13, s1
	;; [unrolled: 4-line block ×10, first 2 shown]
	s_lshl_b64 s[0:1], s[70:71], 1
	v_mbcnt_lo_u32_b32 v1, -1, 0
	s_add_u32 s57, s2, s0
	v_mbcnt_hi_u32_b32 v10, -1, v1
	s_addc_u32 s61, s3, s1
	s_add_i32 s0, s35, 0x7ff
	v_lshrrev_b32_e32 v1, 5, v10
	s_lshr_b32 s1, s0, 11
	v_and_b32_e32 v1, 2, v1
	v_add_u32_e32 v42, 64, v10
	v_or_b32_e32 v43, 0x80, v10
	v_add_u32_e32 v44, 0xc0, v10
	v_or_b32_e32 v45, 0x100, v10
	v_add_u32_e32 v46, 0x140, v10
	v_or_b32_e32 v47, 0x180, v10
	v_add_u32_e32 v48, 0x1c0, v10
	v_add_u32_e32 v1, v1, v10
	s_bitcmp1_b32 s17, 0
	v_lshl_add_u32 v49, v1, 1, 0
	v_lshrrev_b32_e32 v1, 5, v42
	v_lshrrev_b32_e32 v2, 5, v43
	;; [unrolled: 1-line block ×7, first 2 shown]
	s_cselect_b64 s[72:73], -1, 0
                                        ; implicit-def: $vgpr95 : SGPR spill to VGPR lane
	s_cmp_gt_i32 s38, 0
	v_and_b32_e32 v1, 6, v1
	v_and_b32_e32 v2, 6, v2
	;; [unrolled: 1-line block ×7, first 2 shown]
	v_writelane_b32 v95, s38, 0
	s_cselect_b64 s[2:3], -1, 0
	v_add_lshl_u32 v1, v1, v10, 1
	v_add_lshl_u32 v2, v2, v10, 1
	;; [unrolled: 1-line block ×7, first 2 shown]
	v_writelane_b32 v95, s2, 1
	s_add_i32 s0, 0, 0x420
	v_add_u32_e32 v58, s0, v1
	v_writelane_b32 v95, s3, 2
	v_add_u32_e32 v59, s0, v2
	v_add_u32_e32 v60, s0, v3
	;; [unrolled: 1-line block ×6, first 2 shown]
	s_and_b32 s0, s35, 0x1ff
	v_writelane_b32 v95, s35, 3
	s_cmp_eq_u32 s0, 0
	s_cselect_b64 s[76:77], -1, 0
	v_writelane_b32 v95, s1, 4
	s_add_i32 s0, s1, -1
	s_mul_i32 s70, s26, s28
	v_writelane_b32 v95, s0, 5
	s_lshl_b64 s[0:1], s[70:71], 1
	s_add_u32 s14, s18, s0
	s_mul_i32 s70, s29, s34
	s_addc_u32 s15, s19, s1
	s_lshl_b64 s[12:13], s[70:71], 1
	s_add_u32 s18, s14, s12
	s_mul_i32 s70, s26, s66
	s_addc_u32 s19, s15, s13
	;; [unrolled: 4-line block ×3, first 2 shown]
	s_lshl_b64 s[12:13], s[70:71], 1
	s_add_u32 s20, s14, s12
	s_mul_i32 s70, s26, s30
	v_lshrrev_b32_e32 v8, 2, v10
	s_addc_u32 s21, s15, s13
	s_lshl_b64 s[14:15], s[70:71], 1
	v_lshlrev_b32_e32 v11, 3, v0
	v_and_b32_e32 v8, 30, v8
	s_add_u32 s22, s24, s14
	v_lshl_add_u32 v8, v10, 3, v8
	v_cmp_eq_u32_e64 s[12:13], 63, v0
	s_addc_u32 s23, s25, s15
	v_cmp_gt_u32_e64 s[14:15], 64, v0
	v_cmp_eq_u32_e64 s[16:17], 0, v0
	v_or_b32_e32 v0, 1, v11
	v_mov_b32_e32 v9, 0
	v_add_u32_e32 v50, 0, v1
	v_lshl_add_u32 v57, v8, 1, 0
	v_and_b32_e32 v1, 15, v10
	v_lshlrev_b32_e32 v8, 1, v10
	s_mul_i32 s70, s31, s34
	scratch_store_dword off, v0, off offset:4 ; 4-byte Folded Spill
	v_or_b32_e32 v0, 2, v11
	v_cmp_ne_u32_e64 s[0:1], 0, v1
	v_cmp_lt_u32_e64 s[2:3], 1, v1
	v_cmp_lt_u32_e64 s[4:5], 3, v1
	v_cmp_lt_u32_e64 s[6:7], 7, v1
	v_and_b32_e32 v1, 16, v10
	v_lshl_add_u64 v[12:13], s[18:19], 0, v[8:9]
	s_lshl_b64 s[18:19], s[70:71], 1
	scratch_store_dword off, v0, off offset:8 ; 4-byte Folded Spill
	v_or_b32_e32 v0, 3, v11
	v_add_u32_e32 v51, 0, v2
	v_cmp_ne_u32_e64 s[8:9], 0, v1
	v_add_u32_e32 v1, -1, v10
	v_and_b32_e32 v2, 64, v10
	s_add_u32 s18, s22, s18
	scratch_store_dword off, v0, off offset:12 ; 4-byte Folded Spill
	v_or_b32_e32 v0, 4, v11
	v_cmp_lt_i32_e32 vcc, v1, v2
	s_addc_u32 s19, s23, s19
	scratch_store_dword off, v0, off offset:16 ; 4-byte Folded Spill
	v_or_b32_e32 v0, 5, v11
	v_cndmask_b32_e32 v1, v1, v10, vcc
	v_lshl_add_u64 v[16:17], s[18:19], 0, v[8:9]
	scratch_store_dword off, v0, off offset:20 ; 4-byte Folded Spill
	v_or_b32_e32 v0, 6, v11
	s_add_i32 s18, 0, 0x848
	v_add_u32_e32 v52, 0, v3
	v_add_u32_e32 v53, 0, v4
	;; [unrolled: 1-line block ×5, first 2 shown]
	v_cmp_lt_u32_e64 s[10:11], 31, v10
	v_lshlrev_b32_e32 v65, 2, v1
	v_lshl_add_u64 v[14:15], s[20:21], 0, v[8:9]
	scratch_store_dword off, v0, off offset:24 ; 4-byte Folded Spill
	scratch_store_dword off, v11, off       ; 4-byte Folded Spill
	v_or_b32_e32 v0, 7, v11
	v_lshlrev_b32_e32 v8, 1, v10
	s_mov_b32 s40, 0x41a00000
	s_mov_b32 s41, 0x3fb8aa3b
	;; [unrolled: 1-line block ×6, first 2 shown]
	v_mov_b32_e32 v73, 0x3ecc95a3
	s_mov_b32 s46, 0x3f317218
	s_mov_b32 s47, 0x33800000
	v_writelane_b32 v95, s18, 6
	s_mov_b32 s98, 0xc2fc0000
	s_movk_i32 s74, 0x7fff
	s_mov_b32 s97, 0xbfb8aa3b
	s_mov_b32 s93, 0x42ce8ed0
	;; [unrolled: 1-line block ×3, first 2 shown]
	v_mov_b32_e32 v74, 0x7f800000
	v_mov_b32_e32 v18, 0x3f317218
	;; [unrolled: 1-line block ×5, first 2 shown]
	s_mov_b32 s99, 0
	scratch_store_dword off, v0, off offset:28 ; 4-byte Folded Spill
                                        ; implicit-def: $vgpr0
	s_branch .LBB12_11
.LBB12_10:                              ;   in Loop: Header=BB12_11 Depth=1
	s_or_b64 exec, exec, s[18:19]
	s_add_u32 s64, s64, 0x400
	s_addc_u32 s65, s65, 0
	s_add_u32 s62, s62, 0x400
	s_addc_u32 s63, s63, 0
	;; [unrolled: 2-line block ×4, first 2 shown]
	s_add_i32 s99, s99, 1
	v_readlane_b32 s18, v95, 4
	s_cmp_lg_u32 s99, s18
	s_cbranch_scc0 .LBB12_168
.LBB12_11:                              ; =>This Loop Header: Depth=1
                                        ;     Child Loop BB12_60 Depth 2
	s_lshl_b32 s66, s99, 9
	v_readlane_b32 s18, v95, 3
	s_sub_i32 s50, s18, s66
	v_lshl_add_u64 v[0:1], s[62:63], 0, v[8:9]
	v_cmp_gt_u32_e64 s[18:19], s50, v10
	s_waitcnt lgkmcnt(0)
	v_mov_b32_e32 v2, 0
	s_waitcnt lgkmcnt(0)
	; wave barrier
	s_and_saveexec_b64 s[20:21], s[18:19]
	s_cbranch_execz .LBB12_13
; %bb.12:                               ;   in Loop: Header=BB12_11 Depth=1
	global_load_ushort v2, v[0:1], off
.LBB12_13:                              ;   in Loop: Header=BB12_11 Depth=1
	s_or_b64 exec, exec, s[20:21]
	v_cmp_gt_u32_e64 s[20:21], s50, v42
	v_mov_b32_e32 v3, 0
	v_mov_b32_e32 v4, 0
	s_and_saveexec_b64 s[22:23], s[20:21]
	s_cbranch_execz .LBB12_15
; %bb.14:                               ;   in Loop: Header=BB12_11 Depth=1
	global_load_ushort v4, v[0:1], off offset:128
.LBB12_15:                              ;   in Loop: Header=BB12_11 Depth=1
	s_or_b64 exec, exec, s[22:23]
	v_cmp_gt_u32_e64 s[22:23], s50, v43
	s_and_saveexec_b64 s[24:25], s[22:23]
	s_cbranch_execz .LBB12_17
; %bb.16:                               ;   in Loop: Header=BB12_11 Depth=1
	global_load_ushort v3, v[0:1], off offset:256
.LBB12_17:                              ;   in Loop: Header=BB12_11 Depth=1
	s_or_b64 exec, exec, s[24:25]
	v_cmp_gt_u32_e64 s[24:25], s50, v44
	v_mov_b32_e32 v5, 0
	v_mov_b32_e32 v7, 0
	s_and_saveexec_b64 s[26:27], s[24:25]
	s_cbranch_execz .LBB12_19
; %bb.18:                               ;   in Loop: Header=BB12_11 Depth=1
	global_load_ushort v7, v[0:1], off offset:384
.LBB12_19:                              ;   in Loop: Header=BB12_11 Depth=1
	s_or_b64 exec, exec, s[26:27]
	v_cmp_gt_u32_e64 s[26:27], s50, v45
	s_and_saveexec_b64 s[28:29], s[26:27]
	s_cbranch_execz .LBB12_21
; %bb.20:                               ;   in Loop: Header=BB12_11 Depth=1
	global_load_ushort v5, v[0:1], off offset:512
.LBB12_21:                              ;   in Loop: Header=BB12_11 Depth=1
	;; [unrolled: 16-line block ×3, first 2 shown]
	s_or_b64 exec, exec, s[34:35]
	v_cmp_gt_u32_e64 s[34:35], s50, v48
	v_mov_b32_e32 v6, 0
	v_mov_b32_e32 v20, 0
	s_and_saveexec_b64 s[36:37], s[34:35]
	s_cbranch_execz .LBB12_27
; %bb.26:                               ;   in Loop: Header=BB12_11 Depth=1
	global_load_ushort v20, v[0:1], off offset:896
.LBB12_27:                              ;   in Loop: Header=BB12_11 Depth=1
	s_or_b64 exec, exec, s[36:37]
	s_waitcnt vmcnt(0)
	ds_write_b16 v49, v2
	ds_write_b16 v50, v4 offset:128
	ds_write_b16 v51, v3 offset:256
	ds_write_b16 v52, v7 offset:384
	ds_write_b16 v53, v5 offset:512
	ds_write_b16 v54, v19 offset:640
	ds_write_b16 v55, v11 offset:768
	ds_write_b16 v56, v20 offset:896
	; wave barrier
	ds_read_b128 v[0:3], v57
	v_lshl_add_u64 v[4:5], s[64:65], 0, v[8:9]
	s_waitcnt lgkmcnt(0)
	; wave barrier
	s_waitcnt lgkmcnt(0)
	s_and_saveexec_b64 s[36:37], s[18:19]
	s_cbranch_execz .LBB12_29
; %bb.28:                               ;   in Loop: Header=BB12_11 Depth=1
	global_load_ushort v6, v[4:5], off
.LBB12_29:                              ;   in Loop: Header=BB12_11 Depth=1
	s_or_b64 exec, exec, s[36:37]
	v_mov_b32_e32 v7, 0
	v_mov_b32_e32 v19, 0
	s_and_saveexec_b64 s[36:37], s[20:21]
	s_cbranch_execz .LBB12_31
; %bb.30:                               ;   in Loop: Header=BB12_11 Depth=1
	global_load_ushort v19, v[4:5], off offset:128
.LBB12_31:                              ;   in Loop: Header=BB12_11 Depth=1
	s_or_b64 exec, exec, s[36:37]
	s_and_saveexec_b64 s[36:37], s[22:23]
	s_cbranch_execz .LBB12_33
; %bb.32:                               ;   in Loop: Header=BB12_11 Depth=1
	global_load_ushort v7, v[4:5], off offset:256
.LBB12_33:                              ;   in Loop: Header=BB12_11 Depth=1
	s_or_b64 exec, exec, s[36:37]
	v_mov_b32_e32 v11, 0
	v_mov_b32_e32 v20, 0
	s_and_saveexec_b64 s[36:37], s[24:25]
	s_cbranch_execz .LBB12_35
; %bb.34:                               ;   in Loop: Header=BB12_11 Depth=1
	global_load_ushort v20, v[4:5], off offset:384
.LBB12_35:                              ;   in Loop: Header=BB12_11 Depth=1
	s_or_b64 exec, exec, s[36:37]
	s_and_saveexec_b64 s[36:37], s[26:27]
	s_cbranch_execz .LBB12_37
; %bb.36:                               ;   in Loop: Header=BB12_11 Depth=1
	global_load_ushort v11, v[4:5], off offset:512
.LBB12_37:                              ;   in Loop: Header=BB12_11 Depth=1
	s_or_b64 exec, exec, s[36:37]
	v_mov_b32_e32 v21, 0
	v_mov_b32_e32 v22, 0
	s_and_saveexec_b64 s[36:37], s[28:29]
	s_cbranch_execnz .LBB12_151
; %bb.38:                               ;   in Loop: Header=BB12_11 Depth=1
	s_or_b64 exec, exec, s[36:37]
	s_and_saveexec_b64 s[36:37], s[30:31]
	s_cbranch_execnz .LBB12_152
.LBB12_39:                              ;   in Loop: Header=BB12_11 Depth=1
	s_or_b64 exec, exec, s[36:37]
	v_mov_b32_e32 v23, 0
	s_and_saveexec_b64 s[36:37], s[34:35]
	s_cbranch_execz .LBB12_41
.LBB12_40:                              ;   in Loop: Header=BB12_11 Depth=1
	global_load_ushort v23, v[4:5], off offset:896
.LBB12_41:                              ;   in Loop: Header=BB12_11 Depth=1
	s_or_b64 exec, exec, s[36:37]
	s_waitcnt vmcnt(0)
	ds_write_b16 v49, v6
	ds_write_b16 v50, v19 offset:128
	ds_write_b16 v51, v7 offset:256
	;; [unrolled: 1-line block ×7, first 2 shown]
	; wave barrier
	ds_read_b128 v[4:7], v57
	s_waitcnt lgkmcnt(0)
	v_lshlrev_b32_e32 v11, 16, v4
	v_add_f32_e32 v78, s33, v11
	v_cmp_ge_f32_e32 vcc, s40, v78
	s_and_b64 s[36:37], s[72:73], vcc
	s_and_saveexec_b64 s[38:39], s[36:37]
	s_cbranch_execz .LBB12_43
; %bb.42:                               ;   in Loop: Header=BB12_11 Depth=1
	v_mul_f32_e32 v11, 0x3fb8aa3b, v78
	v_rndne_f32_e32 v19, v11
	v_sub_f32_e32 v20, v11, v19
	v_fma_f32 v11, v78, s41, -v11
	v_fmac_f32_e32 v11, 0x32a5705f, v78
	v_add_f32_e32 v11, v20, v11
	v_cvt_i32_f32_e32 v19, v19
	v_exp_f32_e32 v11, v11
	v_cmp_ngt_f32_e32 vcc, s42, v78
	v_ldexp_f32 v11, v11, v19
	s_nop 0
	v_cndmask_b32_e32 v11, 0, v11, vcc
	v_cmp_nlt_f32_e32 vcc, s43, v78
	s_nop 1
	v_cndmask_b32_e32 v36, v74, v11, vcc
	v_add_f32_e32 v11, 1.0, v36
	v_add_f32_e32 v19, -1.0, v11
	v_sub_f32_e32 v20, v19, v11
	v_add_f32_e32 v20, 1.0, v20
	v_sub_f32_e32 v19, v36, v19
	v_add_f32_e32 v19, v19, v20
	v_frexp_mant_f32_e32 v22, v11
	v_cvt_f64_f32_e32 v[20:21], v11
	v_frexp_exp_i32_f64_e32 v20, v[20:21]
	v_cmp_gt_f32_e32 vcc, s45, v22
	v_cmp_gt_f32_e64 s[36:37], s47, v36
	s_nop 0
	v_subbrev_co_u32_e32 v28, vcc, 0, v20, vcc
	v_sub_u32_e32 v20, 0, v28
	v_ldexp_f32 v11, v11, v20
	v_ldexp_f32 v19, v19, v20
	v_add_f32_e32 v20, -1.0, v11
	v_add_f32_e32 v21, 1.0, v20
	v_sub_f32_e32 v21, v11, v21
	v_add_f32_e32 v22, v19, v21
	v_add_f32_e32 v21, 1.0, v11
	v_add_f32_e32 v23, -1.0, v21
	v_sub_f32_e32 v11, v11, v23
	v_add_f32_e32 v11, v19, v11
	v_add_f32_e32 v19, v21, v11
	v_rcp_f32_e32 v29, v19
	v_sub_f32_e32 v21, v21, v19
	v_add_f32_e32 v11, v11, v21
	v_add_f32_e32 v21, v20, v22
	v_sub_f32_e32 v20, v20, v21
	v_mul_f32_e32 v31, v21, v29
	v_add_f32_e32 v30, v22, v20
	v_mul_f32_e32 v22, v19, v31
	v_fma_f32 v24, v31, v19, -v22
	v_fmac_f32_e32 v24, v31, v11
	v_add_f32_e32 v20, v22, v24
	v_sub_f32_e32 v23, v21, v20
	v_pk_add_f32 v[26:27], v[20:21], v[22:23] neg_lo:[0,1] neg_hi:[0,1]
	v_mov_b32_e32 v25, v20
	v_pk_add_f32 v[20:21], v[26:27], v[24:25] neg_lo:[0,1] neg_hi:[0,1]
	v_cmp_eq_f32_e32 vcc, s44, v36
	v_add_f32_e32 v21, v30, v21
	v_add_f32_e32 v20, v20, v21
	;; [unrolled: 1-line block ×3, first 2 shown]
	v_mul_f32_e32 v30, v29, v21
	v_mul_f32_e32 v22, v19, v30
	v_fma_f32 v24, v30, v19, -v22
	v_fmac_f32_e32 v24, v30, v11
	v_sub_f32_e32 v11, v23, v21
	v_add_f32_e32 v11, v20, v11
	v_add_f32_e32 v20, v22, v24
	v_sub_f32_e32 v23, v21, v20
	v_pk_add_f32 v[26:27], v[20:21], v[22:23] neg_lo:[0,1] neg_hi:[0,1]
	v_mov_b32_e32 v25, v20
	v_pk_add_f32 v[20:21], v[26:27], v[24:25] neg_lo:[0,1] neg_hi:[0,1]
	s_or_b64 vcc, s[36:37], vcc
	v_add_f32_e32 v11, v11, v21
	v_add_f32_e32 v11, v20, v11
	v_add_f32_e32 v21, v31, v30
	v_add_f32_e32 v11, v23, v11
	v_sub_f32_e32 v19, v21, v31
	v_mul_f32_e32 v11, v29, v11
	v_sub_f32_e32 v19, v30, v19
	v_add_f32_e32 v11, v19, v11
	v_add_f32_e32 v22, v21, v11
	v_cvt_f32_i32_e32 v20, v28
	v_mul_f32_e32 v24, v22, v22
	v_fmamk_f32 v19, v24, 0x3e9b6dac, v73
	v_sub_f32_e32 v21, v22, v21
	v_fmaak_f32 v19, v24, v19, 0x3f2aaada
	v_sub_f32_e32 v11, v11, v21
	v_mul_f32_e32 v21, v22, v24
	v_pk_mul_f32 v[24:25], v[20:21], v[18:19]
	v_ldexp_f32 v23, v22, 1
	v_fma_f32 v22, v20, s46, -v24
	v_fmac_f32_e32 v22, 0xb102e308, v20
	v_pk_add_f32 v[20:21], v[24:25], v[22:23]
	v_ldexp_f32 v11, v11, 1
	v_sub_f32_e32 v19, v21, v23
	v_sub_f32_e32 v19, v25, v19
	v_add_f32_e32 v27, v11, v19
	v_mov_b32_e32 v26, v24
	v_pk_add_f32 v[24:25], v[20:21], v[24:25] neg_lo:[0,1] neg_hi:[0,1]
	v_pk_add_f32 v[28:29], v[20:21], v[26:27]
	v_mov_b32_e32 v23, v20
	v_mov_b32_e32 v25, v29
	v_pk_add_f32 v[30:31], v[22:23], v[24:25] neg_lo:[0,1] neg_hi:[0,1]
	v_pk_add_f32 v[22:23], v[22:23], v[24:25]
	v_mov_b32_e32 v26, v27
	v_mov_b32_e32 v24, v23
	v_pk_add_f32 v[32:33], v[24:25], v[20:21] neg_lo:[0,1] neg_hi:[0,1]
	v_mov_b32_e32 v22, v29
	v_mov_b32_e32 v11, v32
	v_pk_add_f32 v[34:35], v[28:29], v[10:11] neg_lo:[0,1] neg_hi:[0,1]
	v_mov_b32_e32 v28, v21
	v_mov_b32_e32 v29, v32
	v_mov_b32_e32 v31, v23
	v_pk_add_f32 v[22:23], v[22:23], v[28:29] neg_lo:[0,1] neg_hi:[0,1]
	v_mov_b32_e32 v27, v20
	v_pk_add_f32 v[20:21], v[26:27], v[22:23] neg_lo:[0,1] neg_hi:[0,1]
	v_mov_b32_e32 v34, v30
	v_pk_add_f32 v[22:23], v[34:35], v[20:21]
	s_nop 0
	v_mov_b32_e32 v26, v23
	v_pk_add_f32 v[26:27], v[22:23], v[26:27]
	s_nop 0
	v_pk_add_f32 v[24:25], v[24:25], v[26:27]
	v_mov_b32_e32 v21, v26
	v_mov_b32_e32 v23, v24
	v_pk_add_f32 v[28:29], v[22:23], v[30:31] neg_lo:[0,1] neg_hi:[0,1]
	s_nop 0
	v_sub_f32_e32 v11, v22, v28
	v_pk_add_f32 v[20:21], v[20:21], v[28:29] neg_lo:[0,1] neg_hi:[0,1]
	v_sub_f32_e32 v11, v30, v11
	v_add_f32_e32 v11, v20, v11
	v_add_f32_e32 v11, v11, v21
	;; [unrolled: 1-line block ×3, first 2 shown]
	v_cndmask_b32_e32 v78, v11, v36, vcc
.LBB12_43:                              ;   in Loop: Header=BB12_11 Depth=1
	s_or_b64 exec, exec, s[38:39]
	v_and_b32_e32 v4, 0xffff0000, v4
	v_add_f32_e32 v79, s33, v4
	v_cmp_ge_f32_e32 vcc, s40, v79
	s_and_b64 s[36:37], s[72:73], vcc
	s_and_saveexec_b64 s[38:39], s[36:37]
	s_cbranch_execz .LBB12_45
; %bb.44:                               ;   in Loop: Header=BB12_11 Depth=1
	v_mul_f32_e32 v4, 0x3fb8aa3b, v79
	v_rndne_f32_e32 v11, v4
	v_sub_f32_e32 v19, v4, v11
	v_fma_f32 v4, v79, s41, -v4
	v_fmac_f32_e32 v4, 0x32a5705f, v79
	v_add_f32_e32 v4, v19, v4
	v_cvt_i32_f32_e32 v11, v11
	v_exp_f32_e32 v4, v4
	v_cmp_ngt_f32_e32 vcc, s42, v79
	v_ldexp_f32 v4, v4, v11
	s_nop 0
	v_cndmask_b32_e32 v4, 0, v4, vcc
	v_cmp_nlt_f32_e32 vcc, s43, v79
	s_nop 1
	v_cndmask_b32_e32 v34, v74, v4, vcc
	v_add_f32_e32 v4, 1.0, v34
	v_add_f32_e32 v11, -1.0, v4
	v_sub_f32_e32 v19, v11, v4
	v_add_f32_e32 v19, 1.0, v19
	v_sub_f32_e32 v11, v34, v11
	v_add_f32_e32 v11, v11, v19
	v_frexp_mant_f32_e32 v19, v4
	v_cvt_f64_f32_e32 v[20:21], v4
	v_frexp_exp_i32_f64_e32 v20, v[20:21]
	v_cmp_gt_f32_e32 vcc, s45, v19
	v_cmp_gt_f32_e64 s[36:37], s47, v34
	s_nop 0
	v_subbrev_co_u32_e32 v28, vcc, 0, v20, vcc
	v_sub_u32_e32 v19, 0, v28
	v_ldexp_f32 v4, v4, v19
	v_ldexp_f32 v11, v11, v19
	v_add_f32_e32 v19, -1.0, v4
	v_add_f32_e32 v21, 1.0, v4
	v_add_f32_e32 v20, 1.0, v19
	v_add_f32_e32 v22, -1.0, v21
	v_sub_f32_e32 v20, v4, v20
	v_sub_f32_e32 v4, v4, v22
	v_add_f32_e32 v4, v11, v4
	v_add_f32_e32 v20, v11, v20
	;; [unrolled: 1-line block ×3, first 2 shown]
	v_rcp_f32_e32 v29, v11
	v_sub_f32_e32 v21, v21, v11
	v_add_f32_e32 v4, v4, v21
	v_add_f32_e32 v21, v19, v20
	v_mul_f32_e32 v30, v21, v29
	v_mul_f32_e32 v22, v11, v30
	v_fma_f32 v24, v30, v11, -v22
	v_sub_f32_e32 v19, v19, v21
	v_fmac_f32_e32 v24, v30, v4
	v_add_f32_e32 v19, v20, v19
	v_add_f32_e32 v20, v22, v24
	v_sub_f32_e32 v23, v21, v20
	v_pk_add_f32 v[26:27], v[20:21], v[22:23] neg_lo:[0,1] neg_hi:[0,1]
	v_mov_b32_e32 v25, v20
	v_pk_add_f32 v[20:21], v[26:27], v[24:25] neg_lo:[0,1] neg_hi:[0,1]
	v_cmp_eq_f32_e32 vcc, s44, v34
	v_add_f32_e32 v19, v19, v21
	v_add_f32_e32 v19, v20, v19
	;; [unrolled: 1-line block ×3, first 2 shown]
	v_mul_f32_e32 v31, v29, v21
	v_mul_f32_e32 v22, v11, v31
	v_fma_f32 v24, v31, v11, -v22
	v_fmac_f32_e32 v24, v31, v4
	v_add_f32_e32 v20, v22, v24
	v_sub_f32_e32 v4, v23, v21
	v_sub_f32_e32 v23, v21, v20
	v_pk_add_f32 v[26:27], v[20:21], v[22:23] neg_lo:[0,1] neg_hi:[0,1]
	v_mov_b32_e32 v25, v20
	v_add_f32_e32 v4, v19, v4
	v_pk_add_f32 v[20:21], v[26:27], v[24:25] neg_lo:[0,1] neg_hi:[0,1]
	v_add_f32_e32 v11, v30, v31
	v_add_f32_e32 v4, v4, v21
	;; [unrolled: 1-line block ×4, first 2 shown]
	v_sub_f32_e32 v19, v11, v30
	v_mul_f32_e32 v4, v29, v4
	v_sub_f32_e32 v19, v31, v19
	v_add_f32_e32 v4, v19, v4
	v_add_f32_e32 v21, v11, v4
	v_cvt_f32_i32_e32 v20, v28
	v_mul_f32_e32 v22, v21, v21
	v_fmamk_f32 v19, v22, 0x3e9b6dac, v73
	v_fmaak_f32 v19, v22, v19, 0x3f2aaada
	v_sub_f32_e32 v11, v21, v11
	v_ldexp_f32 v23, v21, 1
	v_mul_f32_e32 v21, v21, v22
	v_pk_mul_f32 v[24:25], v[20:21], v[18:19]
	v_sub_f32_e32 v4, v4, v11
	v_fma_f32 v22, v20, s46, -v24
	v_fmac_f32_e32 v22, 0xb102e308, v20
	v_pk_add_f32 v[20:21], v[24:25], v[22:23]
	v_ldexp_f32 v4, v4, 1
	v_sub_f32_e32 v11, v21, v23
	v_sub_f32_e32 v11, v25, v11
	v_add_f32_e32 v27, v4, v11
	v_mov_b32_e32 v26, v24
	v_pk_add_f32 v[24:25], v[20:21], v[24:25] neg_lo:[0,1] neg_hi:[0,1]
	v_pk_add_f32 v[28:29], v[20:21], v[26:27]
	v_mov_b32_e32 v23, v20
	v_mov_b32_e32 v25, v29
	v_pk_add_f32 v[30:31], v[22:23], v[24:25] neg_lo:[0,1] neg_hi:[0,1]
	v_pk_add_f32 v[22:23], v[22:23], v[24:25]
	s_or_b64 vcc, s[36:37], vcc
	v_mov_b32_e32 v4, v23
	v_pk_add_f32 v[24:25], v[4:5], v[20:21] neg_lo:[0,1] neg_hi:[0,1]
	v_mov_b32_e32 v22, v29
	v_mov_b32_e32 v11, v24
	v_pk_add_f32 v[32:33], v[28:29], v[10:11] neg_lo:[0,1] neg_hi:[0,1]
	v_mov_b32_e32 v28, v21
	v_mov_b32_e32 v29, v24
	;; [unrolled: 1-line block ×3, first 2 shown]
	v_pk_add_f32 v[22:23], v[22:23], v[28:29] neg_lo:[0,1] neg_hi:[0,1]
	v_mov_b32_e32 v24, v27
	v_mov_b32_e32 v25, v20
	v_pk_add_f32 v[20:21], v[24:25], v[22:23] neg_lo:[0,1] neg_hi:[0,1]
	v_mov_b32_e32 v32, v30
	v_pk_add_f32 v[22:23], v[32:33], v[20:21]
	s_nop 0
	v_mov_b32_e32 v24, v23
	v_pk_add_f32 v[24:25], v[22:23], v[24:25]
	s_nop 0
	v_pk_add_f32 v[26:27], v[4:5], v[24:25]
	v_mov_b32_e32 v21, v24
	v_mov_b32_e32 v23, v26
	v_pk_add_f32 v[28:29], v[22:23], v[30:31] neg_lo:[0,1] neg_hi:[0,1]
	s_nop 0
	v_sub_f32_e32 v4, v22, v28
	v_pk_add_f32 v[20:21], v[20:21], v[28:29] neg_lo:[0,1] neg_hi:[0,1]
	v_sub_f32_e32 v4, v30, v4
	v_add_f32_e32 v4, v20, v4
	v_add_f32_e32 v4, v4, v21
	v_add_f32_e32 v4, v26, v4
	v_cndmask_b32_e32 v79, v4, v34, vcc
.LBB12_45:                              ;   in Loop: Header=BB12_11 Depth=1
	s_or_b64 exec, exec, s[38:39]
	v_lshlrev_b32_e32 v4, 16, v5
	v_add_f32_e32 v80, s33, v4
	v_cmp_ge_f32_e32 vcc, s40, v80
	s_and_b64 s[36:37], s[72:73], vcc
	s_and_saveexec_b64 s[38:39], s[36:37]
	s_cbranch_execz .LBB12_47
; %bb.46:                               ;   in Loop: Header=BB12_11 Depth=1
	v_mul_f32_e32 v4, 0x3fb8aa3b, v80
	v_rndne_f32_e32 v11, v4
	v_sub_f32_e32 v19, v4, v11
	v_fma_f32 v4, v80, s41, -v4
	v_fmac_f32_e32 v4, 0x32a5705f, v80
	v_add_f32_e32 v4, v19, v4
	v_cvt_i32_f32_e32 v11, v11
	v_exp_f32_e32 v4, v4
	v_cmp_ngt_f32_e32 vcc, s42, v80
	v_ldexp_f32 v4, v4, v11
	s_nop 0
	v_cndmask_b32_e32 v4, 0, v4, vcc
	v_cmp_nlt_f32_e32 vcc, s43, v80
	s_nop 1
	v_cndmask_b32_e32 v34, v74, v4, vcc
	v_add_f32_e32 v4, 1.0, v34
	v_add_f32_e32 v11, -1.0, v4
	v_sub_f32_e32 v19, v11, v4
	v_add_f32_e32 v19, 1.0, v19
	v_sub_f32_e32 v11, v34, v11
	v_add_f32_e32 v11, v11, v19
	v_frexp_mant_f32_e32 v19, v4
	v_cvt_f64_f32_e32 v[20:21], v4
	v_frexp_exp_i32_f64_e32 v20, v[20:21]
	v_cmp_gt_f32_e32 vcc, s45, v19
	v_cmp_gt_f32_e64 s[36:37], s47, v34
	s_nop 0
	v_subbrev_co_u32_e32 v28, vcc, 0, v20, vcc
	v_sub_u32_e32 v19, 0, v28
	v_ldexp_f32 v4, v4, v19
	v_ldexp_f32 v11, v11, v19
	v_add_f32_e32 v19, -1.0, v4
	v_add_f32_e32 v21, 1.0, v4
	v_add_f32_e32 v20, 1.0, v19
	v_add_f32_e32 v22, -1.0, v21
	v_sub_f32_e32 v20, v4, v20
	v_sub_f32_e32 v4, v4, v22
	v_add_f32_e32 v4, v11, v4
	v_add_f32_e32 v20, v11, v20
	;; [unrolled: 1-line block ×3, first 2 shown]
	v_rcp_f32_e32 v29, v11
	v_sub_f32_e32 v21, v21, v11
	v_add_f32_e32 v4, v4, v21
	v_add_f32_e32 v21, v19, v20
	v_mul_f32_e32 v30, v21, v29
	v_mul_f32_e32 v22, v11, v30
	v_fma_f32 v24, v30, v11, -v22
	v_sub_f32_e32 v19, v19, v21
	v_fmac_f32_e32 v24, v30, v4
	v_add_f32_e32 v19, v20, v19
	v_add_f32_e32 v20, v22, v24
	v_sub_f32_e32 v23, v21, v20
	v_pk_add_f32 v[26:27], v[20:21], v[22:23] neg_lo:[0,1] neg_hi:[0,1]
	v_mov_b32_e32 v25, v20
	v_pk_add_f32 v[20:21], v[26:27], v[24:25] neg_lo:[0,1] neg_hi:[0,1]
	v_cmp_eq_f32_e32 vcc, s44, v34
	v_add_f32_e32 v19, v19, v21
	v_add_f32_e32 v19, v20, v19
	;; [unrolled: 1-line block ×3, first 2 shown]
	v_mul_f32_e32 v31, v29, v21
	v_mul_f32_e32 v22, v11, v31
	v_fma_f32 v24, v31, v11, -v22
	v_fmac_f32_e32 v24, v31, v4
	v_add_f32_e32 v20, v22, v24
	v_sub_f32_e32 v4, v23, v21
	v_sub_f32_e32 v23, v21, v20
	v_pk_add_f32 v[26:27], v[20:21], v[22:23] neg_lo:[0,1] neg_hi:[0,1]
	v_mov_b32_e32 v25, v20
	v_add_f32_e32 v4, v19, v4
	v_pk_add_f32 v[20:21], v[26:27], v[24:25] neg_lo:[0,1] neg_hi:[0,1]
	v_add_f32_e32 v11, v30, v31
	v_add_f32_e32 v4, v4, v21
	;; [unrolled: 1-line block ×4, first 2 shown]
	v_sub_f32_e32 v19, v11, v30
	v_mul_f32_e32 v4, v29, v4
	v_sub_f32_e32 v19, v31, v19
	v_add_f32_e32 v4, v19, v4
	v_add_f32_e32 v21, v11, v4
	v_cvt_f32_i32_e32 v20, v28
	v_mul_f32_e32 v22, v21, v21
	v_fmamk_f32 v19, v22, 0x3e9b6dac, v73
	v_fmaak_f32 v19, v22, v19, 0x3f2aaada
	v_sub_f32_e32 v11, v21, v11
	v_ldexp_f32 v23, v21, 1
	v_mul_f32_e32 v21, v21, v22
	v_pk_mul_f32 v[24:25], v[20:21], v[18:19]
	v_sub_f32_e32 v4, v4, v11
	v_fma_f32 v22, v20, s46, -v24
	v_fmac_f32_e32 v22, 0xb102e308, v20
	v_pk_add_f32 v[20:21], v[24:25], v[22:23]
	v_ldexp_f32 v4, v4, 1
	v_sub_f32_e32 v11, v21, v23
	v_sub_f32_e32 v11, v25, v11
	v_add_f32_e32 v27, v4, v11
	v_mov_b32_e32 v26, v24
	v_pk_add_f32 v[24:25], v[20:21], v[24:25] neg_lo:[0,1] neg_hi:[0,1]
	v_pk_add_f32 v[28:29], v[20:21], v[26:27]
	v_mov_b32_e32 v23, v20
	v_mov_b32_e32 v25, v29
	v_pk_add_f32 v[30:31], v[22:23], v[24:25] neg_lo:[0,1] neg_hi:[0,1]
	v_pk_add_f32 v[22:23], v[22:23], v[24:25]
	s_or_b64 vcc, s[36:37], vcc
	v_mov_b32_e32 v4, v23
	v_pk_add_f32 v[24:25], v[4:5], v[20:21] neg_lo:[0,1] neg_hi:[0,1]
	v_mov_b32_e32 v22, v29
	v_mov_b32_e32 v11, v24
	v_pk_add_f32 v[32:33], v[28:29], v[10:11] neg_lo:[0,1] neg_hi:[0,1]
	v_mov_b32_e32 v28, v21
	v_mov_b32_e32 v29, v24
	v_mov_b32_e32 v31, v23
	v_pk_add_f32 v[22:23], v[22:23], v[28:29] neg_lo:[0,1] neg_hi:[0,1]
	v_mov_b32_e32 v24, v27
	v_mov_b32_e32 v25, v20
	v_pk_add_f32 v[20:21], v[24:25], v[22:23] neg_lo:[0,1] neg_hi:[0,1]
	v_mov_b32_e32 v32, v30
	v_pk_add_f32 v[22:23], v[32:33], v[20:21]
	s_nop 0
	v_mov_b32_e32 v24, v23
	v_pk_add_f32 v[24:25], v[22:23], v[24:25]
	s_nop 0
	v_pk_add_f32 v[26:27], v[4:5], v[24:25]
	v_mov_b32_e32 v21, v24
	v_mov_b32_e32 v23, v26
	v_pk_add_f32 v[28:29], v[22:23], v[30:31] neg_lo:[0,1] neg_hi:[0,1]
	s_nop 0
	v_sub_f32_e32 v4, v22, v28
	v_pk_add_f32 v[20:21], v[20:21], v[28:29] neg_lo:[0,1] neg_hi:[0,1]
	v_sub_f32_e32 v4, v30, v4
	v_add_f32_e32 v4, v20, v4
	v_add_f32_e32 v4, v4, v21
	;; [unrolled: 1-line block ×3, first 2 shown]
	v_cndmask_b32_e32 v80, v4, v34, vcc
.LBB12_47:                              ;   in Loop: Header=BB12_11 Depth=1
	s_or_b64 exec, exec, s[38:39]
	v_and_b32_e32 v4, 0xffff0000, v5
	v_add_f32_e32 v81, s33, v4
	v_cmp_ge_f32_e32 vcc, s40, v81
	s_and_b64 s[36:37], s[72:73], vcc
	s_and_saveexec_b64 s[38:39], s[36:37]
	s_cbranch_execz .LBB12_49
; %bb.48:                               ;   in Loop: Header=BB12_11 Depth=1
	v_mul_f32_e32 v4, 0x3fb8aa3b, v81
	v_rndne_f32_e32 v5, v4
	v_sub_f32_e32 v11, v4, v5
	v_fma_f32 v4, v81, s41, -v4
	v_fmac_f32_e32 v4, 0x32a5705f, v81
	v_add_f32_e32 v4, v11, v4
	v_cvt_i32_f32_e32 v5, v5
	v_exp_f32_e32 v4, v4
	v_cmp_ngt_f32_e32 vcc, s42, v81
	v_ldexp_f32 v4, v4, v5
	s_nop 0
	v_cndmask_b32_e32 v4, 0, v4, vcc
	v_cmp_nlt_f32_e32 vcc, s43, v81
	s_nop 1
	v_cndmask_b32_e32 v34, v74, v4, vcc
	v_add_f32_e32 v11, 1.0, v34
	v_add_f32_e32 v4, -1.0, v11
	v_sub_f32_e32 v5, v4, v11
	v_add_f32_e32 v5, 1.0, v5
	v_sub_f32_e32 v4, v34, v4
	v_add_f32_e32 v19, v4, v5
	v_frexp_mant_f32_e32 v20, v11
	v_cvt_f64_f32_e32 v[4:5], v11
	v_frexp_exp_i32_f64_e32 v4, v[4:5]
	v_cmp_gt_f32_e32 vcc, s45, v20
	v_cmp_gt_f32_e64 s[36:37], s47, v34
	s_nop 0
	v_subbrev_co_u32_e32 v26, vcc, 0, v4, vcc
	v_sub_u32_e32 v4, 0, v26
	v_ldexp_f32 v5, v11, v4
	v_add_f32_e32 v11, -1.0, v5
	v_add_f32_e32 v20, 1.0, v5
	v_ldexp_f32 v4, v19, v4
	v_add_f32_e32 v19, 1.0, v11
	v_add_f32_e32 v21, -1.0, v20
	v_sub_f32_e32 v19, v5, v19
	v_sub_f32_e32 v5, v5, v21
	v_add_f32_e32 v19, v4, v19
	v_add_f32_e32 v4, v4, v5
	;; [unrolled: 1-line block ×3, first 2 shown]
	v_rcp_f32_e32 v29, v27
	v_sub_f32_e32 v5, v20, v27
	v_add_f32_e32 v28, v4, v5
	v_add_f32_e32 v5, v11, v19
	v_sub_f32_e32 v4, v11, v5
	v_add_f32_e32 v11, v19, v4
	v_mul_f32_e32 v19, v5, v29
	v_mul_f32_e32 v20, v27, v19
	v_fma_f32 v22, v19, v27, -v20
	v_fmac_f32_e32 v22, v19, v28
	v_add_f32_e32 v4, v20, v22
	v_sub_f32_e32 v21, v5, v4
	v_pk_add_f32 v[24:25], v[4:5], v[20:21] neg_lo:[0,1] neg_hi:[0,1]
	v_mov_b32_e32 v23, v4
	v_pk_add_f32 v[4:5], v[24:25], v[22:23] neg_lo:[0,1] neg_hi:[0,1]
	v_cmp_eq_f32_e32 vcc, s44, v34
	v_add_f32_e32 v5, v11, v5
	v_add_f32_e32 v4, v4, v5
	;; [unrolled: 1-line block ×3, first 2 shown]
	v_mul_f32_e32 v11, v29, v5
	v_mul_f32_e32 v20, v27, v11
	v_fma_f32 v22, v11, v27, -v20
	v_fmac_f32_e32 v22, v11, v28
	v_sub_f32_e32 v21, v21, v5
	v_add_f32_e32 v27, v4, v21
	v_add_f32_e32 v4, v20, v22
	v_sub_f32_e32 v21, v5, v4
	v_pk_add_f32 v[24:25], v[4:5], v[20:21] neg_lo:[0,1] neg_hi:[0,1]
	v_mov_b32_e32 v23, v4
	v_pk_add_f32 v[4:5], v[24:25], v[22:23] neg_lo:[0,1] neg_hi:[0,1]
	s_or_b64 vcc, s[36:37], vcc
	v_add_f32_e32 v5, v27, v5
	v_add_f32_e32 v4, v4, v5
	;; [unrolled: 1-line block ×4, first 2 shown]
	v_sub_f32_e32 v19, v5, v19
	v_mul_f32_e32 v4, v29, v4
	v_sub_f32_e32 v11, v11, v19
	v_add_f32_e32 v11, v11, v4
	v_add_f32_e32 v20, v5, v11
	v_mul_f32_e32 v22, v20, v20
	v_fmamk_f32 v4, v22, 0x3e9b6dac, v73
	v_fmaak_f32 v19, v22, v4, 0x3f2aaada
	v_cvt_f32_i32_e32 v4, v26
	v_sub_f32_e32 v5, v20, v5
	v_sub_f32_e32 v5, v11, v5
	v_ldexp_f32 v11, v5, 1
	v_mul_f32_e32 v5, v20, v22
	v_pk_mul_f32 v[22:23], v[4:5], v[18:19]
	v_ldexp_f32 v21, v20, 1
	v_fma_f32 v20, v4, s46, -v22
	v_fmac_f32_e32 v20, 0xb102e308, v4
	v_pk_add_f32 v[4:5], v[22:23], v[20:21]
	v_mov_b32_e32 v24, v22
	v_sub_f32_e32 v19, v5, v21
	v_sub_f32_e32 v19, v23, v19
	v_add_f32_e32 v25, v11, v19
	v_pk_add_f32 v[22:23], v[4:5], v[22:23] neg_lo:[0,1] neg_hi:[0,1]
	v_pk_add_f32 v[26:27], v[4:5], v[24:25]
	v_mov_b32_e32 v21, v4
	v_mov_b32_e32 v23, v27
	v_pk_add_f32 v[28:29], v[20:21], v[22:23] neg_lo:[0,1] neg_hi:[0,1]
	v_pk_add_f32 v[20:21], v[20:21], v[22:23]
	v_mov_b32_e32 v24, v25
	v_mov_b32_e32 v22, v21
	v_pk_add_f32 v[30:31], v[22:23], v[4:5] neg_lo:[0,1] neg_hi:[0,1]
	v_mov_b32_e32 v20, v27
	v_mov_b32_e32 v11, v30
	v_pk_add_f32 v[32:33], v[26:27], v[10:11] neg_lo:[0,1] neg_hi:[0,1]
	v_mov_b32_e32 v26, v5
	v_mov_b32_e32 v27, v30
	;; [unrolled: 1-line block ×3, first 2 shown]
	v_pk_add_f32 v[20:21], v[20:21], v[26:27] neg_lo:[0,1] neg_hi:[0,1]
	v_mov_b32_e32 v25, v4
	v_pk_add_f32 v[4:5], v[24:25], v[20:21] neg_lo:[0,1] neg_hi:[0,1]
	v_mov_b32_e32 v32, v28
	v_pk_add_f32 v[20:21], v[32:33], v[4:5]
	s_nop 0
	v_mov_b32_e32 v24, v21
	v_pk_add_f32 v[24:25], v[20:21], v[24:25]
	s_nop 0
	v_pk_add_f32 v[22:23], v[22:23], v[24:25]
	v_mov_b32_e32 v5, v24
	v_mov_b32_e32 v21, v22
	v_pk_add_f32 v[26:27], v[20:21], v[28:29] neg_lo:[0,1] neg_hi:[0,1]
	s_nop 0
	v_sub_f32_e32 v11, v20, v26
	v_pk_add_f32 v[4:5], v[4:5], v[26:27] neg_lo:[0,1] neg_hi:[0,1]
	v_sub_f32_e32 v11, v28, v11
	v_add_f32_e32 v4, v4, v11
	v_add_f32_e32 v4, v4, v5
	;; [unrolled: 1-line block ×3, first 2 shown]
	v_cndmask_b32_e32 v81, v4, v34, vcc
.LBB12_49:                              ;   in Loop: Header=BB12_11 Depth=1
	s_or_b64 exec, exec, s[38:39]
	v_lshlrev_b32_e32 v4, 16, v6
	v_add_f32_e32 v82, s33, v4
	v_cmp_ge_f32_e32 vcc, s40, v82
	s_and_b64 s[36:37], s[72:73], vcc
	s_and_saveexec_b64 s[38:39], s[36:37]
	s_cbranch_execz .LBB12_51
; %bb.50:                               ;   in Loop: Header=BB12_11 Depth=1
	v_mul_f32_e32 v4, 0x3fb8aa3b, v82
	v_rndne_f32_e32 v5, v4
	v_sub_f32_e32 v11, v4, v5
	v_fma_f32 v4, v82, s41, -v4
	v_fmac_f32_e32 v4, 0x32a5705f, v82
	v_add_f32_e32 v4, v11, v4
	v_cvt_i32_f32_e32 v5, v5
	v_exp_f32_e32 v4, v4
	v_cmp_ngt_f32_e32 vcc, s42, v82
	v_ldexp_f32 v4, v4, v5
	s_nop 0
	v_cndmask_b32_e32 v4, 0, v4, vcc
	v_cmp_nlt_f32_e32 vcc, s43, v82
	s_nop 1
	v_cndmask_b32_e32 v34, v74, v4, vcc
	v_add_f32_e32 v11, 1.0, v34
	v_add_f32_e32 v4, -1.0, v11
	v_sub_f32_e32 v5, v4, v11
	v_add_f32_e32 v5, 1.0, v5
	v_sub_f32_e32 v4, v34, v4
	v_add_f32_e32 v19, v4, v5
	v_frexp_mant_f32_e32 v20, v11
	v_cvt_f64_f32_e32 v[4:5], v11
	v_frexp_exp_i32_f64_e32 v4, v[4:5]
	v_cmp_gt_f32_e32 vcc, s45, v20
	v_cmp_gt_f32_e64 s[36:37], s47, v34
	s_nop 0
	v_subbrev_co_u32_e32 v26, vcc, 0, v4, vcc
	v_sub_u32_e32 v4, 0, v26
	v_ldexp_f32 v5, v11, v4
	v_add_f32_e32 v11, -1.0, v5
	v_add_f32_e32 v20, 1.0, v5
	v_ldexp_f32 v4, v19, v4
	v_add_f32_e32 v19, 1.0, v11
	v_add_f32_e32 v21, -1.0, v20
	v_sub_f32_e32 v19, v5, v19
	v_sub_f32_e32 v5, v5, v21
	v_add_f32_e32 v19, v4, v19
	v_add_f32_e32 v4, v4, v5
	;; [unrolled: 1-line block ×3, first 2 shown]
	v_rcp_f32_e32 v29, v27
	v_sub_f32_e32 v5, v20, v27
	v_add_f32_e32 v28, v4, v5
	v_add_f32_e32 v5, v11, v19
	v_sub_f32_e32 v4, v11, v5
	v_add_f32_e32 v11, v19, v4
	v_mul_f32_e32 v19, v5, v29
	v_mul_f32_e32 v20, v27, v19
	v_fma_f32 v22, v19, v27, -v20
	v_fmac_f32_e32 v22, v19, v28
	v_add_f32_e32 v4, v20, v22
	v_sub_f32_e32 v21, v5, v4
	v_pk_add_f32 v[24:25], v[4:5], v[20:21] neg_lo:[0,1] neg_hi:[0,1]
	v_mov_b32_e32 v23, v4
	v_pk_add_f32 v[4:5], v[24:25], v[22:23] neg_lo:[0,1] neg_hi:[0,1]
	v_cmp_eq_f32_e32 vcc, s44, v34
	v_add_f32_e32 v5, v11, v5
	v_add_f32_e32 v4, v4, v5
	;; [unrolled: 1-line block ×3, first 2 shown]
	v_mul_f32_e32 v11, v29, v5
	v_mul_f32_e32 v20, v27, v11
	v_fma_f32 v22, v11, v27, -v20
	v_fmac_f32_e32 v22, v11, v28
	v_sub_f32_e32 v21, v21, v5
	v_add_f32_e32 v27, v4, v21
	v_add_f32_e32 v4, v20, v22
	v_sub_f32_e32 v21, v5, v4
	v_pk_add_f32 v[24:25], v[4:5], v[20:21] neg_lo:[0,1] neg_hi:[0,1]
	v_mov_b32_e32 v23, v4
	v_pk_add_f32 v[4:5], v[24:25], v[22:23] neg_lo:[0,1] neg_hi:[0,1]
	s_or_b64 vcc, s[36:37], vcc
	v_add_f32_e32 v5, v27, v5
	v_add_f32_e32 v4, v4, v5
	;; [unrolled: 1-line block ×4, first 2 shown]
	v_sub_f32_e32 v19, v5, v19
	v_mul_f32_e32 v4, v29, v4
	v_sub_f32_e32 v11, v11, v19
	v_add_f32_e32 v11, v11, v4
	v_add_f32_e32 v20, v5, v11
	v_mul_f32_e32 v22, v20, v20
	v_fmamk_f32 v4, v22, 0x3e9b6dac, v73
	v_fmaak_f32 v19, v22, v4, 0x3f2aaada
	v_cvt_f32_i32_e32 v4, v26
	v_sub_f32_e32 v5, v20, v5
	v_sub_f32_e32 v5, v11, v5
	v_ldexp_f32 v11, v5, 1
	v_mul_f32_e32 v5, v20, v22
	v_pk_mul_f32 v[22:23], v[4:5], v[18:19]
	v_ldexp_f32 v21, v20, 1
	v_fma_f32 v20, v4, s46, -v22
	v_fmac_f32_e32 v20, 0xb102e308, v4
	v_pk_add_f32 v[4:5], v[22:23], v[20:21]
	v_mov_b32_e32 v24, v22
	v_sub_f32_e32 v19, v5, v21
	v_sub_f32_e32 v19, v23, v19
	v_add_f32_e32 v25, v11, v19
	v_pk_add_f32 v[22:23], v[4:5], v[22:23] neg_lo:[0,1] neg_hi:[0,1]
	v_pk_add_f32 v[26:27], v[4:5], v[24:25]
	v_mov_b32_e32 v21, v4
	v_mov_b32_e32 v23, v27
	v_pk_add_f32 v[28:29], v[20:21], v[22:23] neg_lo:[0,1] neg_hi:[0,1]
	v_pk_add_f32 v[20:21], v[20:21], v[22:23]
	v_mov_b32_e32 v24, v25
	v_mov_b32_e32 v22, v21
	v_pk_add_f32 v[30:31], v[22:23], v[4:5] neg_lo:[0,1] neg_hi:[0,1]
	v_mov_b32_e32 v20, v27
	v_mov_b32_e32 v11, v30
	v_pk_add_f32 v[32:33], v[26:27], v[10:11] neg_lo:[0,1] neg_hi:[0,1]
	v_mov_b32_e32 v26, v5
	v_mov_b32_e32 v27, v30
	v_mov_b32_e32 v29, v21
	v_pk_add_f32 v[20:21], v[20:21], v[26:27] neg_lo:[0,1] neg_hi:[0,1]
	v_mov_b32_e32 v25, v4
	v_pk_add_f32 v[4:5], v[24:25], v[20:21] neg_lo:[0,1] neg_hi:[0,1]
	v_mov_b32_e32 v32, v28
	v_pk_add_f32 v[20:21], v[32:33], v[4:5]
	s_nop 0
	v_mov_b32_e32 v24, v21
	v_pk_add_f32 v[24:25], v[20:21], v[24:25]
	s_nop 0
	v_pk_add_f32 v[22:23], v[22:23], v[24:25]
	v_mov_b32_e32 v5, v24
	v_mov_b32_e32 v21, v22
	v_pk_add_f32 v[26:27], v[20:21], v[28:29] neg_lo:[0,1] neg_hi:[0,1]
	s_nop 0
	v_sub_f32_e32 v11, v20, v26
	v_pk_add_f32 v[4:5], v[4:5], v[26:27] neg_lo:[0,1] neg_hi:[0,1]
	v_sub_f32_e32 v11, v28, v11
	v_add_f32_e32 v4, v4, v11
	v_add_f32_e32 v4, v4, v5
	;; [unrolled: 1-line block ×3, first 2 shown]
	v_cndmask_b32_e32 v82, v4, v34, vcc
.LBB12_51:                              ;   in Loop: Header=BB12_11 Depth=1
	s_or_b64 exec, exec, s[38:39]
	v_and_b32_e32 v4, 0xffff0000, v6
	v_add_f32_e32 v83, s33, v4
	v_cmp_ge_f32_e32 vcc, s40, v83
	s_and_b64 s[36:37], s[72:73], vcc
	s_and_saveexec_b64 s[38:39], s[36:37]
	s_cbranch_execz .LBB12_53
; %bb.52:                               ;   in Loop: Header=BB12_11 Depth=1
	v_mul_f32_e32 v4, 0x3fb8aa3b, v83
	v_rndne_f32_e32 v5, v4
	v_sub_f32_e32 v6, v4, v5
	v_fma_f32 v4, v83, s41, -v4
	v_fmac_f32_e32 v4, 0x32a5705f, v83
	v_add_f32_e32 v4, v6, v4
	v_cvt_i32_f32_e32 v5, v5
	v_exp_f32_e32 v4, v4
	v_cmp_ngt_f32_e32 vcc, s42, v83
	v_ldexp_f32 v4, v4, v5
	s_nop 0
	v_cndmask_b32_e32 v4, 0, v4, vcc
	v_cmp_nlt_f32_e32 vcc, s43, v83
	s_nop 1
	v_cndmask_b32_e32 v32, v74, v4, vcc
	v_add_f32_e32 v6, 1.0, v32
	v_add_f32_e32 v4, -1.0, v6
	v_sub_f32_e32 v5, v4, v6
	v_add_f32_e32 v5, 1.0, v5
	v_sub_f32_e32 v4, v32, v4
	v_add_f32_e32 v11, v4, v5
	v_frexp_mant_f32_e32 v19, v6
	v_cvt_f64_f32_e32 v[4:5], v6
	v_frexp_exp_i32_f64_e32 v4, v[4:5]
	v_cmp_gt_f32_e32 vcc, s45, v19
	v_cmp_gt_f32_e64 s[36:37], s47, v32
	s_nop 0
	v_subbrev_co_u32_e32 v26, vcc, 0, v4, vcc
	v_sub_u32_e32 v4, 0, v26
	v_ldexp_f32 v5, v6, v4
	v_add_f32_e32 v6, -1.0, v5
	v_add_f32_e32 v19, 1.0, v5
	v_ldexp_f32 v4, v11, v4
	v_add_f32_e32 v11, 1.0, v6
	v_add_f32_e32 v20, -1.0, v19
	v_sub_f32_e32 v11, v5, v11
	v_sub_f32_e32 v5, v5, v20
	v_add_f32_e32 v11, v4, v11
	v_add_f32_e32 v4, v4, v5
	;; [unrolled: 1-line block ×3, first 2 shown]
	v_rcp_f32_e32 v28, v27
	v_sub_f32_e32 v5, v19, v27
	v_add_f32_e32 v19, v4, v5
	v_add_f32_e32 v5, v6, v11
	v_sub_f32_e32 v4, v6, v5
	v_add_f32_e32 v6, v11, v4
	v_mul_f32_e32 v11, v5, v28
	v_mul_f32_e32 v20, v27, v11
	v_fma_f32 v22, v11, v27, -v20
	v_fmac_f32_e32 v22, v11, v19
	v_add_f32_e32 v4, v20, v22
	v_sub_f32_e32 v21, v5, v4
	v_pk_add_f32 v[24:25], v[4:5], v[20:21] neg_lo:[0,1] neg_hi:[0,1]
	v_mov_b32_e32 v23, v4
	v_pk_add_f32 v[4:5], v[24:25], v[22:23] neg_lo:[0,1] neg_hi:[0,1]
	v_cmp_eq_f32_e32 vcc, s44, v32
	v_add_f32_e32 v5, v6, v5
	v_add_f32_e32 v4, v4, v5
	;; [unrolled: 1-line block ×3, first 2 shown]
	v_mul_f32_e32 v6, v28, v5
	v_mul_f32_e32 v20, v27, v6
	v_fma_f32 v22, v6, v27, -v20
	v_fmac_f32_e32 v22, v6, v19
	v_sub_f32_e32 v19, v21, v5
	v_add_f32_e32 v19, v4, v19
	v_add_f32_e32 v4, v20, v22
	v_sub_f32_e32 v21, v5, v4
	v_pk_add_f32 v[24:25], v[4:5], v[20:21] neg_lo:[0,1] neg_hi:[0,1]
	v_mov_b32_e32 v23, v4
	v_pk_add_f32 v[4:5], v[24:25], v[22:23] neg_lo:[0,1] neg_hi:[0,1]
	s_or_b64 vcc, s[36:37], vcc
	v_add_f32_e32 v5, v19, v5
	v_add_f32_e32 v4, v4, v5
	;; [unrolled: 1-line block ×4, first 2 shown]
	v_sub_f32_e32 v11, v5, v11
	v_mul_f32_e32 v4, v28, v4
	v_sub_f32_e32 v6, v6, v11
	v_add_f32_e32 v6, v6, v4
	v_add_f32_e32 v11, v5, v6
	v_mul_f32_e32 v20, v11, v11
	v_fmamk_f32 v4, v20, 0x3e9b6dac, v73
	v_fmaak_f32 v19, v20, v4, 0x3f2aaada
	v_cvt_f32_i32_e32 v4, v26
	v_sub_f32_e32 v5, v11, v5
	v_sub_f32_e32 v5, v6, v5
	v_ldexp_f32 v6, v5, 1
	v_mul_f32_e32 v5, v11, v20
	v_pk_mul_f32 v[22:23], v[4:5], v[18:19]
	v_ldexp_f32 v21, v11, 1
	v_fma_f32 v20, v4, s46, -v22
	v_fmac_f32_e32 v20, 0xb102e308, v4
	v_pk_add_f32 v[4:5], v[22:23], v[20:21]
	v_mov_b32_e32 v24, v22
	v_sub_f32_e32 v11, v5, v21
	v_sub_f32_e32 v11, v23, v11
	v_add_f32_e32 v25, v6, v11
	v_pk_add_f32 v[22:23], v[4:5], v[22:23] neg_lo:[0,1] neg_hi:[0,1]
	v_pk_add_f32 v[26:27], v[4:5], v[24:25]
	v_mov_b32_e32 v21, v4
	v_mov_b32_e32 v23, v27
	v_pk_add_f32 v[28:29], v[20:21], v[22:23] neg_lo:[0,1] neg_hi:[0,1]
	v_pk_add_f32 v[20:21], v[20:21], v[22:23]
	s_nop 0
	v_mov_b32_e32 v6, v21
	v_pk_add_f32 v[22:23], v[6:7], v[4:5] neg_lo:[0,1] neg_hi:[0,1]
	v_mov_b32_e32 v20, v27
	v_mov_b32_e32 v11, v22
	v_pk_add_f32 v[30:31], v[26:27], v[10:11] neg_lo:[0,1] neg_hi:[0,1]
	v_mov_b32_e32 v26, v5
	v_mov_b32_e32 v27, v22
	;; [unrolled: 1-line block ×3, first 2 shown]
	v_pk_add_f32 v[20:21], v[20:21], v[26:27] neg_lo:[0,1] neg_hi:[0,1]
	v_mov_b32_e32 v22, v25
	v_mov_b32_e32 v23, v4
	v_pk_add_f32 v[4:5], v[22:23], v[20:21] neg_lo:[0,1] neg_hi:[0,1]
	v_mov_b32_e32 v30, v28
	v_pk_add_f32 v[20:21], v[30:31], v[4:5]
	s_nop 0
	v_mov_b32_e32 v22, v21
	v_pk_add_f32 v[22:23], v[20:21], v[22:23]
	s_nop 0
	v_pk_add_f32 v[24:25], v[6:7], v[22:23]
	v_mov_b32_e32 v5, v22
	v_mov_b32_e32 v21, v24
	v_pk_add_f32 v[26:27], v[20:21], v[28:29] neg_lo:[0,1] neg_hi:[0,1]
	s_nop 0
	v_sub_f32_e32 v6, v20, v26
	v_pk_add_f32 v[4:5], v[4:5], v[26:27] neg_lo:[0,1] neg_hi:[0,1]
	v_sub_f32_e32 v6, v28, v6
	v_add_f32_e32 v4, v4, v6
	v_add_f32_e32 v4, v4, v5
	;; [unrolled: 1-line block ×3, first 2 shown]
	v_cndmask_b32_e32 v83, v4, v32, vcc
.LBB12_53:                              ;   in Loop: Header=BB12_11 Depth=1
	s_or_b64 exec, exec, s[38:39]
	v_lshlrev_b32_e32 v4, 16, v7
	v_add_f32_e32 v84, s33, v4
	v_cmp_ge_f32_e32 vcc, s40, v84
	s_and_b64 s[36:37], s[72:73], vcc
	s_and_saveexec_b64 s[38:39], s[36:37]
	s_cbranch_execz .LBB12_55
; %bb.54:                               ;   in Loop: Header=BB12_11 Depth=1
	v_mul_f32_e32 v4, 0x3fb8aa3b, v84
	v_rndne_f32_e32 v5, v4
	v_sub_f32_e32 v6, v4, v5
	v_fma_f32 v4, v84, s41, -v4
	v_fmac_f32_e32 v4, 0x32a5705f, v84
	v_add_f32_e32 v4, v6, v4
	v_cvt_i32_f32_e32 v5, v5
	v_exp_f32_e32 v4, v4
	v_cmp_ngt_f32_e32 vcc, s42, v84
	v_ldexp_f32 v4, v4, v5
	s_nop 0
	v_cndmask_b32_e32 v4, 0, v4, vcc
	v_cmp_nlt_f32_e32 vcc, s43, v84
	s_nop 1
	v_cndmask_b32_e32 v32, v74, v4, vcc
	v_add_f32_e32 v6, 1.0, v32
	v_add_f32_e32 v4, -1.0, v6
	v_sub_f32_e32 v5, v4, v6
	v_add_f32_e32 v5, 1.0, v5
	v_sub_f32_e32 v4, v32, v4
	v_add_f32_e32 v11, v4, v5
	v_frexp_mant_f32_e32 v19, v6
	v_cvt_f64_f32_e32 v[4:5], v6
	v_frexp_exp_i32_f64_e32 v4, v[4:5]
	v_cmp_gt_f32_e32 vcc, s45, v19
	v_cmp_gt_f32_e64 s[36:37], s47, v32
	s_nop 0
	v_subbrev_co_u32_e32 v26, vcc, 0, v4, vcc
	v_sub_u32_e32 v4, 0, v26
	v_ldexp_f32 v5, v6, v4
	v_add_f32_e32 v6, -1.0, v5
	v_add_f32_e32 v19, 1.0, v5
	v_ldexp_f32 v4, v11, v4
	v_add_f32_e32 v11, 1.0, v6
	v_add_f32_e32 v20, -1.0, v19
	v_sub_f32_e32 v11, v5, v11
	v_sub_f32_e32 v5, v5, v20
	v_add_f32_e32 v11, v4, v11
	v_add_f32_e32 v4, v4, v5
	;; [unrolled: 1-line block ×3, first 2 shown]
	v_rcp_f32_e32 v28, v27
	v_sub_f32_e32 v5, v19, v27
	v_add_f32_e32 v19, v4, v5
	v_add_f32_e32 v5, v6, v11
	v_sub_f32_e32 v4, v6, v5
	v_add_f32_e32 v6, v11, v4
	v_mul_f32_e32 v11, v5, v28
	v_mul_f32_e32 v20, v27, v11
	v_fma_f32 v22, v11, v27, -v20
	v_fmac_f32_e32 v22, v11, v19
	v_add_f32_e32 v4, v20, v22
	v_sub_f32_e32 v21, v5, v4
	v_pk_add_f32 v[24:25], v[4:5], v[20:21] neg_lo:[0,1] neg_hi:[0,1]
	v_mov_b32_e32 v23, v4
	v_pk_add_f32 v[4:5], v[24:25], v[22:23] neg_lo:[0,1] neg_hi:[0,1]
	v_cmp_eq_f32_e32 vcc, s44, v32
	v_add_f32_e32 v5, v6, v5
	v_add_f32_e32 v4, v4, v5
	;; [unrolled: 1-line block ×3, first 2 shown]
	v_mul_f32_e32 v6, v28, v5
	v_mul_f32_e32 v20, v27, v6
	v_fma_f32 v22, v6, v27, -v20
	v_fmac_f32_e32 v22, v6, v19
	v_sub_f32_e32 v19, v21, v5
	v_add_f32_e32 v19, v4, v19
	v_add_f32_e32 v4, v20, v22
	v_sub_f32_e32 v21, v5, v4
	v_pk_add_f32 v[24:25], v[4:5], v[20:21] neg_lo:[0,1] neg_hi:[0,1]
	v_mov_b32_e32 v23, v4
	v_pk_add_f32 v[4:5], v[24:25], v[22:23] neg_lo:[0,1] neg_hi:[0,1]
	s_or_b64 vcc, s[36:37], vcc
	v_add_f32_e32 v5, v19, v5
	v_add_f32_e32 v4, v4, v5
	;; [unrolled: 1-line block ×4, first 2 shown]
	v_sub_f32_e32 v11, v5, v11
	v_mul_f32_e32 v4, v28, v4
	v_sub_f32_e32 v6, v6, v11
	v_add_f32_e32 v6, v6, v4
	v_add_f32_e32 v11, v5, v6
	v_mul_f32_e32 v20, v11, v11
	v_fmamk_f32 v4, v20, 0x3e9b6dac, v73
	v_fmaak_f32 v19, v20, v4, 0x3f2aaada
	v_cvt_f32_i32_e32 v4, v26
	v_sub_f32_e32 v5, v11, v5
	v_sub_f32_e32 v5, v6, v5
	v_ldexp_f32 v6, v5, 1
	v_mul_f32_e32 v5, v11, v20
	v_pk_mul_f32 v[22:23], v[4:5], v[18:19]
	v_ldexp_f32 v21, v11, 1
	v_fma_f32 v20, v4, s46, -v22
	v_fmac_f32_e32 v20, 0xb102e308, v4
	v_pk_add_f32 v[4:5], v[22:23], v[20:21]
	v_mov_b32_e32 v24, v22
	v_sub_f32_e32 v11, v5, v21
	v_sub_f32_e32 v11, v23, v11
	v_add_f32_e32 v25, v6, v11
	v_pk_add_f32 v[22:23], v[4:5], v[22:23] neg_lo:[0,1] neg_hi:[0,1]
	v_pk_add_f32 v[26:27], v[4:5], v[24:25]
	v_mov_b32_e32 v21, v4
	v_mov_b32_e32 v23, v27
	v_pk_add_f32 v[28:29], v[20:21], v[22:23] neg_lo:[0,1] neg_hi:[0,1]
	v_pk_add_f32 v[20:21], v[20:21], v[22:23]
	s_nop 0
	v_mov_b32_e32 v6, v21
	v_pk_add_f32 v[22:23], v[6:7], v[4:5] neg_lo:[0,1] neg_hi:[0,1]
	v_mov_b32_e32 v20, v27
	v_mov_b32_e32 v11, v22
	v_pk_add_f32 v[30:31], v[26:27], v[10:11] neg_lo:[0,1] neg_hi:[0,1]
	v_mov_b32_e32 v26, v5
	v_mov_b32_e32 v27, v22
	;; [unrolled: 1-line block ×3, first 2 shown]
	v_pk_add_f32 v[20:21], v[20:21], v[26:27] neg_lo:[0,1] neg_hi:[0,1]
	v_mov_b32_e32 v22, v25
	v_mov_b32_e32 v23, v4
	v_pk_add_f32 v[4:5], v[22:23], v[20:21] neg_lo:[0,1] neg_hi:[0,1]
	v_mov_b32_e32 v30, v28
	v_pk_add_f32 v[20:21], v[30:31], v[4:5]
	s_nop 0
	v_mov_b32_e32 v22, v21
	v_pk_add_f32 v[22:23], v[20:21], v[22:23]
	s_nop 0
	v_pk_add_f32 v[24:25], v[6:7], v[22:23]
	v_mov_b32_e32 v5, v22
	v_mov_b32_e32 v21, v24
	v_pk_add_f32 v[26:27], v[20:21], v[28:29] neg_lo:[0,1] neg_hi:[0,1]
	s_nop 0
	v_sub_f32_e32 v6, v20, v26
	v_pk_add_f32 v[4:5], v[4:5], v[26:27] neg_lo:[0,1] neg_hi:[0,1]
	v_sub_f32_e32 v6, v28, v6
	v_add_f32_e32 v4, v4, v6
	v_add_f32_e32 v4, v4, v5
	;; [unrolled: 1-line block ×3, first 2 shown]
	v_cndmask_b32_e32 v84, v4, v32, vcc
.LBB12_55:                              ;   in Loop: Header=BB12_11 Depth=1
	s_or_b64 exec, exec, s[38:39]
	v_and_b32_e32 v4, 0xffff0000, v7
	v_add_f32_e32 v19, s33, v4
	v_cmp_ge_f32_e32 vcc, s40, v19
	s_and_b64 s[36:37], s[72:73], vcc
	s_and_saveexec_b64 s[38:39], s[36:37]
	s_cbranch_execz .LBB12_57
; %bb.56:                               ;   in Loop: Header=BB12_11 Depth=1
	v_mul_f32_e32 v4, 0x3fb8aa3b, v19
	v_rndne_f32_e32 v5, v4
	v_sub_f32_e32 v6, v4, v5
	v_fma_f32 v4, v19, s41, -v4
	v_fmac_f32_e32 v4, 0x32a5705f, v19
	v_add_f32_e32 v4, v6, v4
	v_cvt_i32_f32_e32 v5, v5
	v_exp_f32_e32 v4, v4
	v_cmp_ngt_f32_e32 vcc, s42, v19
	v_ldexp_f32 v4, v4, v5
	s_nop 0
	v_cndmask_b32_e32 v4, 0, v4, vcc
	v_cmp_nlt_f32_e32 vcc, s43, v19
	s_nop 1
	v_cndmask_b32_e32 v32, v74, v4, vcc
	v_add_f32_e32 v6, 1.0, v32
	v_add_f32_e32 v4, -1.0, v6
	v_sub_f32_e32 v5, v4, v6
	v_add_f32_e32 v5, 1.0, v5
	v_sub_f32_e32 v4, v32, v4
	v_add_f32_e32 v7, v4, v5
	v_frexp_mant_f32_e32 v11, v6
	v_cvt_f64_f32_e32 v[4:5], v6
	v_frexp_exp_i32_f64_e32 v4, v[4:5]
	v_cmp_gt_f32_e32 vcc, s45, v11
	v_cmp_gt_f32_e64 s[36:37], s47, v32
	s_nop 0
	v_subbrev_co_u32_e32 v11, vcc, 0, v4, vcc
	v_sub_u32_e32 v4, 0, v11
	v_ldexp_f32 v5, v6, v4
	v_add_f32_e32 v6, -1.0, v5
	v_add_f32_e32 v19, 1.0, v5
	v_ldexp_f32 v4, v7, v4
	v_add_f32_e32 v7, 1.0, v6
	v_add_f32_e32 v20, -1.0, v19
	v_sub_f32_e32 v7, v5, v7
	v_sub_f32_e32 v5, v5, v20
	v_add_f32_e32 v7, v4, v7
	v_add_f32_e32 v4, v4, v5
	;; [unrolled: 1-line block ×3, first 2 shown]
	v_rcp_f32_e32 v25, v24
	v_sub_f32_e32 v5, v19, v24
	v_add_f32_e32 v19, v4, v5
	v_add_f32_e32 v5, v6, v7
	v_mul_f32_e32 v27, v5, v25
	v_sub_f32_e32 v4, v6, v5
	v_mul_f32_e32 v6, v24, v27
	v_fma_f32 v20, v27, v24, -v6
	v_fmac_f32_e32 v20, v27, v19
	v_add_f32_e32 v26, v7, v4
	v_add_f32_e32 v4, v6, v20
	v_sub_f32_e32 v7, v5, v4
	v_pk_add_f32 v[22:23], v[4:5], v[6:7] neg_lo:[0,1] neg_hi:[0,1]
	v_mov_b32_e32 v21, v4
	v_pk_add_f32 v[4:5], v[22:23], v[20:21] neg_lo:[0,1] neg_hi:[0,1]
	v_cmp_eq_f32_e32 vcc, s44, v32
	v_add_f32_e32 v5, v26, v5
	v_add_f32_e32 v4, v4, v5
	;; [unrolled: 1-line block ×3, first 2 shown]
	v_mul_f32_e32 v26, v25, v5
	v_mul_f32_e32 v6, v24, v26
	v_fma_f32 v20, v26, v24, -v6
	v_fmac_f32_e32 v20, v26, v19
	v_sub_f32_e32 v7, v7, v5
	v_add_f32_e32 v19, v4, v7
	v_add_f32_e32 v4, v6, v20
	v_sub_f32_e32 v7, v5, v4
	v_pk_add_f32 v[22:23], v[4:5], v[6:7] neg_lo:[0,1] neg_hi:[0,1]
	v_mov_b32_e32 v21, v4
	v_pk_add_f32 v[4:5], v[22:23], v[20:21] neg_lo:[0,1] neg_hi:[0,1]
	s_or_b64 vcc, s[36:37], vcc
	v_add_f32_e32 v5, v19, v5
	v_add_f32_e32 v4, v4, v5
	;; [unrolled: 1-line block ×4, first 2 shown]
	v_sub_f32_e32 v6, v5, v27
	v_mul_f32_e32 v4, v25, v4
	v_sub_f32_e32 v6, v26, v6
	v_add_f32_e32 v6, v6, v4
	v_add_f32_e32 v20, v5, v6
	v_mul_f32_e32 v21, v20, v20
	v_fmamk_f32 v4, v21, 0x3e9b6dac, v73
	v_fmaak_f32 v19, v21, v4, 0x3f2aaada
	v_cvt_f32_i32_e32 v4, v11
	v_sub_f32_e32 v5, v20, v5
	v_sub_f32_e32 v5, v6, v5
	v_ldexp_f32 v11, v5, 1
	v_mul_f32_e32 v5, v20, v21
	v_ldexp_f32 v7, v20, 1
	v_pk_mul_f32 v[20:21], v[4:5], v[18:19]
	s_nop 0
	v_fma_f32 v6, v4, s46, -v20
	v_fmac_f32_e32 v6, 0xb102e308, v4
	v_pk_add_f32 v[4:5], v[20:21], v[6:7]
	v_mov_b32_e32 v22, v20
	v_sub_f32_e32 v7, v5, v7
	v_sub_f32_e32 v7, v21, v7
	v_add_f32_e32 v23, v11, v7
	v_pk_add_f32 v[20:21], v[4:5], v[20:21] neg_lo:[0,1] neg_hi:[0,1]
	v_pk_add_f32 v[24:25], v[4:5], v[22:23]
	v_mov_b32_e32 v7, v4
	v_mov_b32_e32 v21, v25
	v_pk_add_f32 v[26:27], v[6:7], v[20:21] neg_lo:[0,1] neg_hi:[0,1]
	v_pk_add_f32 v[6:7], v[6:7], v[20:21]
	v_mov_b32_e32 v22, v23
	v_mov_b32_e32 v20, v7
	v_pk_add_f32 v[28:29], v[20:21], v[4:5] neg_lo:[0,1] neg_hi:[0,1]
	v_mov_b32_e32 v6, v25
	v_mov_b32_e32 v11, v28
	v_pk_add_f32 v[30:31], v[24:25], v[10:11] neg_lo:[0,1] neg_hi:[0,1]
	v_mov_b32_e32 v24, v5
	v_mov_b32_e32 v25, v28
	;; [unrolled: 1-line block ×3, first 2 shown]
	v_pk_add_f32 v[6:7], v[6:7], v[24:25] neg_lo:[0,1] neg_hi:[0,1]
	v_mov_b32_e32 v23, v4
	v_pk_add_f32 v[4:5], v[22:23], v[6:7] neg_lo:[0,1] neg_hi:[0,1]
	v_mov_b32_e32 v30, v26
	v_pk_add_f32 v[6:7], v[30:31], v[4:5]
	s_nop 0
	v_mov_b32_e32 v22, v7
	v_pk_add_f32 v[22:23], v[6:7], v[22:23]
	s_nop 0
	v_pk_add_f32 v[20:21], v[20:21], v[22:23]
	v_mov_b32_e32 v5, v22
	v_mov_b32_e32 v7, v20
	v_pk_add_f32 v[24:25], v[6:7], v[26:27] neg_lo:[0,1] neg_hi:[0,1]
	s_nop 0
	v_sub_f32_e32 v6, v6, v24
	v_pk_add_f32 v[4:5], v[4:5], v[24:25] neg_lo:[0,1] neg_hi:[0,1]
	v_sub_f32_e32 v6, v26, v6
	v_add_f32_e32 v4, v4, v6
	v_add_f32_e32 v4, v4, v5
	;; [unrolled: 1-line block ×3, first 2 shown]
	v_cndmask_b32_e32 v19, v4, v32, vcc
.LBB12_57:                              ;   in Loop: Header=BB12_11 Depth=1
	s_or_b64 exec, exec, s[38:39]
	v_readlane_b32 s36, v95, 1
	v_lshlrev_b32_e32 v4, 16, v3
	v_and_b32_e32 v7, 0xffff0000, v3
	v_and_b32_e32 v3, 0xffff0000, v2
	v_lshlrev_b32_e32 v2, 16, v2
	v_and_b32_e32 v5, 0xffff0000, v1
	v_lshlrev_b32_e32 v1, 16, v1
	;; [unrolled: 2-line block ×3, first 2 shown]
	v_readlane_b32 s37, v95, 2
	v_mul_f32_e32 v20, s92, v4
	v_mul_f32_e32 v23, s92, v3
	;; [unrolled: 1-line block ×8, first 2 shown]
	s_and_b64 vcc, exec, s[36:37]
	s_waitcnt lgkmcnt(0)
	; wave barrier
	s_cbranch_vccz .LBB12_118
; %bb.58:                               ;   in Loop: Header=BB12_11 Depth=1
	v_mul_f32_e32 v92, v78, v0
	scratch_load_dword v0, off, off         ; 4-byte Folded Reload
	s_cmp_lg_u32 s99, 0
	v_readlane_b32 s36, v95, 5
	s_cselect_b64 s[78:79], -1, 0
	s_cmp_eq_u32 s99, s36
	s_cselect_b64 s[80:81], -1, 0
	s_mov_b32 s70, 0
	v_mul_f32_e32 v85, v19, v7
	v_lshl_add_u64 v[28:29], s[54:55], 0, v[8:9]
	v_lshl_add_u64 v[30:31], s[58:59], 0, v[8:9]
	v_mul_f32_e32 v86, v84, v4
	v_mul_f32_e32 v87, v83, v3
	;; [unrolled: 1-line block ×6, first 2 shown]
	s_mov_b32 s82, s70
	s_mov_b32 s84, s70
	;; [unrolled: 1-line block ×3, first 2 shown]
	v_readlane_b32 s67, v95, 0
	v_readlane_b32 s75, v95, 6
	s_waitcnt vmcnt(0)
	v_cmp_gt_u32_e32 vcc, s50, v0
	scratch_load_dword v0, off, off offset:4 ; 4-byte Folded Reload
	s_or_b64 s[36:37], s[76:77], vcc
	s_waitcnt vmcnt(0)
	v_cmp_gt_u32_e32 vcc, s50, v0
	scratch_load_dword v0, off, off offset:8 ; 4-byte Folded Reload
	s_or_b64 s[38:39], s[76:77], vcc
	;; [unrolled: 4-line block ×7, first 2 shown]
	s_waitcnt vmcnt(0)
	v_cmp_gt_u32_e32 vcc, s50, v0
	s_or_b64 s[50:51], s[76:77], vcc
	s_branch .LBB12_60
.LBB12_59:                              ;   in Loop: Header=BB12_60 Depth=2
	s_or_b64 exec, exec, s[88:89]
	v_mul_f32_e32 v33, v93, v72
	v_fma_f32 v11, v93, v11, v4
	v_cndmask_b32_e64 v4, v11, v4, s[16:17]
	v_cndmask_b32_e64 v11, v33, v93, s[16:17]
	s_waitcnt lgkmcnt(0)
	v_fmac_f32_e32 v4, v32, v11
	v_fmac_f32_e32 v5, v4, v94
	;; [unrolled: 1-line block ×8, first 2 shown]
	v_and_b32_e32 v33, 0xffff0000, v0
	v_and_b32_e32 v35, 0xffff0000, v1
	v_lshlrev_b32_e32 v32, 16, v0
	v_lshlrev_b32_e32 v34, 16, v1
	v_and_b32_e32 v1, 0xffff0000, v2
	v_and_b32_e32 v41, 0xffff0000, v3
	v_lshlrev_b32_e32 v0, 16, v2
	v_lshlrev_b32_e32 v40, 16, v3
	s_add_i32 s75, s75, 8
	s_add_i32 s67, s67, -1
	s_add_i32 s86, s86, s94
	s_add_i32 s84, s84, s60
	s_add_i32 s82, s82, s56
	s_add_i32 s70, s70, s53
	v_pk_fma_f32 v[24:25], v[36:37], v[34:35], v[24:25]
	v_pk_fma_f32 v[26:27], v[4:5], v[32:33], v[26:27]
	;; [unrolled: 1-line block ×3, first 2 shown]
	s_cmp_eq_u32 s67, 0
	v_pk_fma_f32 v[22:23], v[6:7], v[0:1], v[22:23]
	s_cbranch_scc1 .LBB12_117
.LBB12_60:                              ;   Parent Loop BB12_11 Depth=1
                                        ; =>  This Inner Loop Header: Depth=2
	s_lshl_b64 s[88:89], s[70:71], 2
	s_add_u32 s88, s52, s88
	s_addc_u32 s89, s96, s89
	global_load_dword v32, v9, s[88:89]
	s_mov_b32 s83, s71
	v_lshl_add_u64 v[0:1], s[82:83], 1, v[28:29]
	v_mov_b32_e32 v2, 0
	v_mov_b32_e32 v3, 0
	s_and_saveexec_b64 s[88:89], s[18:19]
	s_cbranch_execz .LBB12_62
; %bb.61:                               ;   in Loop: Header=BB12_60 Depth=2
	global_load_ushort v3, v[0:1], off
.LBB12_62:                              ;   in Loop: Header=BB12_60 Depth=2
	s_or_b64 exec, exec, s[88:89]
	s_and_saveexec_b64 s[88:89], s[20:21]
	s_cbranch_execz .LBB12_64
; %bb.63:                               ;   in Loop: Header=BB12_60 Depth=2
	global_load_ushort v2, v[0:1], off offset:128
.LBB12_64:                              ;   in Loop: Header=BB12_60 Depth=2
	s_or_b64 exec, exec, s[88:89]
	v_mov_b32_e32 v4, 0
	v_mov_b32_e32 v5, 0
	s_and_saveexec_b64 s[88:89], s[22:23]
	s_cbranch_execz .LBB12_66
; %bb.65:                               ;   in Loop: Header=BB12_60 Depth=2
	global_load_ushort v5, v[0:1], off offset:256
.LBB12_66:                              ;   in Loop: Header=BB12_60 Depth=2
	s_or_b64 exec, exec, s[88:89]
	s_and_saveexec_b64 s[88:89], s[24:25]
	s_cbranch_execz .LBB12_68
; %bb.67:                               ;   in Loop: Header=BB12_60 Depth=2
	global_load_ushort v4, v[0:1], off offset:384
.LBB12_68:                              ;   in Loop: Header=BB12_60 Depth=2
	s_or_b64 exec, exec, s[88:89]
	v_mov_b32_e32 v6, 0
	v_mov_b32_e32 v7, 0
	s_and_saveexec_b64 s[88:89], s[26:27]
	s_cbranch_execz .LBB12_70
; %bb.69:                               ;   in Loop: Header=BB12_60 Depth=2
	global_load_ushort v7, v[0:1], off offset:512
.LBB12_70:                              ;   in Loop: Header=BB12_60 Depth=2
	;; [unrolled: 14-line block ×3, first 2 shown]
	s_or_b64 exec, exec, s[88:89]
	s_and_saveexec_b64 s[88:89], s[34:35]
	s_cbranch_execz .LBB12_76
; %bb.75:                               ;   in Loop: Header=BB12_60 Depth=2
	global_load_ushort v11, v[0:1], off offset:896
.LBB12_76:                              ;   in Loop: Header=BB12_60 Depth=2
	s_or_b64 exec, exec, s[88:89]
	s_waitcnt vmcnt(0)
	ds_write_b16 v49, v3
	ds_write_b16 v50, v2 offset:128
	ds_write_b16 v51, v5 offset:256
	;; [unrolled: 1-line block ×7, first 2 shown]
	; wave barrier
	ds_read_b128 v[4:7], v57
	s_mov_b32 s85, s71
	v_lshl_add_u64 v[0:1], s[84:85], 1, v[30:31]
	v_mov_b32_e32 v2, 0
	v_mov_b32_e32 v3, 0
	s_and_saveexec_b64 s[88:89], s[18:19]
	s_cbranch_execz .LBB12_78
; %bb.77:                               ;   in Loop: Header=BB12_60 Depth=2
	global_load_ushort v3, v[0:1], off
.LBB12_78:                              ;   in Loop: Header=BB12_60 Depth=2
	s_or_b64 exec, exec, s[88:89]
	s_and_saveexec_b64 s[88:89], s[20:21]
	s_cbranch_execz .LBB12_80
; %bb.79:                               ;   in Loop: Header=BB12_60 Depth=2
	global_load_ushort v2, v[0:1], off offset:128
.LBB12_80:                              ;   in Loop: Header=BB12_60 Depth=2
	s_or_b64 exec, exec, s[88:89]
	v_mov_b32_e32 v11, 0
	v_mov_b32_e32 v33, 0
	s_and_saveexec_b64 s[88:89], s[22:23]
	s_cbranch_execz .LBB12_82
; %bb.81:                               ;   in Loop: Header=BB12_60 Depth=2
	global_load_ushort v33, v[0:1], off offset:256
.LBB12_82:                              ;   in Loop: Header=BB12_60 Depth=2
	s_or_b64 exec, exec, s[88:89]
	s_and_saveexec_b64 s[88:89], s[24:25]
	s_cbranch_execz .LBB12_84
; %bb.83:                               ;   in Loop: Header=BB12_60 Depth=2
	global_load_ushort v11, v[0:1], off offset:384
.LBB12_84:                              ;   in Loop: Header=BB12_60 Depth=2
	s_or_b64 exec, exec, s[88:89]
	v_mov_b32_e32 v34, 0
	v_mov_b32_e32 v35, 0
	s_and_saveexec_b64 s[88:89], s[26:27]
	s_cbranch_execz .LBB12_86
; %bb.85:                               ;   in Loop: Header=BB12_60 Depth=2
	global_load_ushort v35, v[0:1], off offset:512
.LBB12_86:                              ;   in Loop: Header=BB12_60 Depth=2
	;; [unrolled: 14-line block ×3, first 2 shown]
	s_or_b64 exec, exec, s[88:89]
	s_and_saveexec_b64 s[88:89], s[34:35]
	s_cbranch_execz .LBB12_92
; %bb.91:                               ;   in Loop: Header=BB12_60 Depth=2
	global_load_ushort v36, v[0:1], off offset:896
.LBB12_92:                              ;   in Loop: Header=BB12_60 Depth=2
	s_or_b64 exec, exec, s[88:89]
	s_waitcnt vmcnt(0)
	ds_write_b16 v49, v3 offset:1056
	ds_write_b16 v58, v2 offset:128
	ds_write_b16 v59, v33 offset:256
	ds_write_b16 v60, v11 offset:384
	ds_write_b16 v61, v35 offset:512
	ds_write_b16 v62, v34 offset:640
	ds_write_b16 v63, v37 offset:768
	ds_write_b16 v64, v36 offset:896
	; wave barrier
	ds_read_b128 v[0:3], v57 offset:1056
	s_andn2_b64 vcc, exec, s[78:79]
	s_cbranch_vccnz .LBB12_94
; %bb.93:                               ;   in Loop: Header=BB12_60 Depth=2
	v_mov_b32_e32 v11, s75
	ds_read_b64 v[34:35], v11
	s_waitcnt lgkmcnt(0)
	v_mov_b32_e32 v33, v35
	s_cbranch_execz .LBB12_95
	s_branch .LBB12_98
.LBB12_94:                              ;   in Loop: Header=BB12_60 Depth=2
                                        ; implicit-def: $vgpr34
                                        ; implicit-def: $vgpr33
.LBB12_95:                              ;   in Loop: Header=BB12_60 Depth=2
	s_andn2_b64 vcc, exec, s[68:69]
	v_mov_b32_e32 v33, 0
	s_cbranch_vccnz .LBB12_97
; %bb.96:                               ;   in Loop: Header=BB12_60 Depth=2
	s_mov_b32 s87, s71
	s_lshl_b64 s[88:89], s[86:87], 1
	s_add_u32 s88, s57, s88
	s_addc_u32 s89, s61, s89
	global_load_ushort v11, v9, s[88:89]
	s_waitcnt vmcnt(0)
	v_lshlrev_b32_e32 v33, 16, v11
.LBB12_97:                              ;   in Loop: Header=BB12_60 Depth=2
	v_mov_b32_e32 v34, 1.0
.LBB12_98:                              ;   in Loop: Header=BB12_60 Depth=2
	v_mul_f32_e32 v32, 0x3fb8aa3b, v32
	s_waitcnt lgkmcnt(9)
	v_lshlrev_b32_e32 v11, 16, v4
	v_and_b32_e32 v35, 0xffff0000, v4
	v_mul_f32_e32 v4, v32, v78
	v_cmp_gt_f32_e32 vcc, s98, v4
	v_lshlrev_b32_e32 v38, 16, v6
	v_and_b32_e32 v39, 0xffff0000, v6
	v_cndmask_b32_e32 v4, 0, v75, vcc
	v_mul_f32_e32 v6, v32, v79
	v_lshlrev_b32_e32 v36, 16, v5
	v_and_b32_e32 v37, 0xffff0000, v5
	v_fmac_f32_e32 v4, v32, v78
	v_cndmask_b32_e32 v5, 1.0, v76, vcc
	v_cmp_gt_f32_e32 vcc, s98, v6
	v_exp_f32_e32 v4, v4
	v_lshlrev_b32_e32 v40, 16, v7
	v_cndmask_b32_e32 v6, 0, v75, vcc
	v_fmac_f32_e32 v6, v32, v79
	v_exp_f32_e32 v6, v6
	v_and_b32_e32 v41, 0xffff0000, v7
	v_mul_f32_e32 v5, v4, v5
	v_mul_f32_e32 v7, v32, v80
	v_cndmask_b32_e64 v93, 1.0, v5, s[36:37]
	v_cndmask_b32_e32 v5, 1.0, v76, vcc
	v_cmp_gt_f32_e32 vcc, s98, v7
	v_mul_f32_e32 v4, v92, v11
	v_mul_f32_e32 v6, v6, v5
	v_cndmask_b32_e32 v7, 0, v75, vcc
	v_mul_f32_e32 v11, v32, v81
	v_fmac_f32_e32 v7, v32, v80
	v_cndmask_b32_e64 v94, 1.0, v6, s[38:39]
	v_cndmask_b32_e32 v6, 1.0, v76, vcc
	v_cmp_gt_f32_e32 vcc, s98, v11
	v_exp_f32_e32 v7, v7
	v_mul_f32_e32 v5, v91, v35
	v_cndmask_b32_e32 v11, 0, v75, vcc
	v_fmac_f32_e32 v11, v32, v81
	v_exp_f32_e32 v11, v11
	v_mul_f32_e32 v6, v7, v6
	v_cndmask_b32_e64 v66, 1.0, v6, s[40:41]
	v_cndmask_b32_e32 v6, 1.0, v76, vcc
	v_mul_f32_e32 v6, v11, v6
	v_mul_f32_e32 v11, v32, v82
	v_cmp_gt_f32_e32 vcc, s98, v11
	v_mul_f32_e32 v7, v90, v36
	v_cndmask_b32_e64 v36, 0, v7, s[40:41]
	v_cndmask_b32_e32 v11, 0, v75, vcc
	v_fmac_f32_e32 v11, v32, v82
	v_exp_f32_e32 v11, v11
	v_mul_f32_e32 v7, v89, v37
	v_cndmask_b32_e64 v67, 1.0, v6, s[42:43]
	v_cndmask_b32_e32 v6, 1.0, v76, vcc
	v_cndmask_b32_e64 v37, 0, v7, s[42:43]
	v_mul_f32_e32 v7, v11, v6
	v_mul_f32_e32 v11, v32, v83
	v_cmp_gt_f32_e32 vcc, s98, v11
	v_mul_f32_e32 v35, v32, v84
	v_cndmask_b32_e64 v68, 1.0, v7, s[44:45]
	v_cndmask_b32_e32 v11, 0, v75, vcc
	v_fmac_f32_e32 v11, v32, v83
	v_exp_f32_e32 v11, v11
	v_cndmask_b32_e32 v7, 1.0, v76, vcc
	v_cmp_gt_f32_e32 vcc, s98, v35
	v_mul_f32_e32 v6, v88, v38
	v_mul_f32_e32 v11, v11, v7
	v_cndmask_b32_e32 v35, 0, v75, vcc
	v_mul_f32_e32 v38, v32, v19
	v_fmac_f32_e32 v35, v32, v84
	v_cndmask_b32_e64 v69, 1.0, v11, s[46:47]
	v_cndmask_b32_e32 v11, 1.0, v76, vcc
	v_cmp_gt_f32_e32 vcc, s98, v38
	v_exp_f32_e32 v35, v35
	v_cndmask_b32_e64 v4, 0, v4, s[36:37]
	v_cndmask_b32_e32 v38, 0, v75, vcc
	v_fmac_f32_e32 v38, v32, v19
	v_exp_f32_e32 v32, v38
	v_mul_f32_e32 v11, v35, v11
	v_cndmask_b32_e64 v70, 1.0, v11, s[48:49]
	v_cndmask_b32_e32 v11, 1.0, v76, vcc
	v_cndmask_b32_e64 v5, 0, v5, s[38:39]
	v_mul_f32_e32 v11, v32, v11
	v_mul_f32_e32 v32, v85, v41
	;; [unrolled: 1-line block ×3, first 2 shown]
	v_cndmask_b32_e64 v39, 0, v32, s[50:51]
	v_cndmask_b32_e64 v71, 1.0, v11, s[50:51]
	v_mul_f32_e32 v11, v94, v93
	v_fma_f32 v32, v94, v4, v5
	v_mul_f32_e32 v11, v11, v66
	v_fma_f32 v32, v32, v66, v36
	v_cndmask_b32_e64 v6, 0, v6, s[44:45]
	v_mul_f32_e32 v11, v11, v67
	v_fma_f32 v32, v32, v67, v37
	v_cndmask_b32_e64 v7, 0, v7, s[46:47]
	v_mul_f32_e32 v35, v86, v40
	v_mul_f32_e32 v11, v11, v68
	v_fma_f32 v32, v32, v68, v6
	v_cndmask_b32_e64 v38, 0, v35, s[48:49]
	v_mul_f32_e32 v11, v11, v69
	v_fma_f32 v32, v32, v69, v7
	v_mul_f32_e32 v11, v11, v70
	v_fma_f32 v32, v32, v70, v38
	;; [unrolled: 2-line block ×3, first 2 shown]
	s_nop 0
	v_mov_b32_dpp v40, v35 row_shr:1 row_mask:0xf bank_mask:0xf
	v_mov_b32_dpp v11, v32 row_shr:1 row_mask:0xf bank_mask:0xf
	s_and_saveexec_b64 s[88:89], s[0:1]
; %bb.99:                               ;   in Loop: Header=BB12_60 Depth=2
	v_mul_f32_e32 v40, v35, v40
	v_fmac_f32_e32 v32, v35, v11
	v_mov_b32_e32 v35, v40
; %bb.100:                              ;   in Loop: Header=BB12_60 Depth=2
	s_or_b64 exec, exec, s[88:89]
	s_nop 0
	v_mov_b32_dpp v11, v35 row_shr:2 row_mask:0xf bank_mask:0xf
	v_mov_b32_dpp v40, v32 row_shr:2 row_mask:0xf bank_mask:0xf
	s_and_saveexec_b64 s[88:89], s[2:3]
; %bb.101:                              ;   in Loop: Header=BB12_60 Depth=2
	v_fmac_f32_e32 v32, v35, v40
	v_mul_f32_e32 v35, v35, v11
; %bb.102:                              ;   in Loop: Header=BB12_60 Depth=2
	s_or_b64 exec, exec, s[88:89]
	s_nop 0
	v_mov_b32_dpp v11, v35 row_shr:4 row_mask:0xf bank_mask:0xf
	v_mov_b32_dpp v40, v32 row_shr:4 row_mask:0xf bank_mask:0xf
	s_and_saveexec_b64 s[88:89], s[4:5]
; %bb.103:                              ;   in Loop: Header=BB12_60 Depth=2
	v_fmac_f32_e32 v32, v35, v40
	v_mul_f32_e32 v35, v35, v11
	;; [unrolled: 9-line block ×3, first 2 shown]
; %bb.106:                              ;   in Loop: Header=BB12_60 Depth=2
	s_or_b64 exec, exec, s[88:89]
	s_nop 0
	v_mov_b32_dpp v11, v35 row_bcast:15 row_mask:0xf bank_mask:0xf
	v_mov_b32_dpp v40, v32 row_bcast:15 row_mask:0xf bank_mask:0xf
	s_and_saveexec_b64 s[88:89], s[8:9]
; %bb.107:                              ;   in Loop: Header=BB12_60 Depth=2
	v_fmac_f32_e32 v32, v35, v40
	v_mul_f32_e32 v35, v35, v11
; %bb.108:                              ;   in Loop: Header=BB12_60 Depth=2
	s_or_b64 exec, exec, s[88:89]
	s_nop 0
	v_mov_b32_dpp v11, v35 row_bcast:31 row_mask:0xf bank_mask:0xf
	v_mov_b32_dpp v40, v32 row_bcast:31 row_mask:0xf bank_mask:0xf
	v_mov_b32_e32 v41, v32
	v_mul_f32_e32 v11, v35, v11
	v_fmac_f32_e32 v41, v35, v40
	v_cndmask_b32_e64 v40, v35, v11, s[10:11]
	v_cndmask_b32_e64 v41, v32, v41, s[10:11]
	s_and_saveexec_b64 s[88:89], s[12:13]
	s_cbranch_execz .LBB12_110
; %bb.109:                              ;   in Loop: Header=BB12_60 Depth=2
	ds_write_b64 v9, v[40:41] offset:2112
.LBB12_110:                             ;   in Loop: Header=BB12_60 Depth=2
	s_or_b64 exec, exec, s[88:89]
	ds_bpermute_b32 v72, v65, v40
	ds_bpermute_b32 v11, v65, v41
	s_waitcnt lgkmcnt(0)
	; wave barrier
	s_waitcnt lgkmcnt(0)
	s_and_saveexec_b64 s[88:89], s[14:15]
	s_cbranch_execz .LBB12_114
; %bb.111:                              ;   in Loop: Header=BB12_60 Depth=2
	ds_read_b64 v[40:41], v9 offset:2112
	s_and_saveexec_b64 s[90:91], s[16:17]
	s_cbranch_execz .LBB12_113
; %bb.112:                              ;   in Loop: Header=BB12_60 Depth=2
	v_mov_b32_e32 v35, v33
	ds_write_b64 v9, v[34:35] offset:2112
.LBB12_113:                             ;   in Loop: Header=BB12_60 Depth=2
	s_or_b64 exec, exec, s[90:91]
	s_waitcnt lgkmcnt(0)
	v_mul_f32_e32 v35, v40, v33
	v_pk_add_f32 v[32:33], v[34:35], v[40:41]
	v_mul_f32_e32 v34, v34, v40
.LBB12_114:                             ;   in Loop: Header=BB12_60 Depth=2
	s_or_b64 exec, exec, s[88:89]
	s_waitcnt lgkmcnt(0)
	; wave barrier
	ds_read_b32 v32, v9 offset:2116
	s_and_saveexec_b64 s[88:89], s[16:17]
	s_cbranch_execz .LBB12_59
; %bb.115:                              ;   in Loop: Header=BB12_60 Depth=2
	v_mov_b32_e32 v35, v33
	v_mov_b32_e32 v40, s75
	s_andn2_b64 vcc, exec, s[80:81]
	ds_write_b64 v40, v[34:35]
	s_cbranch_vccnz .LBB12_59
; %bb.116:                              ;   in Loop: Header=BB12_60 Depth=2
	v_bfe_u32 v34, v33, 16, 1
	s_mov_b32 s87, s71
	v_add3_u32 v34, v33, v34, s74
	s_lshl_b64 s[90:91], s[86:87], 1
	v_lshrrev_b32_e32 v34, 16, v34
	v_cmp_o_f32_e32 vcc, v33, v33
	s_add_u32 s90, s57, s90
	s_addc_u32 s91, s61, s91
	v_cndmask_b32_e32 v33, v77, v34, vcc
	global_store_short v9, v33, s[90:91]
	s_branch .LBB12_59
.LBB12_117:                             ;   in Loop: Header=BB12_11 Depth=1
	s_mov_b32 s40, 0x41a00000
	s_mov_b32 s41, 0x3fb8aa3b
	;; [unrolled: 1-line block ×8, first 2 shown]
.LBB12_118:                             ;   in Loop: Header=BB12_11 Depth=1
	v_bfe_u32 v0, v26, 16, 1
	v_bfe_u32 v1, v27, 16, 1
	v_add3_u32 v0, v26, v0, s74
	v_bfe_u32 v2, v24, 16, 1
	v_add3_u32 v1, v27, v1, s74
	v_lshrrev_b32_e32 v0, 16, v0
	v_cmp_o_f32_e32 vcc, v26, v26
	v_bfe_u32 v3, v25, 16, 1
	v_add3_u32 v2, v24, v2, s74
	v_lshrrev_b32_e32 v1, 16, v1
	v_cndmask_b32_e32 v0, v77, v0, vcc
	v_cmp_o_f32_e32 vcc, v27, v27
	v_add3_u32 v3, v25, v3, s74
	v_lshrrev_b32_e32 v2, 16, v2
	v_cndmask_b32_e32 v4, v77, v1, vcc
	v_cmp_o_f32_e32 vcc, v24, v24
	v_lshrrev_b32_e32 v3, 16, v3
	v_bfe_u32 v6, v20, 16, 1
	v_cndmask_b32_e32 v1, v77, v2, vcc
	v_cmp_o_f32_e32 vcc, v25, v25
	v_bfe_u32 v2, v22, 16, 1
	v_add3_u32 v2, v22, v2, s74
	v_cndmask_b32_e32 v5, v77, v3, vcc
	v_bfe_u32 v3, v23, 16, 1
	v_add3_u32 v3, v23, v3, s74
	v_lshrrev_b32_e32 v2, 16, v2
	v_cmp_o_f32_e32 vcc, v22, v22
	v_bfe_u32 v7, v21, 16, 1
	v_add3_u32 v6, v20, v6, s74
	v_lshrrev_b32_e32 v3, 16, v3
	v_cndmask_b32_e32 v2, v77, v2, vcc
	v_cmp_o_f32_e32 vcc, v23, v23
	v_add3_u32 v7, v21, v7, s74
	v_lshrrev_b32_e32 v6, 16, v6
	v_cndmask_b32_e32 v11, v77, v3, vcc
	v_cmp_o_f32_e32 vcc, v20, v20
	v_lshrrev_b32_e32 v7, 16, v7
	s_mov_b32 s36, 0x5040100
	v_cndmask_b32_e32 v3, v77, v6, vcc
	v_cmp_o_f32_e32 vcc, v21, v21
	v_perm_b32 v2, v11, v2, s36
	v_perm_b32 v1, v5, v1, s36
	v_cndmask_b32_e32 v6, v77, v7, vcc
	v_perm_b32 v3, v6, v3, s36
	v_perm_b32 v0, v4, v0, s36
	s_waitcnt lgkmcnt(0)
	; wave barrier
	ds_write_b128 v57, v[0:3]
	; wave barrier
	ds_read_u16 v11, v50 offset:128
	ds_read_u16 v7, v51 offset:256
	;; [unrolled: 1-line block ×7, first 2 shown]
	s_mov_b32 s67, s71
	v_lshl_add_u64 v[0:1], s[66:67], 1, v[12:13]
	s_and_saveexec_b64 s[36:37], s[18:19]
	s_cbranch_execnz .LBB12_153
; %bb.119:                              ;   in Loop: Header=BB12_11 Depth=1
	s_or_b64 exec, exec, s[36:37]
	s_and_saveexec_b64 s[36:37], s[20:21]
	s_cbranch_execnz .LBB12_154
.LBB12_120:                             ;   in Loop: Header=BB12_11 Depth=1
	s_or_b64 exec, exec, s[36:37]
	s_and_saveexec_b64 s[36:37], s[22:23]
	s_cbranch_execnz .LBB12_155
.LBB12_121:                             ;   in Loop: Header=BB12_11 Depth=1
	s_or_b64 exec, exec, s[36:37]
	s_and_saveexec_b64 s[36:37], s[24:25]
	s_cbranch_execnz .LBB12_156
.LBB12_122:                             ;   in Loop: Header=BB12_11 Depth=1
	s_or_b64 exec, exec, s[36:37]
	s_and_saveexec_b64 s[36:37], s[26:27]
	s_cbranch_execnz .LBB12_157
.LBB12_123:                             ;   in Loop: Header=BB12_11 Depth=1
	s_or_b64 exec, exec, s[36:37]
	s_and_saveexec_b64 s[36:37], s[28:29]
	s_cbranch_execnz .LBB12_158
.LBB12_124:                             ;   in Loop: Header=BB12_11 Depth=1
	s_or_b64 exec, exec, s[36:37]
	s_and_saveexec_b64 s[36:37], s[30:31]
	s_cbranch_execnz .LBB12_159
.LBB12_125:                             ;   in Loop: Header=BB12_11 Depth=1
	s_or_b64 exec, exec, s[36:37]
	s_and_saveexec_b64 s[36:37], s[34:35]
	s_cbranch_execz .LBB12_127
.LBB12_126:                             ;   in Loop: Header=BB12_11 Depth=1
	s_waitcnt lgkmcnt(0)
	global_store_short v[0:1], v2, off offset:896
.LBB12_127:                             ;   in Loop: Header=BB12_11 Depth=1
	s_or_b64 exec, exec, s[36:37]
	v_lshl_add_u64 v[0:1], s[66:67], 1, v[14:15]
	s_waitcnt lgkmcnt(0)
	v_mov_b32_e32 v2, 0
	v_mov_b32_e32 v3, 0
	s_waitcnt lgkmcnt(0)
	; wave barrier
	s_and_saveexec_b64 s[36:37], s[18:19]
	s_cbranch_execz .LBB12_129
; %bb.128:                              ;   in Loop: Header=BB12_11 Depth=1
	global_load_ushort v3, v[0:1], off
.LBB12_129:                             ;   in Loop: Header=BB12_11 Depth=1
	s_or_b64 exec, exec, s[36:37]
	s_and_saveexec_b64 s[36:37], s[20:21]
	s_cbranch_execz .LBB12_131
; %bb.130:                              ;   in Loop: Header=BB12_11 Depth=1
	global_load_ushort v2, v[0:1], off offset:128
.LBB12_131:                             ;   in Loop: Header=BB12_11 Depth=1
	s_or_b64 exec, exec, s[36:37]
	v_mov_b32_e32 v4, 0
	v_mov_b32_e32 v5, 0
	s_and_saveexec_b64 s[36:37], s[22:23]
	s_cbranch_execz .LBB12_133
; %bb.132:                              ;   in Loop: Header=BB12_11 Depth=1
	global_load_ushort v5, v[0:1], off offset:256
.LBB12_133:                             ;   in Loop: Header=BB12_11 Depth=1
	s_or_b64 exec, exec, s[36:37]
	s_and_saveexec_b64 s[36:37], s[24:25]
	s_cbranch_execz .LBB12_135
; %bb.134:                              ;   in Loop: Header=BB12_11 Depth=1
	global_load_ushort v4, v[0:1], off offset:384
.LBB12_135:                             ;   in Loop: Header=BB12_11 Depth=1
	s_or_b64 exec, exec, s[36:37]
	v_mov_b32_e32 v6, 0
	v_mov_b32_e32 v7, 0
	s_and_saveexec_b64 s[36:37], s[26:27]
	s_cbranch_execz .LBB12_137
; %bb.136:                              ;   in Loop: Header=BB12_11 Depth=1
	global_load_ushort v7, v[0:1], off offset:512
.LBB12_137:                             ;   in Loop: Header=BB12_11 Depth=1
	;; [unrolled: 14-line block ×3, first 2 shown]
	s_or_b64 exec, exec, s[36:37]
	s_and_saveexec_b64 s[36:37], s[34:35]
	s_cbranch_execz .LBB12_143
; %bb.142:                              ;   in Loop: Header=BB12_11 Depth=1
	global_load_ushort v11, v[0:1], off offset:896
.LBB12_143:                             ;   in Loop: Header=BB12_11 Depth=1
	s_or_b64 exec, exec, s[36:37]
	s_waitcnt vmcnt(0)
	ds_write_b16 v49, v3
	ds_write_b16 v50, v2 offset:128
	ds_write_b16 v51, v5 offset:256
	;; [unrolled: 1-line block ×7, first 2 shown]
	; wave barrier
	ds_read_b128 v[0:3], v57
	s_waitcnt lgkmcnt(0)
	; wave barrier
	s_waitcnt lgkmcnt(0)
	v_and_b32_e32 v6, 0xffff0000, v1
	v_mul_f32_e32 v4, 0xbfb8aa3b, v6
	v_fma_f32 v5, v6, s97, -v4
	v_rndne_f32_e32 v7, v4
	v_fmac_f32_e32 v5, 0xb2a5705f, v6
	v_sub_f32_e32 v4, v4, v7
	v_add_f32_e32 v4, v4, v5
	v_exp_f32_e32 v4, v4
	v_cvt_i32_f32_e32 v5, v7
	v_and_b32_e32 v7, 0xffff0000, v0
	v_lshlrev_b32_e32 v19, 16, v1
	v_mul_f32_e32 v1, 0xbfb8aa3b, v7
	v_lshlrev_b32_e32 v11, 16, v0
	v_ldexp_f32 v0, v4, v5
	v_fma_f32 v4, v7, s97, -v1
	v_rndne_f32_e32 v5, v1
	v_fmac_f32_e32 v4, 0xb2a5705f, v7
	v_sub_f32_e32 v1, v1, v5
	v_add_f32_e32 v1, v1, v4
	v_exp_f32_e32 v4, v1
	v_cvt_i32_f32_e32 v5, v5
	v_cmp_nlt_f32_e32 vcc, s93, v6
	s_nop 1
	v_cndmask_b32_e32 v0, 0, v0, vcc
	v_cmp_ngt_f32_e32 vcc, s95, v6
	s_nop 1
	v_cndmask_b32_e32 v1, v74, v0, vcc
	v_ldexp_f32 v0, v4, v5
	v_mul_f32_e32 v4, 0xbfb8aa3b, v19
	v_rndne_f32_e32 v5, v4
	v_sub_f32_e32 v28, v4, v5
	v_fma_f32 v4, v19, s97, -v4
	v_fmac_f32_e32 v4, 0xb2a5705f, v19
	v_add_f32_e32 v4, v28, v4
	v_exp_f32_e32 v4, v4
	v_cvt_i32_f32_e32 v28, v5
	v_cmp_nlt_f32_e32 vcc, s93, v7
	s_nop 1
	v_cndmask_b32_e32 v0, 0, v0, vcc
	v_cmp_ngt_f32_e32 vcc, s95, v7
	s_nop 1
	v_cndmask_b32_e32 v5, v74, v0, vcc
	v_ldexp_f32 v0, v4, v28
	v_mul_f32_e32 v4, 0xbfb8aa3b, v11
	v_rndne_f32_e32 v28, v4
	v_sub_f32_e32 v29, v4, v28
	v_fma_f32 v4, v11, s97, -v4
	v_fmac_f32_e32 v4, 0xb2a5705f, v11
	v_add_f32_e32 v4, v29, v4
	v_exp_f32_e32 v4, v4
	v_cvt_i32_f32_e32 v28, v28
	v_cmp_nlt_f32_e32 vcc, s93, v19
	v_ldexp_f32 v4, v4, v28
	s_nop 0
	v_cndmask_b32_e32 v0, 0, v0, vcc
	v_cmp_ngt_f32_e32 vcc, s95, v19
	s_nop 1
	v_cndmask_b32_e32 v0, v74, v0, vcc
	v_pk_add_f32 v[0:1], v[0:1], 1.0 op_sel_hi:[1,0]
	v_cmp_nlt_f32_e32 vcc, s93, v11
	v_div_scale_f32 v28, s[36:37], v1, v1, v6
	v_rcp_f32_e32 v29, v28
	v_cndmask_b32_e32 v4, 0, v4, vcc
	v_cmp_ngt_f32_e32 vcc, s95, v11
	v_fma_f32 v30, -v28, v29, 1.0
	s_nop 0
	v_cndmask_b32_e32 v4, v74, v4, vcc
	v_fmac_f32_e32 v29, v30, v29
	v_div_scale_f32 v30, vcc, v6, v1, v6
	v_mul_f32_e32 v31, v30, v29
	v_fma_f32 v32, -v28, v31, v30
	v_fmac_f32_e32 v31, v32, v29
	v_fma_f32 v28, -v28, v31, v30
	v_div_scale_f32 v30, s[36:37], v0, v0, v19
	v_rcp_f32_e32 v32, v30
	v_div_fmas_f32 v28, v28, v29, v31
	v_div_fixup_f32 v1, v28, v1, v6
	v_pk_add_f32 v[4:5], v[4:5], 1.0 op_sel_hi:[1,0]
	v_fma_f32 v6, -v30, v32, 1.0
	v_fmac_f32_e32 v32, v6, v32
	v_div_scale_f32 v6, vcc, v19, v0, v19
	v_mul_f32_e32 v28, v6, v32
	v_fma_f32 v29, -v30, v28, v6
	v_fmac_f32_e32 v28, v29, v32
	v_div_scale_f32 v29, s[36:37], v5, v5, v7
	v_fma_f32 v6, -v30, v28, v6
	v_rcp_f32_e32 v30, v29
	v_div_fmas_f32 v6, v6, v32, v28
	v_div_fixup_f32 v0, v6, v0, v19
	v_fma_f32 v6, -v29, v30, 1.0
	v_fmac_f32_e32 v30, v6, v30
	v_div_scale_f32 v6, vcc, v7, v5, v7
	v_mul_f32_e32 v19, v6, v30
	v_fma_f32 v28, -v29, v19, v6
	v_fmac_f32_e32 v19, v28, v30
	v_div_scale_f32 v28, s[36:37], v4, v4, v11
	v_fma_f32 v6, -v29, v19, v6
	v_rcp_f32_e32 v29, v28
	v_div_fmas_f32 v6, v6, v30, v19
	v_div_fixup_f32 v5, v6, v5, v7
	v_fma_f32 v6, -v28, v29, 1.0
	v_fmac_f32_e32 v29, v6, v29
	v_div_scale_f32 v6, vcc, v11, v4, v11
	v_mul_f32_e32 v7, v6, v29
	v_fma_f32 v19, -v28, v7, v6
	v_fmac_f32_e32 v7, v19, v29
	v_fma_f32 v6, -v28, v7, v6
	v_div_fmas_f32 v6, v6, v29, v7
	v_div_fixup_f32 v4, v6, v4, v11
	v_pk_mul_f32 v[4:5], v[26:27], v[4:5]
	v_pk_mul_f32 v[6:7], v[24:25], v[0:1]
	v_bfe_u32 v0, v4, 16, 1
	v_bfe_u32 v1, v5, 16, 1
	v_add3_u32 v0, v4, v0, s74
	v_bfe_u32 v11, v6, 16, 1
	v_add3_u32 v1, v5, v1, s74
	v_lshrrev_b32_e32 v0, 16, v0
	v_cmp_o_f32_e32 vcc, v4, v4
	v_add3_u32 v11, v6, v11, s74
	v_lshrrev_b32_e32 v1, 16, v1
	v_cndmask_b32_e32 v0, v77, v0, vcc
	v_cmp_o_f32_e32 vcc, v5, v5
	v_bfe_u32 v19, v7, 16, 1
	v_lshrrev_b32_e32 v11, 16, v11
	v_cndmask_b32_e32 v1, v77, v1, vcc
	v_cmp_o_f32_e32 vcc, v6, v6
	v_add3_u32 v19, v7, v19, s74
	v_lshrrev_b32_e32 v19, 16, v19
	v_cndmask_b32_e32 v6, v77, v11, vcc
	v_and_b32_e32 v11, 0xffff0000, v3
	v_cmp_o_f32_e32 vcc, v7, v7
	v_mul_f32_e32 v4, 0xbfb8aa3b, v11
	v_fma_f32 v5, v11, s97, -v4
	v_cndmask_b32_e32 v7, v77, v19, vcc
	v_rndne_f32_e32 v19, v4
	v_fmac_f32_e32 v5, 0xb2a5705f, v11
	v_sub_f32_e32 v4, v4, v19
	v_add_f32_e32 v4, v4, v5
	v_exp_f32_e32 v4, v4
	v_cvt_i32_f32_e32 v5, v19
	v_and_b32_e32 v19, 0xffff0000, v2
	v_lshlrev_b32_e32 v25, 16, v3
	v_mul_f32_e32 v3, 0xbfb8aa3b, v19
	v_lshlrev_b32_e32 v24, 16, v2
	v_ldexp_f32 v2, v4, v5
	v_fma_f32 v4, v19, s97, -v3
	v_rndne_f32_e32 v5, v3
	v_fmac_f32_e32 v4, 0xb2a5705f, v19
	v_sub_f32_e32 v3, v3, v5
	v_add_f32_e32 v3, v3, v4
	v_exp_f32_e32 v4, v3
	v_cvt_i32_f32_e32 v5, v5
	v_cmp_nlt_f32_e32 vcc, s93, v11
	s_nop 1
	v_cndmask_b32_e32 v2, 0, v2, vcc
	v_cmp_ngt_f32_e32 vcc, s95, v11
	s_nop 1
	v_cndmask_b32_e32 v3, v74, v2, vcc
	v_ldexp_f32 v2, v4, v5
	v_mul_f32_e32 v4, 0xbfb8aa3b, v25
	v_rndne_f32_e32 v5, v4
	v_sub_f32_e32 v26, v4, v5
	v_fma_f32 v4, v25, s97, -v4
	v_fmac_f32_e32 v4, 0xb2a5705f, v25
	v_add_f32_e32 v4, v26, v4
	v_exp_f32_e32 v4, v4
	v_cvt_i32_f32_e32 v26, v5
	v_cmp_nlt_f32_e32 vcc, s93, v19
	s_nop 1
	v_cndmask_b32_e32 v2, 0, v2, vcc
	v_cmp_ngt_f32_e32 vcc, s95, v19
	s_nop 1
	v_cndmask_b32_e32 v5, v74, v2, vcc
	v_ldexp_f32 v2, v4, v26
	v_mul_f32_e32 v4, 0xbfb8aa3b, v24
	v_rndne_f32_e32 v26, v4
	v_sub_f32_e32 v27, v4, v26
	v_fma_f32 v4, v24, s97, -v4
	v_fmac_f32_e32 v4, 0xb2a5705f, v24
	v_add_f32_e32 v4, v27, v4
	v_exp_f32_e32 v4, v4
	v_cvt_i32_f32_e32 v26, v26
	v_cmp_nlt_f32_e32 vcc, s93, v25
	v_ldexp_f32 v4, v4, v26
	s_nop 0
	v_cndmask_b32_e32 v2, 0, v2, vcc
	v_cmp_ngt_f32_e32 vcc, s95, v25
	s_nop 1
	v_cndmask_b32_e32 v2, v74, v2, vcc
	v_pk_add_f32 v[2:3], v[2:3], 1.0 op_sel_hi:[1,0]
	v_cmp_nlt_f32_e32 vcc, s93, v24
	v_div_scale_f32 v26, s[36:37], v3, v3, v11
	v_rcp_f32_e32 v27, v26
	v_cndmask_b32_e32 v4, 0, v4, vcc
	v_cmp_ngt_f32_e32 vcc, s95, v24
	v_fma_f32 v28, -v26, v27, 1.0
	s_nop 0
	v_cndmask_b32_e32 v4, v74, v4, vcc
	v_fmac_f32_e32 v27, v28, v27
	v_div_scale_f32 v28, vcc, v11, v3, v11
	v_mul_f32_e32 v29, v28, v27
	v_fma_f32 v30, -v26, v29, v28
	v_fmac_f32_e32 v29, v30, v27
	v_fma_f32 v26, -v26, v29, v28
	v_div_scale_f32 v28, s[36:37], v2, v2, v25
	v_rcp_f32_e32 v30, v28
	v_div_fmas_f32 v26, v26, v27, v29
	v_div_fixup_f32 v3, v26, v3, v11
	v_pk_add_f32 v[4:5], v[4:5], 1.0 op_sel_hi:[1,0]
	v_fma_f32 v11, -v28, v30, 1.0
	v_fmac_f32_e32 v30, v11, v30
	v_div_scale_f32 v11, vcc, v25, v2, v25
	v_mul_f32_e32 v26, v11, v30
	v_fma_f32 v27, -v28, v26, v11
	v_fmac_f32_e32 v26, v27, v30
	v_div_scale_f32 v27, s[36:37], v5, v5, v19
	v_fma_f32 v11, -v28, v26, v11
	v_rcp_f32_e32 v28, v27
	v_div_fmas_f32 v11, v11, v30, v26
	v_div_fixup_f32 v2, v11, v2, v25
	v_pk_mul_f32 v[2:3], v[20:21], v[2:3]
	v_fma_f32 v11, -v27, v28, 1.0
	v_fmac_f32_e32 v28, v11, v28
	v_div_scale_f32 v11, vcc, v19, v5, v19
	v_mul_f32_e32 v25, v11, v28
	v_fma_f32 v26, -v27, v25, v11
	v_fmac_f32_e32 v25, v26, v28
	v_div_scale_f32 v26, s[36:37], v4, v4, v24
	v_fma_f32 v11, -v27, v25, v11
	v_rcp_f32_e32 v27, v26
	v_div_fmas_f32 v11, v11, v28, v25
	v_div_fixup_f32 v5, v11, v5, v19
	v_bfe_u32 v20, v2, 16, 1
	v_fma_f32 v11, -v26, v27, 1.0
	v_fmac_f32_e32 v27, v11, v27
	v_div_scale_f32 v11, vcc, v24, v4, v24
	v_mul_f32_e32 v19, v11, v27
	v_fma_f32 v25, -v26, v19, v11
	v_fmac_f32_e32 v19, v25, v27
	v_fma_f32 v11, -v26, v19, v11
	v_div_fmas_f32 v11, v11, v27, v19
	v_div_fixup_f32 v4, v11, v4, v24
	v_pk_mul_f32 v[4:5], v[22:23], v[4:5]
	v_bfe_u32 v21, v3, 16, 1
	v_bfe_u32 v11, v4, 16, 1
	;; [unrolled: 1-line block ×3, first 2 shown]
	v_add3_u32 v11, v4, v11, s74
	v_add3_u32 v19, v5, v19, s74
	v_lshrrev_b32_e32 v11, 16, v11
	v_cmp_o_f32_e32 vcc, v4, v4
	v_add3_u32 v20, v2, v20, s74
	v_lshrrev_b32_e32 v19, 16, v19
	v_cndmask_b32_e32 v4, v77, v11, vcc
	v_cmp_o_f32_e32 vcc, v5, v5
	v_add3_u32 v21, v3, v21, s74
	v_lshrrev_b32_e32 v20, 16, v20
	v_cndmask_b32_e32 v11, v77, v19, vcc
	v_cmp_o_f32_e32 vcc, v2, v2
	v_lshrrev_b32_e32 v21, 16, v21
	s_mov_b32 s36, 0x5040100
	v_cndmask_b32_e32 v2, v77, v20, vcc
	v_cmp_o_f32_e32 vcc, v3, v3
	v_perm_b32 v4, v11, v4, s36
	s_nop 0
	v_cndmask_b32_e32 v3, v77, v21, vcc
	v_perm_b32 v5, v3, v2, s36
	v_perm_b32 v3, v7, v6, s36
	;; [unrolled: 1-line block ×3, first 2 shown]
	ds_write_b128 v57, v[2:5]
	; wave barrier
	ds_read_u16 v11, v50 offset:128
	ds_read_u16 v7, v51 offset:256
	;; [unrolled: 1-line block ×7, first 2 shown]
	v_lshl_add_u64 v[0:1], s[66:67], 1, v[16:17]
	s_and_saveexec_b64 s[36:37], s[18:19]
	s_cbranch_execnz .LBB12_160
; %bb.144:                              ;   in Loop: Header=BB12_11 Depth=1
	s_or_b64 exec, exec, s[36:37]
	s_and_saveexec_b64 s[18:19], s[20:21]
	s_cbranch_execnz .LBB12_161
.LBB12_145:                             ;   in Loop: Header=BB12_11 Depth=1
	s_or_b64 exec, exec, s[18:19]
	s_and_saveexec_b64 s[18:19], s[22:23]
	s_cbranch_execnz .LBB12_162
.LBB12_146:                             ;   in Loop: Header=BB12_11 Depth=1
	s_or_b64 exec, exec, s[18:19]
	s_and_saveexec_b64 s[18:19], s[24:25]
	s_cbranch_execnz .LBB12_163
.LBB12_147:                             ;   in Loop: Header=BB12_11 Depth=1
	s_or_b64 exec, exec, s[18:19]
	s_and_saveexec_b64 s[18:19], s[26:27]
	s_cbranch_execnz .LBB12_164
.LBB12_148:                             ;   in Loop: Header=BB12_11 Depth=1
	s_or_b64 exec, exec, s[18:19]
	s_and_saveexec_b64 s[18:19], s[28:29]
	s_cbranch_execnz .LBB12_165
.LBB12_149:                             ;   in Loop: Header=BB12_11 Depth=1
	s_or_b64 exec, exec, s[18:19]
	s_and_saveexec_b64 s[18:19], s[30:31]
	s_cbranch_execnz .LBB12_166
.LBB12_150:                             ;   in Loop: Header=BB12_11 Depth=1
	s_or_b64 exec, exec, s[18:19]
	s_and_saveexec_b64 s[18:19], s[34:35]
	s_cbranch_execz .LBB12_10
	s_branch .LBB12_167
.LBB12_151:                             ;   in Loop: Header=BB12_11 Depth=1
	global_load_ushort v22, v[4:5], off offset:640
	s_or_b64 exec, exec, s[36:37]
	s_and_saveexec_b64 s[36:37], s[30:31]
	s_cbranch_execz .LBB12_39
.LBB12_152:                             ;   in Loop: Header=BB12_11 Depth=1
	global_load_ushort v21, v[4:5], off offset:768
	s_or_b64 exec, exec, s[36:37]
	v_mov_b32_e32 v23, 0
	s_and_saveexec_b64 s[36:37], s[34:35]
	s_cbranch_execnz .LBB12_40
	s_branch .LBB12_41
.LBB12_153:                             ;   in Loop: Header=BB12_11 Depth=1
	ds_read_u16 v19, v49
	s_waitcnt lgkmcnt(0)
	global_store_short v[0:1], v19, off
	s_or_b64 exec, exec, s[36:37]
	s_and_saveexec_b64 s[36:37], s[20:21]
	s_cbranch_execz .LBB12_120
.LBB12_154:                             ;   in Loop: Header=BB12_11 Depth=1
	s_waitcnt lgkmcnt(6)
	global_store_short v[0:1], v11, off offset:128
	s_or_b64 exec, exec, s[36:37]
	s_and_saveexec_b64 s[36:37], s[22:23]
	s_cbranch_execz .LBB12_121
.LBB12_155:                             ;   in Loop: Header=BB12_11 Depth=1
	s_waitcnt lgkmcnt(5)
	global_store_short v[0:1], v7, off offset:256
	s_or_b64 exec, exec, s[36:37]
	s_and_saveexec_b64 s[36:37], s[24:25]
	s_cbranch_execz .LBB12_122
.LBB12_156:                             ;   in Loop: Header=BB12_11 Depth=1
	s_waitcnt lgkmcnt(4)
	global_store_short v[0:1], v6, off offset:384
	s_or_b64 exec, exec, s[36:37]
	s_and_saveexec_b64 s[36:37], s[26:27]
	s_cbranch_execz .LBB12_123
.LBB12_157:                             ;   in Loop: Header=BB12_11 Depth=1
	s_waitcnt lgkmcnt(3)
	global_store_short v[0:1], v5, off offset:512
	s_or_b64 exec, exec, s[36:37]
	s_and_saveexec_b64 s[36:37], s[28:29]
	s_cbranch_execz .LBB12_124
.LBB12_158:                             ;   in Loop: Header=BB12_11 Depth=1
	s_waitcnt lgkmcnt(2)
	global_store_short v[0:1], v4, off offset:640
	s_or_b64 exec, exec, s[36:37]
	s_and_saveexec_b64 s[36:37], s[30:31]
	s_cbranch_execz .LBB12_125
.LBB12_159:                             ;   in Loop: Header=BB12_11 Depth=1
	s_waitcnt lgkmcnt(1)
	global_store_short v[0:1], v3, off offset:768
	s_or_b64 exec, exec, s[36:37]
	s_and_saveexec_b64 s[36:37], s[34:35]
	s_cbranch_execnz .LBB12_126
	s_branch .LBB12_127
.LBB12_160:                             ;   in Loop: Header=BB12_11 Depth=1
	ds_read_u16 v19, v49
	s_waitcnt lgkmcnt(0)
	global_store_short v[0:1], v19, off
	s_or_b64 exec, exec, s[36:37]
	s_and_saveexec_b64 s[18:19], s[20:21]
	s_cbranch_execz .LBB12_145
.LBB12_161:                             ;   in Loop: Header=BB12_11 Depth=1
	s_waitcnt lgkmcnt(6)
	global_store_short v[0:1], v11, off offset:128
	s_or_b64 exec, exec, s[18:19]
	s_and_saveexec_b64 s[18:19], s[22:23]
	s_cbranch_execz .LBB12_146
.LBB12_162:                             ;   in Loop: Header=BB12_11 Depth=1
	s_waitcnt lgkmcnt(5)
	global_store_short v[0:1], v7, off offset:256
	s_or_b64 exec, exec, s[18:19]
	s_and_saveexec_b64 s[18:19], s[24:25]
	s_cbranch_execz .LBB12_147
.LBB12_163:                             ;   in Loop: Header=BB12_11 Depth=1
	s_waitcnt lgkmcnt(4)
	global_store_short v[0:1], v6, off offset:384
	s_or_b64 exec, exec, s[18:19]
	s_and_saveexec_b64 s[18:19], s[26:27]
	s_cbranch_execz .LBB12_148
.LBB12_164:                             ;   in Loop: Header=BB12_11 Depth=1
	s_waitcnt lgkmcnt(3)
	global_store_short v[0:1], v5, off offset:512
	s_or_b64 exec, exec, s[18:19]
	s_and_saveexec_b64 s[18:19], s[28:29]
	s_cbranch_execz .LBB12_149
.LBB12_165:                             ;   in Loop: Header=BB12_11 Depth=1
	s_waitcnt lgkmcnt(2)
	global_store_short v[0:1], v4, off offset:640
	s_or_b64 exec, exec, s[18:19]
	s_and_saveexec_b64 s[18:19], s[30:31]
	s_cbranch_execz .LBB12_150
.LBB12_166:                             ;   in Loop: Header=BB12_11 Depth=1
	s_waitcnt lgkmcnt(1)
	global_store_short v[0:1], v3, off offset:768
	s_or_b64 exec, exec, s[18:19]
	s_and_saveexec_b64 s[18:19], s[34:35]
	s_cbranch_execz .LBB12_10
.LBB12_167:                             ;   in Loop: Header=BB12_11 Depth=1
	s_waitcnt lgkmcnt(0)
	global_store_short v[0:1], v2, off offset:896
	s_branch .LBB12_10
.LBB12_168:
	s_endpgm
.LBB12_169:
	s_mov_b64 s[68:69], 0
	s_load_dwordx2 s[6:7], s[0:1], 0x20
	s_cmp_eq_u64 s[4:5], 0
	s_cbranch_scc0 .LBB12_2
	s_branch .LBB12_3
	.section	.rodata,"a",@progbits
	.p2align	6, 0x0
	.amdhsa_kernel _Z25selective_scan_fwd_kernelI32Selective_Scan_fwd_kernel_traitsILi64ELi8ELi1ELb0ELb1ELb1ELb1ELb1EN3c108BFloat16EfS2_EEv13SSMParamsBase
		.amdhsa_group_segment_fixed_size 0
		.amdhsa_private_segment_fixed_size 36
		.amdhsa_kernarg_size 248
		.amdhsa_user_sgpr_count 2
		.amdhsa_user_sgpr_dispatch_ptr 0
		.amdhsa_user_sgpr_queue_ptr 0
		.amdhsa_user_sgpr_kernarg_segment_ptr 1
		.amdhsa_user_sgpr_dispatch_id 0
		.amdhsa_user_sgpr_kernarg_preload_length 0
		.amdhsa_user_sgpr_kernarg_preload_offset 0
		.amdhsa_user_sgpr_private_segment_size 0
		.amdhsa_uses_dynamic_stack 0
		.amdhsa_enable_private_segment 1
		.amdhsa_system_sgpr_workgroup_id_x 1
		.amdhsa_system_sgpr_workgroup_id_y 1
		.amdhsa_system_sgpr_workgroup_id_z 0
		.amdhsa_system_sgpr_workgroup_info 0
		.amdhsa_system_vgpr_workitem_id 0
		.amdhsa_next_free_vgpr 96
		.amdhsa_next_free_sgpr 100
		.amdhsa_accum_offset 96
		.amdhsa_reserve_vcc 1
		.amdhsa_float_round_mode_32 0
		.amdhsa_float_round_mode_16_64 0
		.amdhsa_float_denorm_mode_32 3
		.amdhsa_float_denorm_mode_16_64 3
		.amdhsa_dx10_clamp 1
		.amdhsa_ieee_mode 1
		.amdhsa_fp16_overflow 0
		.amdhsa_tg_split 0
		.amdhsa_exception_fp_ieee_invalid_op 0
		.amdhsa_exception_fp_denorm_src 0
		.amdhsa_exception_fp_ieee_div_zero 0
		.amdhsa_exception_fp_ieee_overflow 0
		.amdhsa_exception_fp_ieee_underflow 0
		.amdhsa_exception_fp_ieee_inexact 0
		.amdhsa_exception_int_div_zero 0
	.end_amdhsa_kernel
	.section	.text._Z25selective_scan_fwd_kernelI32Selective_Scan_fwd_kernel_traitsILi64ELi8ELi1ELb0ELb1ELb1ELb1ELb1EN3c108BFloat16EfS2_EEv13SSMParamsBase,"axG",@progbits,_Z25selective_scan_fwd_kernelI32Selective_Scan_fwd_kernel_traitsILi64ELi8ELi1ELb0ELb1ELb1ELb1ELb1EN3c108BFloat16EfS2_EEv13SSMParamsBase,comdat
.Lfunc_end12:
	.size	_Z25selective_scan_fwd_kernelI32Selective_Scan_fwd_kernel_traitsILi64ELi8ELi1ELb0ELb1ELb1ELb1ELb1EN3c108BFloat16EfS2_EEv13SSMParamsBase, .Lfunc_end12-_Z25selective_scan_fwd_kernelI32Selective_Scan_fwd_kernel_traitsILi64ELi8ELi1ELb0ELb1ELb1ELb1ELb1EN3c108BFloat16EfS2_EEv13SSMParamsBase
                                        ; -- End function
	.section	.AMDGPU.csdata,"",@progbits
; Kernel info:
; codeLenInByte = 12964
; NumSgprs: 106
; NumVgprs: 96
; NumAgprs: 0
; TotalNumVgprs: 96
; ScratchSize: 36
; MemoryBound: 0
; FloatMode: 240
; IeeeMode: 1
; LDSByteSize: 0 bytes/workgroup (compile time only)
; SGPRBlocks: 13
; VGPRBlocks: 11
; NumSGPRsForWavesPerEU: 106
; NumVGPRsForWavesPerEU: 96
; AccumOffset: 96
; Occupancy: 5
; WaveLimiterHint : 1
; COMPUTE_PGM_RSRC2:SCRATCH_EN: 1
; COMPUTE_PGM_RSRC2:USER_SGPR: 2
; COMPUTE_PGM_RSRC2:TRAP_HANDLER: 0
; COMPUTE_PGM_RSRC2:TGID_X_EN: 1
; COMPUTE_PGM_RSRC2:TGID_Y_EN: 1
; COMPUTE_PGM_RSRC2:TGID_Z_EN: 0
; COMPUTE_PGM_RSRC2:TIDIG_COMP_CNT: 0
; COMPUTE_PGM_RSRC3_GFX90A:ACCUM_OFFSET: 23
; COMPUTE_PGM_RSRC3_GFX90A:TG_SPLIT: 0
	.section	.text._Z25selective_scan_fwd_kernelI32Selective_Scan_fwd_kernel_traitsILi64ELi8ELi1ELb0ELb1ELb1ELb1ELb0EN3c108BFloat16EfS2_EEv13SSMParamsBase,"axG",@progbits,_Z25selective_scan_fwd_kernelI32Selective_Scan_fwd_kernel_traitsILi64ELi8ELi1ELb0ELb1ELb1ELb1ELb0EN3c108BFloat16EfS2_EEv13SSMParamsBase,comdat
	.protected	_Z25selective_scan_fwd_kernelI32Selective_Scan_fwd_kernel_traitsILi64ELi8ELi1ELb0ELb1ELb1ELb1ELb0EN3c108BFloat16EfS2_EEv13SSMParamsBase ; -- Begin function _Z25selective_scan_fwd_kernelI32Selective_Scan_fwd_kernel_traitsILi64ELi8ELi1ELb0ELb1ELb1ELb1ELb0EN3c108BFloat16EfS2_EEv13SSMParamsBase
	.globl	_Z25selective_scan_fwd_kernelI32Selective_Scan_fwd_kernel_traitsILi64ELi8ELi1ELb0ELb1ELb1ELb1ELb0EN3c108BFloat16EfS2_EEv13SSMParamsBase
	.p2align	8
	.type	_Z25selective_scan_fwd_kernelI32Selective_Scan_fwd_kernel_traitsILi64ELi8ELi1ELb0ELb1ELb1ELb1ELb0EN3c108BFloat16EfS2_EEv13SSMParamsBase,@function
_Z25selective_scan_fwd_kernelI32Selective_Scan_fwd_kernel_traitsILi64ELi8ELi1ELb0ELb1ELb1ELb1ELb0EN3c108BFloat16EfS2_EEv13SSMParamsBase: ; @_Z25selective_scan_fwd_kernelI32Selective_Scan_fwd_kernel_traitsILi64ELi8ELi1ELb0ELb1ELb1ELb1ELb0EN3c108BFloat16EfS2_EEv13SSMParamsBase
; %bb.0:
	s_load_dword s37, s[0:1], 0x18
	s_load_dwordx4 s[4:7], s[0:1], 0xe8
	s_mov_b32 s28, s3
	s_waitcnt lgkmcnt(0)
	s_abs_i32 s36, s37
	v_cvt_f32_u32_e32 v1, s36
	s_cmp_eq_u64 s[6:7], 0
	v_rcp_iflag_f32_e32 v1, v1
	s_nop 0
	v_mul_f32_e32 v1, 0x4f7ffffe, v1
	v_cvt_u32_f32_e32 v1, v1
	s_nop 0
	v_readfirstlane_b32 s24, v1
	s_cbranch_scc1 .LBB13_3
; %bb.1:
	s_ashr_i32 s3, s2, 31
	s_add_u32 s6, s6, s2
	s_addc_u32 s7, s7, s3
	v_mov_b32_e32 v1, 0
	global_load_ubyte v1, v1, s[6:7]
	s_waitcnt vmcnt(0)
	v_and_b32_e32 v1, 1, v1
	v_cmp_eq_u32_e64 s[54:55], 1, v1
	s_load_dwordx2 s[6:7], s[0:1], 0x20
	s_cmp_eq_u64 s[4:5], 0
	s_cbranch_scc1 .LBB13_4
.LBB13_2:
	s_ashr_i32 s3, s2, 31
	s_lshl_b64 s[8:9], s[2:3], 2
	s_add_u32 s4, s4, s8
	s_addc_u32 s5, s5, s9
	s_load_dword s34, s[4:5], 0x0
	s_waitcnt lgkmcnt(0)
	s_ashr_i32 s35, s34, 31
	s_cmp_eq_u64 s[6:7], s[34:35]
	s_cbranch_scc0 .LBB13_5
	s_branch .LBB13_169
.LBB13_3:
	s_mov_b64 s[54:55], 0
	s_load_dwordx2 s[6:7], s[0:1], 0x20
	s_cmp_eq_u64 s[4:5], 0
	s_cbranch_scc0 .LBB13_2
.LBB13_4:
	s_mov_b32 s34, s2
	s_ashr_i32 s35, s34, 31
	s_waitcnt lgkmcnt(0)
	s_cmp_eq_u64 s[6:7], s[34:35]
	s_cbranch_scc1 .LBB13_169
.LBB13_5:
	s_load_dwordx16 s[4:19], s[0:1], 0x88
	s_load_dwordx2 s[38:39], s[0:1], 0x8
	s_mov_b32 s33, 0
	s_mov_b32 s94, 0
	s_waitcnt lgkmcnt(0)
	s_cmp_eq_u64 s[10:11], 0
	s_cbranch_scc1 .LBB13_7
; %bb.6:
	s_ashr_i32 s29, s28, 31
	s_lshl_b64 s[20:21], s[28:29], 2
	s_add_u32 s10, s10, s20
	s_addc_u32 s11, s11, s21
	s_load_dword s94, s[10:11], 0x0
.LBB13_7:
	s_cmp_eq_u64 s[16:17], 0
	s_cbranch_scc1 .LBB13_9
; %bb.8:
	s_ashr_i32 s29, s28, 31
	s_lshl_b64 s[10:11], s[28:29], 2
	s_add_u32 s10, s16, s10
	s_addc_u32 s11, s17, s11
	s_load_dword s33, s[10:11], 0x0
.LBB13_9:
	s_cmp_lt_i32 s38, 1
	s_cbranch_scc1 .LBB13_169
; %bb.10:
	s_sub_i32 s3, 0, s36
	s_mul_i32 s3, s3, s24
	s_mul_hi_u32 s3, s24, s3
	s_abs_i32 s16, s28
	s_add_i32 s3, s24, s3
	s_load_dwordx8 s[56:63], s[0:1], 0x2c
	s_load_dwordx2 s[10:11], s[0:1], 0x7c
	s_load_dwordx4 s[20:23], s[0:1], 0x6c
	s_load_dwordx8 s[64:71], s[0:1], 0x4c
	s_load_dwordx2 s[30:31], s[0:1], 0xd8
	s_load_dwordx4 s[24:27], s[0:1], 0xc8
	s_load_dword s95, s[0:1], 0x84
	s_mul_hi_u32 s3, s16, s3
	s_load_dword s17, s[0:1], 0x28
	s_ashr_i32 s0, s28, 31
	s_ashr_i32 s1, s37, 31
	s_xor_b32 s0, s0, s1
	s_mul_i32 s1, s3, s36
	s_sub_i32 s1, s16, s1
	s_add_i32 s16, s3, 1
	s_sub_i32 s29, s1, s36
	s_cmp_ge_u32 s1, s36
	s_cselect_b32 s3, s16, s3
	s_cselect_b32 s1, s29, s1
	s_add_i32 s16, s3, 1
	s_cmp_ge_u32 s1, s36
	s_cselect_b32 s1, s16, s3
	s_xor_b32 s1, s1, s0
	s_waitcnt lgkmcnt(0)
	s_mul_i32 s74, s66, s2
	s_mov_b32 s75, 0
	s_sub_i32 s3, s1, s0
	s_lshl_b64 s[0:1], s[74:75], 1
	s_add_u32 s12, s12, s0
	s_mul_i32 s74, s67, s28
	s_addc_u32 s13, s13, s1
	s_lshl_b64 s[0:1], s[74:75], 1
	s_add_u32 s66, s12, s0
	s_mul_i32 s74, s68, s2
	s_addc_u32 s67, s13, s1
	;; [unrolled: 4-line block ×10, first 2 shown]
	s_lshl_b64 s[0:1], s[74:75], 1
	s_add_u32 s61, s3, s0
	v_mbcnt_lo_u32_b32 v1, -1, 0
	s_addc_u32 s65, s4, s1
	s_add_i32 s0, s38, 0x7ff
	v_mbcnt_hi_u32_b32 v10, -1, v1
	s_lshr_b32 s3, s0, 11
	v_lshrrev_b32_e32 v1, 5, v10
	v_and_b32_e32 v1, 2, v1
	s_bitcmp1_b32 s17, 0
	v_add_u32_e32 v42, 64, v10
	v_or_b32_e32 v43, 0x80, v10
	v_add_u32_e32 v44, 0xc0, v10
	v_or_b32_e32 v45, 0x100, v10
	;; [unrolled: 2-line block ×3, first 2 shown]
	v_add_u32_e32 v48, 0x1c0, v10
	v_add_u32_e32 v1, v1, v10
	s_cselect_b64 s[76:77], -1, 0
	s_cmp_gt_i32 s39, 0
	v_lshl_add_u32 v49, v1, 1, 0
	v_lshrrev_b32_e32 v1, 5, v42
	v_lshrrev_b32_e32 v2, 5, v43
	;; [unrolled: 1-line block ×7, first 2 shown]
	s_cselect_b64 s[0:1], -1, 0
                                        ; implicit-def: $vgpr95 : SGPR spill to VGPR lane
	v_and_b32_e32 v1, 6, v1
	v_and_b32_e32 v2, 6, v2
	;; [unrolled: 1-line block ×7, first 2 shown]
	v_writelane_b32 v95, s0, 0
	v_add_lshl_u32 v1, v1, v10, 1
	v_add_lshl_u32 v2, v2, v10, 1
	v_add_lshl_u32 v3, v3, v10, 1
	v_add_lshl_u32 v4, v4, v10, 1
	v_add_lshl_u32 v5, v5, v10, 1
	v_add_lshl_u32 v6, v6, v10, 1
	v_add_lshl_u32 v7, v7, v10, 1
	v_writelane_b32 v95, s1, 1
	s_add_i32 s0, 0, 0x420
	v_add_u32_e32 v58, s0, v1
	v_add_u32_e32 v59, s0, v2
	;; [unrolled: 1-line block ×7, first 2 shown]
	v_writelane_b32 v95, s38, 2
	s_and_b32 s0, s38, 0x1ff
	s_cmp_eq_u32 s0, 0
	v_writelane_b32 v95, s39, 3
	s_mul_i32 s74, s20, s2
	s_cselect_b64 s[80:81], -1, 0
	v_writelane_b32 v95, s3, 4
	s_add_i32 s3, s3, -1
	s_lshl_b64 s[4:5], s[74:75], 1
	v_lshrrev_b32_e32 v8, 2, v10
	v_writelane_b32 v95, s3, 5
	s_add_u32 s3, s18, s4
	s_mul_i32 s74, s21, s28
	v_and_b32_e32 v8, 30, v8
	s_addc_u32 s19, s19, s5
	s_lshl_b64 s[16:17], s[74:75], 1
	v_lshl_add_u32 v8, v10, 3, v8
	s_add_u32 s18, s3, s16
	v_mov_b32_e32 v9, 0
	v_lshl_add_u32 v57, v8, 1, 0
	s_addc_u32 s19, s19, s17
	v_lshlrev_b32_e32 v8, 1, v10
	s_mul_i32 s74, s70, s2
	v_lshl_add_u64 v[12:13], s[18:19], 0, v[8:9]
	s_lshl_b64 s[18:19], s[74:75], 1
	s_add_u32 s3, s26, s18
	s_mul_i32 s74, s71, s28
	s_addc_u32 s20, s27, s19
	s_lshl_b64 s[18:19], s[74:75], 1
	v_lshlrev_b32_e32 v11, 3, v0
	s_add_u32 s18, s3, s18
	s_mul_i32 s74, s22, s2
	v_cmp_eq_u32_e64 s[12:13], 63, v0
	v_cmp_gt_u32_e64 s[14:15], 64, v0
	v_cmp_eq_u32_e64 s[16:17], 0, v0
	s_addc_u32 s19, s20, s19
	s_lshl_b64 s[2:3], s[74:75], 1
	v_or_b32_e32 v0, 1, v11
	v_add_u32_e32 v50, 0, v1
	v_and_b32_e32 v1, 15, v10
	s_add_u32 s20, s30, s2
	s_mul_i32 s74, s23, s28
	scratch_store_dword off, v0, off offset:4 ; 4-byte Folded Spill
	v_or_b32_e32 v0, 2, v11
	v_cmp_ne_u32_e64 s[0:1], 0, v1
	v_cmp_lt_u32_e64 s[52:53], 1, v1
	v_cmp_lt_u32_e64 s[4:5], 3, v1
	;; [unrolled: 1-line block ×3, first 2 shown]
	v_and_b32_e32 v1, 16, v10
	s_addc_u32 s21, s31, s3
	s_lshl_b64 s[2:3], s[74:75], 1
	scratch_store_dword off, v0, off offset:8 ; 4-byte Folded Spill
	v_or_b32_e32 v0, 3, v11
	v_add_u32_e32 v51, 0, v2
	v_cmp_ne_u32_e64 s[8:9], 0, v1
	v_add_u32_e32 v1, -1, v10
	v_and_b32_e32 v2, 64, v10
	s_add_u32 s2, s20, s2
	scratch_store_dword off, v0, off offset:12 ; 4-byte Folded Spill
	v_or_b32_e32 v0, 4, v11
	v_cmp_lt_i32_e32 vcc, v1, v2
	s_addc_u32 s3, s21, s3
	scratch_store_dword off, v0, off offset:16 ; 4-byte Folded Spill
	v_or_b32_e32 v0, 5, v11
	v_cndmask_b32_e32 v1, v1, v10, vcc
	v_lshl_add_u64 v[16:17], s[2:3], 0, v[8:9]
	scratch_store_dword off, v0, off offset:20 ; 4-byte Folded Spill
	v_or_b32_e32 v0, 6, v11
	s_add_i32 s2, 0, 0x848
	v_add_u32_e32 v52, 0, v3
	v_add_u32_e32 v53, 0, v4
	;; [unrolled: 1-line block ×5, first 2 shown]
	v_cmp_lt_u32_e64 s[10:11], 31, v10
	v_lshlrev_b32_e32 v65, 2, v1
	v_lshl_add_u64 v[14:15], s[18:19], 0, v[8:9]
	scratch_store_dword off, v0, off offset:24 ; 4-byte Folded Spill
	scratch_store_dword off, v11, off       ; 4-byte Folded Spill
	v_or_b32_e32 v0, 7, v11
	v_lshlrev_b32_e32 v8, 1, v10
	s_mov_b32 s38, 0x41a00000
	s_mov_b32 s39, 0x3fb8aa3b
	;; [unrolled: 1-line block ×6, first 2 shown]
	v_mov_b32_e32 v73, 0x3ecc95a3
	s_mov_b32 s44, 0x3f317218
	s_mov_b32 s45, 0x33800000
	v_writelane_b32 v95, s2, 6
	s_mov_b32 s72, 0xc2fc0000
	s_movk_i32 s73, 0x7fff
	s_mov_b32 s79, 0xbfb8aa3b
	s_mov_b32 s97, 0x42ce8ed0
	;; [unrolled: 1-line block ×3, first 2 shown]
	v_mov_b32_e32 v74, 0x7f800000
	v_mov_b32_e32 v18, 0x3f317218
	;; [unrolled: 1-line block ×5, first 2 shown]
	s_mov_b32 s99, 0
	scratch_store_dword off, v0, off offset:28 ; 4-byte Folded Spill
                                        ; implicit-def: $vgpr0
	s_branch .LBB13_12
.LBB13_11:                              ;   in Loop: Header=BB13_12 Depth=1
	s_or_b64 exec, exec, s[2:3]
	s_add_u32 s68, s68, 0x400
	s_addc_u32 s69, s69, 0
	s_add_u32 s66, s66, 0x400
	s_addc_u32 s67, s67, 0
	;; [unrolled: 2-line block ×4, first 2 shown]
	s_add_i32 s99, s99, 1
	v_readlane_b32 s2, v95, 4
	s_cmp_lg_u32 s99, s2
	s_cbranch_scc0 .LBB13_169
.LBB13_12:                              ; =>This Loop Header: Depth=1
                                        ;     Child Loop BB13_61 Depth 2
	s_lshl_b32 s70, s99, 9
	v_readlane_b32 s2, v95, 2
	s_sub_i32 s50, s2, s70
	v_readlane_b32 s3, v95, 3
	v_lshl_add_u64 v[0:1], s[66:67], 0, v[8:9]
	v_cmp_gt_u32_e64 s[18:19], s50, v10
	s_waitcnt lgkmcnt(0)
	v_mov_b32_e32 v2, 0
	s_waitcnt lgkmcnt(0)
	; wave barrier
	s_and_saveexec_b64 s[2:3], s[18:19]
	s_cbranch_execz .LBB13_14
; %bb.13:                               ;   in Loop: Header=BB13_12 Depth=1
	global_load_ushort v2, v[0:1], off
.LBB13_14:                              ;   in Loop: Header=BB13_12 Depth=1
	s_or_b64 exec, exec, s[2:3]
	v_cmp_gt_u32_e64 s[20:21], s50, v42
	v_mov_b32_e32 v3, 0
	v_mov_b32_e32 v4, 0
	s_and_saveexec_b64 s[2:3], s[20:21]
	s_cbranch_execz .LBB13_16
; %bb.15:                               ;   in Loop: Header=BB13_12 Depth=1
	global_load_ushort v4, v[0:1], off offset:128
.LBB13_16:                              ;   in Loop: Header=BB13_12 Depth=1
	s_or_b64 exec, exec, s[2:3]
	v_cmp_gt_u32_e64 s[22:23], s50, v43
	s_and_saveexec_b64 s[2:3], s[22:23]
	s_cbranch_execz .LBB13_18
; %bb.17:                               ;   in Loop: Header=BB13_12 Depth=1
	global_load_ushort v3, v[0:1], off offset:256
.LBB13_18:                              ;   in Loop: Header=BB13_12 Depth=1
	s_or_b64 exec, exec, s[2:3]
	v_cmp_gt_u32_e64 s[24:25], s50, v44
	v_mov_b32_e32 v5, 0
	v_mov_b32_e32 v7, 0
	s_and_saveexec_b64 s[2:3], s[24:25]
	s_cbranch_execz .LBB13_20
; %bb.19:                               ;   in Loop: Header=BB13_12 Depth=1
	global_load_ushort v7, v[0:1], off offset:384
.LBB13_20:                              ;   in Loop: Header=BB13_12 Depth=1
	s_or_b64 exec, exec, s[2:3]
	v_cmp_gt_u32_e64 s[26:27], s50, v45
	s_and_saveexec_b64 s[2:3], s[26:27]
	s_cbranch_execz .LBB13_22
; %bb.21:                               ;   in Loop: Header=BB13_12 Depth=1
	global_load_ushort v5, v[0:1], off offset:512
.LBB13_22:                              ;   in Loop: Header=BB13_12 Depth=1
	;; [unrolled: 16-line block ×3, first 2 shown]
	s_or_b64 exec, exec, s[2:3]
	v_cmp_gt_u32_e64 s[34:35], s50, v48
	v_mov_b32_e32 v6, 0
	v_mov_b32_e32 v20, 0
	s_and_saveexec_b64 s[2:3], s[34:35]
	s_cbranch_execz .LBB13_28
; %bb.27:                               ;   in Loop: Header=BB13_12 Depth=1
	global_load_ushort v20, v[0:1], off offset:896
.LBB13_28:                              ;   in Loop: Header=BB13_12 Depth=1
	s_or_b64 exec, exec, s[2:3]
	s_waitcnt vmcnt(0)
	ds_write_b16 v49, v2
	ds_write_b16 v50, v4 offset:128
	ds_write_b16 v51, v3 offset:256
	;; [unrolled: 1-line block ×7, first 2 shown]
	; wave barrier
	ds_read_b128 v[0:3], v57
	v_lshl_add_u64 v[4:5], s[68:69], 0, v[8:9]
	s_waitcnt lgkmcnt(0)
	; wave barrier
	s_waitcnt lgkmcnt(0)
	s_and_saveexec_b64 s[2:3], s[18:19]
	s_cbranch_execz .LBB13_30
; %bb.29:                               ;   in Loop: Header=BB13_12 Depth=1
	global_load_ushort v6, v[4:5], off
.LBB13_30:                              ;   in Loop: Header=BB13_12 Depth=1
	s_or_b64 exec, exec, s[2:3]
	v_mov_b32_e32 v7, 0
	v_mov_b32_e32 v19, 0
	s_and_saveexec_b64 s[2:3], s[20:21]
	s_cbranch_execz .LBB13_32
; %bb.31:                               ;   in Loop: Header=BB13_12 Depth=1
	global_load_ushort v19, v[4:5], off offset:128
.LBB13_32:                              ;   in Loop: Header=BB13_12 Depth=1
	s_or_b64 exec, exec, s[2:3]
	s_and_saveexec_b64 s[2:3], s[22:23]
	s_cbranch_execz .LBB13_34
; %bb.33:                               ;   in Loop: Header=BB13_12 Depth=1
	global_load_ushort v7, v[4:5], off offset:256
.LBB13_34:                              ;   in Loop: Header=BB13_12 Depth=1
	s_or_b64 exec, exec, s[2:3]
	v_mov_b32_e32 v11, 0
	v_mov_b32_e32 v20, 0
	s_and_saveexec_b64 s[2:3], s[24:25]
	s_cbranch_execz .LBB13_36
; %bb.35:                               ;   in Loop: Header=BB13_12 Depth=1
	global_load_ushort v20, v[4:5], off offset:384
.LBB13_36:                              ;   in Loop: Header=BB13_12 Depth=1
	s_or_b64 exec, exec, s[2:3]
	s_and_saveexec_b64 s[2:3], s[26:27]
	s_cbranch_execz .LBB13_38
; %bb.37:                               ;   in Loop: Header=BB13_12 Depth=1
	global_load_ushort v11, v[4:5], off offset:512
.LBB13_38:                              ;   in Loop: Header=BB13_12 Depth=1
	s_or_b64 exec, exec, s[2:3]
	v_mov_b32_e32 v21, 0
	v_mov_b32_e32 v22, 0
	s_and_saveexec_b64 s[2:3], s[28:29]
	s_cbranch_execnz .LBB13_152
; %bb.39:                               ;   in Loop: Header=BB13_12 Depth=1
	s_or_b64 exec, exec, s[2:3]
	s_and_saveexec_b64 s[2:3], s[30:31]
	s_cbranch_execnz .LBB13_153
.LBB13_40:                              ;   in Loop: Header=BB13_12 Depth=1
	s_or_b64 exec, exec, s[2:3]
	v_mov_b32_e32 v23, 0
	s_and_saveexec_b64 s[2:3], s[34:35]
	s_cbranch_execz .LBB13_42
.LBB13_41:                              ;   in Loop: Header=BB13_12 Depth=1
	global_load_ushort v23, v[4:5], off offset:896
.LBB13_42:                              ;   in Loop: Header=BB13_12 Depth=1
	s_or_b64 exec, exec, s[2:3]
	s_waitcnt vmcnt(0)
	ds_write_b16 v49, v6
	ds_write_b16 v50, v19 offset:128
	ds_write_b16 v51, v7 offset:256
	;; [unrolled: 1-line block ×7, first 2 shown]
	; wave barrier
	ds_read_b128 v[4:7], v57
	s_waitcnt lgkmcnt(0)
	v_lshlrev_b32_e32 v11, 16, v4
	v_add_f32_e32 v78, s33, v11
	v_cmp_ge_f32_e32 vcc, s38, v78
	s_and_b64 s[2:3], s[76:77], vcc
	s_and_saveexec_b64 s[36:37], s[2:3]
	s_cbranch_execz .LBB13_44
; %bb.43:                               ;   in Loop: Header=BB13_12 Depth=1
	v_mul_f32_e32 v11, 0x3fb8aa3b, v78
	v_rndne_f32_e32 v19, v11
	v_sub_f32_e32 v20, v11, v19
	v_fma_f32 v11, v78, s39, -v11
	v_fmac_f32_e32 v11, 0x32a5705f, v78
	v_add_f32_e32 v11, v20, v11
	v_cvt_i32_f32_e32 v19, v19
	v_exp_f32_e32 v11, v11
	v_cmp_ngt_f32_e32 vcc, s40, v78
	v_ldexp_f32 v11, v11, v19
	s_nop 0
	v_cndmask_b32_e32 v11, 0, v11, vcc
	v_cmp_nlt_f32_e32 vcc, s41, v78
	s_nop 1
	v_cndmask_b32_e32 v36, v74, v11, vcc
	v_add_f32_e32 v11, 1.0, v36
	v_add_f32_e32 v19, -1.0, v11
	v_sub_f32_e32 v20, v19, v11
	v_add_f32_e32 v20, 1.0, v20
	v_sub_f32_e32 v19, v36, v19
	v_add_f32_e32 v19, v19, v20
	v_frexp_mant_f32_e32 v22, v11
	v_cvt_f64_f32_e32 v[20:21], v11
	v_frexp_exp_i32_f64_e32 v20, v[20:21]
	v_cmp_gt_f32_e32 vcc, s43, v22
	v_cmp_gt_f32_e64 s[2:3], s45, v36
	s_nop 0
	v_subbrev_co_u32_e32 v28, vcc, 0, v20, vcc
	v_sub_u32_e32 v20, 0, v28
	v_ldexp_f32 v11, v11, v20
	v_ldexp_f32 v19, v19, v20
	v_add_f32_e32 v20, -1.0, v11
	v_add_f32_e32 v21, 1.0, v20
	v_sub_f32_e32 v21, v11, v21
	v_add_f32_e32 v22, v19, v21
	v_add_f32_e32 v21, 1.0, v11
	v_add_f32_e32 v23, -1.0, v21
	v_sub_f32_e32 v11, v11, v23
	v_add_f32_e32 v11, v19, v11
	v_add_f32_e32 v19, v21, v11
	v_rcp_f32_e32 v29, v19
	v_sub_f32_e32 v21, v21, v19
	v_add_f32_e32 v11, v11, v21
	v_add_f32_e32 v21, v20, v22
	v_sub_f32_e32 v20, v20, v21
	v_mul_f32_e32 v31, v21, v29
	v_add_f32_e32 v30, v22, v20
	v_mul_f32_e32 v22, v19, v31
	v_fma_f32 v24, v31, v19, -v22
	v_fmac_f32_e32 v24, v31, v11
	v_add_f32_e32 v20, v22, v24
	v_sub_f32_e32 v23, v21, v20
	v_pk_add_f32 v[26:27], v[20:21], v[22:23] neg_lo:[0,1] neg_hi:[0,1]
	v_mov_b32_e32 v25, v20
	v_pk_add_f32 v[20:21], v[26:27], v[24:25] neg_lo:[0,1] neg_hi:[0,1]
	v_cmp_eq_f32_e32 vcc, s42, v36
	v_add_f32_e32 v21, v30, v21
	v_add_f32_e32 v20, v20, v21
	;; [unrolled: 1-line block ×3, first 2 shown]
	v_mul_f32_e32 v30, v29, v21
	v_mul_f32_e32 v22, v19, v30
	v_fma_f32 v24, v30, v19, -v22
	v_fmac_f32_e32 v24, v30, v11
	v_sub_f32_e32 v11, v23, v21
	v_add_f32_e32 v11, v20, v11
	v_add_f32_e32 v20, v22, v24
	v_sub_f32_e32 v23, v21, v20
	v_pk_add_f32 v[26:27], v[20:21], v[22:23] neg_lo:[0,1] neg_hi:[0,1]
	v_mov_b32_e32 v25, v20
	v_pk_add_f32 v[20:21], v[26:27], v[24:25] neg_lo:[0,1] neg_hi:[0,1]
	s_or_b64 vcc, s[2:3], vcc
	v_add_f32_e32 v11, v11, v21
	v_add_f32_e32 v11, v20, v11
	;; [unrolled: 1-line block ×4, first 2 shown]
	v_sub_f32_e32 v19, v21, v31
	v_mul_f32_e32 v11, v29, v11
	v_sub_f32_e32 v19, v30, v19
	v_add_f32_e32 v11, v19, v11
	v_add_f32_e32 v22, v21, v11
	v_cvt_f32_i32_e32 v20, v28
	v_mul_f32_e32 v24, v22, v22
	v_fmamk_f32 v19, v24, 0x3e9b6dac, v73
	v_sub_f32_e32 v21, v22, v21
	v_fmaak_f32 v19, v24, v19, 0x3f2aaada
	v_sub_f32_e32 v11, v11, v21
	v_mul_f32_e32 v21, v22, v24
	v_pk_mul_f32 v[24:25], v[20:21], v[18:19]
	v_ldexp_f32 v23, v22, 1
	v_fma_f32 v22, v20, s44, -v24
	v_fmac_f32_e32 v22, 0xb102e308, v20
	v_pk_add_f32 v[20:21], v[24:25], v[22:23]
	v_ldexp_f32 v11, v11, 1
	v_sub_f32_e32 v19, v21, v23
	v_sub_f32_e32 v19, v25, v19
	v_add_f32_e32 v27, v11, v19
	v_mov_b32_e32 v26, v24
	v_pk_add_f32 v[24:25], v[20:21], v[24:25] neg_lo:[0,1] neg_hi:[0,1]
	v_pk_add_f32 v[28:29], v[20:21], v[26:27]
	v_mov_b32_e32 v23, v20
	v_mov_b32_e32 v25, v29
	v_pk_add_f32 v[30:31], v[22:23], v[24:25] neg_lo:[0,1] neg_hi:[0,1]
	v_pk_add_f32 v[22:23], v[22:23], v[24:25]
	v_mov_b32_e32 v26, v27
	v_mov_b32_e32 v24, v23
	v_pk_add_f32 v[32:33], v[24:25], v[20:21] neg_lo:[0,1] neg_hi:[0,1]
	v_mov_b32_e32 v22, v29
	v_mov_b32_e32 v11, v32
	v_pk_add_f32 v[34:35], v[28:29], v[10:11] neg_lo:[0,1] neg_hi:[0,1]
	v_mov_b32_e32 v28, v21
	v_mov_b32_e32 v29, v32
	;; [unrolled: 1-line block ×3, first 2 shown]
	v_pk_add_f32 v[22:23], v[22:23], v[28:29] neg_lo:[0,1] neg_hi:[0,1]
	v_mov_b32_e32 v27, v20
	v_pk_add_f32 v[20:21], v[26:27], v[22:23] neg_lo:[0,1] neg_hi:[0,1]
	v_mov_b32_e32 v34, v30
	v_pk_add_f32 v[22:23], v[34:35], v[20:21]
	s_nop 0
	v_mov_b32_e32 v26, v23
	v_pk_add_f32 v[26:27], v[22:23], v[26:27]
	s_nop 0
	v_pk_add_f32 v[24:25], v[24:25], v[26:27]
	v_mov_b32_e32 v21, v26
	v_mov_b32_e32 v23, v24
	v_pk_add_f32 v[28:29], v[22:23], v[30:31] neg_lo:[0,1] neg_hi:[0,1]
	s_nop 0
	v_sub_f32_e32 v11, v22, v28
	v_pk_add_f32 v[20:21], v[20:21], v[28:29] neg_lo:[0,1] neg_hi:[0,1]
	v_sub_f32_e32 v11, v30, v11
	v_add_f32_e32 v11, v20, v11
	v_add_f32_e32 v11, v11, v21
	;; [unrolled: 1-line block ×3, first 2 shown]
	v_cndmask_b32_e32 v78, v11, v36, vcc
.LBB13_44:                              ;   in Loop: Header=BB13_12 Depth=1
	s_or_b64 exec, exec, s[36:37]
	v_and_b32_e32 v4, 0xffff0000, v4
	v_add_f32_e32 v79, s33, v4
	v_cmp_ge_f32_e32 vcc, s38, v79
	s_and_b64 s[2:3], s[76:77], vcc
	s_and_saveexec_b64 s[36:37], s[2:3]
	s_cbranch_execz .LBB13_46
; %bb.45:                               ;   in Loop: Header=BB13_12 Depth=1
	v_mul_f32_e32 v4, 0x3fb8aa3b, v79
	v_rndne_f32_e32 v11, v4
	v_sub_f32_e32 v19, v4, v11
	v_fma_f32 v4, v79, s39, -v4
	v_fmac_f32_e32 v4, 0x32a5705f, v79
	v_add_f32_e32 v4, v19, v4
	v_cvt_i32_f32_e32 v11, v11
	v_exp_f32_e32 v4, v4
	v_cmp_ngt_f32_e32 vcc, s40, v79
	v_ldexp_f32 v4, v4, v11
	s_nop 0
	v_cndmask_b32_e32 v4, 0, v4, vcc
	v_cmp_nlt_f32_e32 vcc, s41, v79
	s_nop 1
	v_cndmask_b32_e32 v34, v74, v4, vcc
	v_add_f32_e32 v4, 1.0, v34
	v_add_f32_e32 v11, -1.0, v4
	v_sub_f32_e32 v19, v11, v4
	v_add_f32_e32 v19, 1.0, v19
	v_sub_f32_e32 v11, v34, v11
	v_add_f32_e32 v11, v11, v19
	v_frexp_mant_f32_e32 v19, v4
	v_cvt_f64_f32_e32 v[20:21], v4
	v_frexp_exp_i32_f64_e32 v20, v[20:21]
	v_cmp_gt_f32_e32 vcc, s43, v19
	v_cmp_gt_f32_e64 s[2:3], s45, v34
	s_nop 0
	v_subbrev_co_u32_e32 v28, vcc, 0, v20, vcc
	v_sub_u32_e32 v19, 0, v28
	v_ldexp_f32 v4, v4, v19
	v_ldexp_f32 v11, v11, v19
	v_add_f32_e32 v19, -1.0, v4
	v_add_f32_e32 v21, 1.0, v4
	v_add_f32_e32 v20, 1.0, v19
	v_add_f32_e32 v22, -1.0, v21
	v_sub_f32_e32 v20, v4, v20
	v_sub_f32_e32 v4, v4, v22
	v_add_f32_e32 v4, v11, v4
	v_add_f32_e32 v20, v11, v20
	;; [unrolled: 1-line block ×3, first 2 shown]
	v_rcp_f32_e32 v29, v11
	v_sub_f32_e32 v21, v21, v11
	v_add_f32_e32 v4, v4, v21
	v_add_f32_e32 v21, v19, v20
	v_mul_f32_e32 v30, v21, v29
	v_mul_f32_e32 v22, v11, v30
	v_fma_f32 v24, v30, v11, -v22
	v_sub_f32_e32 v19, v19, v21
	v_fmac_f32_e32 v24, v30, v4
	v_add_f32_e32 v19, v20, v19
	v_add_f32_e32 v20, v22, v24
	v_sub_f32_e32 v23, v21, v20
	v_pk_add_f32 v[26:27], v[20:21], v[22:23] neg_lo:[0,1] neg_hi:[0,1]
	v_mov_b32_e32 v25, v20
	v_pk_add_f32 v[20:21], v[26:27], v[24:25] neg_lo:[0,1] neg_hi:[0,1]
	v_cmp_eq_f32_e32 vcc, s42, v34
	v_add_f32_e32 v19, v19, v21
	v_add_f32_e32 v19, v20, v19
	;; [unrolled: 1-line block ×3, first 2 shown]
	v_mul_f32_e32 v31, v29, v21
	v_mul_f32_e32 v22, v11, v31
	v_fma_f32 v24, v31, v11, -v22
	v_fmac_f32_e32 v24, v31, v4
	v_add_f32_e32 v20, v22, v24
	v_sub_f32_e32 v4, v23, v21
	v_sub_f32_e32 v23, v21, v20
	v_pk_add_f32 v[26:27], v[20:21], v[22:23] neg_lo:[0,1] neg_hi:[0,1]
	v_mov_b32_e32 v25, v20
	v_add_f32_e32 v4, v19, v4
	v_pk_add_f32 v[20:21], v[26:27], v[24:25] neg_lo:[0,1] neg_hi:[0,1]
	v_add_f32_e32 v11, v30, v31
	v_add_f32_e32 v4, v4, v21
	;; [unrolled: 1-line block ×4, first 2 shown]
	v_sub_f32_e32 v19, v11, v30
	v_mul_f32_e32 v4, v29, v4
	v_sub_f32_e32 v19, v31, v19
	v_add_f32_e32 v4, v19, v4
	v_add_f32_e32 v21, v11, v4
	v_cvt_f32_i32_e32 v20, v28
	v_mul_f32_e32 v22, v21, v21
	v_fmamk_f32 v19, v22, 0x3e9b6dac, v73
	v_fmaak_f32 v19, v22, v19, 0x3f2aaada
	v_sub_f32_e32 v11, v21, v11
	v_ldexp_f32 v23, v21, 1
	v_mul_f32_e32 v21, v21, v22
	v_pk_mul_f32 v[24:25], v[20:21], v[18:19]
	v_sub_f32_e32 v4, v4, v11
	v_fma_f32 v22, v20, s44, -v24
	v_fmac_f32_e32 v22, 0xb102e308, v20
	v_pk_add_f32 v[20:21], v[24:25], v[22:23]
	v_ldexp_f32 v4, v4, 1
	v_sub_f32_e32 v11, v21, v23
	v_sub_f32_e32 v11, v25, v11
	v_add_f32_e32 v27, v4, v11
	v_mov_b32_e32 v26, v24
	v_pk_add_f32 v[24:25], v[20:21], v[24:25] neg_lo:[0,1] neg_hi:[0,1]
	v_pk_add_f32 v[28:29], v[20:21], v[26:27]
	v_mov_b32_e32 v23, v20
	v_mov_b32_e32 v25, v29
	v_pk_add_f32 v[30:31], v[22:23], v[24:25] neg_lo:[0,1] neg_hi:[0,1]
	v_pk_add_f32 v[22:23], v[22:23], v[24:25]
	s_or_b64 vcc, s[2:3], vcc
	v_mov_b32_e32 v4, v23
	v_pk_add_f32 v[24:25], v[4:5], v[20:21] neg_lo:[0,1] neg_hi:[0,1]
	v_mov_b32_e32 v22, v29
	v_mov_b32_e32 v11, v24
	v_pk_add_f32 v[32:33], v[28:29], v[10:11] neg_lo:[0,1] neg_hi:[0,1]
	v_mov_b32_e32 v28, v21
	v_mov_b32_e32 v29, v24
	;; [unrolled: 1-line block ×3, first 2 shown]
	v_pk_add_f32 v[22:23], v[22:23], v[28:29] neg_lo:[0,1] neg_hi:[0,1]
	v_mov_b32_e32 v24, v27
	v_mov_b32_e32 v25, v20
	v_pk_add_f32 v[20:21], v[24:25], v[22:23] neg_lo:[0,1] neg_hi:[0,1]
	v_mov_b32_e32 v32, v30
	v_pk_add_f32 v[22:23], v[32:33], v[20:21]
	s_nop 0
	v_mov_b32_e32 v24, v23
	v_pk_add_f32 v[24:25], v[22:23], v[24:25]
	s_nop 0
	v_pk_add_f32 v[26:27], v[4:5], v[24:25]
	v_mov_b32_e32 v21, v24
	v_mov_b32_e32 v23, v26
	v_pk_add_f32 v[28:29], v[22:23], v[30:31] neg_lo:[0,1] neg_hi:[0,1]
	s_nop 0
	v_sub_f32_e32 v4, v22, v28
	v_pk_add_f32 v[20:21], v[20:21], v[28:29] neg_lo:[0,1] neg_hi:[0,1]
	v_sub_f32_e32 v4, v30, v4
	v_add_f32_e32 v4, v20, v4
	v_add_f32_e32 v4, v4, v21
	;; [unrolled: 1-line block ×3, first 2 shown]
	v_cndmask_b32_e32 v79, v4, v34, vcc
.LBB13_46:                              ;   in Loop: Header=BB13_12 Depth=1
	s_or_b64 exec, exec, s[36:37]
	v_lshlrev_b32_e32 v4, 16, v5
	v_add_f32_e32 v80, s33, v4
	v_cmp_ge_f32_e32 vcc, s38, v80
	s_and_b64 s[2:3], s[76:77], vcc
	s_and_saveexec_b64 s[36:37], s[2:3]
	s_cbranch_execz .LBB13_48
; %bb.47:                               ;   in Loop: Header=BB13_12 Depth=1
	v_mul_f32_e32 v4, 0x3fb8aa3b, v80
	v_rndne_f32_e32 v11, v4
	v_sub_f32_e32 v19, v4, v11
	v_fma_f32 v4, v80, s39, -v4
	v_fmac_f32_e32 v4, 0x32a5705f, v80
	v_add_f32_e32 v4, v19, v4
	v_cvt_i32_f32_e32 v11, v11
	v_exp_f32_e32 v4, v4
	v_cmp_ngt_f32_e32 vcc, s40, v80
	v_ldexp_f32 v4, v4, v11
	s_nop 0
	v_cndmask_b32_e32 v4, 0, v4, vcc
	v_cmp_nlt_f32_e32 vcc, s41, v80
	s_nop 1
	v_cndmask_b32_e32 v34, v74, v4, vcc
	v_add_f32_e32 v4, 1.0, v34
	v_add_f32_e32 v11, -1.0, v4
	v_sub_f32_e32 v19, v11, v4
	v_add_f32_e32 v19, 1.0, v19
	v_sub_f32_e32 v11, v34, v11
	v_add_f32_e32 v11, v11, v19
	v_frexp_mant_f32_e32 v19, v4
	v_cvt_f64_f32_e32 v[20:21], v4
	v_frexp_exp_i32_f64_e32 v20, v[20:21]
	v_cmp_gt_f32_e32 vcc, s43, v19
	v_cmp_gt_f32_e64 s[2:3], s45, v34
	s_nop 0
	v_subbrev_co_u32_e32 v28, vcc, 0, v20, vcc
	v_sub_u32_e32 v19, 0, v28
	v_ldexp_f32 v4, v4, v19
	v_ldexp_f32 v11, v11, v19
	v_add_f32_e32 v19, -1.0, v4
	v_add_f32_e32 v21, 1.0, v4
	v_add_f32_e32 v20, 1.0, v19
	v_add_f32_e32 v22, -1.0, v21
	v_sub_f32_e32 v20, v4, v20
	v_sub_f32_e32 v4, v4, v22
	v_add_f32_e32 v4, v11, v4
	v_add_f32_e32 v20, v11, v20
	;; [unrolled: 1-line block ×3, first 2 shown]
	v_rcp_f32_e32 v29, v11
	v_sub_f32_e32 v21, v21, v11
	v_add_f32_e32 v4, v4, v21
	v_add_f32_e32 v21, v19, v20
	v_mul_f32_e32 v30, v21, v29
	v_mul_f32_e32 v22, v11, v30
	v_fma_f32 v24, v30, v11, -v22
	v_sub_f32_e32 v19, v19, v21
	v_fmac_f32_e32 v24, v30, v4
	v_add_f32_e32 v19, v20, v19
	v_add_f32_e32 v20, v22, v24
	v_sub_f32_e32 v23, v21, v20
	v_pk_add_f32 v[26:27], v[20:21], v[22:23] neg_lo:[0,1] neg_hi:[0,1]
	v_mov_b32_e32 v25, v20
	v_pk_add_f32 v[20:21], v[26:27], v[24:25] neg_lo:[0,1] neg_hi:[0,1]
	v_cmp_eq_f32_e32 vcc, s42, v34
	v_add_f32_e32 v19, v19, v21
	v_add_f32_e32 v19, v20, v19
	;; [unrolled: 1-line block ×3, first 2 shown]
	v_mul_f32_e32 v31, v29, v21
	v_mul_f32_e32 v22, v11, v31
	v_fma_f32 v24, v31, v11, -v22
	v_fmac_f32_e32 v24, v31, v4
	v_add_f32_e32 v20, v22, v24
	v_sub_f32_e32 v4, v23, v21
	v_sub_f32_e32 v23, v21, v20
	v_pk_add_f32 v[26:27], v[20:21], v[22:23] neg_lo:[0,1] neg_hi:[0,1]
	v_mov_b32_e32 v25, v20
	v_add_f32_e32 v4, v19, v4
	v_pk_add_f32 v[20:21], v[26:27], v[24:25] neg_lo:[0,1] neg_hi:[0,1]
	v_add_f32_e32 v11, v30, v31
	v_add_f32_e32 v4, v4, v21
	;; [unrolled: 1-line block ×4, first 2 shown]
	v_sub_f32_e32 v19, v11, v30
	v_mul_f32_e32 v4, v29, v4
	v_sub_f32_e32 v19, v31, v19
	v_add_f32_e32 v4, v19, v4
	v_add_f32_e32 v21, v11, v4
	v_cvt_f32_i32_e32 v20, v28
	v_mul_f32_e32 v22, v21, v21
	v_fmamk_f32 v19, v22, 0x3e9b6dac, v73
	v_fmaak_f32 v19, v22, v19, 0x3f2aaada
	v_sub_f32_e32 v11, v21, v11
	v_ldexp_f32 v23, v21, 1
	v_mul_f32_e32 v21, v21, v22
	v_pk_mul_f32 v[24:25], v[20:21], v[18:19]
	v_sub_f32_e32 v4, v4, v11
	v_fma_f32 v22, v20, s44, -v24
	v_fmac_f32_e32 v22, 0xb102e308, v20
	v_pk_add_f32 v[20:21], v[24:25], v[22:23]
	v_ldexp_f32 v4, v4, 1
	v_sub_f32_e32 v11, v21, v23
	v_sub_f32_e32 v11, v25, v11
	v_add_f32_e32 v27, v4, v11
	v_mov_b32_e32 v26, v24
	v_pk_add_f32 v[24:25], v[20:21], v[24:25] neg_lo:[0,1] neg_hi:[0,1]
	v_pk_add_f32 v[28:29], v[20:21], v[26:27]
	v_mov_b32_e32 v23, v20
	v_mov_b32_e32 v25, v29
	v_pk_add_f32 v[30:31], v[22:23], v[24:25] neg_lo:[0,1] neg_hi:[0,1]
	v_pk_add_f32 v[22:23], v[22:23], v[24:25]
	s_or_b64 vcc, s[2:3], vcc
	v_mov_b32_e32 v4, v23
	v_pk_add_f32 v[24:25], v[4:5], v[20:21] neg_lo:[0,1] neg_hi:[0,1]
	v_mov_b32_e32 v22, v29
	v_mov_b32_e32 v11, v24
	v_pk_add_f32 v[32:33], v[28:29], v[10:11] neg_lo:[0,1] neg_hi:[0,1]
	v_mov_b32_e32 v28, v21
	v_mov_b32_e32 v29, v24
	;; [unrolled: 1-line block ×3, first 2 shown]
	v_pk_add_f32 v[22:23], v[22:23], v[28:29] neg_lo:[0,1] neg_hi:[0,1]
	v_mov_b32_e32 v24, v27
	v_mov_b32_e32 v25, v20
	v_pk_add_f32 v[20:21], v[24:25], v[22:23] neg_lo:[0,1] neg_hi:[0,1]
	v_mov_b32_e32 v32, v30
	v_pk_add_f32 v[22:23], v[32:33], v[20:21]
	s_nop 0
	v_mov_b32_e32 v24, v23
	v_pk_add_f32 v[24:25], v[22:23], v[24:25]
	s_nop 0
	v_pk_add_f32 v[26:27], v[4:5], v[24:25]
	v_mov_b32_e32 v21, v24
	v_mov_b32_e32 v23, v26
	v_pk_add_f32 v[28:29], v[22:23], v[30:31] neg_lo:[0,1] neg_hi:[0,1]
	s_nop 0
	v_sub_f32_e32 v4, v22, v28
	v_pk_add_f32 v[20:21], v[20:21], v[28:29] neg_lo:[0,1] neg_hi:[0,1]
	v_sub_f32_e32 v4, v30, v4
	v_add_f32_e32 v4, v20, v4
	v_add_f32_e32 v4, v4, v21
	;; [unrolled: 1-line block ×3, first 2 shown]
	v_cndmask_b32_e32 v80, v4, v34, vcc
.LBB13_48:                              ;   in Loop: Header=BB13_12 Depth=1
	s_or_b64 exec, exec, s[36:37]
	v_and_b32_e32 v4, 0xffff0000, v5
	v_add_f32_e32 v81, s33, v4
	v_cmp_ge_f32_e32 vcc, s38, v81
	s_and_b64 s[2:3], s[76:77], vcc
	s_and_saveexec_b64 s[36:37], s[2:3]
	s_cbranch_execz .LBB13_50
; %bb.49:                               ;   in Loop: Header=BB13_12 Depth=1
	v_mul_f32_e32 v4, 0x3fb8aa3b, v81
	v_rndne_f32_e32 v5, v4
	v_sub_f32_e32 v11, v4, v5
	v_fma_f32 v4, v81, s39, -v4
	v_fmac_f32_e32 v4, 0x32a5705f, v81
	v_add_f32_e32 v4, v11, v4
	v_cvt_i32_f32_e32 v5, v5
	v_exp_f32_e32 v4, v4
	v_cmp_ngt_f32_e32 vcc, s40, v81
	v_ldexp_f32 v4, v4, v5
	s_nop 0
	v_cndmask_b32_e32 v4, 0, v4, vcc
	v_cmp_nlt_f32_e32 vcc, s41, v81
	s_nop 1
	v_cndmask_b32_e32 v34, v74, v4, vcc
	v_add_f32_e32 v11, 1.0, v34
	v_add_f32_e32 v4, -1.0, v11
	v_sub_f32_e32 v5, v4, v11
	v_add_f32_e32 v5, 1.0, v5
	v_sub_f32_e32 v4, v34, v4
	v_add_f32_e32 v19, v4, v5
	v_frexp_mant_f32_e32 v20, v11
	v_cvt_f64_f32_e32 v[4:5], v11
	v_frexp_exp_i32_f64_e32 v4, v[4:5]
	v_cmp_gt_f32_e32 vcc, s43, v20
	v_cmp_gt_f32_e64 s[2:3], s45, v34
	s_nop 0
	v_subbrev_co_u32_e32 v26, vcc, 0, v4, vcc
	v_sub_u32_e32 v4, 0, v26
	v_ldexp_f32 v5, v11, v4
	v_add_f32_e32 v11, -1.0, v5
	v_add_f32_e32 v20, 1.0, v5
	v_ldexp_f32 v4, v19, v4
	v_add_f32_e32 v19, 1.0, v11
	v_add_f32_e32 v21, -1.0, v20
	v_sub_f32_e32 v19, v5, v19
	v_sub_f32_e32 v5, v5, v21
	v_add_f32_e32 v19, v4, v19
	v_add_f32_e32 v4, v4, v5
	;; [unrolled: 1-line block ×3, first 2 shown]
	v_rcp_f32_e32 v29, v27
	v_sub_f32_e32 v5, v20, v27
	v_add_f32_e32 v28, v4, v5
	v_add_f32_e32 v5, v11, v19
	v_sub_f32_e32 v4, v11, v5
	v_add_f32_e32 v11, v19, v4
	v_mul_f32_e32 v19, v5, v29
	v_mul_f32_e32 v20, v27, v19
	v_fma_f32 v22, v19, v27, -v20
	v_fmac_f32_e32 v22, v19, v28
	v_add_f32_e32 v4, v20, v22
	v_sub_f32_e32 v21, v5, v4
	v_pk_add_f32 v[24:25], v[4:5], v[20:21] neg_lo:[0,1] neg_hi:[0,1]
	v_mov_b32_e32 v23, v4
	v_pk_add_f32 v[4:5], v[24:25], v[22:23] neg_lo:[0,1] neg_hi:[0,1]
	v_cmp_eq_f32_e32 vcc, s42, v34
	v_add_f32_e32 v5, v11, v5
	v_add_f32_e32 v4, v4, v5
	;; [unrolled: 1-line block ×3, first 2 shown]
	v_mul_f32_e32 v11, v29, v5
	v_mul_f32_e32 v20, v27, v11
	v_fma_f32 v22, v11, v27, -v20
	v_fmac_f32_e32 v22, v11, v28
	v_sub_f32_e32 v21, v21, v5
	v_add_f32_e32 v27, v4, v21
	v_add_f32_e32 v4, v20, v22
	v_sub_f32_e32 v21, v5, v4
	v_pk_add_f32 v[24:25], v[4:5], v[20:21] neg_lo:[0,1] neg_hi:[0,1]
	v_mov_b32_e32 v23, v4
	v_pk_add_f32 v[4:5], v[24:25], v[22:23] neg_lo:[0,1] neg_hi:[0,1]
	s_or_b64 vcc, s[2:3], vcc
	v_add_f32_e32 v5, v27, v5
	v_add_f32_e32 v4, v4, v5
	;; [unrolled: 1-line block ×4, first 2 shown]
	v_sub_f32_e32 v19, v5, v19
	v_mul_f32_e32 v4, v29, v4
	v_sub_f32_e32 v11, v11, v19
	v_add_f32_e32 v11, v11, v4
	v_add_f32_e32 v20, v5, v11
	v_mul_f32_e32 v22, v20, v20
	v_fmamk_f32 v4, v22, 0x3e9b6dac, v73
	v_fmaak_f32 v19, v22, v4, 0x3f2aaada
	v_cvt_f32_i32_e32 v4, v26
	v_sub_f32_e32 v5, v20, v5
	v_sub_f32_e32 v5, v11, v5
	v_ldexp_f32 v11, v5, 1
	v_mul_f32_e32 v5, v20, v22
	v_pk_mul_f32 v[22:23], v[4:5], v[18:19]
	v_ldexp_f32 v21, v20, 1
	v_fma_f32 v20, v4, s44, -v22
	v_fmac_f32_e32 v20, 0xb102e308, v4
	v_pk_add_f32 v[4:5], v[22:23], v[20:21]
	v_mov_b32_e32 v24, v22
	v_sub_f32_e32 v19, v5, v21
	v_sub_f32_e32 v19, v23, v19
	v_add_f32_e32 v25, v11, v19
	v_pk_add_f32 v[22:23], v[4:5], v[22:23] neg_lo:[0,1] neg_hi:[0,1]
	v_pk_add_f32 v[26:27], v[4:5], v[24:25]
	v_mov_b32_e32 v21, v4
	v_mov_b32_e32 v23, v27
	v_pk_add_f32 v[28:29], v[20:21], v[22:23] neg_lo:[0,1] neg_hi:[0,1]
	v_pk_add_f32 v[20:21], v[20:21], v[22:23]
	v_mov_b32_e32 v24, v25
	v_mov_b32_e32 v22, v21
	v_pk_add_f32 v[30:31], v[22:23], v[4:5] neg_lo:[0,1] neg_hi:[0,1]
	v_mov_b32_e32 v20, v27
	v_mov_b32_e32 v11, v30
	v_pk_add_f32 v[32:33], v[26:27], v[10:11] neg_lo:[0,1] neg_hi:[0,1]
	v_mov_b32_e32 v26, v5
	v_mov_b32_e32 v27, v30
	v_mov_b32_e32 v29, v21
	v_pk_add_f32 v[20:21], v[20:21], v[26:27] neg_lo:[0,1] neg_hi:[0,1]
	v_mov_b32_e32 v25, v4
	v_pk_add_f32 v[4:5], v[24:25], v[20:21] neg_lo:[0,1] neg_hi:[0,1]
	v_mov_b32_e32 v32, v28
	v_pk_add_f32 v[20:21], v[32:33], v[4:5]
	s_nop 0
	v_mov_b32_e32 v24, v21
	v_pk_add_f32 v[24:25], v[20:21], v[24:25]
	s_nop 0
	v_pk_add_f32 v[22:23], v[22:23], v[24:25]
	v_mov_b32_e32 v5, v24
	v_mov_b32_e32 v21, v22
	v_pk_add_f32 v[26:27], v[20:21], v[28:29] neg_lo:[0,1] neg_hi:[0,1]
	s_nop 0
	v_sub_f32_e32 v11, v20, v26
	v_pk_add_f32 v[4:5], v[4:5], v[26:27] neg_lo:[0,1] neg_hi:[0,1]
	v_sub_f32_e32 v11, v28, v11
	v_add_f32_e32 v4, v4, v11
	v_add_f32_e32 v4, v4, v5
	v_add_f32_e32 v4, v22, v4
	v_cndmask_b32_e32 v81, v4, v34, vcc
.LBB13_50:                              ;   in Loop: Header=BB13_12 Depth=1
	s_or_b64 exec, exec, s[36:37]
	v_lshlrev_b32_e32 v4, 16, v6
	v_add_f32_e32 v82, s33, v4
	v_cmp_ge_f32_e32 vcc, s38, v82
	s_and_b64 s[2:3], s[76:77], vcc
	s_and_saveexec_b64 s[36:37], s[2:3]
	s_cbranch_execz .LBB13_52
; %bb.51:                               ;   in Loop: Header=BB13_12 Depth=1
	v_mul_f32_e32 v4, 0x3fb8aa3b, v82
	v_rndne_f32_e32 v5, v4
	v_sub_f32_e32 v11, v4, v5
	v_fma_f32 v4, v82, s39, -v4
	v_fmac_f32_e32 v4, 0x32a5705f, v82
	v_add_f32_e32 v4, v11, v4
	v_cvt_i32_f32_e32 v5, v5
	v_exp_f32_e32 v4, v4
	v_cmp_ngt_f32_e32 vcc, s40, v82
	v_ldexp_f32 v4, v4, v5
	s_nop 0
	v_cndmask_b32_e32 v4, 0, v4, vcc
	v_cmp_nlt_f32_e32 vcc, s41, v82
	s_nop 1
	v_cndmask_b32_e32 v34, v74, v4, vcc
	v_add_f32_e32 v11, 1.0, v34
	v_add_f32_e32 v4, -1.0, v11
	v_sub_f32_e32 v5, v4, v11
	v_add_f32_e32 v5, 1.0, v5
	v_sub_f32_e32 v4, v34, v4
	v_add_f32_e32 v19, v4, v5
	v_frexp_mant_f32_e32 v20, v11
	v_cvt_f64_f32_e32 v[4:5], v11
	v_frexp_exp_i32_f64_e32 v4, v[4:5]
	v_cmp_gt_f32_e32 vcc, s43, v20
	v_cmp_gt_f32_e64 s[2:3], s45, v34
	s_nop 0
	v_subbrev_co_u32_e32 v26, vcc, 0, v4, vcc
	v_sub_u32_e32 v4, 0, v26
	v_ldexp_f32 v5, v11, v4
	v_add_f32_e32 v11, -1.0, v5
	v_add_f32_e32 v20, 1.0, v5
	v_ldexp_f32 v4, v19, v4
	v_add_f32_e32 v19, 1.0, v11
	v_add_f32_e32 v21, -1.0, v20
	v_sub_f32_e32 v19, v5, v19
	v_sub_f32_e32 v5, v5, v21
	v_add_f32_e32 v19, v4, v19
	v_add_f32_e32 v4, v4, v5
	v_add_f32_e32 v27, v20, v4
	v_rcp_f32_e32 v29, v27
	v_sub_f32_e32 v5, v20, v27
	v_add_f32_e32 v28, v4, v5
	v_add_f32_e32 v5, v11, v19
	v_sub_f32_e32 v4, v11, v5
	v_add_f32_e32 v11, v19, v4
	v_mul_f32_e32 v19, v5, v29
	v_mul_f32_e32 v20, v27, v19
	v_fma_f32 v22, v19, v27, -v20
	v_fmac_f32_e32 v22, v19, v28
	v_add_f32_e32 v4, v20, v22
	v_sub_f32_e32 v21, v5, v4
	v_pk_add_f32 v[24:25], v[4:5], v[20:21] neg_lo:[0,1] neg_hi:[0,1]
	v_mov_b32_e32 v23, v4
	v_pk_add_f32 v[4:5], v[24:25], v[22:23] neg_lo:[0,1] neg_hi:[0,1]
	v_cmp_eq_f32_e32 vcc, s42, v34
	v_add_f32_e32 v5, v11, v5
	v_add_f32_e32 v4, v4, v5
	v_add_f32_e32 v5, v21, v4
	v_mul_f32_e32 v11, v29, v5
	v_mul_f32_e32 v20, v27, v11
	v_fma_f32 v22, v11, v27, -v20
	v_fmac_f32_e32 v22, v11, v28
	v_sub_f32_e32 v21, v21, v5
	v_add_f32_e32 v27, v4, v21
	v_add_f32_e32 v4, v20, v22
	v_sub_f32_e32 v21, v5, v4
	v_pk_add_f32 v[24:25], v[4:5], v[20:21] neg_lo:[0,1] neg_hi:[0,1]
	v_mov_b32_e32 v23, v4
	v_pk_add_f32 v[4:5], v[24:25], v[22:23] neg_lo:[0,1] neg_hi:[0,1]
	s_or_b64 vcc, s[2:3], vcc
	v_add_f32_e32 v5, v27, v5
	v_add_f32_e32 v4, v4, v5
	;; [unrolled: 1-line block ×4, first 2 shown]
	v_sub_f32_e32 v19, v5, v19
	v_mul_f32_e32 v4, v29, v4
	v_sub_f32_e32 v11, v11, v19
	v_add_f32_e32 v11, v11, v4
	v_add_f32_e32 v20, v5, v11
	v_mul_f32_e32 v22, v20, v20
	v_fmamk_f32 v4, v22, 0x3e9b6dac, v73
	v_fmaak_f32 v19, v22, v4, 0x3f2aaada
	v_cvt_f32_i32_e32 v4, v26
	v_sub_f32_e32 v5, v20, v5
	v_sub_f32_e32 v5, v11, v5
	v_ldexp_f32 v11, v5, 1
	v_mul_f32_e32 v5, v20, v22
	v_pk_mul_f32 v[22:23], v[4:5], v[18:19]
	v_ldexp_f32 v21, v20, 1
	v_fma_f32 v20, v4, s44, -v22
	v_fmac_f32_e32 v20, 0xb102e308, v4
	v_pk_add_f32 v[4:5], v[22:23], v[20:21]
	v_mov_b32_e32 v24, v22
	v_sub_f32_e32 v19, v5, v21
	v_sub_f32_e32 v19, v23, v19
	v_add_f32_e32 v25, v11, v19
	v_pk_add_f32 v[22:23], v[4:5], v[22:23] neg_lo:[0,1] neg_hi:[0,1]
	v_pk_add_f32 v[26:27], v[4:5], v[24:25]
	v_mov_b32_e32 v21, v4
	v_mov_b32_e32 v23, v27
	v_pk_add_f32 v[28:29], v[20:21], v[22:23] neg_lo:[0,1] neg_hi:[0,1]
	v_pk_add_f32 v[20:21], v[20:21], v[22:23]
	v_mov_b32_e32 v24, v25
	v_mov_b32_e32 v22, v21
	v_pk_add_f32 v[30:31], v[22:23], v[4:5] neg_lo:[0,1] neg_hi:[0,1]
	v_mov_b32_e32 v20, v27
	v_mov_b32_e32 v11, v30
	v_pk_add_f32 v[32:33], v[26:27], v[10:11] neg_lo:[0,1] neg_hi:[0,1]
	v_mov_b32_e32 v26, v5
	v_mov_b32_e32 v27, v30
	;; [unrolled: 1-line block ×3, first 2 shown]
	v_pk_add_f32 v[20:21], v[20:21], v[26:27] neg_lo:[0,1] neg_hi:[0,1]
	v_mov_b32_e32 v25, v4
	v_pk_add_f32 v[4:5], v[24:25], v[20:21] neg_lo:[0,1] neg_hi:[0,1]
	v_mov_b32_e32 v32, v28
	v_pk_add_f32 v[20:21], v[32:33], v[4:5]
	s_nop 0
	v_mov_b32_e32 v24, v21
	v_pk_add_f32 v[24:25], v[20:21], v[24:25]
	s_nop 0
	v_pk_add_f32 v[22:23], v[22:23], v[24:25]
	v_mov_b32_e32 v5, v24
	v_mov_b32_e32 v21, v22
	v_pk_add_f32 v[26:27], v[20:21], v[28:29] neg_lo:[0,1] neg_hi:[0,1]
	s_nop 0
	v_sub_f32_e32 v11, v20, v26
	v_pk_add_f32 v[4:5], v[4:5], v[26:27] neg_lo:[0,1] neg_hi:[0,1]
	v_sub_f32_e32 v11, v28, v11
	v_add_f32_e32 v4, v4, v11
	v_add_f32_e32 v4, v4, v5
	;; [unrolled: 1-line block ×3, first 2 shown]
	v_cndmask_b32_e32 v82, v4, v34, vcc
.LBB13_52:                              ;   in Loop: Header=BB13_12 Depth=1
	s_or_b64 exec, exec, s[36:37]
	v_and_b32_e32 v4, 0xffff0000, v6
	v_add_f32_e32 v83, s33, v4
	v_cmp_ge_f32_e32 vcc, s38, v83
	s_and_b64 s[2:3], s[76:77], vcc
	s_and_saveexec_b64 s[36:37], s[2:3]
	s_cbranch_execz .LBB13_54
; %bb.53:                               ;   in Loop: Header=BB13_12 Depth=1
	v_mul_f32_e32 v4, 0x3fb8aa3b, v83
	v_rndne_f32_e32 v5, v4
	v_sub_f32_e32 v6, v4, v5
	v_fma_f32 v4, v83, s39, -v4
	v_fmac_f32_e32 v4, 0x32a5705f, v83
	v_add_f32_e32 v4, v6, v4
	v_cvt_i32_f32_e32 v5, v5
	v_exp_f32_e32 v4, v4
	v_cmp_ngt_f32_e32 vcc, s40, v83
	v_ldexp_f32 v4, v4, v5
	s_nop 0
	v_cndmask_b32_e32 v4, 0, v4, vcc
	v_cmp_nlt_f32_e32 vcc, s41, v83
	s_nop 1
	v_cndmask_b32_e32 v32, v74, v4, vcc
	v_add_f32_e32 v6, 1.0, v32
	v_add_f32_e32 v4, -1.0, v6
	v_sub_f32_e32 v5, v4, v6
	v_add_f32_e32 v5, 1.0, v5
	v_sub_f32_e32 v4, v32, v4
	v_add_f32_e32 v11, v4, v5
	v_frexp_mant_f32_e32 v19, v6
	v_cvt_f64_f32_e32 v[4:5], v6
	v_frexp_exp_i32_f64_e32 v4, v[4:5]
	v_cmp_gt_f32_e32 vcc, s43, v19
	v_cmp_gt_f32_e64 s[2:3], s45, v32
	s_nop 0
	v_subbrev_co_u32_e32 v26, vcc, 0, v4, vcc
	v_sub_u32_e32 v4, 0, v26
	v_ldexp_f32 v5, v6, v4
	v_add_f32_e32 v6, -1.0, v5
	v_add_f32_e32 v19, 1.0, v5
	v_ldexp_f32 v4, v11, v4
	v_add_f32_e32 v11, 1.0, v6
	v_add_f32_e32 v20, -1.0, v19
	v_sub_f32_e32 v11, v5, v11
	v_sub_f32_e32 v5, v5, v20
	v_add_f32_e32 v11, v4, v11
	v_add_f32_e32 v4, v4, v5
	;; [unrolled: 1-line block ×3, first 2 shown]
	v_rcp_f32_e32 v28, v27
	v_sub_f32_e32 v5, v19, v27
	v_add_f32_e32 v19, v4, v5
	v_add_f32_e32 v5, v6, v11
	v_sub_f32_e32 v4, v6, v5
	v_add_f32_e32 v6, v11, v4
	v_mul_f32_e32 v11, v5, v28
	v_mul_f32_e32 v20, v27, v11
	v_fma_f32 v22, v11, v27, -v20
	v_fmac_f32_e32 v22, v11, v19
	v_add_f32_e32 v4, v20, v22
	v_sub_f32_e32 v21, v5, v4
	v_pk_add_f32 v[24:25], v[4:5], v[20:21] neg_lo:[0,1] neg_hi:[0,1]
	v_mov_b32_e32 v23, v4
	v_pk_add_f32 v[4:5], v[24:25], v[22:23] neg_lo:[0,1] neg_hi:[0,1]
	v_cmp_eq_f32_e32 vcc, s42, v32
	v_add_f32_e32 v5, v6, v5
	v_add_f32_e32 v4, v4, v5
	;; [unrolled: 1-line block ×3, first 2 shown]
	v_mul_f32_e32 v6, v28, v5
	v_mul_f32_e32 v20, v27, v6
	v_fma_f32 v22, v6, v27, -v20
	v_fmac_f32_e32 v22, v6, v19
	v_sub_f32_e32 v19, v21, v5
	v_add_f32_e32 v19, v4, v19
	v_add_f32_e32 v4, v20, v22
	v_sub_f32_e32 v21, v5, v4
	v_pk_add_f32 v[24:25], v[4:5], v[20:21] neg_lo:[0,1] neg_hi:[0,1]
	v_mov_b32_e32 v23, v4
	v_pk_add_f32 v[4:5], v[24:25], v[22:23] neg_lo:[0,1] neg_hi:[0,1]
	s_or_b64 vcc, s[2:3], vcc
	v_add_f32_e32 v5, v19, v5
	v_add_f32_e32 v4, v4, v5
	;; [unrolled: 1-line block ×4, first 2 shown]
	v_sub_f32_e32 v11, v5, v11
	v_mul_f32_e32 v4, v28, v4
	v_sub_f32_e32 v6, v6, v11
	v_add_f32_e32 v6, v6, v4
	v_add_f32_e32 v11, v5, v6
	v_mul_f32_e32 v20, v11, v11
	v_fmamk_f32 v4, v20, 0x3e9b6dac, v73
	v_fmaak_f32 v19, v20, v4, 0x3f2aaada
	v_cvt_f32_i32_e32 v4, v26
	v_sub_f32_e32 v5, v11, v5
	v_sub_f32_e32 v5, v6, v5
	v_ldexp_f32 v6, v5, 1
	v_mul_f32_e32 v5, v11, v20
	v_pk_mul_f32 v[22:23], v[4:5], v[18:19]
	v_ldexp_f32 v21, v11, 1
	v_fma_f32 v20, v4, s44, -v22
	v_fmac_f32_e32 v20, 0xb102e308, v4
	v_pk_add_f32 v[4:5], v[22:23], v[20:21]
	v_mov_b32_e32 v24, v22
	v_sub_f32_e32 v11, v5, v21
	v_sub_f32_e32 v11, v23, v11
	v_add_f32_e32 v25, v6, v11
	v_pk_add_f32 v[22:23], v[4:5], v[22:23] neg_lo:[0,1] neg_hi:[0,1]
	v_pk_add_f32 v[26:27], v[4:5], v[24:25]
	v_mov_b32_e32 v21, v4
	v_mov_b32_e32 v23, v27
	v_pk_add_f32 v[28:29], v[20:21], v[22:23] neg_lo:[0,1] neg_hi:[0,1]
	v_pk_add_f32 v[20:21], v[20:21], v[22:23]
	s_nop 0
	v_mov_b32_e32 v6, v21
	v_pk_add_f32 v[22:23], v[6:7], v[4:5] neg_lo:[0,1] neg_hi:[0,1]
	v_mov_b32_e32 v20, v27
	v_mov_b32_e32 v11, v22
	v_pk_add_f32 v[30:31], v[26:27], v[10:11] neg_lo:[0,1] neg_hi:[0,1]
	v_mov_b32_e32 v26, v5
	v_mov_b32_e32 v27, v22
	;; [unrolled: 1-line block ×3, first 2 shown]
	v_pk_add_f32 v[20:21], v[20:21], v[26:27] neg_lo:[0,1] neg_hi:[0,1]
	v_mov_b32_e32 v22, v25
	v_mov_b32_e32 v23, v4
	v_pk_add_f32 v[4:5], v[22:23], v[20:21] neg_lo:[0,1] neg_hi:[0,1]
	v_mov_b32_e32 v30, v28
	v_pk_add_f32 v[20:21], v[30:31], v[4:5]
	s_nop 0
	v_mov_b32_e32 v22, v21
	v_pk_add_f32 v[22:23], v[20:21], v[22:23]
	s_nop 0
	v_pk_add_f32 v[24:25], v[6:7], v[22:23]
	v_mov_b32_e32 v5, v22
	v_mov_b32_e32 v21, v24
	v_pk_add_f32 v[26:27], v[20:21], v[28:29] neg_lo:[0,1] neg_hi:[0,1]
	s_nop 0
	v_sub_f32_e32 v6, v20, v26
	v_pk_add_f32 v[4:5], v[4:5], v[26:27] neg_lo:[0,1] neg_hi:[0,1]
	v_sub_f32_e32 v6, v28, v6
	v_add_f32_e32 v4, v4, v6
	v_add_f32_e32 v4, v4, v5
	;; [unrolled: 1-line block ×3, first 2 shown]
	v_cndmask_b32_e32 v83, v4, v32, vcc
.LBB13_54:                              ;   in Loop: Header=BB13_12 Depth=1
	s_or_b64 exec, exec, s[36:37]
	v_lshlrev_b32_e32 v4, 16, v7
	v_add_f32_e32 v84, s33, v4
	v_cmp_ge_f32_e32 vcc, s38, v84
	s_and_b64 s[2:3], s[76:77], vcc
	s_and_saveexec_b64 s[36:37], s[2:3]
	s_cbranch_execz .LBB13_56
; %bb.55:                               ;   in Loop: Header=BB13_12 Depth=1
	v_mul_f32_e32 v4, 0x3fb8aa3b, v84
	v_rndne_f32_e32 v5, v4
	v_sub_f32_e32 v6, v4, v5
	v_fma_f32 v4, v84, s39, -v4
	v_fmac_f32_e32 v4, 0x32a5705f, v84
	v_add_f32_e32 v4, v6, v4
	v_cvt_i32_f32_e32 v5, v5
	v_exp_f32_e32 v4, v4
	v_cmp_ngt_f32_e32 vcc, s40, v84
	v_ldexp_f32 v4, v4, v5
	s_nop 0
	v_cndmask_b32_e32 v4, 0, v4, vcc
	v_cmp_nlt_f32_e32 vcc, s41, v84
	s_nop 1
	v_cndmask_b32_e32 v32, v74, v4, vcc
	v_add_f32_e32 v6, 1.0, v32
	v_add_f32_e32 v4, -1.0, v6
	v_sub_f32_e32 v5, v4, v6
	v_add_f32_e32 v5, 1.0, v5
	v_sub_f32_e32 v4, v32, v4
	v_add_f32_e32 v11, v4, v5
	v_frexp_mant_f32_e32 v19, v6
	v_cvt_f64_f32_e32 v[4:5], v6
	v_frexp_exp_i32_f64_e32 v4, v[4:5]
	v_cmp_gt_f32_e32 vcc, s43, v19
	v_cmp_gt_f32_e64 s[2:3], s45, v32
	s_nop 0
	v_subbrev_co_u32_e32 v26, vcc, 0, v4, vcc
	v_sub_u32_e32 v4, 0, v26
	v_ldexp_f32 v5, v6, v4
	v_add_f32_e32 v6, -1.0, v5
	v_add_f32_e32 v19, 1.0, v5
	v_ldexp_f32 v4, v11, v4
	v_add_f32_e32 v11, 1.0, v6
	v_add_f32_e32 v20, -1.0, v19
	v_sub_f32_e32 v11, v5, v11
	v_sub_f32_e32 v5, v5, v20
	v_add_f32_e32 v11, v4, v11
	v_add_f32_e32 v4, v4, v5
	;; [unrolled: 1-line block ×3, first 2 shown]
	v_rcp_f32_e32 v28, v27
	v_sub_f32_e32 v5, v19, v27
	v_add_f32_e32 v19, v4, v5
	v_add_f32_e32 v5, v6, v11
	v_sub_f32_e32 v4, v6, v5
	v_add_f32_e32 v6, v11, v4
	v_mul_f32_e32 v11, v5, v28
	v_mul_f32_e32 v20, v27, v11
	v_fma_f32 v22, v11, v27, -v20
	v_fmac_f32_e32 v22, v11, v19
	v_add_f32_e32 v4, v20, v22
	v_sub_f32_e32 v21, v5, v4
	v_pk_add_f32 v[24:25], v[4:5], v[20:21] neg_lo:[0,1] neg_hi:[0,1]
	v_mov_b32_e32 v23, v4
	v_pk_add_f32 v[4:5], v[24:25], v[22:23] neg_lo:[0,1] neg_hi:[0,1]
	v_cmp_eq_f32_e32 vcc, s42, v32
	v_add_f32_e32 v5, v6, v5
	v_add_f32_e32 v4, v4, v5
	;; [unrolled: 1-line block ×3, first 2 shown]
	v_mul_f32_e32 v6, v28, v5
	v_mul_f32_e32 v20, v27, v6
	v_fma_f32 v22, v6, v27, -v20
	v_fmac_f32_e32 v22, v6, v19
	v_sub_f32_e32 v19, v21, v5
	v_add_f32_e32 v19, v4, v19
	v_add_f32_e32 v4, v20, v22
	v_sub_f32_e32 v21, v5, v4
	v_pk_add_f32 v[24:25], v[4:5], v[20:21] neg_lo:[0,1] neg_hi:[0,1]
	v_mov_b32_e32 v23, v4
	v_pk_add_f32 v[4:5], v[24:25], v[22:23] neg_lo:[0,1] neg_hi:[0,1]
	s_or_b64 vcc, s[2:3], vcc
	v_add_f32_e32 v5, v19, v5
	v_add_f32_e32 v4, v4, v5
	;; [unrolled: 1-line block ×4, first 2 shown]
	v_sub_f32_e32 v11, v5, v11
	v_mul_f32_e32 v4, v28, v4
	v_sub_f32_e32 v6, v6, v11
	v_add_f32_e32 v6, v6, v4
	v_add_f32_e32 v11, v5, v6
	v_mul_f32_e32 v20, v11, v11
	v_fmamk_f32 v4, v20, 0x3e9b6dac, v73
	v_fmaak_f32 v19, v20, v4, 0x3f2aaada
	v_cvt_f32_i32_e32 v4, v26
	v_sub_f32_e32 v5, v11, v5
	v_sub_f32_e32 v5, v6, v5
	v_ldexp_f32 v6, v5, 1
	v_mul_f32_e32 v5, v11, v20
	v_pk_mul_f32 v[22:23], v[4:5], v[18:19]
	v_ldexp_f32 v21, v11, 1
	v_fma_f32 v20, v4, s44, -v22
	v_fmac_f32_e32 v20, 0xb102e308, v4
	v_pk_add_f32 v[4:5], v[22:23], v[20:21]
	v_mov_b32_e32 v24, v22
	v_sub_f32_e32 v11, v5, v21
	v_sub_f32_e32 v11, v23, v11
	v_add_f32_e32 v25, v6, v11
	v_pk_add_f32 v[22:23], v[4:5], v[22:23] neg_lo:[0,1] neg_hi:[0,1]
	v_pk_add_f32 v[26:27], v[4:5], v[24:25]
	v_mov_b32_e32 v21, v4
	v_mov_b32_e32 v23, v27
	v_pk_add_f32 v[28:29], v[20:21], v[22:23] neg_lo:[0,1] neg_hi:[0,1]
	v_pk_add_f32 v[20:21], v[20:21], v[22:23]
	s_nop 0
	v_mov_b32_e32 v6, v21
	v_pk_add_f32 v[22:23], v[6:7], v[4:5] neg_lo:[0,1] neg_hi:[0,1]
	v_mov_b32_e32 v20, v27
	v_mov_b32_e32 v11, v22
	v_pk_add_f32 v[30:31], v[26:27], v[10:11] neg_lo:[0,1] neg_hi:[0,1]
	v_mov_b32_e32 v26, v5
	v_mov_b32_e32 v27, v22
	;; [unrolled: 1-line block ×3, first 2 shown]
	v_pk_add_f32 v[20:21], v[20:21], v[26:27] neg_lo:[0,1] neg_hi:[0,1]
	v_mov_b32_e32 v22, v25
	v_mov_b32_e32 v23, v4
	v_pk_add_f32 v[4:5], v[22:23], v[20:21] neg_lo:[0,1] neg_hi:[0,1]
	v_mov_b32_e32 v30, v28
	v_pk_add_f32 v[20:21], v[30:31], v[4:5]
	s_nop 0
	v_mov_b32_e32 v22, v21
	v_pk_add_f32 v[22:23], v[20:21], v[22:23]
	s_nop 0
	v_pk_add_f32 v[24:25], v[6:7], v[22:23]
	v_mov_b32_e32 v5, v22
	v_mov_b32_e32 v21, v24
	v_pk_add_f32 v[26:27], v[20:21], v[28:29] neg_lo:[0,1] neg_hi:[0,1]
	s_nop 0
	v_sub_f32_e32 v6, v20, v26
	v_pk_add_f32 v[4:5], v[4:5], v[26:27] neg_lo:[0,1] neg_hi:[0,1]
	v_sub_f32_e32 v6, v28, v6
	v_add_f32_e32 v4, v4, v6
	v_add_f32_e32 v4, v4, v5
	;; [unrolled: 1-line block ×3, first 2 shown]
	v_cndmask_b32_e32 v84, v4, v32, vcc
.LBB13_56:                              ;   in Loop: Header=BB13_12 Depth=1
	s_or_b64 exec, exec, s[36:37]
	v_and_b32_e32 v4, 0xffff0000, v7
	v_add_f32_e32 v19, s33, v4
	v_cmp_ge_f32_e32 vcc, s38, v19
	s_and_b64 s[2:3], s[76:77], vcc
	s_and_saveexec_b64 s[36:37], s[2:3]
	s_cbranch_execz .LBB13_58
; %bb.57:                               ;   in Loop: Header=BB13_12 Depth=1
	v_mul_f32_e32 v4, 0x3fb8aa3b, v19
	v_rndne_f32_e32 v5, v4
	v_sub_f32_e32 v6, v4, v5
	v_fma_f32 v4, v19, s39, -v4
	v_fmac_f32_e32 v4, 0x32a5705f, v19
	v_add_f32_e32 v4, v6, v4
	v_cvt_i32_f32_e32 v5, v5
	v_exp_f32_e32 v4, v4
	v_cmp_ngt_f32_e32 vcc, s40, v19
	v_ldexp_f32 v4, v4, v5
	s_nop 0
	v_cndmask_b32_e32 v4, 0, v4, vcc
	v_cmp_nlt_f32_e32 vcc, s41, v19
	s_nop 1
	v_cndmask_b32_e32 v32, v74, v4, vcc
	v_add_f32_e32 v6, 1.0, v32
	v_add_f32_e32 v4, -1.0, v6
	v_sub_f32_e32 v5, v4, v6
	v_add_f32_e32 v5, 1.0, v5
	v_sub_f32_e32 v4, v32, v4
	v_add_f32_e32 v7, v4, v5
	v_frexp_mant_f32_e32 v11, v6
	v_cvt_f64_f32_e32 v[4:5], v6
	v_frexp_exp_i32_f64_e32 v4, v[4:5]
	v_cmp_gt_f32_e32 vcc, s43, v11
	v_cmp_gt_f32_e64 s[2:3], s45, v32
	s_nop 0
	v_subbrev_co_u32_e32 v11, vcc, 0, v4, vcc
	v_sub_u32_e32 v4, 0, v11
	v_ldexp_f32 v5, v6, v4
	v_add_f32_e32 v6, -1.0, v5
	v_add_f32_e32 v19, 1.0, v5
	v_ldexp_f32 v4, v7, v4
	v_add_f32_e32 v7, 1.0, v6
	v_add_f32_e32 v20, -1.0, v19
	v_sub_f32_e32 v7, v5, v7
	v_sub_f32_e32 v5, v5, v20
	v_add_f32_e32 v7, v4, v7
	v_add_f32_e32 v4, v4, v5
	;; [unrolled: 1-line block ×3, first 2 shown]
	v_rcp_f32_e32 v25, v24
	v_sub_f32_e32 v5, v19, v24
	v_add_f32_e32 v19, v4, v5
	v_add_f32_e32 v5, v6, v7
	v_mul_f32_e32 v27, v5, v25
	v_sub_f32_e32 v4, v6, v5
	v_mul_f32_e32 v6, v24, v27
	v_fma_f32 v20, v27, v24, -v6
	v_fmac_f32_e32 v20, v27, v19
	v_add_f32_e32 v26, v7, v4
	v_add_f32_e32 v4, v6, v20
	v_sub_f32_e32 v7, v5, v4
	v_pk_add_f32 v[22:23], v[4:5], v[6:7] neg_lo:[0,1] neg_hi:[0,1]
	v_mov_b32_e32 v21, v4
	v_pk_add_f32 v[4:5], v[22:23], v[20:21] neg_lo:[0,1] neg_hi:[0,1]
	v_cmp_eq_f32_e32 vcc, s42, v32
	v_add_f32_e32 v5, v26, v5
	v_add_f32_e32 v4, v4, v5
	;; [unrolled: 1-line block ×3, first 2 shown]
	v_mul_f32_e32 v26, v25, v5
	v_mul_f32_e32 v6, v24, v26
	v_fma_f32 v20, v26, v24, -v6
	v_fmac_f32_e32 v20, v26, v19
	v_sub_f32_e32 v7, v7, v5
	v_add_f32_e32 v19, v4, v7
	v_add_f32_e32 v4, v6, v20
	v_sub_f32_e32 v7, v5, v4
	v_pk_add_f32 v[22:23], v[4:5], v[6:7] neg_lo:[0,1] neg_hi:[0,1]
	v_mov_b32_e32 v21, v4
	v_pk_add_f32 v[4:5], v[22:23], v[20:21] neg_lo:[0,1] neg_hi:[0,1]
	s_or_b64 vcc, s[2:3], vcc
	v_add_f32_e32 v5, v19, v5
	v_add_f32_e32 v4, v4, v5
	;; [unrolled: 1-line block ×4, first 2 shown]
	v_sub_f32_e32 v6, v5, v27
	v_mul_f32_e32 v4, v25, v4
	v_sub_f32_e32 v6, v26, v6
	v_add_f32_e32 v6, v6, v4
	v_add_f32_e32 v20, v5, v6
	v_mul_f32_e32 v21, v20, v20
	v_fmamk_f32 v4, v21, 0x3e9b6dac, v73
	v_fmaak_f32 v19, v21, v4, 0x3f2aaada
	v_cvt_f32_i32_e32 v4, v11
	v_sub_f32_e32 v5, v20, v5
	v_sub_f32_e32 v5, v6, v5
	v_ldexp_f32 v11, v5, 1
	v_mul_f32_e32 v5, v20, v21
	v_ldexp_f32 v7, v20, 1
	v_pk_mul_f32 v[20:21], v[4:5], v[18:19]
	s_nop 0
	v_fma_f32 v6, v4, s44, -v20
	v_fmac_f32_e32 v6, 0xb102e308, v4
	v_pk_add_f32 v[4:5], v[20:21], v[6:7]
	v_mov_b32_e32 v22, v20
	v_sub_f32_e32 v7, v5, v7
	v_sub_f32_e32 v7, v21, v7
	v_add_f32_e32 v23, v11, v7
	v_pk_add_f32 v[20:21], v[4:5], v[20:21] neg_lo:[0,1] neg_hi:[0,1]
	v_pk_add_f32 v[24:25], v[4:5], v[22:23]
	v_mov_b32_e32 v7, v4
	v_mov_b32_e32 v21, v25
	v_pk_add_f32 v[26:27], v[6:7], v[20:21] neg_lo:[0,1] neg_hi:[0,1]
	v_pk_add_f32 v[6:7], v[6:7], v[20:21]
	v_mov_b32_e32 v22, v23
	v_mov_b32_e32 v20, v7
	v_pk_add_f32 v[28:29], v[20:21], v[4:5] neg_lo:[0,1] neg_hi:[0,1]
	v_mov_b32_e32 v6, v25
	v_mov_b32_e32 v11, v28
	v_pk_add_f32 v[30:31], v[24:25], v[10:11] neg_lo:[0,1] neg_hi:[0,1]
	v_mov_b32_e32 v24, v5
	v_mov_b32_e32 v25, v28
	;; [unrolled: 1-line block ×3, first 2 shown]
	v_pk_add_f32 v[6:7], v[6:7], v[24:25] neg_lo:[0,1] neg_hi:[0,1]
	v_mov_b32_e32 v23, v4
	v_pk_add_f32 v[4:5], v[22:23], v[6:7] neg_lo:[0,1] neg_hi:[0,1]
	v_mov_b32_e32 v30, v26
	v_pk_add_f32 v[6:7], v[30:31], v[4:5]
	s_nop 0
	v_mov_b32_e32 v22, v7
	v_pk_add_f32 v[22:23], v[6:7], v[22:23]
	s_nop 0
	v_pk_add_f32 v[20:21], v[20:21], v[22:23]
	v_mov_b32_e32 v5, v22
	v_mov_b32_e32 v7, v20
	v_pk_add_f32 v[24:25], v[6:7], v[26:27] neg_lo:[0,1] neg_hi:[0,1]
	s_nop 0
	v_sub_f32_e32 v6, v6, v24
	v_pk_add_f32 v[4:5], v[4:5], v[24:25] neg_lo:[0,1] neg_hi:[0,1]
	v_sub_f32_e32 v6, v26, v6
	v_add_f32_e32 v4, v4, v6
	v_add_f32_e32 v4, v4, v5
	;; [unrolled: 1-line block ×3, first 2 shown]
	v_cndmask_b32_e32 v19, v4, v32, vcc
.LBB13_58:                              ;   in Loop: Header=BB13_12 Depth=1
	s_or_b64 exec, exec, s[36:37]
	v_readlane_b32 s2, v95, 0
	v_lshlrev_b32_e32 v4, 16, v3
	v_and_b32_e32 v7, 0xffff0000, v3
	v_and_b32_e32 v3, 0xffff0000, v2
	v_lshlrev_b32_e32 v2, 16, v2
	v_and_b32_e32 v5, 0xffff0000, v1
	v_lshlrev_b32_e32 v1, 16, v1
	;; [unrolled: 2-line block ×3, first 2 shown]
	v_readlane_b32 s3, v95, 1
	v_mul_f32_e32 v20, s94, v4
	v_mul_f32_e32 v23, s94, v3
	;; [unrolled: 1-line block ×8, first 2 shown]
	s_and_b64 vcc, exec, s[2:3]
	s_waitcnt lgkmcnt(0)
	; wave barrier
	s_cbranch_vccz .LBB13_119
; %bb.59:                               ;   in Loop: Header=BB13_12 Depth=1
	v_mul_f32_e32 v92, v78, v0
	scratch_load_dword v0, off, off         ; 4-byte Folded Reload
	s_cmp_lg_u32 s99, 0
	v_readlane_b32 s36, v95, 5
	s_cselect_b64 s[2:3], -1, 0
	s_cmp_eq_u32 s99, s36
	s_cselect_b64 s[82:83], -1, 0
	v_readlane_b32 s90, v95, 2
	s_mov_b32 s74, 0
	v_readlane_b32 s91, v95, 3
	v_mul_f32_e32 v85, v19, v7
	v_lshl_add_u64 v[28:29], s[58:59], 0, v[8:9]
	v_lshl_add_u64 v[30:31], s[62:63], 0, v[8:9]
	v_mul_f32_e32 v86, v84, v4
	v_mul_f32_e32 v87, v83, v3
	;; [unrolled: 1-line block ×6, first 2 shown]
	s_mov_b32 s84, s74
	s_mov_b32 s86, s74
	;; [unrolled: 1-line block ×4, first 2 shown]
	v_readlane_b32 s78, v95, 6
	s_waitcnt vmcnt(0)
	v_cmp_gt_u32_e32 vcc, s50, v0
	scratch_load_dword v0, off, off offset:4 ; 4-byte Folded Reload
	s_or_b64 s[36:37], s[80:81], vcc
	s_waitcnt vmcnt(0)
	v_cmp_gt_u32_e32 vcc, s50, v0
	scratch_load_dword v0, off, off offset:8 ; 4-byte Folded Reload
	s_or_b64 s[38:39], s[80:81], vcc
	;; [unrolled: 4-line block ×7, first 2 shown]
	s_waitcnt vmcnt(0)
	v_cmp_gt_u32_e32 vcc, s50, v0
	s_or_b64 s[50:51], s[80:81], vcc
	s_branch .LBB13_61
.LBB13_60:                              ;   in Loop: Header=BB13_61 Depth=2
	s_or_b64 exec, exec, s[90:91]
	v_mul_f32_e32 v33, v93, v72
	v_fma_f32 v11, v93, v11, v4
	v_cndmask_b32_e64 v4, v11, v4, s[16:17]
	v_cndmask_b32_e64 v11, v33, v93, s[16:17]
	s_waitcnt lgkmcnt(0)
	v_fmac_f32_e32 v4, v32, v11
	v_fmac_f32_e32 v5, v4, v94
	;; [unrolled: 1-line block ×8, first 2 shown]
	v_and_b32_e32 v33, 0xffff0000, v0
	v_and_b32_e32 v35, 0xffff0000, v1
	v_lshlrev_b32_e32 v32, 16, v0
	v_lshlrev_b32_e32 v34, 16, v1
	v_and_b32_e32 v1, 0xffff0000, v2
	v_and_b32_e32 v41, 0xffff0000, v3
	v_lshlrev_b32_e32 v0, 16, v2
	v_lshlrev_b32_e32 v40, 16, v3
	s_add_i32 s78, s78, 8
	s_add_i32 s71, s71, -1
	s_add_i32 s88, s88, s95
	s_add_i32 s86, s86, s64
	;; [unrolled: 1-line block ×4, first 2 shown]
	v_pk_fma_f32 v[24:25], v[36:37], v[34:35], v[24:25]
	v_pk_fma_f32 v[26:27], v[4:5], v[32:33], v[26:27]
	;; [unrolled: 1-line block ×3, first 2 shown]
	s_cmp_eq_u32 s71, 0
	v_pk_fma_f32 v[22:23], v[6:7], v[0:1], v[22:23]
	s_cbranch_scc1 .LBB13_118
.LBB13_61:                              ;   Parent Loop BB13_12 Depth=1
                                        ; =>  This Inner Loop Header: Depth=2
	s_lshl_b64 s[90:91], s[74:75], 2
	s_add_u32 s90, s56, s90
	s_addc_u32 s91, s96, s91
	global_load_dword v32, v9, s[90:91]
	s_mov_b32 s85, s75
	v_lshl_add_u64 v[0:1], s[84:85], 1, v[28:29]
	v_mov_b32_e32 v2, 0
	v_mov_b32_e32 v3, 0
	s_and_saveexec_b64 s[90:91], s[18:19]
	s_cbranch_execz .LBB13_63
; %bb.62:                               ;   in Loop: Header=BB13_61 Depth=2
	global_load_ushort v3, v[0:1], off
.LBB13_63:                              ;   in Loop: Header=BB13_61 Depth=2
	s_or_b64 exec, exec, s[90:91]
	s_and_saveexec_b64 s[90:91], s[20:21]
	s_cbranch_execz .LBB13_65
; %bb.64:                               ;   in Loop: Header=BB13_61 Depth=2
	global_load_ushort v2, v[0:1], off offset:128
.LBB13_65:                              ;   in Loop: Header=BB13_61 Depth=2
	s_or_b64 exec, exec, s[90:91]
	v_mov_b32_e32 v4, 0
	v_mov_b32_e32 v5, 0
	s_and_saveexec_b64 s[90:91], s[22:23]
	s_cbranch_execz .LBB13_67
; %bb.66:                               ;   in Loop: Header=BB13_61 Depth=2
	global_load_ushort v5, v[0:1], off offset:256
.LBB13_67:                              ;   in Loop: Header=BB13_61 Depth=2
	s_or_b64 exec, exec, s[90:91]
	s_and_saveexec_b64 s[90:91], s[24:25]
	s_cbranch_execz .LBB13_69
; %bb.68:                               ;   in Loop: Header=BB13_61 Depth=2
	global_load_ushort v4, v[0:1], off offset:384
.LBB13_69:                              ;   in Loop: Header=BB13_61 Depth=2
	s_or_b64 exec, exec, s[90:91]
	v_mov_b32_e32 v6, 0
	v_mov_b32_e32 v7, 0
	s_and_saveexec_b64 s[90:91], s[26:27]
	s_cbranch_execz .LBB13_71
; %bb.70:                               ;   in Loop: Header=BB13_61 Depth=2
	global_load_ushort v7, v[0:1], off offset:512
.LBB13_71:                              ;   in Loop: Header=BB13_61 Depth=2
	;; [unrolled: 14-line block ×3, first 2 shown]
	s_or_b64 exec, exec, s[90:91]
	s_and_saveexec_b64 s[90:91], s[34:35]
	s_cbranch_execz .LBB13_77
; %bb.76:                               ;   in Loop: Header=BB13_61 Depth=2
	global_load_ushort v11, v[0:1], off offset:896
.LBB13_77:                              ;   in Loop: Header=BB13_61 Depth=2
	s_or_b64 exec, exec, s[90:91]
	s_waitcnt vmcnt(0)
	ds_write_b16 v49, v3
	ds_write_b16 v50, v2 offset:128
	ds_write_b16 v51, v5 offset:256
	;; [unrolled: 1-line block ×7, first 2 shown]
	; wave barrier
	ds_read_b128 v[4:7], v57
	s_mov_b32 s87, s75
	v_lshl_add_u64 v[0:1], s[86:87], 1, v[30:31]
	v_mov_b32_e32 v2, 0
	v_mov_b32_e32 v3, 0
	s_and_saveexec_b64 s[90:91], s[18:19]
	s_cbranch_execz .LBB13_79
; %bb.78:                               ;   in Loop: Header=BB13_61 Depth=2
	global_load_ushort v3, v[0:1], off
.LBB13_79:                              ;   in Loop: Header=BB13_61 Depth=2
	s_or_b64 exec, exec, s[90:91]
	s_and_saveexec_b64 s[90:91], s[20:21]
	s_cbranch_execz .LBB13_81
; %bb.80:                               ;   in Loop: Header=BB13_61 Depth=2
	global_load_ushort v2, v[0:1], off offset:128
.LBB13_81:                              ;   in Loop: Header=BB13_61 Depth=2
	s_or_b64 exec, exec, s[90:91]
	v_mov_b32_e32 v11, 0
	v_mov_b32_e32 v33, 0
	s_and_saveexec_b64 s[90:91], s[22:23]
	s_cbranch_execz .LBB13_83
; %bb.82:                               ;   in Loop: Header=BB13_61 Depth=2
	global_load_ushort v33, v[0:1], off offset:256
.LBB13_83:                              ;   in Loop: Header=BB13_61 Depth=2
	s_or_b64 exec, exec, s[90:91]
	s_and_saveexec_b64 s[90:91], s[24:25]
	s_cbranch_execz .LBB13_85
; %bb.84:                               ;   in Loop: Header=BB13_61 Depth=2
	global_load_ushort v11, v[0:1], off offset:384
.LBB13_85:                              ;   in Loop: Header=BB13_61 Depth=2
	s_or_b64 exec, exec, s[90:91]
	v_mov_b32_e32 v34, 0
	v_mov_b32_e32 v35, 0
	s_and_saveexec_b64 s[90:91], s[26:27]
	s_cbranch_execz .LBB13_87
; %bb.86:                               ;   in Loop: Header=BB13_61 Depth=2
	global_load_ushort v35, v[0:1], off offset:512
.LBB13_87:                              ;   in Loop: Header=BB13_61 Depth=2
	s_or_b64 exec, exec, s[90:91]
	s_and_saveexec_b64 s[90:91], s[28:29]
	s_cbranch_execz .LBB13_89
; %bb.88:                               ;   in Loop: Header=BB13_61 Depth=2
	global_load_ushort v34, v[0:1], off offset:640
.LBB13_89:                              ;   in Loop: Header=BB13_61 Depth=2
	s_or_b64 exec, exec, s[90:91]
	v_mov_b32_e32 v36, 0
	v_mov_b32_e32 v37, 0
	s_and_saveexec_b64 s[90:91], s[30:31]
	s_cbranch_execz .LBB13_91
; %bb.90:                               ;   in Loop: Header=BB13_61 Depth=2
	global_load_ushort v37, v[0:1], off offset:768
.LBB13_91:                              ;   in Loop: Header=BB13_61 Depth=2
	s_or_b64 exec, exec, s[90:91]
	s_and_saveexec_b64 s[90:91], s[34:35]
	s_cbranch_execz .LBB13_93
; %bb.92:                               ;   in Loop: Header=BB13_61 Depth=2
	global_load_ushort v36, v[0:1], off offset:896
.LBB13_93:                              ;   in Loop: Header=BB13_61 Depth=2
	s_or_b64 exec, exec, s[90:91]
	s_waitcnt vmcnt(0)
	ds_write_b16 v49, v3 offset:1056
	ds_write_b16 v58, v2 offset:128
	;; [unrolled: 1-line block ×8, first 2 shown]
	; wave barrier
	ds_read_b128 v[0:3], v57 offset:1056
	s_andn2_b64 vcc, exec, s[2:3]
	s_cbranch_vccnz .LBB13_95
; %bb.94:                               ;   in Loop: Header=BB13_61 Depth=2
	v_mov_b32_e32 v11, s78
	ds_read_b64 v[34:35], v11
	s_waitcnt lgkmcnt(0)
	v_mov_b32_e32 v33, v35
	s_cbranch_execz .LBB13_96
	s_branch .LBB13_99
.LBB13_95:                              ;   in Loop: Header=BB13_61 Depth=2
                                        ; implicit-def: $vgpr34
                                        ; implicit-def: $vgpr33
.LBB13_96:                              ;   in Loop: Header=BB13_61 Depth=2
	s_andn2_b64 vcc, exec, s[54:55]
	v_mov_b32_e32 v33, 0
	s_cbranch_vccnz .LBB13_98
; %bb.97:                               ;   in Loop: Header=BB13_61 Depth=2
	s_mov_b32 s89, s75
	s_lshl_b64 s[90:91], s[88:89], 1
	s_add_u32 s90, s61, s90
	s_addc_u32 s91, s65, s91
	global_load_ushort v11, v9, s[90:91]
	s_waitcnt vmcnt(0)
	v_lshlrev_b32_e32 v33, 16, v11
.LBB13_98:                              ;   in Loop: Header=BB13_61 Depth=2
	v_mov_b32_e32 v34, 1.0
.LBB13_99:                              ;   in Loop: Header=BB13_61 Depth=2
	v_mul_f32_e32 v32, 0x3fb8aa3b, v32
	s_waitcnt lgkmcnt(9)
	v_lshlrev_b32_e32 v11, 16, v4
	v_and_b32_e32 v35, 0xffff0000, v4
	v_mul_f32_e32 v4, v32, v78
	v_cmp_gt_f32_e32 vcc, s72, v4
	v_lshlrev_b32_e32 v38, 16, v6
	v_and_b32_e32 v39, 0xffff0000, v6
	v_cndmask_b32_e32 v4, 0, v75, vcc
	v_mul_f32_e32 v6, v32, v79
	v_lshlrev_b32_e32 v36, 16, v5
	v_and_b32_e32 v37, 0xffff0000, v5
	v_fmac_f32_e32 v4, v32, v78
	v_cndmask_b32_e32 v5, 1.0, v76, vcc
	v_cmp_gt_f32_e32 vcc, s72, v6
	v_exp_f32_e32 v4, v4
	v_lshlrev_b32_e32 v40, 16, v7
	v_cndmask_b32_e32 v6, 0, v75, vcc
	v_fmac_f32_e32 v6, v32, v79
	v_exp_f32_e32 v6, v6
	v_and_b32_e32 v41, 0xffff0000, v7
	v_mul_f32_e32 v5, v4, v5
	v_mul_f32_e32 v7, v32, v80
	v_cndmask_b32_e64 v93, 1.0, v5, s[36:37]
	v_cndmask_b32_e32 v5, 1.0, v76, vcc
	v_cmp_gt_f32_e32 vcc, s72, v7
	v_mul_f32_e32 v4, v92, v11
	v_mul_f32_e32 v6, v6, v5
	v_cndmask_b32_e32 v7, 0, v75, vcc
	v_mul_f32_e32 v11, v32, v81
	v_fmac_f32_e32 v7, v32, v80
	v_cndmask_b32_e64 v94, 1.0, v6, s[38:39]
	v_cndmask_b32_e32 v6, 1.0, v76, vcc
	v_cmp_gt_f32_e32 vcc, s72, v11
	v_exp_f32_e32 v7, v7
	v_mul_f32_e32 v5, v91, v35
	v_cndmask_b32_e32 v11, 0, v75, vcc
	v_fmac_f32_e32 v11, v32, v81
	v_exp_f32_e32 v11, v11
	v_mul_f32_e32 v6, v7, v6
	v_cndmask_b32_e64 v66, 1.0, v6, s[40:41]
	v_cndmask_b32_e32 v6, 1.0, v76, vcc
	v_mul_f32_e32 v6, v11, v6
	v_mul_f32_e32 v11, v32, v82
	v_cmp_gt_f32_e32 vcc, s72, v11
	v_mul_f32_e32 v7, v90, v36
	v_cndmask_b32_e64 v36, 0, v7, s[40:41]
	v_cndmask_b32_e32 v11, 0, v75, vcc
	v_fmac_f32_e32 v11, v32, v82
	v_exp_f32_e32 v11, v11
	v_mul_f32_e32 v7, v89, v37
	v_cndmask_b32_e64 v67, 1.0, v6, s[42:43]
	v_cndmask_b32_e32 v6, 1.0, v76, vcc
	v_cndmask_b32_e64 v37, 0, v7, s[42:43]
	v_mul_f32_e32 v7, v11, v6
	v_mul_f32_e32 v11, v32, v83
	v_cmp_gt_f32_e32 vcc, s72, v11
	v_mul_f32_e32 v35, v32, v84
	v_cndmask_b32_e64 v68, 1.0, v7, s[44:45]
	v_cndmask_b32_e32 v11, 0, v75, vcc
	v_fmac_f32_e32 v11, v32, v83
	v_exp_f32_e32 v11, v11
	v_cndmask_b32_e32 v7, 1.0, v76, vcc
	v_cmp_gt_f32_e32 vcc, s72, v35
	v_mul_f32_e32 v6, v88, v38
	v_mul_f32_e32 v11, v11, v7
	v_cndmask_b32_e32 v35, 0, v75, vcc
	v_mul_f32_e32 v38, v32, v19
	v_fmac_f32_e32 v35, v32, v84
	v_cndmask_b32_e64 v69, 1.0, v11, s[46:47]
	v_cndmask_b32_e32 v11, 1.0, v76, vcc
	v_cmp_gt_f32_e32 vcc, s72, v38
	v_exp_f32_e32 v35, v35
	v_cndmask_b32_e64 v4, 0, v4, s[36:37]
	v_cndmask_b32_e32 v38, 0, v75, vcc
	v_fmac_f32_e32 v38, v32, v19
	v_exp_f32_e32 v32, v38
	v_mul_f32_e32 v11, v35, v11
	v_cndmask_b32_e64 v70, 1.0, v11, s[48:49]
	v_cndmask_b32_e32 v11, 1.0, v76, vcc
	v_cndmask_b32_e64 v5, 0, v5, s[38:39]
	v_mul_f32_e32 v11, v32, v11
	v_mul_f32_e32 v32, v85, v41
	;; [unrolled: 1-line block ×3, first 2 shown]
	v_cndmask_b32_e64 v39, 0, v32, s[50:51]
	v_cndmask_b32_e64 v71, 1.0, v11, s[50:51]
	v_mul_f32_e32 v11, v94, v93
	v_fma_f32 v32, v94, v4, v5
	v_mul_f32_e32 v11, v11, v66
	v_fma_f32 v32, v32, v66, v36
	v_cndmask_b32_e64 v6, 0, v6, s[44:45]
	v_mul_f32_e32 v11, v11, v67
	v_fma_f32 v32, v32, v67, v37
	v_cndmask_b32_e64 v7, 0, v7, s[46:47]
	v_mul_f32_e32 v35, v86, v40
	v_mul_f32_e32 v11, v11, v68
	v_fma_f32 v32, v32, v68, v6
	v_cndmask_b32_e64 v38, 0, v35, s[48:49]
	v_mul_f32_e32 v11, v11, v69
	v_fma_f32 v32, v32, v69, v7
	v_mul_f32_e32 v11, v11, v70
	v_fma_f32 v32, v32, v70, v38
	v_mul_f32_e32 v35, v11, v71
	v_fma_f32 v32, v32, v71, v39
	s_nop 0
	v_mov_b32_dpp v40, v35 row_shr:1 row_mask:0xf bank_mask:0xf
	v_mov_b32_dpp v11, v32 row_shr:1 row_mask:0xf bank_mask:0xf
	s_and_saveexec_b64 s[90:91], s[0:1]
; %bb.100:                              ;   in Loop: Header=BB13_61 Depth=2
	v_mul_f32_e32 v40, v35, v40
	v_fmac_f32_e32 v32, v35, v11
	v_mov_b32_e32 v35, v40
; %bb.101:                              ;   in Loop: Header=BB13_61 Depth=2
	s_or_b64 exec, exec, s[90:91]
	s_nop 0
	v_mov_b32_dpp v11, v35 row_shr:2 row_mask:0xf bank_mask:0xf
	v_mov_b32_dpp v40, v32 row_shr:2 row_mask:0xf bank_mask:0xf
	s_and_saveexec_b64 s[90:91], s[52:53]
; %bb.102:                              ;   in Loop: Header=BB13_61 Depth=2
	v_fmac_f32_e32 v32, v35, v40
	v_mul_f32_e32 v35, v35, v11
; %bb.103:                              ;   in Loop: Header=BB13_61 Depth=2
	s_or_b64 exec, exec, s[90:91]
	s_nop 0
	v_mov_b32_dpp v11, v35 row_shr:4 row_mask:0xf bank_mask:0xf
	v_mov_b32_dpp v40, v32 row_shr:4 row_mask:0xf bank_mask:0xf
	s_and_saveexec_b64 s[90:91], s[4:5]
; %bb.104:                              ;   in Loop: Header=BB13_61 Depth=2
	v_fmac_f32_e32 v32, v35, v40
	v_mul_f32_e32 v35, v35, v11
	;; [unrolled: 9-line block ×3, first 2 shown]
; %bb.107:                              ;   in Loop: Header=BB13_61 Depth=2
	s_or_b64 exec, exec, s[90:91]
	s_nop 0
	v_mov_b32_dpp v11, v35 row_bcast:15 row_mask:0xf bank_mask:0xf
	v_mov_b32_dpp v40, v32 row_bcast:15 row_mask:0xf bank_mask:0xf
	s_and_saveexec_b64 s[90:91], s[8:9]
; %bb.108:                              ;   in Loop: Header=BB13_61 Depth=2
	v_fmac_f32_e32 v32, v35, v40
	v_mul_f32_e32 v35, v35, v11
; %bb.109:                              ;   in Loop: Header=BB13_61 Depth=2
	s_or_b64 exec, exec, s[90:91]
	s_nop 0
	v_mov_b32_dpp v11, v35 row_bcast:31 row_mask:0xf bank_mask:0xf
	v_mov_b32_dpp v40, v32 row_bcast:31 row_mask:0xf bank_mask:0xf
	v_mov_b32_e32 v41, v32
	v_mul_f32_e32 v11, v35, v11
	v_fmac_f32_e32 v41, v35, v40
	v_cndmask_b32_e64 v40, v35, v11, s[10:11]
	v_cndmask_b32_e64 v41, v32, v41, s[10:11]
	s_and_saveexec_b64 s[90:91], s[12:13]
	s_cbranch_execz .LBB13_111
; %bb.110:                              ;   in Loop: Header=BB13_61 Depth=2
	ds_write_b64 v9, v[40:41] offset:2112
.LBB13_111:                             ;   in Loop: Header=BB13_61 Depth=2
	s_or_b64 exec, exec, s[90:91]
	ds_bpermute_b32 v72, v65, v40
	ds_bpermute_b32 v11, v65, v41
	s_waitcnt lgkmcnt(0)
	; wave barrier
	s_waitcnt lgkmcnt(0)
	s_and_saveexec_b64 s[90:91], s[14:15]
	s_cbranch_execz .LBB13_115
; %bb.112:                              ;   in Loop: Header=BB13_61 Depth=2
	ds_read_b64 v[40:41], v9 offset:2112
	s_and_saveexec_b64 s[92:93], s[16:17]
	s_cbranch_execz .LBB13_114
; %bb.113:                              ;   in Loop: Header=BB13_61 Depth=2
	v_mov_b32_e32 v35, v33
	ds_write_b64 v9, v[34:35] offset:2112
.LBB13_114:                             ;   in Loop: Header=BB13_61 Depth=2
	s_or_b64 exec, exec, s[92:93]
	s_waitcnt lgkmcnt(0)
	v_mul_f32_e32 v35, v40, v33
	v_pk_add_f32 v[32:33], v[34:35], v[40:41]
	v_mul_f32_e32 v34, v34, v40
.LBB13_115:                             ;   in Loop: Header=BB13_61 Depth=2
	s_or_b64 exec, exec, s[90:91]
	s_waitcnt lgkmcnt(0)
	; wave barrier
	ds_read_b32 v32, v9 offset:2116
	s_and_saveexec_b64 s[90:91], s[16:17]
	s_cbranch_execz .LBB13_60
; %bb.116:                              ;   in Loop: Header=BB13_61 Depth=2
	v_mov_b32_e32 v35, v33
	v_mov_b32_e32 v40, s78
	s_andn2_b64 vcc, exec, s[82:83]
	ds_write_b64 v40, v[34:35]
	s_cbranch_vccnz .LBB13_60
; %bb.117:                              ;   in Loop: Header=BB13_61 Depth=2
	v_bfe_u32 v34, v33, 16, 1
	s_mov_b32 s89, s75
	v_add3_u32 v34, v33, v34, s73
	s_lshl_b64 s[92:93], s[88:89], 1
	v_lshrrev_b32_e32 v34, 16, v34
	v_cmp_o_f32_e32 vcc, v33, v33
	s_add_u32 s92, s61, s92
	s_addc_u32 s93, s65, s93
	v_cndmask_b32_e32 v33, v77, v34, vcc
	global_store_short v9, v33, s[92:93]
	s_branch .LBB13_60
.LBB13_118:                             ;   in Loop: Header=BB13_12 Depth=1
	s_mov_b32 s38, 0x41a00000
	s_mov_b32 s39, 0x3fb8aa3b
	;; [unrolled: 1-line block ×8, first 2 shown]
.LBB13_119:                             ;   in Loop: Header=BB13_12 Depth=1
	v_bfe_u32 v0, v26, 16, 1
	v_bfe_u32 v1, v27, 16, 1
	v_add3_u32 v0, v26, v0, s73
	v_bfe_u32 v2, v24, 16, 1
	v_add3_u32 v1, v27, v1, s73
	v_lshrrev_b32_e32 v0, 16, v0
	v_cmp_o_f32_e32 vcc, v26, v26
	v_bfe_u32 v3, v25, 16, 1
	v_add3_u32 v2, v24, v2, s73
	v_lshrrev_b32_e32 v1, 16, v1
	v_cndmask_b32_e32 v0, v77, v0, vcc
	v_cmp_o_f32_e32 vcc, v27, v27
	v_add3_u32 v3, v25, v3, s73
	v_lshrrev_b32_e32 v2, 16, v2
	v_cndmask_b32_e32 v4, v77, v1, vcc
	v_cmp_o_f32_e32 vcc, v24, v24
	v_lshrrev_b32_e32 v3, 16, v3
	v_bfe_u32 v6, v20, 16, 1
	v_cndmask_b32_e32 v1, v77, v2, vcc
	v_cmp_o_f32_e32 vcc, v25, v25
	v_bfe_u32 v2, v22, 16, 1
	v_add3_u32 v2, v22, v2, s73
	v_cndmask_b32_e32 v5, v77, v3, vcc
	v_bfe_u32 v3, v23, 16, 1
	v_add3_u32 v3, v23, v3, s73
	v_lshrrev_b32_e32 v2, 16, v2
	v_cmp_o_f32_e32 vcc, v22, v22
	v_bfe_u32 v7, v21, 16, 1
	v_add3_u32 v6, v20, v6, s73
	v_lshrrev_b32_e32 v3, 16, v3
	v_cndmask_b32_e32 v2, v77, v2, vcc
	v_cmp_o_f32_e32 vcc, v23, v23
	v_add3_u32 v7, v21, v7, s73
	v_lshrrev_b32_e32 v6, 16, v6
	v_cndmask_b32_e32 v11, v77, v3, vcc
	v_cmp_o_f32_e32 vcc, v20, v20
	v_lshrrev_b32_e32 v7, 16, v7
	s_mov_b32 s2, 0x5040100
	v_cndmask_b32_e32 v3, v77, v6, vcc
	v_cmp_o_f32_e32 vcc, v21, v21
	v_perm_b32 v2, v11, v2, s2
	v_perm_b32 v1, v5, v1, s2
	v_cndmask_b32_e32 v6, v77, v7, vcc
	v_perm_b32 v3, v6, v3, s2
	v_perm_b32 v0, v4, v0, s2
	s_waitcnt lgkmcnt(0)
	; wave barrier
	ds_write_b128 v57, v[0:3]
	; wave barrier
	ds_read_u16 v11, v50 offset:128
	ds_read_u16 v7, v51 offset:256
	;; [unrolled: 1-line block ×7, first 2 shown]
	s_mov_b32 s71, s75
	v_lshl_add_u64 v[0:1], s[70:71], 1, v[12:13]
	s_and_saveexec_b64 s[2:3], s[18:19]
	s_cbranch_execnz .LBB13_154
; %bb.120:                              ;   in Loop: Header=BB13_12 Depth=1
	s_or_b64 exec, exec, s[2:3]
	s_and_saveexec_b64 s[2:3], s[20:21]
	s_cbranch_execnz .LBB13_155
.LBB13_121:                             ;   in Loop: Header=BB13_12 Depth=1
	s_or_b64 exec, exec, s[2:3]
	s_and_saveexec_b64 s[2:3], s[22:23]
	s_cbranch_execnz .LBB13_156
.LBB13_122:                             ;   in Loop: Header=BB13_12 Depth=1
	s_or_b64 exec, exec, s[2:3]
	s_and_saveexec_b64 s[2:3], s[24:25]
	s_cbranch_execnz .LBB13_157
.LBB13_123:                             ;   in Loop: Header=BB13_12 Depth=1
	s_or_b64 exec, exec, s[2:3]
	s_and_saveexec_b64 s[2:3], s[26:27]
	s_cbranch_execnz .LBB13_158
.LBB13_124:                             ;   in Loop: Header=BB13_12 Depth=1
	s_or_b64 exec, exec, s[2:3]
	s_and_saveexec_b64 s[2:3], s[28:29]
	s_cbranch_execnz .LBB13_159
.LBB13_125:                             ;   in Loop: Header=BB13_12 Depth=1
	s_or_b64 exec, exec, s[2:3]
	s_and_saveexec_b64 s[2:3], s[30:31]
	s_cbranch_execnz .LBB13_160
.LBB13_126:                             ;   in Loop: Header=BB13_12 Depth=1
	s_or_b64 exec, exec, s[2:3]
	s_and_saveexec_b64 s[2:3], s[34:35]
	s_cbranch_execz .LBB13_128
.LBB13_127:                             ;   in Loop: Header=BB13_12 Depth=1
	s_waitcnt lgkmcnt(0)
	global_store_short v[0:1], v2, off offset:896
.LBB13_128:                             ;   in Loop: Header=BB13_12 Depth=1
	s_or_b64 exec, exec, s[2:3]
	v_lshl_add_u64 v[0:1], s[70:71], 1, v[14:15]
	s_waitcnt lgkmcnt(0)
	v_mov_b32_e32 v2, 0
	v_mov_b32_e32 v3, 0
	s_waitcnt lgkmcnt(0)
	; wave barrier
	s_and_saveexec_b64 s[2:3], s[18:19]
	s_cbranch_execz .LBB13_130
; %bb.129:                              ;   in Loop: Header=BB13_12 Depth=1
	global_load_ushort v3, v[0:1], off
.LBB13_130:                             ;   in Loop: Header=BB13_12 Depth=1
	s_or_b64 exec, exec, s[2:3]
	s_and_saveexec_b64 s[2:3], s[20:21]
	s_cbranch_execz .LBB13_132
; %bb.131:                              ;   in Loop: Header=BB13_12 Depth=1
	global_load_ushort v2, v[0:1], off offset:128
.LBB13_132:                             ;   in Loop: Header=BB13_12 Depth=1
	s_or_b64 exec, exec, s[2:3]
	v_mov_b32_e32 v4, 0
	v_mov_b32_e32 v5, 0
	s_and_saveexec_b64 s[2:3], s[22:23]
	s_cbranch_execz .LBB13_134
; %bb.133:                              ;   in Loop: Header=BB13_12 Depth=1
	global_load_ushort v5, v[0:1], off offset:256
.LBB13_134:                             ;   in Loop: Header=BB13_12 Depth=1
	s_or_b64 exec, exec, s[2:3]
	s_and_saveexec_b64 s[2:3], s[24:25]
	s_cbranch_execz .LBB13_136
; %bb.135:                              ;   in Loop: Header=BB13_12 Depth=1
	global_load_ushort v4, v[0:1], off offset:384
.LBB13_136:                             ;   in Loop: Header=BB13_12 Depth=1
	s_or_b64 exec, exec, s[2:3]
	v_mov_b32_e32 v6, 0
	v_mov_b32_e32 v7, 0
	s_and_saveexec_b64 s[2:3], s[26:27]
	s_cbranch_execz .LBB13_138
; %bb.137:                              ;   in Loop: Header=BB13_12 Depth=1
	global_load_ushort v7, v[0:1], off offset:512
.LBB13_138:                             ;   in Loop: Header=BB13_12 Depth=1
	s_or_b64 exec, exec, s[2:3]
	s_and_saveexec_b64 s[2:3], s[28:29]
	s_cbranch_execz .LBB13_140
; %bb.139:                              ;   in Loop: Header=BB13_12 Depth=1
	global_load_ushort v6, v[0:1], off offset:640
.LBB13_140:                             ;   in Loop: Header=BB13_12 Depth=1
	s_or_b64 exec, exec, s[2:3]
	v_mov_b32_e32 v11, 0
	v_mov_b32_e32 v19, 0
	s_and_saveexec_b64 s[2:3], s[30:31]
	s_cbranch_execz .LBB13_142
; %bb.141:                              ;   in Loop: Header=BB13_12 Depth=1
	global_load_ushort v19, v[0:1], off offset:768
.LBB13_142:                             ;   in Loop: Header=BB13_12 Depth=1
	s_or_b64 exec, exec, s[2:3]
	s_and_saveexec_b64 s[2:3], s[34:35]
	s_cbranch_execz .LBB13_144
; %bb.143:                              ;   in Loop: Header=BB13_12 Depth=1
	global_load_ushort v11, v[0:1], off offset:896
.LBB13_144:                             ;   in Loop: Header=BB13_12 Depth=1
	s_or_b64 exec, exec, s[2:3]
	s_waitcnt vmcnt(0)
	ds_write_b16 v49, v3
	ds_write_b16 v50, v2 offset:128
	ds_write_b16 v51, v5 offset:256
	;; [unrolled: 1-line block ×7, first 2 shown]
	; wave barrier
	ds_read_b128 v[0:3], v57
	s_waitcnt lgkmcnt(0)
	; wave barrier
	s_waitcnt lgkmcnt(0)
	v_and_b32_e32 v6, 0xffff0000, v1
	v_mul_f32_e32 v4, 0xbfb8aa3b, v6
	v_fma_f32 v5, v6, s79, -v4
	v_rndne_f32_e32 v7, v4
	v_fmac_f32_e32 v5, 0xb2a5705f, v6
	v_sub_f32_e32 v4, v4, v7
	v_add_f32_e32 v4, v4, v5
	v_exp_f32_e32 v4, v4
	v_cvt_i32_f32_e32 v5, v7
	v_and_b32_e32 v7, 0xffff0000, v0
	v_lshlrev_b32_e32 v19, 16, v1
	v_mul_f32_e32 v1, 0xbfb8aa3b, v7
	v_lshlrev_b32_e32 v11, 16, v0
	v_ldexp_f32 v0, v4, v5
	v_fma_f32 v4, v7, s79, -v1
	v_rndne_f32_e32 v5, v1
	v_fmac_f32_e32 v4, 0xb2a5705f, v7
	v_sub_f32_e32 v1, v1, v5
	v_add_f32_e32 v1, v1, v4
	v_exp_f32_e32 v4, v1
	v_cvt_i32_f32_e32 v5, v5
	v_cmp_nlt_f32_e32 vcc, s97, v6
	s_nop 1
	v_cndmask_b32_e32 v0, 0, v0, vcc
	v_cmp_ngt_f32_e32 vcc, s98, v6
	s_nop 1
	v_cndmask_b32_e32 v1, v74, v0, vcc
	v_ldexp_f32 v0, v4, v5
	v_mul_f32_e32 v4, 0xbfb8aa3b, v19
	v_rndne_f32_e32 v5, v4
	v_sub_f32_e32 v28, v4, v5
	v_fma_f32 v4, v19, s79, -v4
	v_fmac_f32_e32 v4, 0xb2a5705f, v19
	v_add_f32_e32 v4, v28, v4
	v_exp_f32_e32 v4, v4
	v_cvt_i32_f32_e32 v28, v5
	v_cmp_nlt_f32_e32 vcc, s97, v7
	s_nop 1
	v_cndmask_b32_e32 v0, 0, v0, vcc
	v_cmp_ngt_f32_e32 vcc, s98, v7
	s_nop 1
	v_cndmask_b32_e32 v5, v74, v0, vcc
	v_ldexp_f32 v0, v4, v28
	v_mul_f32_e32 v4, 0xbfb8aa3b, v11
	v_rndne_f32_e32 v28, v4
	v_sub_f32_e32 v29, v4, v28
	v_fma_f32 v4, v11, s79, -v4
	v_fmac_f32_e32 v4, 0xb2a5705f, v11
	v_add_f32_e32 v4, v29, v4
	v_exp_f32_e32 v4, v4
	v_cvt_i32_f32_e32 v28, v28
	v_cmp_nlt_f32_e32 vcc, s97, v19
	v_ldexp_f32 v4, v4, v28
	s_nop 0
	v_cndmask_b32_e32 v0, 0, v0, vcc
	v_cmp_ngt_f32_e32 vcc, s98, v19
	s_nop 1
	v_cndmask_b32_e32 v0, v74, v0, vcc
	v_pk_add_f32 v[0:1], v[0:1], 1.0 op_sel_hi:[1,0]
	v_cmp_nlt_f32_e32 vcc, s97, v11
	v_div_scale_f32 v28, s[2:3], v1, v1, v6
	v_rcp_f32_e32 v29, v28
	v_cndmask_b32_e32 v4, 0, v4, vcc
	v_cmp_ngt_f32_e32 vcc, s98, v11
	v_fma_f32 v30, -v28, v29, 1.0
	s_nop 0
	v_cndmask_b32_e32 v4, v74, v4, vcc
	v_fmac_f32_e32 v29, v30, v29
	v_div_scale_f32 v30, vcc, v6, v1, v6
	v_mul_f32_e32 v31, v30, v29
	v_fma_f32 v32, -v28, v31, v30
	v_fmac_f32_e32 v31, v32, v29
	v_fma_f32 v28, -v28, v31, v30
	v_div_scale_f32 v30, s[2:3], v0, v0, v19
	v_rcp_f32_e32 v32, v30
	v_div_fmas_f32 v28, v28, v29, v31
	v_div_fixup_f32 v1, v28, v1, v6
	v_pk_add_f32 v[4:5], v[4:5], 1.0 op_sel_hi:[1,0]
	v_fma_f32 v6, -v30, v32, 1.0
	v_fmac_f32_e32 v32, v6, v32
	v_div_scale_f32 v6, vcc, v19, v0, v19
	v_mul_f32_e32 v28, v6, v32
	v_fma_f32 v29, -v30, v28, v6
	v_fmac_f32_e32 v28, v29, v32
	v_div_scale_f32 v29, s[2:3], v5, v5, v7
	v_fma_f32 v6, -v30, v28, v6
	v_rcp_f32_e32 v30, v29
	v_div_fmas_f32 v6, v6, v32, v28
	v_div_fixup_f32 v0, v6, v0, v19
	v_fma_f32 v6, -v29, v30, 1.0
	v_fmac_f32_e32 v30, v6, v30
	v_div_scale_f32 v6, vcc, v7, v5, v7
	v_mul_f32_e32 v19, v6, v30
	v_fma_f32 v28, -v29, v19, v6
	v_fmac_f32_e32 v19, v28, v30
	v_div_scale_f32 v28, s[2:3], v4, v4, v11
	v_fma_f32 v6, -v29, v19, v6
	v_rcp_f32_e32 v29, v28
	v_div_fmas_f32 v6, v6, v30, v19
	v_div_fixup_f32 v5, v6, v5, v7
	v_fma_f32 v6, -v28, v29, 1.0
	v_fmac_f32_e32 v29, v6, v29
	v_div_scale_f32 v6, vcc, v11, v4, v11
	v_mul_f32_e32 v7, v6, v29
	v_fma_f32 v19, -v28, v7, v6
	v_fmac_f32_e32 v7, v19, v29
	v_fma_f32 v6, -v28, v7, v6
	v_div_fmas_f32 v6, v6, v29, v7
	v_div_fixup_f32 v4, v6, v4, v11
	v_pk_mul_f32 v[4:5], v[26:27], v[4:5]
	v_pk_mul_f32 v[6:7], v[24:25], v[0:1]
	v_bfe_u32 v0, v4, 16, 1
	v_bfe_u32 v1, v5, 16, 1
	v_add3_u32 v0, v4, v0, s73
	v_bfe_u32 v11, v6, 16, 1
	v_add3_u32 v1, v5, v1, s73
	v_lshrrev_b32_e32 v0, 16, v0
	v_cmp_o_f32_e32 vcc, v4, v4
	v_add3_u32 v11, v6, v11, s73
	v_lshrrev_b32_e32 v1, 16, v1
	v_cndmask_b32_e32 v0, v77, v0, vcc
	v_cmp_o_f32_e32 vcc, v5, v5
	v_bfe_u32 v19, v7, 16, 1
	v_lshrrev_b32_e32 v11, 16, v11
	v_cndmask_b32_e32 v1, v77, v1, vcc
	v_cmp_o_f32_e32 vcc, v6, v6
	v_add3_u32 v19, v7, v19, s73
	v_lshrrev_b32_e32 v19, 16, v19
	v_cndmask_b32_e32 v6, v77, v11, vcc
	v_and_b32_e32 v11, 0xffff0000, v3
	v_cmp_o_f32_e32 vcc, v7, v7
	v_mul_f32_e32 v4, 0xbfb8aa3b, v11
	v_fma_f32 v5, v11, s79, -v4
	v_cndmask_b32_e32 v7, v77, v19, vcc
	v_rndne_f32_e32 v19, v4
	v_fmac_f32_e32 v5, 0xb2a5705f, v11
	v_sub_f32_e32 v4, v4, v19
	v_add_f32_e32 v4, v4, v5
	v_exp_f32_e32 v4, v4
	v_cvt_i32_f32_e32 v5, v19
	v_and_b32_e32 v19, 0xffff0000, v2
	v_lshlrev_b32_e32 v25, 16, v3
	v_mul_f32_e32 v3, 0xbfb8aa3b, v19
	v_lshlrev_b32_e32 v24, 16, v2
	v_ldexp_f32 v2, v4, v5
	v_fma_f32 v4, v19, s79, -v3
	v_rndne_f32_e32 v5, v3
	v_fmac_f32_e32 v4, 0xb2a5705f, v19
	v_sub_f32_e32 v3, v3, v5
	v_add_f32_e32 v3, v3, v4
	v_exp_f32_e32 v4, v3
	v_cvt_i32_f32_e32 v5, v5
	v_cmp_nlt_f32_e32 vcc, s97, v11
	s_nop 1
	v_cndmask_b32_e32 v2, 0, v2, vcc
	v_cmp_ngt_f32_e32 vcc, s98, v11
	s_nop 1
	v_cndmask_b32_e32 v3, v74, v2, vcc
	v_ldexp_f32 v2, v4, v5
	v_mul_f32_e32 v4, 0xbfb8aa3b, v25
	v_rndne_f32_e32 v5, v4
	v_sub_f32_e32 v26, v4, v5
	v_fma_f32 v4, v25, s79, -v4
	v_fmac_f32_e32 v4, 0xb2a5705f, v25
	v_add_f32_e32 v4, v26, v4
	v_exp_f32_e32 v4, v4
	v_cvt_i32_f32_e32 v26, v5
	v_cmp_nlt_f32_e32 vcc, s97, v19
	s_nop 1
	v_cndmask_b32_e32 v2, 0, v2, vcc
	v_cmp_ngt_f32_e32 vcc, s98, v19
	s_nop 1
	v_cndmask_b32_e32 v5, v74, v2, vcc
	v_ldexp_f32 v2, v4, v26
	v_mul_f32_e32 v4, 0xbfb8aa3b, v24
	v_rndne_f32_e32 v26, v4
	v_sub_f32_e32 v27, v4, v26
	v_fma_f32 v4, v24, s79, -v4
	v_fmac_f32_e32 v4, 0xb2a5705f, v24
	v_add_f32_e32 v4, v27, v4
	v_exp_f32_e32 v4, v4
	v_cvt_i32_f32_e32 v26, v26
	v_cmp_nlt_f32_e32 vcc, s97, v25
	v_ldexp_f32 v4, v4, v26
	s_nop 0
	v_cndmask_b32_e32 v2, 0, v2, vcc
	v_cmp_ngt_f32_e32 vcc, s98, v25
	s_nop 1
	v_cndmask_b32_e32 v2, v74, v2, vcc
	v_pk_add_f32 v[2:3], v[2:3], 1.0 op_sel_hi:[1,0]
	v_cmp_nlt_f32_e32 vcc, s97, v24
	v_div_scale_f32 v26, s[2:3], v3, v3, v11
	v_rcp_f32_e32 v27, v26
	v_cndmask_b32_e32 v4, 0, v4, vcc
	v_cmp_ngt_f32_e32 vcc, s98, v24
	v_fma_f32 v28, -v26, v27, 1.0
	s_nop 0
	v_cndmask_b32_e32 v4, v74, v4, vcc
	v_fmac_f32_e32 v27, v28, v27
	v_div_scale_f32 v28, vcc, v11, v3, v11
	v_mul_f32_e32 v29, v28, v27
	v_fma_f32 v30, -v26, v29, v28
	v_fmac_f32_e32 v29, v30, v27
	v_fma_f32 v26, -v26, v29, v28
	v_div_scale_f32 v28, s[2:3], v2, v2, v25
	v_rcp_f32_e32 v30, v28
	v_div_fmas_f32 v26, v26, v27, v29
	v_div_fixup_f32 v3, v26, v3, v11
	v_pk_add_f32 v[4:5], v[4:5], 1.0 op_sel_hi:[1,0]
	v_fma_f32 v11, -v28, v30, 1.0
	v_fmac_f32_e32 v30, v11, v30
	v_div_scale_f32 v11, vcc, v25, v2, v25
	v_mul_f32_e32 v26, v11, v30
	v_fma_f32 v27, -v28, v26, v11
	v_fmac_f32_e32 v26, v27, v30
	v_div_scale_f32 v27, s[2:3], v5, v5, v19
	v_fma_f32 v11, -v28, v26, v11
	v_rcp_f32_e32 v28, v27
	v_div_fmas_f32 v11, v11, v30, v26
	v_div_fixup_f32 v2, v11, v2, v25
	v_pk_mul_f32 v[2:3], v[20:21], v[2:3]
	v_fma_f32 v11, -v27, v28, 1.0
	v_fmac_f32_e32 v28, v11, v28
	v_div_scale_f32 v11, vcc, v19, v5, v19
	v_mul_f32_e32 v25, v11, v28
	v_fma_f32 v26, -v27, v25, v11
	v_fmac_f32_e32 v25, v26, v28
	v_div_scale_f32 v26, s[2:3], v4, v4, v24
	v_fma_f32 v11, -v27, v25, v11
	v_rcp_f32_e32 v27, v26
	v_div_fmas_f32 v11, v11, v28, v25
	v_div_fixup_f32 v5, v11, v5, v19
	v_bfe_u32 v20, v2, 16, 1
	v_fma_f32 v11, -v26, v27, 1.0
	v_fmac_f32_e32 v27, v11, v27
	v_div_scale_f32 v11, vcc, v24, v4, v24
	v_mul_f32_e32 v19, v11, v27
	v_fma_f32 v25, -v26, v19, v11
	v_fmac_f32_e32 v19, v25, v27
	v_fma_f32 v11, -v26, v19, v11
	v_div_fmas_f32 v11, v11, v27, v19
	v_div_fixup_f32 v4, v11, v4, v24
	v_pk_mul_f32 v[4:5], v[22:23], v[4:5]
	v_bfe_u32 v21, v3, 16, 1
	v_bfe_u32 v11, v4, 16, 1
	;; [unrolled: 1-line block ×3, first 2 shown]
	v_add3_u32 v11, v4, v11, s73
	v_add3_u32 v19, v5, v19, s73
	v_lshrrev_b32_e32 v11, 16, v11
	v_cmp_o_f32_e32 vcc, v4, v4
	v_add3_u32 v20, v2, v20, s73
	v_lshrrev_b32_e32 v19, 16, v19
	v_cndmask_b32_e32 v4, v77, v11, vcc
	v_cmp_o_f32_e32 vcc, v5, v5
	v_add3_u32 v21, v3, v21, s73
	v_lshrrev_b32_e32 v20, 16, v20
	v_cndmask_b32_e32 v11, v77, v19, vcc
	v_cmp_o_f32_e32 vcc, v2, v2
	v_lshrrev_b32_e32 v21, 16, v21
	s_mov_b32 s2, 0x5040100
	v_cndmask_b32_e32 v2, v77, v20, vcc
	v_cmp_o_f32_e32 vcc, v3, v3
	v_perm_b32 v4, v11, v4, s2
	s_nop 0
	v_cndmask_b32_e32 v3, v77, v21, vcc
	v_perm_b32 v5, v3, v2, s2
	v_perm_b32 v3, v7, v6, s2
	;; [unrolled: 1-line block ×3, first 2 shown]
	ds_write_b128 v57, v[2:5]
	; wave barrier
	ds_read_u16 v11, v50 offset:128
	ds_read_u16 v7, v51 offset:256
	ds_read_u16 v6, v52 offset:384
	ds_read_u16 v5, v53 offset:512
	ds_read_u16 v4, v54 offset:640
	ds_read_u16 v3, v55 offset:768
	ds_read_u16 v2, v56 offset:896
	v_lshl_add_u64 v[0:1], s[70:71], 1, v[16:17]
	s_and_saveexec_b64 s[2:3], s[18:19]
	s_cbranch_execnz .LBB13_161
; %bb.145:                              ;   in Loop: Header=BB13_12 Depth=1
	s_or_b64 exec, exec, s[2:3]
	s_and_saveexec_b64 s[2:3], s[20:21]
	s_cbranch_execnz .LBB13_162
.LBB13_146:                             ;   in Loop: Header=BB13_12 Depth=1
	s_or_b64 exec, exec, s[2:3]
	s_and_saveexec_b64 s[2:3], s[22:23]
	s_cbranch_execnz .LBB13_163
.LBB13_147:                             ;   in Loop: Header=BB13_12 Depth=1
	s_or_b64 exec, exec, s[2:3]
	s_and_saveexec_b64 s[2:3], s[24:25]
	s_cbranch_execnz .LBB13_164
.LBB13_148:                             ;   in Loop: Header=BB13_12 Depth=1
	s_or_b64 exec, exec, s[2:3]
	s_and_saveexec_b64 s[2:3], s[26:27]
	s_cbranch_execnz .LBB13_165
.LBB13_149:                             ;   in Loop: Header=BB13_12 Depth=1
	s_or_b64 exec, exec, s[2:3]
	s_and_saveexec_b64 s[2:3], s[28:29]
	s_cbranch_execnz .LBB13_166
.LBB13_150:                             ;   in Loop: Header=BB13_12 Depth=1
	s_or_b64 exec, exec, s[2:3]
	s_and_saveexec_b64 s[2:3], s[30:31]
	s_cbranch_execnz .LBB13_167
.LBB13_151:                             ;   in Loop: Header=BB13_12 Depth=1
	s_or_b64 exec, exec, s[2:3]
	s_and_saveexec_b64 s[2:3], s[34:35]
	s_cbranch_execz .LBB13_11
	s_branch .LBB13_168
.LBB13_152:                             ;   in Loop: Header=BB13_12 Depth=1
	global_load_ushort v22, v[4:5], off offset:640
	s_or_b64 exec, exec, s[2:3]
	s_and_saveexec_b64 s[2:3], s[30:31]
	s_cbranch_execz .LBB13_40
.LBB13_153:                             ;   in Loop: Header=BB13_12 Depth=1
	global_load_ushort v21, v[4:5], off offset:768
	s_or_b64 exec, exec, s[2:3]
	v_mov_b32_e32 v23, 0
	s_and_saveexec_b64 s[2:3], s[34:35]
	s_cbranch_execnz .LBB13_41
	s_branch .LBB13_42
.LBB13_154:                             ;   in Loop: Header=BB13_12 Depth=1
	ds_read_u16 v19, v49
	s_waitcnt lgkmcnt(0)
	global_store_short v[0:1], v19, off
	s_or_b64 exec, exec, s[2:3]
	s_and_saveexec_b64 s[2:3], s[20:21]
	s_cbranch_execz .LBB13_121
.LBB13_155:                             ;   in Loop: Header=BB13_12 Depth=1
	s_waitcnt lgkmcnt(6)
	global_store_short v[0:1], v11, off offset:128
	s_or_b64 exec, exec, s[2:3]
	s_and_saveexec_b64 s[2:3], s[22:23]
	s_cbranch_execz .LBB13_122
.LBB13_156:                             ;   in Loop: Header=BB13_12 Depth=1
	s_waitcnt lgkmcnt(5)
	global_store_short v[0:1], v7, off offset:256
	s_or_b64 exec, exec, s[2:3]
	s_and_saveexec_b64 s[2:3], s[24:25]
	s_cbranch_execz .LBB13_123
.LBB13_157:                             ;   in Loop: Header=BB13_12 Depth=1
	s_waitcnt lgkmcnt(4)
	global_store_short v[0:1], v6, off offset:384
	s_or_b64 exec, exec, s[2:3]
	s_and_saveexec_b64 s[2:3], s[26:27]
	s_cbranch_execz .LBB13_124
.LBB13_158:                             ;   in Loop: Header=BB13_12 Depth=1
	s_waitcnt lgkmcnt(3)
	global_store_short v[0:1], v5, off offset:512
	s_or_b64 exec, exec, s[2:3]
	s_and_saveexec_b64 s[2:3], s[28:29]
	s_cbranch_execz .LBB13_125
.LBB13_159:                             ;   in Loop: Header=BB13_12 Depth=1
	s_waitcnt lgkmcnt(2)
	global_store_short v[0:1], v4, off offset:640
	s_or_b64 exec, exec, s[2:3]
	s_and_saveexec_b64 s[2:3], s[30:31]
	s_cbranch_execz .LBB13_126
.LBB13_160:                             ;   in Loop: Header=BB13_12 Depth=1
	s_waitcnt lgkmcnt(1)
	global_store_short v[0:1], v3, off offset:768
	s_or_b64 exec, exec, s[2:3]
	s_and_saveexec_b64 s[2:3], s[34:35]
	s_cbranch_execnz .LBB13_127
	s_branch .LBB13_128
.LBB13_161:                             ;   in Loop: Header=BB13_12 Depth=1
	ds_read_u16 v19, v49
	s_waitcnt lgkmcnt(0)
	global_store_short v[0:1], v19, off
	s_or_b64 exec, exec, s[2:3]
	s_and_saveexec_b64 s[2:3], s[20:21]
	s_cbranch_execz .LBB13_146
.LBB13_162:                             ;   in Loop: Header=BB13_12 Depth=1
	s_waitcnt lgkmcnt(6)
	global_store_short v[0:1], v11, off offset:128
	s_or_b64 exec, exec, s[2:3]
	s_and_saveexec_b64 s[2:3], s[22:23]
	s_cbranch_execz .LBB13_147
.LBB13_163:                             ;   in Loop: Header=BB13_12 Depth=1
	s_waitcnt lgkmcnt(5)
	global_store_short v[0:1], v7, off offset:256
	s_or_b64 exec, exec, s[2:3]
	s_and_saveexec_b64 s[2:3], s[24:25]
	s_cbranch_execz .LBB13_148
.LBB13_164:                             ;   in Loop: Header=BB13_12 Depth=1
	s_waitcnt lgkmcnt(4)
	global_store_short v[0:1], v6, off offset:384
	s_or_b64 exec, exec, s[2:3]
	s_and_saveexec_b64 s[2:3], s[26:27]
	s_cbranch_execz .LBB13_149
.LBB13_165:                             ;   in Loop: Header=BB13_12 Depth=1
	s_waitcnt lgkmcnt(3)
	global_store_short v[0:1], v5, off offset:512
	s_or_b64 exec, exec, s[2:3]
	s_and_saveexec_b64 s[2:3], s[28:29]
	s_cbranch_execz .LBB13_150
.LBB13_166:                             ;   in Loop: Header=BB13_12 Depth=1
	s_waitcnt lgkmcnt(2)
	global_store_short v[0:1], v4, off offset:640
	s_or_b64 exec, exec, s[2:3]
	s_and_saveexec_b64 s[2:3], s[30:31]
	s_cbranch_execz .LBB13_151
.LBB13_167:                             ;   in Loop: Header=BB13_12 Depth=1
	s_waitcnt lgkmcnt(1)
	global_store_short v[0:1], v3, off offset:768
	s_or_b64 exec, exec, s[2:3]
	s_and_saveexec_b64 s[2:3], s[34:35]
	s_cbranch_execz .LBB13_11
.LBB13_168:                             ;   in Loop: Header=BB13_12 Depth=1
	s_waitcnt lgkmcnt(0)
	global_store_short v[0:1], v2, off offset:896
	s_branch .LBB13_11
.LBB13_169:
	s_endpgm
	.section	.rodata,"a",@progbits
	.p2align	6, 0x0
	.amdhsa_kernel _Z25selective_scan_fwd_kernelI32Selective_Scan_fwd_kernel_traitsILi64ELi8ELi1ELb0ELb1ELb1ELb1ELb0EN3c108BFloat16EfS2_EEv13SSMParamsBase
		.amdhsa_group_segment_fixed_size 0
		.amdhsa_private_segment_fixed_size 36
		.amdhsa_kernarg_size 248
		.amdhsa_user_sgpr_count 2
		.amdhsa_user_sgpr_dispatch_ptr 0
		.amdhsa_user_sgpr_queue_ptr 0
		.amdhsa_user_sgpr_kernarg_segment_ptr 1
		.amdhsa_user_sgpr_dispatch_id 0
		.amdhsa_user_sgpr_kernarg_preload_length 0
		.amdhsa_user_sgpr_kernarg_preload_offset 0
		.amdhsa_user_sgpr_private_segment_size 0
		.amdhsa_uses_dynamic_stack 0
		.amdhsa_enable_private_segment 1
		.amdhsa_system_sgpr_workgroup_id_x 1
		.amdhsa_system_sgpr_workgroup_id_y 1
		.amdhsa_system_sgpr_workgroup_id_z 0
		.amdhsa_system_sgpr_workgroup_info 0
		.amdhsa_system_vgpr_workitem_id 0
		.amdhsa_next_free_vgpr 96
		.amdhsa_next_free_sgpr 100
		.amdhsa_accum_offset 96
		.amdhsa_reserve_vcc 1
		.amdhsa_float_round_mode_32 0
		.amdhsa_float_round_mode_16_64 0
		.amdhsa_float_denorm_mode_32 3
		.amdhsa_float_denorm_mode_16_64 3
		.amdhsa_dx10_clamp 1
		.amdhsa_ieee_mode 1
		.amdhsa_fp16_overflow 0
		.amdhsa_tg_split 0
		.amdhsa_exception_fp_ieee_invalid_op 0
		.amdhsa_exception_fp_denorm_src 0
		.amdhsa_exception_fp_ieee_div_zero 0
		.amdhsa_exception_fp_ieee_overflow 0
		.amdhsa_exception_fp_ieee_underflow 0
		.amdhsa_exception_fp_ieee_inexact 0
		.amdhsa_exception_int_div_zero 0
	.end_amdhsa_kernel
	.section	.text._Z25selective_scan_fwd_kernelI32Selective_Scan_fwd_kernel_traitsILi64ELi8ELi1ELb0ELb1ELb1ELb1ELb0EN3c108BFloat16EfS2_EEv13SSMParamsBase,"axG",@progbits,_Z25selective_scan_fwd_kernelI32Selective_Scan_fwd_kernel_traitsILi64ELi8ELi1ELb0ELb1ELb1ELb1ELb0EN3c108BFloat16EfS2_EEv13SSMParamsBase,comdat
.Lfunc_end13:
	.size	_Z25selective_scan_fwd_kernelI32Selective_Scan_fwd_kernel_traitsILi64ELi8ELi1ELb0ELb1ELb1ELb1ELb0EN3c108BFloat16EfS2_EEv13SSMParamsBase, .Lfunc_end13-_Z25selective_scan_fwd_kernelI32Selective_Scan_fwd_kernel_traitsILi64ELi8ELi1ELb0ELb1ELb1ELb1ELb0EN3c108BFloat16EfS2_EEv13SSMParamsBase
                                        ; -- End function
	.section	.AMDGPU.csdata,"",@progbits
; Kernel info:
; codeLenInByte = 12992
; NumSgprs: 106
; NumVgprs: 96
; NumAgprs: 0
; TotalNumVgprs: 96
; ScratchSize: 36
; MemoryBound: 0
; FloatMode: 240
; IeeeMode: 1
; LDSByteSize: 0 bytes/workgroup (compile time only)
; SGPRBlocks: 13
; VGPRBlocks: 11
; NumSGPRsForWavesPerEU: 106
; NumVGPRsForWavesPerEU: 96
; AccumOffset: 96
; Occupancy: 5
; WaveLimiterHint : 0
; COMPUTE_PGM_RSRC2:SCRATCH_EN: 1
; COMPUTE_PGM_RSRC2:USER_SGPR: 2
; COMPUTE_PGM_RSRC2:TRAP_HANDLER: 0
; COMPUTE_PGM_RSRC2:TGID_X_EN: 1
; COMPUTE_PGM_RSRC2:TGID_Y_EN: 1
; COMPUTE_PGM_RSRC2:TGID_Z_EN: 0
; COMPUTE_PGM_RSRC2:TIDIG_COMP_CNT: 0
; COMPUTE_PGM_RSRC3_GFX90A:ACCUM_OFFSET: 23
; COMPUTE_PGM_RSRC3_GFX90A:TG_SPLIT: 0
	.section	.text._Z25selective_scan_fwd_kernelI32Selective_Scan_fwd_kernel_traitsILi64ELi8ELi1ELb0ELb1ELb1ELb0ELb1EN3c108BFloat16EfS2_EEv13SSMParamsBase,"axG",@progbits,_Z25selective_scan_fwd_kernelI32Selective_Scan_fwd_kernel_traitsILi64ELi8ELi1ELb0ELb1ELb1ELb0ELb1EN3c108BFloat16EfS2_EEv13SSMParamsBase,comdat
	.protected	_Z25selective_scan_fwd_kernelI32Selective_Scan_fwd_kernel_traitsILi64ELi8ELi1ELb0ELb1ELb1ELb0ELb1EN3c108BFloat16EfS2_EEv13SSMParamsBase ; -- Begin function _Z25selective_scan_fwd_kernelI32Selective_Scan_fwd_kernel_traitsILi64ELi8ELi1ELb0ELb1ELb1ELb0ELb1EN3c108BFloat16EfS2_EEv13SSMParamsBase
	.globl	_Z25selective_scan_fwd_kernelI32Selective_Scan_fwd_kernel_traitsILi64ELi8ELi1ELb0ELb1ELb1ELb0ELb1EN3c108BFloat16EfS2_EEv13SSMParamsBase
	.p2align	8
	.type	_Z25selective_scan_fwd_kernelI32Selective_Scan_fwd_kernel_traitsILi64ELi8ELi1ELb0ELb1ELb1ELb0ELb1EN3c108BFloat16EfS2_EEv13SSMParamsBase,@function
_Z25selective_scan_fwd_kernelI32Selective_Scan_fwd_kernel_traitsILi64ELi8ELi1ELb0ELb1ELb1ELb0ELb1EN3c108BFloat16EfS2_EEv13SSMParamsBase: ; @_Z25selective_scan_fwd_kernelI32Selective_Scan_fwd_kernel_traitsILi64ELi8ELi1ELb0ELb1ELb1ELb0ELb1EN3c108BFloat16EfS2_EEv13SSMParamsBase
; %bb.0:
	s_load_dword s27, s[0:1], 0x18
	s_load_dwordx4 s[4:7], s[0:1], 0xe0
	s_load_dwordx2 s[10:11], s[0:1], 0xf0
	s_mov_b32 s20, s3
	s_ashr_i32 s3, s2, 31
	s_waitcnt lgkmcnt(0)
	s_abs_i32 s26, s27
	v_cvt_f32_u32_e32 v1, s26
	s_lshl_b64 s[8:9], s[2:3], 2
	s_add_u32 s24, s4, s8
	s_addc_u32 s25, s5, s9
	v_rcp_iflag_f32_e32 v1, v1
	s_cmp_eq_u64 s[10:11], 0
	v_mul_f32_e32 v1, 0x4f7ffffe, v1
	v_cvt_u32_f32_e32 v1, v1
	s_nop 0
	v_readfirstlane_b32 s28, v1
	s_cbranch_scc1 .LBB14_137
; %bb.1:
	s_add_u32 s4, s10, s2
	s_addc_u32 s5, s11, s3
	v_mov_b32_e32 v1, 0
	global_load_ubyte v1, v1, s[4:5]
	s_waitcnt vmcnt(0)
	v_and_b32_e32 v1, 1, v1
	v_cmp_eq_u32_e64 s[68:69], 1, v1
	s_load_dwordx2 s[4:5], s[0:1], 0x20
	s_cmp_eq_u64 s[6:7], 0
	s_cbranch_scc1 .LBB14_3
.LBB14_2:
	s_add_u32 s2, s6, s8
	s_addc_u32 s3, s7, s9
	s_load_dword s2, s[2:3], 0x0
	s_waitcnt lgkmcnt(0)
	s_ashr_i32 s3, s2, 31
.LBB14_3:
	s_waitcnt lgkmcnt(0)
	s_cmp_eq_u64 s[4:5], s[2:3]
	s_cbranch_scc1 .LBB14_136
; %bb.4:
	s_load_dwordx16 s[4:19], s[0:1], 0x88
	s_load_dwordx2 s[22:23], s[24:25], 0x0
	s_mov_b32 s33, 0
	s_mov_b32 s94, 0
	s_waitcnt lgkmcnt(0)
	s_cmp_eq_u64 s[10:11], 0
	s_cbranch_scc1 .LBB14_6
; %bb.5:
	s_ashr_i32 s21, s20, 31
	s_lshl_b64 s[24:25], s[20:21], 2
	s_add_u32 s10, s10, s24
	s_addc_u32 s11, s11, s25
	s_load_dword s94, s[10:11], 0x0
.LBB14_6:
	s_cmp_eq_u64 s[16:17], 0
	s_cbranch_scc1 .LBB14_8
; %bb.7:
	s_ashr_i32 s21, s20, 31
	s_lshl_b64 s[10:11], s[20:21], 2
	s_add_u32 s10, s16, s10
	s_addc_u32 s11, s17, s11
	s_load_dword s33, s[10:11], 0x0
.LBB14_8:
	s_sub_i32 s29, s23, s22
	s_cmp_lt_i32 s29, 1
	s_cbranch_scc1 .LBB14_136
; %bb.9:
	s_sub_i32 s3, 0, s26
	s_mul_i32 s3, s3, s28
	s_mul_hi_u32 s3, s28, s3
	s_abs_i32 s21, s20
	s_add_i32 s28, s28, s3
	s_load_dwordx8 s[52:59], s[0:1], 0x2c
	s_load_dwordx2 s[10:11], s[0:1], 0x5c
	s_load_dwordx4 s[60:63], s[0:1], 0x4c
	s_load_dwordx4 s[64:67], s[0:1], 0x7c
	s_load_dwordx2 s[24:25], s[0:1], 0x6c
	s_load_dwordx2 s[16:17], s[0:1], 0xc8
	s_mul_hi_u32 s3, s21, s28
	s_load_dword s28, s[0:1], 0xc
	s_load_dword s23, s[0:1], 0x28
	s_ashr_i32 s0, s20, 31
	s_ashr_i32 s1, s27, 31
	s_xor_b32 s0, s0, s1
	s_mul_i32 s1, s3, s26
	s_sub_i32 s1, s21, s1
	s_add_i32 s21, s3, 1
	s_sub_i32 s27, s1, s26
	s_cmp_ge_u32 s1, s26
	s_cselect_b32 s3, s21, s3
	s_cselect_b32 s1, s27, s1
	s_add_i32 s21, s3, 1
	s_cmp_ge_u32 s1, s26
	s_cselect_b32 s1, s21, s3
	s_xor_b32 s1, s1, s0
	s_waitcnt lgkmcnt(0)
	s_mul_i32 s70, s22, s62
	s_mov_b32 s71, 0
	s_sub_i32 s3, s1, s0
	s_lshl_b64 s[0:1], s[70:71], 1
	s_add_u32 s12, s12, s0
	s_mul_i32 s70, s63, s20
	s_addc_u32 s13, s13, s1
	s_lshl_b64 s[0:1], s[70:71], 1
	s_add_u32 s62, s12, s0
	s_mul_i32 s70, s22, s10
	s_addc_u32 s63, s13, s1
	;; [unrolled: 4-line block ×10, first 2 shown]
	s_lshl_b64 s[0:1], s[70:71], 1
	s_add_u32 s57, s2, s0
	v_mbcnt_lo_u32_b32 v1, -1, 0
	s_addc_u32 s61, s3, s1
	s_add_i32 s0, s29, 0x7ff
	v_mbcnt_hi_u32_b32 v10, -1, v1
	s_lshr_b32 s12, s0, 11
	v_lshrrev_b32_e32 v1, 5, v10
	v_and_b32_e32 v1, 2, v1
	s_bitcmp1_b32 s23, 0
	v_add_u32_e32 v38, 64, v10
	v_or_b32_e32 v39, 0x80, v10
	v_add_u32_e32 v40, 0xc0, v10
	v_or_b32_e32 v41, 0x100, v10
	;; [unrolled: 2-line block ×3, first 2 shown]
	v_add_u32_e32 v44, 0x1c0, v10
	v_add_u32_e32 v1, v1, v10
	s_cselect_b64 s[64:65], -1, 0
                                        ; implicit-def: $vgpr95 : SGPR spill to VGPR lane
	s_cmp_gt_i32 s28, 0
	v_lshl_add_u32 v45, v1, 1, 0
	v_lshrrev_b32_e32 v1, 5, v38
	v_lshrrev_b32_e32 v2, 5, v39
	;; [unrolled: 1-line block ×7, first 2 shown]
	v_writelane_b32 v95, s28, 0
	s_cselect_b64 s[0:1], -1, 0
	v_and_b32_e32 v1, 6, v1
	v_and_b32_e32 v2, 6, v2
	;; [unrolled: 1-line block ×7, first 2 shown]
	v_writelane_b32 v95, s0, 1
	v_add_lshl_u32 v1, v1, v10, 1
	v_add_lshl_u32 v2, v2, v10, 1
	;; [unrolled: 1-line block ×7, first 2 shown]
	v_writelane_b32 v95, s1, 2
	s_add_i32 s0, 0, 0x420
	v_add_u32_e32 v54, s0, v1
	v_add_u32_e32 v55, s0, v2
	;; [unrolled: 1-line block ×7, first 2 shown]
	s_and_b32 s0, s29, 0x1ff
	v_writelane_b32 v95, s29, 3
	s_cmp_eq_u32 s0, 0
	s_cselect_b64 s[76:77], -1, 0
	v_writelane_b32 v95, s12, 4
	s_add_i32 s12, s12, -1
	s_mul_i32 s70, s22, s24
	v_writelane_b32 v95, s12, 5
	s_lshl_b64 s[12:13], s[70:71], 1
	v_add_u32_e32 v46, 0, v1
	v_lshrrev_b32_e32 v8, 2, v10
	v_and_b32_e32 v1, 15, v10
	s_add_u32 s21, s18, s12
	s_mul_i32 s70, s25, s20
	v_and_b32_e32 v8, 30, v8
	v_cmp_ne_u32_e64 s[0:1], 0, v1
	v_cmp_lt_u32_e64 s[2:3], 1, v1
	v_cmp_lt_u32_e64 s[4:5], 3, v1
	;; [unrolled: 1-line block ×3, first 2 shown]
	v_and_b32_e32 v1, 16, v10
	s_addc_u32 s22, s19, s13
	s_lshl_b64 s[18:19], s[70:71], 1
	v_add_u32_e32 v47, 0, v2
	v_lshl_add_u32 v8, v10, 3, v8
	v_cmp_ne_u32_e64 s[8:9], 0, v1
	v_add_u32_e32 v1, -1, v10
	v_and_b32_e32 v2, 64, v10
	s_add_u32 s18, s21, s18
	v_mov_b32_e32 v9, 0
	v_lshl_add_u32 v53, v8, 1, 0
	v_cmp_lt_i32_e32 vcc, v1, v2
	s_addc_u32 s19, s22, s19
	v_lshlrev_b32_e32 v8, 1, v10
	v_lshlrev_b32_e32 v11, 3, v0
	v_cndmask_b32_e32 v1, v1, v10, vcc
	v_lshl_add_u64 v[12:13], s[18:19], 0, v[8:9]
	s_add_i32 s18, 0, 0x848
	v_add_u32_e32 v48, 0, v3
	v_add_u32_e32 v49, 0, v4
	;; [unrolled: 1-line block ×5, first 2 shown]
	v_cmp_lt_u32_e64 s[10:11], 31, v10
	v_cmp_eq_u32_e64 s[12:13], 63, v0
	v_lshlrev_b32_e32 v61, 2, v1
	v_cmp_gt_u32_e64 s[14:15], 64, v0
	v_cmp_eq_u32_e64 s[16:17], 0, v0
	v_or_b32_e32 v66, 5, v11
	v_or_b32_e32 v67, 6, v11
	;; [unrolled: 1-line block ×3, first 2 shown]
	v_lshlrev_b32_e32 v8, 1, v10
	s_mov_b32 s99, 0x41a00000
	s_mov_b32 s40, 0x3fb8aa3b
	;; [unrolled: 1-line block ×6, first 2 shown]
	v_mov_b32_e32 v69, 0x3ecc95a3
	s_mov_b32 s45, 0x3f317218
	s_mov_b32 s67, 0x33800000
	v_writelane_b32 v95, s18, 6
	s_mov_b32 s98, 0xc2fc0000
	s_movk_i32 s74, 0x7fff
	s_mov_b32 s75, 0x5040100
	v_mov_b32_e32 v70, 0x7f800000
	v_mov_b32_e32 v14, 0x3f317218
	;; [unrolled: 1-line block ×5, first 2 shown]
	s_mov_b32 s97, 0
                                        ; implicit-def: $vgpr0
	s_branch .LBB14_11
.LBB14_10:                              ;   in Loop: Header=BB14_11 Depth=1
	s_or_b64 exec, exec, s[18:19]
	s_add_u32 s72, s72, 0x400
	s_addc_u32 s73, s73, 0
	s_add_u32 s62, s62, 0x400
	s_addc_u32 s63, s63, 0
	s_add_u32 s54, s54, 0x400
	s_addc_u32 s55, s55, 0
	s_add_u32 s58, s58, 0x400
	s_addc_u32 s59, s59, 0
	s_add_i32 s97, s97, 1
	v_readlane_b32 s18, v95, 4
	s_cmp_eq_u32 s97, s18
	s_cbranch_scc1 .LBB14_136
.LBB14_11:                              ; =>This Loop Header: Depth=1
                                        ;     Child Loop BB14_60 Depth 2
	s_lshl_b32 s78, s97, 9
	v_readlane_b32 s18, v95, 3
	s_sub_i32 s50, s18, s78
	v_lshl_add_u64 v[0:1], s[62:63], 0, v[8:9]
	v_cmp_gt_u32_e64 s[18:19], s50, v10
	s_waitcnt lgkmcnt(0)
	v_mov_b32_e32 v2, 0
	s_waitcnt lgkmcnt(0)
	; wave barrier
	s_and_saveexec_b64 s[20:21], s[18:19]
	s_cbranch_execz .LBB14_13
; %bb.12:                               ;   in Loop: Header=BB14_11 Depth=1
	global_load_ushort v2, v[0:1], off
.LBB14_13:                              ;   in Loop: Header=BB14_11 Depth=1
	s_or_b64 exec, exec, s[20:21]
	v_cmp_gt_u32_e64 s[20:21], s50, v38
	v_mov_b32_e32 v3, 0
	v_mov_b32_e32 v4, 0
	s_and_saveexec_b64 s[22:23], s[20:21]
	s_cbranch_execz .LBB14_15
; %bb.14:                               ;   in Loop: Header=BB14_11 Depth=1
	global_load_ushort v4, v[0:1], off offset:128
.LBB14_15:                              ;   in Loop: Header=BB14_11 Depth=1
	s_or_b64 exec, exec, s[22:23]
	v_cmp_gt_u32_e64 s[22:23], s50, v39
	s_and_saveexec_b64 s[24:25], s[22:23]
	s_cbranch_execz .LBB14_17
; %bb.16:                               ;   in Loop: Header=BB14_11 Depth=1
	global_load_ushort v3, v[0:1], off offset:256
.LBB14_17:                              ;   in Loop: Header=BB14_11 Depth=1
	s_or_b64 exec, exec, s[24:25]
	v_cmp_gt_u32_e64 s[24:25], s50, v40
	v_mov_b32_e32 v5, 0
	v_mov_b32_e32 v7, 0
	s_and_saveexec_b64 s[26:27], s[24:25]
	s_cbranch_execz .LBB14_19
; %bb.18:                               ;   in Loop: Header=BB14_11 Depth=1
	global_load_ushort v7, v[0:1], off offset:384
.LBB14_19:                              ;   in Loop: Header=BB14_11 Depth=1
	s_or_b64 exec, exec, s[26:27]
	v_cmp_gt_u32_e64 s[26:27], s50, v41
	s_and_saveexec_b64 s[28:29], s[26:27]
	s_cbranch_execz .LBB14_21
; %bb.20:                               ;   in Loop: Header=BB14_11 Depth=1
	global_load_ushort v5, v[0:1], off offset:512
.LBB14_21:                              ;   in Loop: Header=BB14_11 Depth=1
	;; [unrolled: 16-line block ×3, first 2 shown]
	s_or_b64 exec, exec, s[34:35]
	v_cmp_gt_u32_e64 s[34:35], s50, v44
	v_mov_b32_e32 v6, 0
	v_mov_b32_e32 v17, 0
	s_and_saveexec_b64 s[36:37], s[34:35]
	s_cbranch_execz .LBB14_27
; %bb.26:                               ;   in Loop: Header=BB14_11 Depth=1
	global_load_ushort v17, v[0:1], off offset:896
.LBB14_27:                              ;   in Loop: Header=BB14_11 Depth=1
	s_or_b64 exec, exec, s[36:37]
	s_waitcnt vmcnt(0)
	ds_write_b16 v45, v2
	ds_write_b16 v46, v4 offset:128
	ds_write_b16 v47, v3 offset:256
	;; [unrolled: 1-line block ×7, first 2 shown]
	; wave barrier
	ds_read_b128 v[0:3], v53
	v_lshl_add_u64 v[4:5], s[72:73], 0, v[8:9]
	s_waitcnt lgkmcnt(0)
	; wave barrier
	s_waitcnt lgkmcnt(0)
	s_and_saveexec_b64 s[36:37], s[18:19]
	s_cbranch_execz .LBB14_29
; %bb.28:                               ;   in Loop: Header=BB14_11 Depth=1
	global_load_ushort v6, v[4:5], off
.LBB14_29:                              ;   in Loop: Header=BB14_11 Depth=1
	s_or_b64 exec, exec, s[36:37]
	v_mov_b32_e32 v7, 0
	v_mov_b32_e32 v15, 0
	s_and_saveexec_b64 s[36:37], s[20:21]
	s_cbranch_execz .LBB14_31
; %bb.30:                               ;   in Loop: Header=BB14_11 Depth=1
	global_load_ushort v15, v[4:5], off offset:128
.LBB14_31:                              ;   in Loop: Header=BB14_11 Depth=1
	s_or_b64 exec, exec, s[36:37]
	s_and_saveexec_b64 s[36:37], s[22:23]
	s_cbranch_execz .LBB14_33
; %bb.32:                               ;   in Loop: Header=BB14_11 Depth=1
	global_load_ushort v7, v[4:5], off offset:256
.LBB14_33:                              ;   in Loop: Header=BB14_11 Depth=1
	s_or_b64 exec, exec, s[36:37]
	v_mov_b32_e32 v16, 0
	v_mov_b32_e32 v17, 0
	s_and_saveexec_b64 s[36:37], s[24:25]
	s_cbranch_execz .LBB14_35
; %bb.34:                               ;   in Loop: Header=BB14_11 Depth=1
	global_load_ushort v17, v[4:5], off offset:384
.LBB14_35:                              ;   in Loop: Header=BB14_11 Depth=1
	s_or_b64 exec, exec, s[36:37]
	s_and_saveexec_b64 s[36:37], s[26:27]
	s_cbranch_execz .LBB14_37
; %bb.36:                               ;   in Loop: Header=BB14_11 Depth=1
	global_load_ushort v16, v[4:5], off offset:512
.LBB14_37:                              ;   in Loop: Header=BB14_11 Depth=1
	s_or_b64 exec, exec, s[36:37]
	v_mov_b32_e32 v18, 0
	v_mov_b32_e32 v19, 0
	s_and_saveexec_b64 s[36:37], s[28:29]
	s_cbranch_execnz .LBB14_126
; %bb.38:                               ;   in Loop: Header=BB14_11 Depth=1
	s_or_b64 exec, exec, s[36:37]
	s_and_saveexec_b64 s[36:37], s[30:31]
	s_cbranch_execnz .LBB14_127
.LBB14_39:                              ;   in Loop: Header=BB14_11 Depth=1
	s_or_b64 exec, exec, s[36:37]
	v_mov_b32_e32 v20, 0
	s_and_saveexec_b64 s[36:37], s[34:35]
	s_cbranch_execz .LBB14_41
.LBB14_40:                              ;   in Loop: Header=BB14_11 Depth=1
	global_load_ushort v20, v[4:5], off offset:896
.LBB14_41:                              ;   in Loop: Header=BB14_11 Depth=1
	s_or_b64 exec, exec, s[36:37]
	s_waitcnt vmcnt(0)
	ds_write_b16 v45, v6
	ds_write_b16 v46, v15 offset:128
	ds_write_b16 v47, v7 offset:256
	;; [unrolled: 1-line block ×7, first 2 shown]
	; wave barrier
	ds_read_b128 v[4:7], v53
	s_waitcnt lgkmcnt(0)
	v_lshlrev_b32_e32 v15, 16, v4
	v_add_f32_e32 v74, s33, v15
	v_cmp_ge_f32_e32 vcc, s99, v74
	s_and_b64 s[36:37], s[64:65], vcc
	s_and_saveexec_b64 s[38:39], s[36:37]
	s_cbranch_execz .LBB14_43
; %bb.42:                               ;   in Loop: Header=BB14_11 Depth=1
	v_mul_f32_e32 v15, 0x3fb8aa3b, v74
	v_rndne_f32_e32 v16, v15
	v_sub_f32_e32 v17, v15, v16
	v_fma_f32 v15, v74, s40, -v15
	v_fmac_f32_e32 v15, 0x32a5705f, v74
	v_add_f32_e32 v15, v17, v15
	v_cvt_i32_f32_e32 v16, v16
	v_exp_f32_e32 v15, v15
	v_cmp_ngt_f32_e32 vcc, s41, v74
	v_ldexp_f32 v15, v15, v16
	s_nop 0
	v_cndmask_b32_e32 v15, 0, v15, vcc
	v_cmp_nlt_f32_e32 vcc, s42, v74
	s_nop 1
	v_cndmask_b32_e32 v32, v70, v15, vcc
	v_add_f32_e32 v15, 1.0, v32
	v_add_f32_e32 v16, -1.0, v15
	v_sub_f32_e32 v17, v16, v15
	v_add_f32_e32 v17, 1.0, v17
	v_sub_f32_e32 v16, v32, v16
	v_add_f32_e32 v18, v16, v17
	v_frexp_mant_f32_e32 v19, v15
	v_cvt_f64_f32_e32 v[16:17], v15
	v_frexp_exp_i32_f64_e32 v16, v[16:17]
	v_cmp_gt_f32_e32 vcc, s44, v19
	v_cmp_gt_f32_e64 s[36:37], s67, v32
	s_nop 0
	v_subbrev_co_u32_e32 v24, vcc, 0, v16, vcc
	v_sub_u32_e32 v16, 0, v24
	v_ldexp_f32 v15, v15, v16
	v_ldexp_f32 v16, v18, v16
	v_add_f32_e32 v18, -1.0, v15
	v_add_f32_e32 v17, 1.0, v18
	v_sub_f32_e32 v17, v15, v17
	v_add_f32_e32 v19, v16, v17
	v_add_f32_e32 v17, 1.0, v15
	v_add_f32_e32 v20, -1.0, v17
	v_sub_f32_e32 v15, v15, v20
	v_add_f32_e32 v15, v16, v15
	v_add_f32_e32 v25, v17, v15
	v_rcp_f32_e32 v26, v25
	v_sub_f32_e32 v16, v17, v25
	v_add_f32_e32 v17, v18, v19
	v_add_f32_e32 v15, v15, v16
	v_mul_f32_e32 v28, v17, v26
	v_sub_f32_e32 v16, v18, v17
	v_mul_f32_e32 v18, v25, v28
	v_fma_f32 v20, v28, v25, -v18
	v_fmac_f32_e32 v20, v28, v15
	v_add_f32_e32 v27, v19, v16
	v_add_f32_e32 v16, v18, v20
	v_sub_f32_e32 v19, v17, v16
	v_pk_add_f32 v[22:23], v[16:17], v[18:19] neg_lo:[0,1] neg_hi:[0,1]
	v_mov_b32_e32 v21, v16
	v_pk_add_f32 v[16:17], v[22:23], v[20:21] neg_lo:[0,1] neg_hi:[0,1]
	v_cmp_eq_f32_e32 vcc, s43, v32
	v_add_f32_e32 v17, v27, v17
	v_add_f32_e32 v16, v16, v17
	;; [unrolled: 1-line block ×3, first 2 shown]
	v_mul_f32_e32 v27, v26, v17
	v_mul_f32_e32 v18, v25, v27
	v_fma_f32 v20, v27, v25, -v18
	v_fmac_f32_e32 v20, v27, v15
	v_sub_f32_e32 v15, v19, v17
	v_add_f32_e32 v15, v16, v15
	v_add_f32_e32 v16, v18, v20
	v_sub_f32_e32 v19, v17, v16
	v_pk_add_f32 v[22:23], v[16:17], v[18:19] neg_lo:[0,1] neg_hi:[0,1]
	v_mov_b32_e32 v21, v16
	v_pk_add_f32 v[16:17], v[22:23], v[20:21] neg_lo:[0,1] neg_hi:[0,1]
	s_or_b64 vcc, s[36:37], vcc
	v_add_f32_e32 v15, v15, v17
	v_add_f32_e32 v15, v16, v15
	;; [unrolled: 1-line block ×4, first 2 shown]
	v_sub_f32_e32 v16, v17, v28
	v_mul_f32_e32 v15, v26, v15
	v_sub_f32_e32 v16, v27, v16
	v_add_f32_e32 v18, v16, v15
	v_add_f32_e32 v20, v17, v18
	v_cvt_f32_i32_e32 v16, v24
	v_mul_f32_e32 v21, v20, v20
	v_sub_f32_e32 v17, v20, v17
	v_fmamk_f32 v15, v21, 0x3e9b6dac, v69
	v_sub_f32_e32 v17, v18, v17
	v_fmaak_f32 v15, v21, v15, 0x3f2aaada
	v_ldexp_f32 v22, v17, 1
	v_mul_f32_e32 v17, v20, v21
	v_ldexp_f32 v19, v20, 1
	v_pk_mul_f32 v[20:21], v[16:17], v[14:15]
	s_nop 0
	v_fma_f32 v18, v16, s45, -v20
	v_fmac_f32_e32 v18, 0xb102e308, v16
	v_pk_add_f32 v[16:17], v[20:21], v[18:19]
	s_nop 0
	v_sub_f32_e32 v15, v17, v19
	v_sub_f32_e32 v15, v21, v15
	v_add_f32_e32 v23, v22, v15
	v_mov_b32_e32 v22, v20
	v_pk_add_f32 v[20:21], v[16:17], v[20:21] neg_lo:[0,1] neg_hi:[0,1]
	v_pk_add_f32 v[24:25], v[16:17], v[22:23]
	v_mov_b32_e32 v19, v16
	v_mov_b32_e32 v21, v25
	v_pk_add_f32 v[26:27], v[18:19], v[20:21] neg_lo:[0,1] neg_hi:[0,1]
	v_pk_add_f32 v[18:19], v[18:19], v[20:21]
	v_mov_b32_e32 v22, v23
	v_mov_b32_e32 v20, v19
	v_pk_add_f32 v[28:29], v[20:21], v[16:17] neg_lo:[0,1] neg_hi:[0,1]
	v_mov_b32_e32 v18, v25
	v_mov_b32_e32 v15, v28
	v_pk_add_f32 v[30:31], v[24:25], v[14:15] neg_lo:[0,1] neg_hi:[0,1]
	v_mov_b32_e32 v24, v17
	v_mov_b32_e32 v25, v28
	v_mov_b32_e32 v27, v19
	v_pk_add_f32 v[18:19], v[18:19], v[24:25] neg_lo:[0,1] neg_hi:[0,1]
	v_mov_b32_e32 v23, v16
	v_pk_add_f32 v[16:17], v[22:23], v[18:19] neg_lo:[0,1] neg_hi:[0,1]
	v_mov_b32_e32 v30, v26
	v_pk_add_f32 v[18:19], v[30:31], v[16:17]
	s_nop 0
	v_mov_b32_e32 v22, v19
	v_pk_add_f32 v[22:23], v[18:19], v[22:23]
	s_nop 0
	v_pk_add_f32 v[20:21], v[20:21], v[22:23]
	v_mov_b32_e32 v17, v22
	v_mov_b32_e32 v19, v20
	v_pk_add_f32 v[24:25], v[18:19], v[26:27] neg_lo:[0,1] neg_hi:[0,1]
	s_nop 0
	v_sub_f32_e32 v15, v18, v24
	v_pk_add_f32 v[16:17], v[16:17], v[24:25] neg_lo:[0,1] neg_hi:[0,1]
	v_sub_f32_e32 v15, v26, v15
	v_add_f32_e32 v15, v16, v15
	v_add_f32_e32 v15, v15, v17
	;; [unrolled: 1-line block ×3, first 2 shown]
	v_cndmask_b32_e32 v74, v15, v32, vcc
.LBB14_43:                              ;   in Loop: Header=BB14_11 Depth=1
	s_or_b64 exec, exec, s[38:39]
	v_and_b32_e32 v4, 0xffff0000, v4
	v_add_f32_e32 v75, s33, v4
	v_cmp_ge_f32_e32 vcc, s99, v75
	s_and_b64 s[36:37], s[64:65], vcc
	s_and_saveexec_b64 s[38:39], s[36:37]
	s_cbranch_execz .LBB14_45
; %bb.44:                               ;   in Loop: Header=BB14_11 Depth=1
	v_mul_f32_e32 v4, 0x3fb8aa3b, v75
	v_rndne_f32_e32 v15, v4
	v_sub_f32_e32 v16, v4, v15
	v_fma_f32 v4, v75, s40, -v4
	v_fmac_f32_e32 v4, 0x32a5705f, v75
	v_add_f32_e32 v4, v16, v4
	v_cvt_i32_f32_e32 v15, v15
	v_exp_f32_e32 v4, v4
	v_cmp_ngt_f32_e32 vcc, s41, v75
	v_ldexp_f32 v4, v4, v15
	s_nop 0
	v_cndmask_b32_e32 v4, 0, v4, vcc
	v_cmp_nlt_f32_e32 vcc, s42, v75
	s_nop 1
	v_cndmask_b32_e32 v30, v70, v4, vcc
	v_add_f32_e32 v4, 1.0, v30
	v_add_f32_e32 v15, -1.0, v4
	v_sub_f32_e32 v16, v15, v4
	v_add_f32_e32 v16, 1.0, v16
	v_sub_f32_e32 v15, v30, v15
	v_add_f32_e32 v15, v15, v16
	v_frexp_mant_f32_e32 v18, v4
	v_cvt_f64_f32_e32 v[16:17], v4
	v_frexp_exp_i32_f64_e32 v16, v[16:17]
	v_cmp_gt_f32_e32 vcc, s44, v18
	v_cmp_gt_f32_e64 s[36:37], s67, v30
	s_nop 0
	v_subbrev_co_u32_e32 v24, vcc, 0, v16, vcc
	v_sub_u32_e32 v16, 0, v24
	v_ldexp_f32 v4, v4, v16
	v_ldexp_f32 v15, v15, v16
	v_add_f32_e32 v16, -1.0, v4
	v_add_f32_e32 v17, 1.0, v16
	v_sub_f32_e32 v17, v4, v17
	v_add_f32_e32 v18, v15, v17
	v_add_f32_e32 v17, 1.0, v4
	v_add_f32_e32 v19, -1.0, v17
	v_sub_f32_e32 v4, v4, v19
	v_add_f32_e32 v4, v15, v4
	v_add_f32_e32 v15, v17, v4
	v_rcp_f32_e32 v25, v15
	v_sub_f32_e32 v17, v17, v15
	v_add_f32_e32 v4, v4, v17
	v_add_f32_e32 v17, v16, v18
	v_sub_f32_e32 v16, v16, v17
	v_mul_f32_e32 v27, v17, v25
	v_add_f32_e32 v26, v18, v16
	v_mul_f32_e32 v18, v15, v27
	v_fma_f32 v20, v27, v15, -v18
	v_fmac_f32_e32 v20, v27, v4
	v_add_f32_e32 v16, v18, v20
	v_sub_f32_e32 v19, v17, v16
	v_pk_add_f32 v[22:23], v[16:17], v[18:19] neg_lo:[0,1] neg_hi:[0,1]
	v_mov_b32_e32 v21, v16
	v_pk_add_f32 v[16:17], v[22:23], v[20:21] neg_lo:[0,1] neg_hi:[0,1]
	v_cmp_eq_f32_e32 vcc, s43, v30
	v_add_f32_e32 v17, v26, v17
	v_add_f32_e32 v16, v16, v17
	;; [unrolled: 1-line block ×3, first 2 shown]
	v_mul_f32_e32 v26, v25, v17
	v_mul_f32_e32 v18, v15, v26
	v_fma_f32 v20, v26, v15, -v18
	v_fmac_f32_e32 v20, v26, v4
	v_sub_f32_e32 v4, v19, v17
	v_add_f32_e32 v4, v16, v4
	v_add_f32_e32 v16, v18, v20
	v_sub_f32_e32 v19, v17, v16
	v_pk_add_f32 v[22:23], v[16:17], v[18:19] neg_lo:[0,1] neg_hi:[0,1]
	v_mov_b32_e32 v21, v16
	v_pk_add_f32 v[16:17], v[22:23], v[20:21] neg_lo:[0,1] neg_hi:[0,1]
	s_or_b64 vcc, s[36:37], vcc
	v_add_f32_e32 v4, v4, v17
	v_add_f32_e32 v4, v16, v4
	;; [unrolled: 1-line block ×4, first 2 shown]
	v_sub_f32_e32 v15, v17, v27
	v_mul_f32_e32 v4, v25, v4
	v_sub_f32_e32 v15, v26, v15
	v_add_f32_e32 v4, v15, v4
	v_add_f32_e32 v18, v17, v4
	v_cvt_f32_i32_e32 v16, v24
	v_mul_f32_e32 v20, v18, v18
	v_fmamk_f32 v15, v20, 0x3e9b6dac, v69
	v_sub_f32_e32 v17, v18, v17
	v_fmaak_f32 v15, v20, v15, 0x3f2aaada
	v_sub_f32_e32 v4, v4, v17
	v_mul_f32_e32 v17, v18, v20
	v_pk_mul_f32 v[20:21], v[16:17], v[14:15]
	v_ldexp_f32 v19, v18, 1
	v_fma_f32 v18, v16, s45, -v20
	v_fmac_f32_e32 v18, 0xb102e308, v16
	v_pk_add_f32 v[16:17], v[20:21], v[18:19]
	v_ldexp_f32 v4, v4, 1
	v_sub_f32_e32 v15, v17, v19
	v_sub_f32_e32 v15, v21, v15
	v_add_f32_e32 v23, v4, v15
	v_mov_b32_e32 v22, v20
	v_pk_add_f32 v[20:21], v[16:17], v[20:21] neg_lo:[0,1] neg_hi:[0,1]
	v_pk_add_f32 v[24:25], v[16:17], v[22:23]
	v_mov_b32_e32 v19, v16
	v_mov_b32_e32 v21, v25
	v_pk_add_f32 v[26:27], v[18:19], v[20:21] neg_lo:[0,1] neg_hi:[0,1]
	v_pk_add_f32 v[18:19], v[18:19], v[20:21]
	s_nop 0
	v_mov_b32_e32 v4, v19
	v_pk_add_f32 v[20:21], v[4:5], v[16:17] neg_lo:[0,1] neg_hi:[0,1]
	v_mov_b32_e32 v18, v25
	v_mov_b32_e32 v15, v20
	v_pk_add_f32 v[28:29], v[24:25], v[14:15] neg_lo:[0,1] neg_hi:[0,1]
	v_mov_b32_e32 v24, v17
	v_mov_b32_e32 v25, v20
	;; [unrolled: 1-line block ×3, first 2 shown]
	v_pk_add_f32 v[18:19], v[18:19], v[24:25] neg_lo:[0,1] neg_hi:[0,1]
	v_mov_b32_e32 v20, v23
	v_mov_b32_e32 v21, v16
	v_pk_add_f32 v[16:17], v[20:21], v[18:19] neg_lo:[0,1] neg_hi:[0,1]
	v_mov_b32_e32 v28, v26
	v_pk_add_f32 v[18:19], v[28:29], v[16:17]
	s_nop 0
	v_mov_b32_e32 v20, v19
	v_pk_add_f32 v[20:21], v[18:19], v[20:21]
	s_nop 0
	v_pk_add_f32 v[22:23], v[4:5], v[20:21]
	v_mov_b32_e32 v17, v20
	v_mov_b32_e32 v19, v22
	v_pk_add_f32 v[24:25], v[18:19], v[26:27] neg_lo:[0,1] neg_hi:[0,1]
	s_nop 0
	v_sub_f32_e32 v4, v18, v24
	v_pk_add_f32 v[16:17], v[16:17], v[24:25] neg_lo:[0,1] neg_hi:[0,1]
	v_sub_f32_e32 v4, v26, v4
	v_add_f32_e32 v4, v16, v4
	v_add_f32_e32 v4, v4, v17
	;; [unrolled: 1-line block ×3, first 2 shown]
	v_cndmask_b32_e32 v75, v4, v30, vcc
.LBB14_45:                              ;   in Loop: Header=BB14_11 Depth=1
	s_or_b64 exec, exec, s[38:39]
	v_lshlrev_b32_e32 v4, 16, v5
	v_add_f32_e32 v76, s33, v4
	v_cmp_ge_f32_e32 vcc, s99, v76
	s_and_b64 s[36:37], s[64:65], vcc
	s_and_saveexec_b64 s[38:39], s[36:37]
	s_cbranch_execz .LBB14_47
; %bb.46:                               ;   in Loop: Header=BB14_11 Depth=1
	v_mul_f32_e32 v4, 0x3fb8aa3b, v76
	v_rndne_f32_e32 v15, v4
	v_sub_f32_e32 v16, v4, v15
	v_fma_f32 v4, v76, s40, -v4
	v_fmac_f32_e32 v4, 0x32a5705f, v76
	v_add_f32_e32 v4, v16, v4
	v_cvt_i32_f32_e32 v15, v15
	v_exp_f32_e32 v4, v4
	v_cmp_ngt_f32_e32 vcc, s41, v76
	v_ldexp_f32 v4, v4, v15
	s_nop 0
	v_cndmask_b32_e32 v4, 0, v4, vcc
	v_cmp_nlt_f32_e32 vcc, s42, v76
	s_nop 1
	v_cndmask_b32_e32 v30, v70, v4, vcc
	v_add_f32_e32 v4, 1.0, v30
	v_add_f32_e32 v15, -1.0, v4
	v_sub_f32_e32 v16, v15, v4
	v_add_f32_e32 v16, 1.0, v16
	v_sub_f32_e32 v15, v30, v15
	v_add_f32_e32 v15, v15, v16
	v_frexp_mant_f32_e32 v18, v4
	v_cvt_f64_f32_e32 v[16:17], v4
	v_frexp_exp_i32_f64_e32 v16, v[16:17]
	v_cmp_gt_f32_e32 vcc, s44, v18
	v_cmp_gt_f32_e64 s[36:37], s67, v30
	s_nop 0
	v_subbrev_co_u32_e32 v24, vcc, 0, v16, vcc
	v_sub_u32_e32 v16, 0, v24
	v_ldexp_f32 v4, v4, v16
	v_ldexp_f32 v15, v15, v16
	v_add_f32_e32 v16, -1.0, v4
	v_add_f32_e32 v17, 1.0, v16
	v_sub_f32_e32 v17, v4, v17
	v_add_f32_e32 v18, v15, v17
	v_add_f32_e32 v17, 1.0, v4
	v_add_f32_e32 v19, -1.0, v17
	v_sub_f32_e32 v4, v4, v19
	v_add_f32_e32 v4, v15, v4
	v_add_f32_e32 v15, v17, v4
	v_rcp_f32_e32 v25, v15
	v_sub_f32_e32 v17, v17, v15
	v_add_f32_e32 v4, v4, v17
	v_add_f32_e32 v17, v16, v18
	v_sub_f32_e32 v16, v16, v17
	v_mul_f32_e32 v27, v17, v25
	v_add_f32_e32 v26, v18, v16
	v_mul_f32_e32 v18, v15, v27
	v_fma_f32 v20, v27, v15, -v18
	v_fmac_f32_e32 v20, v27, v4
	v_add_f32_e32 v16, v18, v20
	v_sub_f32_e32 v19, v17, v16
	v_pk_add_f32 v[22:23], v[16:17], v[18:19] neg_lo:[0,1] neg_hi:[0,1]
	v_mov_b32_e32 v21, v16
	v_pk_add_f32 v[16:17], v[22:23], v[20:21] neg_lo:[0,1] neg_hi:[0,1]
	v_cmp_eq_f32_e32 vcc, s43, v30
	v_add_f32_e32 v17, v26, v17
	v_add_f32_e32 v16, v16, v17
	;; [unrolled: 1-line block ×3, first 2 shown]
	v_mul_f32_e32 v26, v25, v17
	v_mul_f32_e32 v18, v15, v26
	v_fma_f32 v20, v26, v15, -v18
	v_fmac_f32_e32 v20, v26, v4
	v_sub_f32_e32 v4, v19, v17
	v_add_f32_e32 v4, v16, v4
	v_add_f32_e32 v16, v18, v20
	v_sub_f32_e32 v19, v17, v16
	v_pk_add_f32 v[22:23], v[16:17], v[18:19] neg_lo:[0,1] neg_hi:[0,1]
	v_mov_b32_e32 v21, v16
	v_pk_add_f32 v[16:17], v[22:23], v[20:21] neg_lo:[0,1] neg_hi:[0,1]
	s_or_b64 vcc, s[36:37], vcc
	v_add_f32_e32 v4, v4, v17
	v_add_f32_e32 v4, v16, v4
	;; [unrolled: 1-line block ×4, first 2 shown]
	v_sub_f32_e32 v15, v17, v27
	v_mul_f32_e32 v4, v25, v4
	v_sub_f32_e32 v15, v26, v15
	v_add_f32_e32 v4, v15, v4
	v_add_f32_e32 v18, v17, v4
	v_cvt_f32_i32_e32 v16, v24
	v_mul_f32_e32 v20, v18, v18
	v_fmamk_f32 v15, v20, 0x3e9b6dac, v69
	v_sub_f32_e32 v17, v18, v17
	v_fmaak_f32 v15, v20, v15, 0x3f2aaada
	v_sub_f32_e32 v4, v4, v17
	v_mul_f32_e32 v17, v18, v20
	v_pk_mul_f32 v[20:21], v[16:17], v[14:15]
	v_ldexp_f32 v19, v18, 1
	v_fma_f32 v18, v16, s45, -v20
	v_fmac_f32_e32 v18, 0xb102e308, v16
	v_pk_add_f32 v[16:17], v[20:21], v[18:19]
	v_ldexp_f32 v4, v4, 1
	v_sub_f32_e32 v15, v17, v19
	v_sub_f32_e32 v15, v21, v15
	v_add_f32_e32 v23, v4, v15
	v_mov_b32_e32 v22, v20
	v_pk_add_f32 v[20:21], v[16:17], v[20:21] neg_lo:[0,1] neg_hi:[0,1]
	v_pk_add_f32 v[24:25], v[16:17], v[22:23]
	v_mov_b32_e32 v19, v16
	v_mov_b32_e32 v21, v25
	v_pk_add_f32 v[26:27], v[18:19], v[20:21] neg_lo:[0,1] neg_hi:[0,1]
	v_pk_add_f32 v[18:19], v[18:19], v[20:21]
	s_nop 0
	v_mov_b32_e32 v4, v19
	v_pk_add_f32 v[20:21], v[4:5], v[16:17] neg_lo:[0,1] neg_hi:[0,1]
	v_mov_b32_e32 v18, v25
	v_mov_b32_e32 v15, v20
	v_pk_add_f32 v[28:29], v[24:25], v[14:15] neg_lo:[0,1] neg_hi:[0,1]
	v_mov_b32_e32 v24, v17
	v_mov_b32_e32 v25, v20
	;; [unrolled: 1-line block ×3, first 2 shown]
	v_pk_add_f32 v[18:19], v[18:19], v[24:25] neg_lo:[0,1] neg_hi:[0,1]
	v_mov_b32_e32 v20, v23
	v_mov_b32_e32 v21, v16
	v_pk_add_f32 v[16:17], v[20:21], v[18:19] neg_lo:[0,1] neg_hi:[0,1]
	v_mov_b32_e32 v28, v26
	v_pk_add_f32 v[18:19], v[28:29], v[16:17]
	s_nop 0
	v_mov_b32_e32 v20, v19
	v_pk_add_f32 v[20:21], v[18:19], v[20:21]
	s_nop 0
	v_pk_add_f32 v[22:23], v[4:5], v[20:21]
	v_mov_b32_e32 v17, v20
	v_mov_b32_e32 v19, v22
	v_pk_add_f32 v[24:25], v[18:19], v[26:27] neg_lo:[0,1] neg_hi:[0,1]
	s_nop 0
	v_sub_f32_e32 v4, v18, v24
	v_pk_add_f32 v[16:17], v[16:17], v[24:25] neg_lo:[0,1] neg_hi:[0,1]
	v_sub_f32_e32 v4, v26, v4
	v_add_f32_e32 v4, v16, v4
	v_add_f32_e32 v4, v4, v17
	v_add_f32_e32 v4, v22, v4
	v_cndmask_b32_e32 v76, v4, v30, vcc
.LBB14_47:                              ;   in Loop: Header=BB14_11 Depth=1
	s_or_b64 exec, exec, s[38:39]
	v_and_b32_e32 v4, 0xffff0000, v5
	v_add_f32_e32 v77, s33, v4
	v_cmp_ge_f32_e32 vcc, s99, v77
	s_and_b64 s[36:37], s[64:65], vcc
	s_and_saveexec_b64 s[38:39], s[36:37]
	s_cbranch_execz .LBB14_49
; %bb.48:                               ;   in Loop: Header=BB14_11 Depth=1
	v_mul_f32_e32 v4, 0x3fb8aa3b, v77
	v_rndne_f32_e32 v5, v4
	v_sub_f32_e32 v15, v4, v5
	v_fma_f32 v4, v77, s40, -v4
	v_fmac_f32_e32 v4, 0x32a5705f, v77
	v_add_f32_e32 v4, v15, v4
	v_cvt_i32_f32_e32 v5, v5
	v_exp_f32_e32 v4, v4
	v_cmp_ngt_f32_e32 vcc, s41, v77
	v_ldexp_f32 v4, v4, v5
	s_nop 0
	v_cndmask_b32_e32 v4, 0, v4, vcc
	v_cmp_nlt_f32_e32 vcc, s42, v77
	s_nop 1
	v_cndmask_b32_e32 v30, v70, v4, vcc
	v_add_f32_e32 v15, 1.0, v30
	v_add_f32_e32 v4, -1.0, v15
	v_sub_f32_e32 v5, v4, v15
	v_add_f32_e32 v5, 1.0, v5
	v_sub_f32_e32 v4, v30, v4
	v_add_f32_e32 v16, v4, v5
	v_frexp_mant_f32_e32 v17, v15
	v_cvt_f64_f32_e32 v[4:5], v15
	v_frexp_exp_i32_f64_e32 v4, v[4:5]
	v_cmp_gt_f32_e32 vcc, s44, v17
	v_cmp_gt_f32_e64 s[36:37], s67, v30
	s_nop 0
	v_subbrev_co_u32_e32 v22, vcc, 0, v4, vcc
	v_sub_u32_e32 v4, 0, v22
	v_ldexp_f32 v5, v15, v4
	v_add_f32_e32 v15, -1.0, v5
	v_add_f32_e32 v17, 1.0, v5
	v_ldexp_f32 v4, v16, v4
	v_add_f32_e32 v16, 1.0, v15
	v_add_f32_e32 v18, -1.0, v17
	v_sub_f32_e32 v16, v5, v16
	v_sub_f32_e32 v5, v5, v18
	v_add_f32_e32 v16, v4, v16
	v_add_f32_e32 v4, v4, v5
	;; [unrolled: 1-line block ×3, first 2 shown]
	v_rcp_f32_e32 v25, v23
	v_sub_f32_e32 v5, v17, v23
	v_add_f32_e32 v24, v4, v5
	v_add_f32_e32 v5, v15, v16
	v_sub_f32_e32 v4, v15, v5
	v_mul_f32_e32 v26, v5, v25
	v_add_f32_e32 v15, v16, v4
	v_mul_f32_e32 v16, v23, v26
	v_fma_f32 v18, v26, v23, -v16
	v_fmac_f32_e32 v18, v26, v24
	v_add_f32_e32 v4, v16, v18
	v_sub_f32_e32 v17, v5, v4
	v_pk_add_f32 v[20:21], v[4:5], v[16:17] neg_lo:[0,1] neg_hi:[0,1]
	v_mov_b32_e32 v19, v4
	v_pk_add_f32 v[4:5], v[20:21], v[18:19] neg_lo:[0,1] neg_hi:[0,1]
	v_cmp_eq_f32_e32 vcc, s43, v30
	v_add_f32_e32 v5, v15, v5
	v_add_f32_e32 v4, v4, v5
	;; [unrolled: 1-line block ×3, first 2 shown]
	v_mul_f32_e32 v15, v25, v5
	v_mul_f32_e32 v16, v23, v15
	v_fma_f32 v18, v15, v23, -v16
	v_fmac_f32_e32 v18, v15, v24
	v_sub_f32_e32 v17, v17, v5
	v_add_f32_e32 v23, v4, v17
	v_add_f32_e32 v4, v16, v18
	v_sub_f32_e32 v17, v5, v4
	v_pk_add_f32 v[20:21], v[4:5], v[16:17] neg_lo:[0,1] neg_hi:[0,1]
	v_mov_b32_e32 v19, v4
	v_pk_add_f32 v[4:5], v[20:21], v[18:19] neg_lo:[0,1] neg_hi:[0,1]
	s_or_b64 vcc, s[36:37], vcc
	v_add_f32_e32 v5, v23, v5
	v_add_f32_e32 v4, v4, v5
	;; [unrolled: 1-line block ×4, first 2 shown]
	v_sub_f32_e32 v16, v5, v26
	v_mul_f32_e32 v4, v25, v4
	v_sub_f32_e32 v15, v15, v16
	v_add_f32_e32 v16, v15, v4
	v_add_f32_e32 v18, v5, v16
	v_mul_f32_e32 v19, v18, v18
	v_fmamk_f32 v4, v19, 0x3e9b6dac, v69
	v_fmaak_f32 v15, v19, v4, 0x3f2aaada
	v_cvt_f32_i32_e32 v4, v22
	v_sub_f32_e32 v5, v18, v5
	v_sub_f32_e32 v5, v16, v5
	v_ldexp_f32 v20, v5, 1
	v_mul_f32_e32 v5, v18, v19
	v_ldexp_f32 v17, v18, 1
	v_pk_mul_f32 v[18:19], v[4:5], v[14:15]
	s_nop 0
	v_fma_f32 v16, v4, s45, -v18
	v_fmac_f32_e32 v16, 0xb102e308, v4
	v_pk_add_f32 v[4:5], v[18:19], v[16:17]
	s_nop 0
	v_sub_f32_e32 v15, v5, v17
	v_sub_f32_e32 v15, v19, v15
	v_add_f32_e32 v21, v20, v15
	v_mov_b32_e32 v20, v18
	v_pk_add_f32 v[18:19], v[4:5], v[18:19] neg_lo:[0,1] neg_hi:[0,1]
	v_pk_add_f32 v[22:23], v[4:5], v[20:21]
	v_mov_b32_e32 v17, v4
	v_mov_b32_e32 v19, v23
	v_pk_add_f32 v[24:25], v[16:17], v[18:19] neg_lo:[0,1] neg_hi:[0,1]
	v_pk_add_f32 v[16:17], v[16:17], v[18:19]
	v_mov_b32_e32 v20, v21
	v_mov_b32_e32 v18, v17
	v_pk_add_f32 v[26:27], v[18:19], v[4:5] neg_lo:[0,1] neg_hi:[0,1]
	v_mov_b32_e32 v16, v23
	v_mov_b32_e32 v15, v26
	v_pk_add_f32 v[28:29], v[22:23], v[14:15] neg_lo:[0,1] neg_hi:[0,1]
	v_mov_b32_e32 v22, v5
	v_mov_b32_e32 v23, v26
	;; [unrolled: 1-line block ×3, first 2 shown]
	v_pk_add_f32 v[16:17], v[16:17], v[22:23] neg_lo:[0,1] neg_hi:[0,1]
	v_mov_b32_e32 v21, v4
	v_pk_add_f32 v[4:5], v[20:21], v[16:17] neg_lo:[0,1] neg_hi:[0,1]
	v_mov_b32_e32 v28, v24
	v_pk_add_f32 v[16:17], v[28:29], v[4:5]
	s_nop 0
	v_mov_b32_e32 v20, v17
	v_pk_add_f32 v[20:21], v[16:17], v[20:21]
	s_nop 0
	v_pk_add_f32 v[18:19], v[18:19], v[20:21]
	v_mov_b32_e32 v5, v20
	v_mov_b32_e32 v17, v18
	v_pk_add_f32 v[22:23], v[16:17], v[24:25] neg_lo:[0,1] neg_hi:[0,1]
	s_nop 0
	v_sub_f32_e32 v15, v16, v22
	v_pk_add_f32 v[4:5], v[4:5], v[22:23] neg_lo:[0,1] neg_hi:[0,1]
	v_sub_f32_e32 v15, v24, v15
	v_add_f32_e32 v4, v4, v15
	v_add_f32_e32 v4, v4, v5
	;; [unrolled: 1-line block ×3, first 2 shown]
	v_cndmask_b32_e32 v77, v4, v30, vcc
.LBB14_49:                              ;   in Loop: Header=BB14_11 Depth=1
	s_or_b64 exec, exec, s[38:39]
	v_lshlrev_b32_e32 v4, 16, v6
	v_add_f32_e32 v78, s33, v4
	v_cmp_ge_f32_e32 vcc, s99, v78
	s_and_b64 s[36:37], s[64:65], vcc
	s_and_saveexec_b64 s[38:39], s[36:37]
	s_cbranch_execz .LBB14_51
; %bb.50:                               ;   in Loop: Header=BB14_11 Depth=1
	v_mul_f32_e32 v4, 0x3fb8aa3b, v78
	v_rndne_f32_e32 v5, v4
	v_sub_f32_e32 v15, v4, v5
	v_fma_f32 v4, v78, s40, -v4
	v_fmac_f32_e32 v4, 0x32a5705f, v78
	v_add_f32_e32 v4, v15, v4
	v_cvt_i32_f32_e32 v5, v5
	v_exp_f32_e32 v4, v4
	v_cmp_ngt_f32_e32 vcc, s41, v78
	v_ldexp_f32 v4, v4, v5
	s_nop 0
	v_cndmask_b32_e32 v4, 0, v4, vcc
	v_cmp_nlt_f32_e32 vcc, s42, v78
	s_nop 1
	v_cndmask_b32_e32 v30, v70, v4, vcc
	v_add_f32_e32 v15, 1.0, v30
	v_add_f32_e32 v4, -1.0, v15
	v_sub_f32_e32 v5, v4, v15
	v_add_f32_e32 v5, 1.0, v5
	v_sub_f32_e32 v4, v30, v4
	v_add_f32_e32 v16, v4, v5
	v_frexp_mant_f32_e32 v17, v15
	v_cvt_f64_f32_e32 v[4:5], v15
	v_frexp_exp_i32_f64_e32 v4, v[4:5]
	v_cmp_gt_f32_e32 vcc, s44, v17
	v_cmp_gt_f32_e64 s[36:37], s67, v30
	s_nop 0
	v_subbrev_co_u32_e32 v22, vcc, 0, v4, vcc
	v_sub_u32_e32 v4, 0, v22
	v_ldexp_f32 v5, v15, v4
	v_add_f32_e32 v15, -1.0, v5
	v_add_f32_e32 v17, 1.0, v5
	v_ldexp_f32 v4, v16, v4
	v_add_f32_e32 v16, 1.0, v15
	v_add_f32_e32 v18, -1.0, v17
	v_sub_f32_e32 v16, v5, v16
	v_sub_f32_e32 v5, v5, v18
	v_add_f32_e32 v16, v4, v16
	v_add_f32_e32 v4, v4, v5
	;; [unrolled: 1-line block ×3, first 2 shown]
	v_rcp_f32_e32 v25, v23
	v_sub_f32_e32 v5, v17, v23
	v_add_f32_e32 v24, v4, v5
	v_add_f32_e32 v5, v15, v16
	v_sub_f32_e32 v4, v15, v5
	v_mul_f32_e32 v26, v5, v25
	v_add_f32_e32 v15, v16, v4
	v_mul_f32_e32 v16, v23, v26
	v_fma_f32 v18, v26, v23, -v16
	v_fmac_f32_e32 v18, v26, v24
	v_add_f32_e32 v4, v16, v18
	v_sub_f32_e32 v17, v5, v4
	v_pk_add_f32 v[20:21], v[4:5], v[16:17] neg_lo:[0,1] neg_hi:[0,1]
	v_mov_b32_e32 v19, v4
	v_pk_add_f32 v[4:5], v[20:21], v[18:19] neg_lo:[0,1] neg_hi:[0,1]
	v_cmp_eq_f32_e32 vcc, s43, v30
	v_add_f32_e32 v5, v15, v5
	v_add_f32_e32 v4, v4, v5
	;; [unrolled: 1-line block ×3, first 2 shown]
	v_mul_f32_e32 v15, v25, v5
	v_mul_f32_e32 v16, v23, v15
	v_fma_f32 v18, v15, v23, -v16
	v_fmac_f32_e32 v18, v15, v24
	v_sub_f32_e32 v17, v17, v5
	v_add_f32_e32 v23, v4, v17
	v_add_f32_e32 v4, v16, v18
	v_sub_f32_e32 v17, v5, v4
	v_pk_add_f32 v[20:21], v[4:5], v[16:17] neg_lo:[0,1] neg_hi:[0,1]
	v_mov_b32_e32 v19, v4
	v_pk_add_f32 v[4:5], v[20:21], v[18:19] neg_lo:[0,1] neg_hi:[0,1]
	s_or_b64 vcc, s[36:37], vcc
	v_add_f32_e32 v5, v23, v5
	v_add_f32_e32 v4, v4, v5
	;; [unrolled: 1-line block ×4, first 2 shown]
	v_sub_f32_e32 v16, v5, v26
	v_mul_f32_e32 v4, v25, v4
	v_sub_f32_e32 v15, v15, v16
	v_add_f32_e32 v16, v15, v4
	v_add_f32_e32 v18, v5, v16
	v_mul_f32_e32 v19, v18, v18
	v_fmamk_f32 v4, v19, 0x3e9b6dac, v69
	v_fmaak_f32 v15, v19, v4, 0x3f2aaada
	v_cvt_f32_i32_e32 v4, v22
	v_sub_f32_e32 v5, v18, v5
	v_sub_f32_e32 v5, v16, v5
	v_ldexp_f32 v20, v5, 1
	v_mul_f32_e32 v5, v18, v19
	v_ldexp_f32 v17, v18, 1
	v_pk_mul_f32 v[18:19], v[4:5], v[14:15]
	s_nop 0
	v_fma_f32 v16, v4, s45, -v18
	v_fmac_f32_e32 v16, 0xb102e308, v4
	v_pk_add_f32 v[4:5], v[18:19], v[16:17]
	s_nop 0
	v_sub_f32_e32 v15, v5, v17
	v_sub_f32_e32 v15, v19, v15
	v_add_f32_e32 v21, v20, v15
	v_mov_b32_e32 v20, v18
	v_pk_add_f32 v[18:19], v[4:5], v[18:19] neg_lo:[0,1] neg_hi:[0,1]
	v_pk_add_f32 v[22:23], v[4:5], v[20:21]
	v_mov_b32_e32 v17, v4
	v_mov_b32_e32 v19, v23
	v_pk_add_f32 v[24:25], v[16:17], v[18:19] neg_lo:[0,1] neg_hi:[0,1]
	v_pk_add_f32 v[16:17], v[16:17], v[18:19]
	v_mov_b32_e32 v20, v21
	v_mov_b32_e32 v18, v17
	v_pk_add_f32 v[26:27], v[18:19], v[4:5] neg_lo:[0,1] neg_hi:[0,1]
	v_mov_b32_e32 v16, v23
	v_mov_b32_e32 v15, v26
	v_pk_add_f32 v[28:29], v[22:23], v[14:15] neg_lo:[0,1] neg_hi:[0,1]
	v_mov_b32_e32 v22, v5
	v_mov_b32_e32 v23, v26
	;; [unrolled: 1-line block ×3, first 2 shown]
	v_pk_add_f32 v[16:17], v[16:17], v[22:23] neg_lo:[0,1] neg_hi:[0,1]
	v_mov_b32_e32 v21, v4
	v_pk_add_f32 v[4:5], v[20:21], v[16:17] neg_lo:[0,1] neg_hi:[0,1]
	v_mov_b32_e32 v28, v24
	v_pk_add_f32 v[16:17], v[28:29], v[4:5]
	s_nop 0
	v_mov_b32_e32 v20, v17
	v_pk_add_f32 v[20:21], v[16:17], v[20:21]
	s_nop 0
	v_pk_add_f32 v[18:19], v[18:19], v[20:21]
	v_mov_b32_e32 v5, v20
	v_mov_b32_e32 v17, v18
	v_pk_add_f32 v[22:23], v[16:17], v[24:25] neg_lo:[0,1] neg_hi:[0,1]
	s_nop 0
	v_sub_f32_e32 v15, v16, v22
	v_pk_add_f32 v[4:5], v[4:5], v[22:23] neg_lo:[0,1] neg_hi:[0,1]
	v_sub_f32_e32 v15, v24, v15
	v_add_f32_e32 v4, v4, v15
	v_add_f32_e32 v4, v4, v5
	;; [unrolled: 1-line block ×3, first 2 shown]
	v_cndmask_b32_e32 v78, v4, v30, vcc
.LBB14_51:                              ;   in Loop: Header=BB14_11 Depth=1
	s_or_b64 exec, exec, s[38:39]
	v_and_b32_e32 v4, 0xffff0000, v6
	v_add_f32_e32 v79, s33, v4
	v_cmp_ge_f32_e32 vcc, s99, v79
	s_and_b64 s[36:37], s[64:65], vcc
	s_and_saveexec_b64 s[38:39], s[36:37]
	s_cbranch_execz .LBB14_53
; %bb.52:                               ;   in Loop: Header=BB14_11 Depth=1
	v_mul_f32_e32 v4, 0x3fb8aa3b, v79
	v_rndne_f32_e32 v5, v4
	v_sub_f32_e32 v6, v4, v5
	v_fma_f32 v4, v79, s40, -v4
	v_fmac_f32_e32 v4, 0x32a5705f, v79
	v_add_f32_e32 v4, v6, v4
	v_cvt_i32_f32_e32 v5, v5
	v_exp_f32_e32 v4, v4
	v_cmp_ngt_f32_e32 vcc, s41, v79
	v_ldexp_f32 v4, v4, v5
	s_nop 0
	v_cndmask_b32_e32 v4, 0, v4, vcc
	v_cmp_nlt_f32_e32 vcc, s42, v79
	s_nop 1
	v_cndmask_b32_e32 v28, v70, v4, vcc
	v_add_f32_e32 v6, 1.0, v28
	v_add_f32_e32 v4, -1.0, v6
	v_sub_f32_e32 v5, v4, v6
	v_add_f32_e32 v5, 1.0, v5
	v_sub_f32_e32 v4, v28, v4
	v_add_f32_e32 v15, v4, v5
	v_frexp_mant_f32_e32 v16, v6
	v_cvt_f64_f32_e32 v[4:5], v6
	v_frexp_exp_i32_f64_e32 v4, v[4:5]
	v_cmp_gt_f32_e32 vcc, s44, v16
	v_cmp_gt_f32_e64 s[36:37], s67, v28
	s_nop 0
	v_subbrev_co_u32_e32 v22, vcc, 0, v4, vcc
	v_sub_u32_e32 v4, 0, v22
	v_ldexp_f32 v5, v6, v4
	v_add_f32_e32 v6, -1.0, v5
	v_add_f32_e32 v16, 1.0, v5
	v_ldexp_f32 v4, v15, v4
	v_add_f32_e32 v15, 1.0, v6
	v_add_f32_e32 v17, -1.0, v16
	v_sub_f32_e32 v15, v5, v15
	v_sub_f32_e32 v5, v5, v17
	v_add_f32_e32 v15, v4, v15
	v_add_f32_e32 v4, v4, v5
	;; [unrolled: 1-line block ×3, first 2 shown]
	v_rcp_f32_e32 v25, v23
	v_sub_f32_e32 v5, v16, v23
	v_add_f32_e32 v24, v4, v5
	v_add_f32_e32 v5, v6, v15
	v_sub_f32_e32 v4, v6, v5
	v_add_f32_e32 v6, v15, v4
	v_mul_f32_e32 v15, v5, v25
	v_mul_f32_e32 v16, v23, v15
	v_fma_f32 v18, v15, v23, -v16
	v_fmac_f32_e32 v18, v15, v24
	v_add_f32_e32 v4, v16, v18
	v_sub_f32_e32 v17, v5, v4
	v_pk_add_f32 v[20:21], v[4:5], v[16:17] neg_lo:[0,1] neg_hi:[0,1]
	v_mov_b32_e32 v19, v4
	v_pk_add_f32 v[4:5], v[20:21], v[18:19] neg_lo:[0,1] neg_hi:[0,1]
	v_cmp_eq_f32_e32 vcc, s43, v28
	v_add_f32_e32 v5, v6, v5
	v_add_f32_e32 v4, v4, v5
	;; [unrolled: 1-line block ×3, first 2 shown]
	v_mul_f32_e32 v6, v25, v5
	v_mul_f32_e32 v16, v23, v6
	v_fma_f32 v18, v6, v23, -v16
	v_fmac_f32_e32 v18, v6, v24
	v_sub_f32_e32 v17, v17, v5
	v_add_f32_e32 v23, v4, v17
	v_add_f32_e32 v4, v16, v18
	v_sub_f32_e32 v17, v5, v4
	v_pk_add_f32 v[20:21], v[4:5], v[16:17] neg_lo:[0,1] neg_hi:[0,1]
	v_mov_b32_e32 v19, v4
	v_pk_add_f32 v[4:5], v[20:21], v[18:19] neg_lo:[0,1] neg_hi:[0,1]
	s_or_b64 vcc, s[36:37], vcc
	v_add_f32_e32 v5, v23, v5
	v_add_f32_e32 v4, v4, v5
	;; [unrolled: 1-line block ×4, first 2 shown]
	v_sub_f32_e32 v15, v5, v15
	v_mul_f32_e32 v4, v25, v4
	v_sub_f32_e32 v6, v6, v15
	v_add_f32_e32 v6, v6, v4
	v_add_f32_e32 v16, v5, v6
	v_mul_f32_e32 v18, v16, v16
	v_fmamk_f32 v4, v18, 0x3e9b6dac, v69
	v_fmaak_f32 v15, v18, v4, 0x3f2aaada
	v_cvt_f32_i32_e32 v4, v22
	v_sub_f32_e32 v5, v16, v5
	v_sub_f32_e32 v5, v6, v5
	v_ldexp_f32 v6, v5, 1
	v_mul_f32_e32 v5, v16, v18
	v_pk_mul_f32 v[18:19], v[4:5], v[14:15]
	v_ldexp_f32 v17, v16, 1
	v_fma_f32 v16, v4, s45, -v18
	v_fmac_f32_e32 v16, 0xb102e308, v4
	v_pk_add_f32 v[4:5], v[18:19], v[16:17]
	v_mov_b32_e32 v20, v18
	v_sub_f32_e32 v15, v5, v17
	v_sub_f32_e32 v15, v19, v15
	v_add_f32_e32 v21, v6, v15
	v_pk_add_f32 v[18:19], v[4:5], v[18:19] neg_lo:[0,1] neg_hi:[0,1]
	v_pk_add_f32 v[22:23], v[4:5], v[20:21]
	v_mov_b32_e32 v17, v4
	v_mov_b32_e32 v19, v23
	v_pk_add_f32 v[24:25], v[16:17], v[18:19] neg_lo:[0,1] neg_hi:[0,1]
	v_pk_add_f32 v[16:17], v[16:17], v[18:19]
	s_nop 0
	v_mov_b32_e32 v6, v17
	v_pk_add_f32 v[18:19], v[6:7], v[4:5] neg_lo:[0,1] neg_hi:[0,1]
	v_mov_b32_e32 v16, v23
	v_mov_b32_e32 v15, v18
	v_pk_add_f32 v[26:27], v[22:23], v[14:15] neg_lo:[0,1] neg_hi:[0,1]
	v_mov_b32_e32 v22, v5
	v_mov_b32_e32 v23, v18
	;; [unrolled: 1-line block ×3, first 2 shown]
	v_pk_add_f32 v[16:17], v[16:17], v[22:23] neg_lo:[0,1] neg_hi:[0,1]
	v_mov_b32_e32 v18, v21
	v_mov_b32_e32 v19, v4
	v_pk_add_f32 v[4:5], v[18:19], v[16:17] neg_lo:[0,1] neg_hi:[0,1]
	v_mov_b32_e32 v26, v24
	v_pk_add_f32 v[16:17], v[26:27], v[4:5]
	s_nop 0
	v_mov_b32_e32 v18, v17
	v_pk_add_f32 v[18:19], v[16:17], v[18:19]
	s_nop 0
	v_pk_add_f32 v[20:21], v[6:7], v[18:19]
	v_mov_b32_e32 v5, v18
	v_mov_b32_e32 v17, v20
	v_pk_add_f32 v[22:23], v[16:17], v[24:25] neg_lo:[0,1] neg_hi:[0,1]
	s_nop 0
	v_sub_f32_e32 v6, v16, v22
	v_pk_add_f32 v[4:5], v[4:5], v[22:23] neg_lo:[0,1] neg_hi:[0,1]
	v_sub_f32_e32 v6, v24, v6
	v_add_f32_e32 v4, v4, v6
	v_add_f32_e32 v4, v4, v5
	;; [unrolled: 1-line block ×3, first 2 shown]
	v_cndmask_b32_e32 v79, v4, v28, vcc
.LBB14_53:                              ;   in Loop: Header=BB14_11 Depth=1
	s_or_b64 exec, exec, s[38:39]
	v_lshlrev_b32_e32 v4, 16, v7
	v_add_f32_e32 v80, s33, v4
	v_cmp_ge_f32_e32 vcc, s99, v80
	s_and_b64 s[36:37], s[64:65], vcc
	s_and_saveexec_b64 s[38:39], s[36:37]
	s_cbranch_execz .LBB14_55
; %bb.54:                               ;   in Loop: Header=BB14_11 Depth=1
	v_mul_f32_e32 v4, 0x3fb8aa3b, v80
	v_rndne_f32_e32 v5, v4
	v_sub_f32_e32 v6, v4, v5
	v_fma_f32 v4, v80, s40, -v4
	v_fmac_f32_e32 v4, 0x32a5705f, v80
	v_add_f32_e32 v4, v6, v4
	v_cvt_i32_f32_e32 v5, v5
	v_exp_f32_e32 v4, v4
	v_cmp_ngt_f32_e32 vcc, s41, v80
	v_ldexp_f32 v4, v4, v5
	s_nop 0
	v_cndmask_b32_e32 v4, 0, v4, vcc
	v_cmp_nlt_f32_e32 vcc, s42, v80
	s_nop 1
	v_cndmask_b32_e32 v28, v70, v4, vcc
	v_add_f32_e32 v6, 1.0, v28
	v_add_f32_e32 v4, -1.0, v6
	v_sub_f32_e32 v5, v4, v6
	v_add_f32_e32 v5, 1.0, v5
	v_sub_f32_e32 v4, v28, v4
	v_add_f32_e32 v15, v4, v5
	v_frexp_mant_f32_e32 v16, v6
	v_cvt_f64_f32_e32 v[4:5], v6
	v_frexp_exp_i32_f64_e32 v4, v[4:5]
	v_cmp_gt_f32_e32 vcc, s44, v16
	v_cmp_gt_f32_e64 s[36:37], s67, v28
	s_nop 0
	v_subbrev_co_u32_e32 v22, vcc, 0, v4, vcc
	v_sub_u32_e32 v4, 0, v22
	v_ldexp_f32 v5, v6, v4
	v_add_f32_e32 v6, -1.0, v5
	v_add_f32_e32 v16, 1.0, v5
	v_ldexp_f32 v4, v15, v4
	v_add_f32_e32 v15, 1.0, v6
	v_add_f32_e32 v17, -1.0, v16
	v_sub_f32_e32 v15, v5, v15
	v_sub_f32_e32 v5, v5, v17
	v_add_f32_e32 v15, v4, v15
	v_add_f32_e32 v4, v4, v5
	;; [unrolled: 1-line block ×3, first 2 shown]
	v_rcp_f32_e32 v25, v23
	v_sub_f32_e32 v5, v16, v23
	v_add_f32_e32 v24, v4, v5
	v_add_f32_e32 v5, v6, v15
	v_sub_f32_e32 v4, v6, v5
	v_add_f32_e32 v6, v15, v4
	v_mul_f32_e32 v15, v5, v25
	v_mul_f32_e32 v16, v23, v15
	v_fma_f32 v18, v15, v23, -v16
	v_fmac_f32_e32 v18, v15, v24
	v_add_f32_e32 v4, v16, v18
	v_sub_f32_e32 v17, v5, v4
	v_pk_add_f32 v[20:21], v[4:5], v[16:17] neg_lo:[0,1] neg_hi:[0,1]
	v_mov_b32_e32 v19, v4
	v_pk_add_f32 v[4:5], v[20:21], v[18:19] neg_lo:[0,1] neg_hi:[0,1]
	v_cmp_eq_f32_e32 vcc, s43, v28
	v_add_f32_e32 v5, v6, v5
	v_add_f32_e32 v4, v4, v5
	;; [unrolled: 1-line block ×3, first 2 shown]
	v_mul_f32_e32 v6, v25, v5
	v_mul_f32_e32 v16, v23, v6
	v_fma_f32 v18, v6, v23, -v16
	v_fmac_f32_e32 v18, v6, v24
	v_sub_f32_e32 v17, v17, v5
	v_add_f32_e32 v23, v4, v17
	v_add_f32_e32 v4, v16, v18
	v_sub_f32_e32 v17, v5, v4
	v_pk_add_f32 v[20:21], v[4:5], v[16:17] neg_lo:[0,1] neg_hi:[0,1]
	v_mov_b32_e32 v19, v4
	v_pk_add_f32 v[4:5], v[20:21], v[18:19] neg_lo:[0,1] neg_hi:[0,1]
	s_or_b64 vcc, s[36:37], vcc
	v_add_f32_e32 v5, v23, v5
	v_add_f32_e32 v4, v4, v5
	;; [unrolled: 1-line block ×4, first 2 shown]
	v_sub_f32_e32 v15, v5, v15
	v_mul_f32_e32 v4, v25, v4
	v_sub_f32_e32 v6, v6, v15
	v_add_f32_e32 v6, v6, v4
	v_add_f32_e32 v16, v5, v6
	v_mul_f32_e32 v18, v16, v16
	v_fmamk_f32 v4, v18, 0x3e9b6dac, v69
	v_fmaak_f32 v15, v18, v4, 0x3f2aaada
	v_cvt_f32_i32_e32 v4, v22
	v_sub_f32_e32 v5, v16, v5
	v_sub_f32_e32 v5, v6, v5
	v_ldexp_f32 v6, v5, 1
	v_mul_f32_e32 v5, v16, v18
	v_pk_mul_f32 v[18:19], v[4:5], v[14:15]
	v_ldexp_f32 v17, v16, 1
	v_fma_f32 v16, v4, s45, -v18
	v_fmac_f32_e32 v16, 0xb102e308, v4
	v_pk_add_f32 v[4:5], v[18:19], v[16:17]
	v_mov_b32_e32 v20, v18
	v_sub_f32_e32 v15, v5, v17
	v_sub_f32_e32 v15, v19, v15
	v_add_f32_e32 v21, v6, v15
	v_pk_add_f32 v[18:19], v[4:5], v[18:19] neg_lo:[0,1] neg_hi:[0,1]
	v_pk_add_f32 v[22:23], v[4:5], v[20:21]
	v_mov_b32_e32 v17, v4
	v_mov_b32_e32 v19, v23
	v_pk_add_f32 v[24:25], v[16:17], v[18:19] neg_lo:[0,1] neg_hi:[0,1]
	v_pk_add_f32 v[16:17], v[16:17], v[18:19]
	s_nop 0
	v_mov_b32_e32 v6, v17
	v_pk_add_f32 v[18:19], v[6:7], v[4:5] neg_lo:[0,1] neg_hi:[0,1]
	v_mov_b32_e32 v16, v23
	v_mov_b32_e32 v15, v18
	v_pk_add_f32 v[26:27], v[22:23], v[14:15] neg_lo:[0,1] neg_hi:[0,1]
	v_mov_b32_e32 v22, v5
	v_mov_b32_e32 v23, v18
	;; [unrolled: 1-line block ×3, first 2 shown]
	v_pk_add_f32 v[16:17], v[16:17], v[22:23] neg_lo:[0,1] neg_hi:[0,1]
	v_mov_b32_e32 v18, v21
	v_mov_b32_e32 v19, v4
	v_pk_add_f32 v[4:5], v[18:19], v[16:17] neg_lo:[0,1] neg_hi:[0,1]
	v_mov_b32_e32 v26, v24
	v_pk_add_f32 v[16:17], v[26:27], v[4:5]
	s_nop 0
	v_mov_b32_e32 v18, v17
	v_pk_add_f32 v[18:19], v[16:17], v[18:19]
	s_nop 0
	v_pk_add_f32 v[20:21], v[6:7], v[18:19]
	v_mov_b32_e32 v5, v18
	v_mov_b32_e32 v17, v20
	v_pk_add_f32 v[22:23], v[16:17], v[24:25] neg_lo:[0,1] neg_hi:[0,1]
	s_nop 0
	v_sub_f32_e32 v6, v16, v22
	v_pk_add_f32 v[4:5], v[4:5], v[22:23] neg_lo:[0,1] neg_hi:[0,1]
	v_sub_f32_e32 v6, v24, v6
	v_add_f32_e32 v4, v4, v6
	v_add_f32_e32 v4, v4, v5
	;; [unrolled: 1-line block ×3, first 2 shown]
	v_cndmask_b32_e32 v80, v4, v28, vcc
.LBB14_55:                              ;   in Loop: Header=BB14_11 Depth=1
	s_or_b64 exec, exec, s[38:39]
	v_and_b32_e32 v4, 0xffff0000, v7
	v_add_f32_e32 v15, s33, v4
	v_cmp_ge_f32_e32 vcc, s99, v15
	s_and_b64 s[36:37], s[64:65], vcc
	s_and_saveexec_b64 s[38:39], s[36:37]
	s_cbranch_execz .LBB14_57
; %bb.56:                               ;   in Loop: Header=BB14_11 Depth=1
	v_mul_f32_e32 v4, 0x3fb8aa3b, v15
	v_rndne_f32_e32 v5, v4
	v_sub_f32_e32 v6, v4, v5
	v_fma_f32 v4, v15, s40, -v4
	v_fmac_f32_e32 v4, 0x32a5705f, v15
	v_add_f32_e32 v4, v6, v4
	v_cvt_i32_f32_e32 v5, v5
	v_exp_f32_e32 v4, v4
	v_cmp_ngt_f32_e32 vcc, s41, v15
	v_ldexp_f32 v4, v4, v5
	s_nop 0
	v_cndmask_b32_e32 v4, 0, v4, vcc
	v_cmp_nlt_f32_e32 vcc, s42, v15
	s_nop 1
	v_cndmask_b32_e32 v28, v70, v4, vcc
	v_add_f32_e32 v6, 1.0, v28
	v_add_f32_e32 v4, -1.0, v6
	v_sub_f32_e32 v5, v4, v6
	v_add_f32_e32 v5, 1.0, v5
	v_sub_f32_e32 v4, v28, v4
	v_add_f32_e32 v7, v4, v5
	v_frexp_mant_f32_e32 v15, v6
	v_cvt_f64_f32_e32 v[4:5], v6
	v_frexp_exp_i32_f64_e32 v4, v[4:5]
	v_cmp_gt_f32_e32 vcc, s44, v15
	v_cmp_gt_f32_e64 s[36:37], s67, v28
	s_nop 0
	v_subbrev_co_u32_e32 v20, vcc, 0, v4, vcc
	v_sub_u32_e32 v4, 0, v20
	v_ldexp_f32 v5, v6, v4
	v_add_f32_e32 v6, -1.0, v5
	v_add_f32_e32 v15, 1.0, v5
	v_ldexp_f32 v4, v7, v4
	v_add_f32_e32 v7, 1.0, v6
	v_add_f32_e32 v16, -1.0, v15
	v_sub_f32_e32 v7, v5, v7
	v_sub_f32_e32 v5, v5, v16
	v_add_f32_e32 v7, v4, v7
	v_add_f32_e32 v4, v4, v5
	;; [unrolled: 1-line block ×3, first 2 shown]
	v_rcp_f32_e32 v22, v21
	v_sub_f32_e32 v5, v15, v21
	v_add_f32_e32 v15, v4, v5
	v_add_f32_e32 v5, v6, v7
	v_mul_f32_e32 v24, v5, v22
	v_sub_f32_e32 v4, v6, v5
	v_mul_f32_e32 v6, v21, v24
	v_fma_f32 v16, v24, v21, -v6
	v_fmac_f32_e32 v16, v24, v15
	v_add_f32_e32 v23, v7, v4
	v_add_f32_e32 v4, v6, v16
	v_sub_f32_e32 v7, v5, v4
	v_pk_add_f32 v[18:19], v[4:5], v[6:7] neg_lo:[0,1] neg_hi:[0,1]
	v_mov_b32_e32 v17, v4
	v_pk_add_f32 v[4:5], v[18:19], v[16:17] neg_lo:[0,1] neg_hi:[0,1]
	v_cmp_eq_f32_e32 vcc, s43, v28
	v_add_f32_e32 v5, v23, v5
	v_add_f32_e32 v4, v4, v5
	;; [unrolled: 1-line block ×3, first 2 shown]
	v_mul_f32_e32 v23, v22, v5
	v_mul_f32_e32 v6, v21, v23
	v_fma_f32 v16, v23, v21, -v6
	v_fmac_f32_e32 v16, v23, v15
	v_sub_f32_e32 v7, v7, v5
	v_add_f32_e32 v15, v4, v7
	v_add_f32_e32 v4, v6, v16
	v_sub_f32_e32 v7, v5, v4
	v_pk_add_f32 v[18:19], v[4:5], v[6:7] neg_lo:[0,1] neg_hi:[0,1]
	v_mov_b32_e32 v17, v4
	v_pk_add_f32 v[4:5], v[18:19], v[16:17] neg_lo:[0,1] neg_hi:[0,1]
	s_or_b64 vcc, s[36:37], vcc
	v_add_f32_e32 v5, v15, v5
	v_add_f32_e32 v4, v4, v5
	;; [unrolled: 1-line block ×4, first 2 shown]
	v_sub_f32_e32 v6, v5, v24
	v_mul_f32_e32 v4, v22, v4
	v_sub_f32_e32 v6, v23, v6
	v_add_f32_e32 v6, v6, v4
	v_add_f32_e32 v16, v5, v6
	v_mul_f32_e32 v17, v16, v16
	v_fmamk_f32 v4, v17, 0x3e9b6dac, v69
	v_fmaak_f32 v15, v17, v4, 0x3f2aaada
	v_cvt_f32_i32_e32 v4, v20
	v_sub_f32_e32 v5, v16, v5
	v_sub_f32_e32 v5, v6, v5
	v_ldexp_f32 v18, v5, 1
	v_mul_f32_e32 v5, v16, v17
	v_ldexp_f32 v7, v16, 1
	v_pk_mul_f32 v[16:17], v[4:5], v[14:15]
	s_nop 0
	v_fma_f32 v6, v4, s45, -v16
	v_fmac_f32_e32 v6, 0xb102e308, v4
	v_pk_add_f32 v[4:5], v[16:17], v[6:7]
	s_nop 0
	v_sub_f32_e32 v7, v5, v7
	v_sub_f32_e32 v7, v17, v7
	v_add_f32_e32 v19, v18, v7
	v_mov_b32_e32 v18, v16
	v_pk_add_f32 v[16:17], v[4:5], v[16:17] neg_lo:[0,1] neg_hi:[0,1]
	v_pk_add_f32 v[20:21], v[4:5], v[18:19]
	v_mov_b32_e32 v7, v4
	v_mov_b32_e32 v17, v21
	v_pk_add_f32 v[22:23], v[6:7], v[16:17] neg_lo:[0,1] neg_hi:[0,1]
	v_pk_add_f32 v[6:7], v[6:7], v[16:17]
	v_mov_b32_e32 v18, v19
	v_mov_b32_e32 v16, v7
	v_pk_add_f32 v[24:25], v[16:17], v[4:5] neg_lo:[0,1] neg_hi:[0,1]
	v_mov_b32_e32 v6, v21
	v_mov_b32_e32 v15, v24
	v_pk_add_f32 v[26:27], v[20:21], v[14:15] neg_lo:[0,1] neg_hi:[0,1]
	v_mov_b32_e32 v20, v5
	v_mov_b32_e32 v21, v24
	;; [unrolled: 1-line block ×3, first 2 shown]
	v_pk_add_f32 v[6:7], v[6:7], v[20:21] neg_lo:[0,1] neg_hi:[0,1]
	v_mov_b32_e32 v19, v4
	v_pk_add_f32 v[4:5], v[18:19], v[6:7] neg_lo:[0,1] neg_hi:[0,1]
	v_mov_b32_e32 v26, v22
	v_pk_add_f32 v[6:7], v[26:27], v[4:5]
	s_nop 0
	v_mov_b32_e32 v18, v7
	v_pk_add_f32 v[18:19], v[6:7], v[18:19]
	s_nop 0
	v_pk_add_f32 v[16:17], v[16:17], v[18:19]
	v_mov_b32_e32 v5, v18
	v_mov_b32_e32 v7, v16
	v_pk_add_f32 v[20:21], v[6:7], v[22:23] neg_lo:[0,1] neg_hi:[0,1]
	s_nop 0
	v_sub_f32_e32 v6, v6, v20
	v_pk_add_f32 v[4:5], v[4:5], v[20:21] neg_lo:[0,1] neg_hi:[0,1]
	v_sub_f32_e32 v6, v22, v6
	v_add_f32_e32 v4, v4, v6
	v_add_f32_e32 v4, v4, v5
	;; [unrolled: 1-line block ×3, first 2 shown]
	v_cndmask_b32_e32 v15, v4, v28, vcc
.LBB14_57:                              ;   in Loop: Header=BB14_11 Depth=1
	s_or_b64 exec, exec, s[38:39]
	v_readlane_b32 s36, v95, 1
	v_lshlrev_b32_e32 v4, 16, v3
	v_and_b32_e32 v7, 0xffff0000, v3
	v_and_b32_e32 v3, 0xffff0000, v2
	v_lshlrev_b32_e32 v2, 16, v2
	v_and_b32_e32 v5, 0xffff0000, v1
	v_lshlrev_b32_e32 v1, 16, v1
	;; [unrolled: 2-line block ×3, first 2 shown]
	v_readlane_b32 s37, v95, 2
	v_mul_f32_e32 v16, s94, v4
	v_mul_f32_e32 v19, s94, v3
	;; [unrolled: 1-line block ×8, first 2 shown]
	s_and_b64 vcc, exec, s[36:37]
	s_waitcnt lgkmcnt(0)
	; wave barrier
	s_cbranch_vccz .LBB14_118
; %bb.58:                               ;   in Loop: Header=BB14_11 Depth=1
	s_cmp_lg_u32 s97, 0
	v_readlane_b32 s36, v95, 5
	v_mul_f32_e32 v88, v74, v0
	s_cselect_b64 s[80:81], -1, 0
	s_cmp_eq_u32 s97, s36
	v_cmp_gt_u32_e32 vcc, s50, v11
	v_or_b32_e32 v0, 1, v11
	s_cselect_b64 s[82:83], -1, 0
	s_or_b64 s[36:37], s[76:77], vcc
	v_cmp_gt_u32_e32 vcc, s50, v0
	v_or_b32_e32 v0, 2, v11
	s_or_b64 s[38:39], s[76:77], vcc
	v_cmp_gt_u32_e32 vcc, s50, v0
	v_or_b32_e32 v0, 3, v11
	;; [unrolled: 3-line block ×3, first 2 shown]
	s_or_b64 s[42:43], s[76:77], vcc
	v_cmp_gt_u32_e32 vcc, s50, v0
	s_or_b64 s[44:45], s[76:77], vcc
	v_cmp_gt_u32_e32 vcc, s50, v66
	;; [unrolled: 2-line block ×3, first 2 shown]
	s_mov_b32 s70, 0
	s_or_b64 s[48:49], s[76:77], vcc
	v_cmp_gt_u32_e32 vcc, s50, v68
	v_mul_f32_e32 v81, v15, v7
	v_lshl_add_u64 v[24:25], s[54:55], 0, v[8:9]
	v_lshl_add_u64 v[26:27], s[58:59], 0, v[8:9]
	v_mul_f32_e32 v82, v80, v4
	v_mul_f32_e32 v83, v79, v3
	;; [unrolled: 1-line block ×6, first 2 shown]
	s_or_b64 s[50:51], s[76:77], vcc
	s_mov_b32 s84, s70
	s_mov_b32 s86, s70
	;; [unrolled: 1-line block ×3, first 2 shown]
	v_readlane_b32 s79, v95, 0
	v_readlane_b32 s95, v95, 6
	s_branch .LBB14_60
.LBB14_59:                              ;   in Loop: Header=BB14_60 Depth=2
	s_or_b64 exec, exec, s[90:91]
	v_mul_f32_e32 v29, v89, v64
	v_fma_f32 v30, v89, v65, v4
	v_cndmask_b32_e64 v4, v30, v4, s[16:17]
	v_cndmask_b32_e64 v29, v29, v89, s[16:17]
	s_waitcnt lgkmcnt(0)
	v_fmac_f32_e32 v4, v28, v29
	v_fmac_f32_e32 v5, v4, v90
	;; [unrolled: 1-line block ×8, first 2 shown]
	v_and_b32_e32 v29, 0xffff0000, v0
	v_and_b32_e32 v31, 0xffff0000, v1
	v_lshlrev_b32_e32 v28, 16, v0
	v_lshlrev_b32_e32 v30, 16, v1
	v_and_b32_e32 v1, 0xffff0000, v2
	v_and_b32_e32 v37, 0xffff0000, v3
	v_lshlrev_b32_e32 v0, 16, v2
	v_lshlrev_b32_e32 v36, 16, v3
	s_add_i32 s95, s95, 8
	s_add_i32 s79, s79, -1
	s_add_i32 s88, s88, s66
	s_add_i32 s86, s86, s60
	;; [unrolled: 1-line block ×4, first 2 shown]
	v_pk_fma_f32 v[20:21], v[32:33], v[30:31], v[20:21]
	v_pk_fma_f32 v[22:23], v[4:5], v[28:29], v[22:23]
	;; [unrolled: 1-line block ×3, first 2 shown]
	s_cmp_eq_u32 s79, 0
	v_pk_fma_f32 v[18:19], v[6:7], v[0:1], v[18:19]
	s_cbranch_scc1 .LBB14_117
.LBB14_60:                              ;   Parent Loop BB14_11 Depth=1
                                        ; =>  This Inner Loop Header: Depth=2
	s_lshl_b64 s[90:91], s[70:71], 2
	s_add_u32 s90, s52, s90
	s_addc_u32 s91, s96, s91
	global_load_dword v28, v9, s[90:91]
	s_mov_b32 s85, s71
	v_lshl_add_u64 v[0:1], s[84:85], 1, v[24:25]
	v_mov_b32_e32 v2, 0
	v_mov_b32_e32 v3, 0
	s_and_saveexec_b64 s[90:91], s[18:19]
	s_cbranch_execz .LBB14_62
; %bb.61:                               ;   in Loop: Header=BB14_60 Depth=2
	global_load_ushort v3, v[0:1], off
.LBB14_62:                              ;   in Loop: Header=BB14_60 Depth=2
	s_or_b64 exec, exec, s[90:91]
	s_and_saveexec_b64 s[90:91], s[20:21]
	s_cbranch_execz .LBB14_64
; %bb.63:                               ;   in Loop: Header=BB14_60 Depth=2
	global_load_ushort v2, v[0:1], off offset:128
.LBB14_64:                              ;   in Loop: Header=BB14_60 Depth=2
	s_or_b64 exec, exec, s[90:91]
	v_mov_b32_e32 v4, 0
	v_mov_b32_e32 v5, 0
	s_and_saveexec_b64 s[90:91], s[22:23]
	s_cbranch_execz .LBB14_66
; %bb.65:                               ;   in Loop: Header=BB14_60 Depth=2
	global_load_ushort v5, v[0:1], off offset:256
.LBB14_66:                              ;   in Loop: Header=BB14_60 Depth=2
	s_or_b64 exec, exec, s[90:91]
	s_and_saveexec_b64 s[90:91], s[24:25]
	s_cbranch_execz .LBB14_68
; %bb.67:                               ;   in Loop: Header=BB14_60 Depth=2
	global_load_ushort v4, v[0:1], off offset:384
.LBB14_68:                              ;   in Loop: Header=BB14_60 Depth=2
	s_or_b64 exec, exec, s[90:91]
	v_mov_b32_e32 v6, 0
	v_mov_b32_e32 v7, 0
	s_and_saveexec_b64 s[90:91], s[26:27]
	s_cbranch_execz .LBB14_70
; %bb.69:                               ;   in Loop: Header=BB14_60 Depth=2
	global_load_ushort v7, v[0:1], off offset:512
.LBB14_70:                              ;   in Loop: Header=BB14_60 Depth=2
	;; [unrolled: 14-line block ×3, first 2 shown]
	s_or_b64 exec, exec, s[90:91]
	s_and_saveexec_b64 s[90:91], s[34:35]
	s_cbranch_execz .LBB14_76
; %bb.75:                               ;   in Loop: Header=BB14_60 Depth=2
	global_load_ushort v29, v[0:1], off offset:896
.LBB14_76:                              ;   in Loop: Header=BB14_60 Depth=2
	s_or_b64 exec, exec, s[90:91]
	s_waitcnt vmcnt(0)
	ds_write_b16 v45, v3
	ds_write_b16 v46, v2 offset:128
	ds_write_b16 v47, v5 offset:256
	;; [unrolled: 1-line block ×7, first 2 shown]
	; wave barrier
	ds_read_b128 v[4:7], v53
	s_mov_b32 s87, s71
	v_lshl_add_u64 v[0:1], s[86:87], 1, v[26:27]
	v_mov_b32_e32 v2, 0
	v_mov_b32_e32 v3, 0
	s_and_saveexec_b64 s[90:91], s[18:19]
	s_cbranch_execz .LBB14_78
; %bb.77:                               ;   in Loop: Header=BB14_60 Depth=2
	global_load_ushort v3, v[0:1], off
.LBB14_78:                              ;   in Loop: Header=BB14_60 Depth=2
	s_or_b64 exec, exec, s[90:91]
	s_and_saveexec_b64 s[90:91], s[20:21]
	s_cbranch_execz .LBB14_80
; %bb.79:                               ;   in Loop: Header=BB14_60 Depth=2
	global_load_ushort v2, v[0:1], off offset:128
.LBB14_80:                              ;   in Loop: Header=BB14_60 Depth=2
	s_or_b64 exec, exec, s[90:91]
	v_mov_b32_e32 v29, 0
	v_mov_b32_e32 v30, 0
	s_and_saveexec_b64 s[90:91], s[22:23]
	s_cbranch_execz .LBB14_82
; %bb.81:                               ;   in Loop: Header=BB14_60 Depth=2
	global_load_ushort v30, v[0:1], off offset:256
.LBB14_82:                              ;   in Loop: Header=BB14_60 Depth=2
	s_or_b64 exec, exec, s[90:91]
	s_and_saveexec_b64 s[90:91], s[24:25]
	s_cbranch_execz .LBB14_84
; %bb.83:                               ;   in Loop: Header=BB14_60 Depth=2
	global_load_ushort v29, v[0:1], off offset:384
.LBB14_84:                              ;   in Loop: Header=BB14_60 Depth=2
	s_or_b64 exec, exec, s[90:91]
	v_mov_b32_e32 v31, 0
	v_mov_b32_e32 v32, 0
	s_and_saveexec_b64 s[90:91], s[26:27]
	s_cbranch_execz .LBB14_86
; %bb.85:                               ;   in Loop: Header=BB14_60 Depth=2
	global_load_ushort v32, v[0:1], off offset:512
.LBB14_86:                              ;   in Loop: Header=BB14_60 Depth=2
	;; [unrolled: 14-line block ×3, first 2 shown]
	s_or_b64 exec, exec, s[90:91]
	s_and_saveexec_b64 s[90:91], s[34:35]
	s_cbranch_execz .LBB14_92
; %bb.91:                               ;   in Loop: Header=BB14_60 Depth=2
	global_load_ushort v33, v[0:1], off offset:896
.LBB14_92:                              ;   in Loop: Header=BB14_60 Depth=2
	s_or_b64 exec, exec, s[90:91]
	s_waitcnt vmcnt(0)
	ds_write_b16 v45, v3 offset:1056
	ds_write_b16 v54, v2 offset:128
	;; [unrolled: 1-line block ×8, first 2 shown]
	; wave barrier
	ds_read_b128 v[0:3], v53 offset:1056
	s_andn2_b64 vcc, exec, s[80:81]
	s_cbranch_vccnz .LBB14_94
; %bb.93:                               ;   in Loop: Header=BB14_60 Depth=2
	v_mov_b32_e32 v29, s95
	ds_read_b64 v[30:31], v29
	s_waitcnt lgkmcnt(0)
	v_mov_b32_e32 v29, v31
	s_cbranch_execz .LBB14_95
	s_branch .LBB14_98
.LBB14_94:                              ;   in Loop: Header=BB14_60 Depth=2
                                        ; implicit-def: $vgpr30
                                        ; implicit-def: $vgpr29
.LBB14_95:                              ;   in Loop: Header=BB14_60 Depth=2
	s_andn2_b64 vcc, exec, s[68:69]
	v_mov_b32_e32 v29, 0
	s_cbranch_vccnz .LBB14_97
; %bb.96:                               ;   in Loop: Header=BB14_60 Depth=2
	s_mov_b32 s89, s71
	s_lshl_b64 s[90:91], s[88:89], 1
	s_add_u32 s90, s57, s90
	s_addc_u32 s91, s61, s91
	global_load_ushort v29, v9, s[90:91]
	s_waitcnt vmcnt(0)
	v_lshlrev_b32_e32 v29, 16, v29
.LBB14_97:                              ;   in Loop: Header=BB14_60 Depth=2
	v_mov_b32_e32 v30, 1.0
.LBB14_98:                              ;   in Loop: Header=BB14_60 Depth=2
	v_mul_f32_e32 v28, 0x3fb8aa3b, v28
	s_waitcnt lgkmcnt(9)
	v_lshlrev_b32_e32 v31, 16, v4
	v_and_b32_e32 v32, 0xffff0000, v4
	v_mul_f32_e32 v4, v28, v74
	v_cmp_gt_f32_e32 vcc, s98, v4
	v_lshlrev_b32_e32 v35, 16, v6
	v_and_b32_e32 v36, 0xffff0000, v6
	v_cndmask_b32_e32 v4, 0, v71, vcc
	v_mul_f32_e32 v6, v28, v75
	v_lshlrev_b32_e32 v33, 16, v5
	v_and_b32_e32 v34, 0xffff0000, v5
	v_fmac_f32_e32 v4, v28, v74
	v_cndmask_b32_e32 v5, 1.0, v72, vcc
	v_cmp_gt_f32_e32 vcc, s98, v6
	v_exp_f32_e32 v4, v4
	v_lshlrev_b32_e32 v37, 16, v7
	v_cndmask_b32_e32 v6, 0, v71, vcc
	v_fmac_f32_e32 v6, v28, v75
	v_exp_f32_e32 v6, v6
	v_and_b32_e32 v63, 0xffff0000, v7
	v_mul_f32_e32 v5, v4, v5
	v_mul_f32_e32 v7, v28, v76
	v_cndmask_b32_e64 v89, 1.0, v5, s[36:37]
	v_cndmask_b32_e32 v5, 1.0, v72, vcc
	v_cmp_gt_f32_e32 vcc, s98, v7
	v_mul_f32_e32 v4, v88, v31
	v_mul_f32_e32 v6, v6, v5
	v_cndmask_b32_e32 v7, 0, v71, vcc
	v_mul_f32_e32 v31, v28, v77
	v_fmac_f32_e32 v7, v28, v76
	v_cndmask_b32_e64 v90, 1.0, v6, s[38:39]
	v_cndmask_b32_e32 v6, 1.0, v72, vcc
	v_cmp_gt_f32_e32 vcc, s98, v31
	v_exp_f32_e32 v7, v7
	v_mul_f32_e32 v5, v87, v32
	v_cndmask_b32_e32 v31, 0, v71, vcc
	v_fmac_f32_e32 v31, v28, v77
	v_exp_f32_e32 v31, v31
	v_mul_f32_e32 v6, v7, v6
	v_cndmask_b32_e64 v91, 1.0, v6, s[40:41]
	v_cndmask_b32_e32 v6, 1.0, v72, vcc
	v_mul_f32_e32 v6, v31, v6
	v_mul_f32_e32 v31, v28, v78
	v_cmp_gt_f32_e32 vcc, s98, v31
	v_mul_f32_e32 v7, v86, v33
	v_cndmask_b32_e64 v32, 0, v7, s[40:41]
	v_cndmask_b32_e32 v31, 0, v71, vcc
	v_fmac_f32_e32 v31, v28, v78
	v_exp_f32_e32 v31, v31
	v_mul_f32_e32 v7, v85, v34
	v_cndmask_b32_e64 v92, 1.0, v6, s[42:43]
	v_cndmask_b32_e32 v6, 1.0, v72, vcc
	v_cndmask_b32_e64 v33, 0, v7, s[42:43]
	v_mul_f32_e32 v7, v31, v6
	v_mul_f32_e32 v31, v28, v79
	v_cmp_gt_f32_e32 vcc, s98, v31
	v_mul_f32_e32 v34, v28, v80
	v_cndmask_b32_e64 v93, 1.0, v7, s[44:45]
	v_cndmask_b32_e32 v31, 0, v71, vcc
	v_fmac_f32_e32 v31, v28, v79
	v_exp_f32_e32 v31, v31
	v_cndmask_b32_e32 v7, 1.0, v72, vcc
	v_cmp_gt_f32_e32 vcc, s98, v34
	v_mul_f32_e32 v6, v84, v35
	v_mul_f32_e32 v31, v31, v7
	v_cndmask_b32_e32 v34, 0, v71, vcc
	v_mul_f32_e32 v35, v28, v15
	v_fmac_f32_e32 v34, v28, v80
	v_cndmask_b32_e64 v94, 1.0, v31, s[46:47]
	v_cndmask_b32_e32 v31, 1.0, v72, vcc
	v_cmp_gt_f32_e32 vcc, s98, v35
	v_exp_f32_e32 v34, v34
	v_cndmask_b32_e64 v4, 0, v4, s[36:37]
	v_cndmask_b32_e32 v35, 0, v71, vcc
	v_fmac_f32_e32 v35, v28, v15
	v_exp_f32_e32 v28, v35
	v_mul_f32_e32 v31, v34, v31
	v_cndmask_b32_e64 v62, 1.0, v31, s[48:49]
	v_cndmask_b32_e32 v31, 1.0, v72, vcc
	v_cndmask_b32_e64 v5, 0, v5, s[38:39]
	v_mul_f32_e32 v28, v28, v31
	v_mul_f32_e32 v31, v81, v63
	v_cndmask_b32_e64 v35, 0, v31, s[50:51]
	v_cndmask_b32_e64 v63, 1.0, v28, s[50:51]
	v_mul_f32_e32 v28, v90, v89
	v_fma_f32 v31, v90, v4, v5
	v_mul_f32_e32 v28, v28, v91
	v_fma_f32 v31, v31, v91, v32
	v_cndmask_b32_e64 v6, 0, v6, s[44:45]
	v_mul_f32_e32 v7, v83, v36
	v_mul_f32_e32 v28, v28, v92
	v_fma_f32 v31, v31, v92, v33
	v_cndmask_b32_e64 v7, 0, v7, s[46:47]
	v_mul_f32_e32 v34, v82, v37
	;; [unrolled: 4-line block ×3, first 2 shown]
	v_fma_f32 v31, v31, v94, v7
	v_mul_f32_e32 v28, v28, v62
	v_fma_f32 v36, v31, v62, v34
	v_mul_f32_e32 v31, v28, v63
	v_fma_f32 v28, v36, v63, v35
	s_nop 0
	v_mov_b32_dpp v37, v31 row_shr:1 row_mask:0xf bank_mask:0xf
	v_mov_b32_dpp v36, v28 row_shr:1 row_mask:0xf bank_mask:0xf
	s_and_saveexec_b64 s[90:91], s[0:1]
; %bb.99:                               ;   in Loop: Header=BB14_60 Depth=2
	v_mul_f32_e32 v37, v31, v37
	v_fmac_f32_e32 v28, v31, v36
	v_mov_b32_e32 v31, v37
; %bb.100:                              ;   in Loop: Header=BB14_60 Depth=2
	s_or_b64 exec, exec, s[90:91]
	s_nop 0
	v_mov_b32_dpp v36, v31 row_shr:2 row_mask:0xf bank_mask:0xf
	v_mov_b32_dpp v37, v28 row_shr:2 row_mask:0xf bank_mask:0xf
	s_and_saveexec_b64 s[90:91], s[2:3]
; %bb.101:                              ;   in Loop: Header=BB14_60 Depth=2
	v_fmac_f32_e32 v28, v31, v37
	v_mul_f32_e32 v31, v31, v36
; %bb.102:                              ;   in Loop: Header=BB14_60 Depth=2
	s_or_b64 exec, exec, s[90:91]
	s_nop 0
	v_mov_b32_dpp v36, v31 row_shr:4 row_mask:0xf bank_mask:0xf
	v_mov_b32_dpp v37, v28 row_shr:4 row_mask:0xf bank_mask:0xf
	s_and_saveexec_b64 s[90:91], s[4:5]
; %bb.103:                              ;   in Loop: Header=BB14_60 Depth=2
	v_fmac_f32_e32 v28, v31, v37
	v_mul_f32_e32 v31, v31, v36
	;; [unrolled: 9-line block ×3, first 2 shown]
; %bb.106:                              ;   in Loop: Header=BB14_60 Depth=2
	s_or_b64 exec, exec, s[90:91]
	s_nop 0
	v_mov_b32_dpp v36, v31 row_bcast:15 row_mask:0xf bank_mask:0xf
	v_mov_b32_dpp v37, v28 row_bcast:15 row_mask:0xf bank_mask:0xf
	s_and_saveexec_b64 s[90:91], s[8:9]
; %bb.107:                              ;   in Loop: Header=BB14_60 Depth=2
	v_fmac_f32_e32 v28, v31, v37
	v_mul_f32_e32 v31, v31, v36
; %bb.108:                              ;   in Loop: Header=BB14_60 Depth=2
	s_or_b64 exec, exec, s[90:91]
	s_nop 0
	v_mov_b32_dpp v36, v31 row_bcast:31 row_mask:0xf bank_mask:0xf
	v_mov_b32_dpp v37, v28 row_bcast:31 row_mask:0xf bank_mask:0xf
	v_mov_b32_e32 v64, v28
	v_mul_f32_e32 v36, v31, v36
	v_fmac_f32_e32 v64, v31, v37
	v_cndmask_b32_e64 v36, v31, v36, s[10:11]
	v_cndmask_b32_e64 v37, v28, v64, s[10:11]
	s_and_saveexec_b64 s[90:91], s[12:13]
	s_cbranch_execz .LBB14_110
; %bb.109:                              ;   in Loop: Header=BB14_60 Depth=2
	ds_write_b64 v9, v[36:37] offset:2112
.LBB14_110:                             ;   in Loop: Header=BB14_60 Depth=2
	s_or_b64 exec, exec, s[90:91]
	ds_bpermute_b32 v64, v61, v36
	ds_bpermute_b32 v65, v61, v37
	s_waitcnt lgkmcnt(0)
	; wave barrier
	s_waitcnt lgkmcnt(0)
	s_and_saveexec_b64 s[90:91], s[14:15]
	s_cbranch_execz .LBB14_114
; %bb.111:                              ;   in Loop: Header=BB14_60 Depth=2
	ds_read_b64 v[36:37], v9 offset:2112
	s_and_saveexec_b64 s[92:93], s[16:17]
	s_cbranch_execz .LBB14_113
; %bb.112:                              ;   in Loop: Header=BB14_60 Depth=2
	v_mov_b32_e32 v31, v29
	ds_write_b64 v9, v[30:31] offset:2112
.LBB14_113:                             ;   in Loop: Header=BB14_60 Depth=2
	s_or_b64 exec, exec, s[92:93]
	s_waitcnt lgkmcnt(0)
	v_mul_f32_e32 v31, v36, v29
	v_pk_add_f32 v[28:29], v[30:31], v[36:37]
	v_mul_f32_e32 v30, v30, v36
.LBB14_114:                             ;   in Loop: Header=BB14_60 Depth=2
	s_or_b64 exec, exec, s[90:91]
	s_waitcnt lgkmcnt(0)
	; wave barrier
	ds_read_b32 v28, v9 offset:2116
	s_and_saveexec_b64 s[90:91], s[16:17]
	s_cbranch_execz .LBB14_59
; %bb.115:                              ;   in Loop: Header=BB14_60 Depth=2
	v_mov_b32_e32 v31, v29
	v_mov_b32_e32 v36, s95
	s_andn2_b64 vcc, exec, s[82:83]
	ds_write_b64 v36, v[30:31]
	s_cbranch_vccnz .LBB14_59
; %bb.116:                              ;   in Loop: Header=BB14_60 Depth=2
	v_bfe_u32 v30, v29, 16, 1
	s_mov_b32 s89, s71
	v_add3_u32 v30, v29, v30, s74
	s_lshl_b64 s[92:93], s[88:89], 1
	v_lshrrev_b32_e32 v30, 16, v30
	v_cmp_o_f32_e32 vcc, v29, v29
	s_add_u32 s92, s57, s92
	s_addc_u32 s93, s61, s93
	v_cndmask_b32_e32 v29, v73, v30, vcc
	global_store_short v9, v29, s[92:93]
	s_branch .LBB14_59
.LBB14_117:                             ;   in Loop: Header=BB14_11 Depth=1
	s_mov_b32 s40, 0x3fb8aa3b
	s_mov_b32 s41, 0xc2ce8ed0
	;; [unrolled: 1-line block ×6, first 2 shown]
.LBB14_118:                             ;   in Loop: Header=BB14_11 Depth=1
	v_bfe_u32 v0, v22, 16, 1
	v_bfe_u32 v1, v23, 16, 1
	v_add3_u32 v0, v22, v0, s74
	v_bfe_u32 v2, v20, 16, 1
	v_add3_u32 v1, v23, v1, s74
	v_lshrrev_b32_e32 v0, 16, v0
	v_cmp_o_f32_e32 vcc, v22, v22
	v_bfe_u32 v3, v21, 16, 1
	v_add3_u32 v2, v20, v2, s74
	v_lshrrev_b32_e32 v1, 16, v1
	v_cndmask_b32_e32 v0, v73, v0, vcc
	v_cmp_o_f32_e32 vcc, v23, v23
	v_add3_u32 v3, v21, v3, s74
	v_lshrrev_b32_e32 v2, 16, v2
	v_cndmask_b32_e32 v4, v73, v1, vcc
	v_cmp_o_f32_e32 vcc, v20, v20
	v_lshrrev_b32_e32 v3, 16, v3
	v_bfe_u32 v6, v16, 16, 1
	v_cndmask_b32_e32 v1, v73, v2, vcc
	v_cmp_o_f32_e32 vcc, v21, v21
	v_bfe_u32 v2, v18, 16, 1
	v_add3_u32 v2, v18, v2, s74
	v_cndmask_b32_e32 v5, v73, v3, vcc
	v_bfe_u32 v3, v19, 16, 1
	v_add3_u32 v3, v19, v3, s74
	v_lshrrev_b32_e32 v2, 16, v2
	v_cmp_o_f32_e32 vcc, v18, v18
	v_bfe_u32 v7, v17, 16, 1
	v_add3_u32 v6, v16, v6, s74
	v_lshrrev_b32_e32 v3, 16, v3
	v_cndmask_b32_e32 v2, v73, v2, vcc
	v_cmp_o_f32_e32 vcc, v19, v19
	v_add3_u32 v7, v17, v7, s74
	v_lshrrev_b32_e32 v6, 16, v6
	v_cndmask_b32_e32 v15, v73, v3, vcc
	v_cmp_o_f32_e32 vcc, v16, v16
	v_lshrrev_b32_e32 v7, 16, v7
	v_perm_b32 v2, v15, v2, s75
	v_cndmask_b32_e32 v3, v73, v6, vcc
	v_cmp_o_f32_e32 vcc, v17, v17
	v_perm_b32 v1, v5, v1, s75
	v_perm_b32 v0, v4, v0, s75
	v_cndmask_b32_e32 v6, v73, v7, vcc
	v_perm_b32 v3, v6, v3, s75
	s_waitcnt lgkmcnt(0)
	; wave barrier
	ds_write_b128 v53, v[0:3]
	; wave barrier
	ds_read_u16 v15, v46 offset:128
	ds_read_u16 v7, v47 offset:256
	;; [unrolled: 1-line block ×7, first 2 shown]
	s_mov_b32 s79, s71
	v_lshl_add_u64 v[0:1], s[78:79], 1, v[12:13]
	s_and_saveexec_b64 s[36:37], s[18:19]
	s_cbranch_execnz .LBB14_128
; %bb.119:                              ;   in Loop: Header=BB14_11 Depth=1
	s_or_b64 exec, exec, s[36:37]
	s_and_saveexec_b64 s[18:19], s[20:21]
	s_cbranch_execnz .LBB14_129
.LBB14_120:                             ;   in Loop: Header=BB14_11 Depth=1
	s_or_b64 exec, exec, s[18:19]
	s_and_saveexec_b64 s[18:19], s[22:23]
	s_cbranch_execnz .LBB14_130
.LBB14_121:                             ;   in Loop: Header=BB14_11 Depth=1
	s_or_b64 exec, exec, s[18:19]
	s_and_saveexec_b64 s[18:19], s[24:25]
	s_cbranch_execnz .LBB14_131
.LBB14_122:                             ;   in Loop: Header=BB14_11 Depth=1
	s_or_b64 exec, exec, s[18:19]
	s_and_saveexec_b64 s[18:19], s[26:27]
	s_cbranch_execnz .LBB14_132
.LBB14_123:                             ;   in Loop: Header=BB14_11 Depth=1
	s_or_b64 exec, exec, s[18:19]
	s_and_saveexec_b64 s[18:19], s[28:29]
	s_cbranch_execnz .LBB14_133
.LBB14_124:                             ;   in Loop: Header=BB14_11 Depth=1
	s_or_b64 exec, exec, s[18:19]
	s_and_saveexec_b64 s[18:19], s[30:31]
	s_cbranch_execnz .LBB14_134
.LBB14_125:                             ;   in Loop: Header=BB14_11 Depth=1
	s_or_b64 exec, exec, s[18:19]
	s_and_saveexec_b64 s[18:19], s[34:35]
	s_cbranch_execz .LBB14_10
	s_branch .LBB14_135
.LBB14_126:                             ;   in Loop: Header=BB14_11 Depth=1
	global_load_ushort v19, v[4:5], off offset:640
	s_or_b64 exec, exec, s[36:37]
	s_and_saveexec_b64 s[36:37], s[30:31]
	s_cbranch_execz .LBB14_39
.LBB14_127:                             ;   in Loop: Header=BB14_11 Depth=1
	global_load_ushort v18, v[4:5], off offset:768
	s_or_b64 exec, exec, s[36:37]
	v_mov_b32_e32 v20, 0
	s_and_saveexec_b64 s[36:37], s[34:35]
	s_cbranch_execnz .LBB14_40
	s_branch .LBB14_41
.LBB14_128:                             ;   in Loop: Header=BB14_11 Depth=1
	ds_read_u16 v16, v45
	s_waitcnt lgkmcnt(0)
	global_store_short v[0:1], v16, off
	s_or_b64 exec, exec, s[36:37]
	s_and_saveexec_b64 s[18:19], s[20:21]
	s_cbranch_execz .LBB14_120
.LBB14_129:                             ;   in Loop: Header=BB14_11 Depth=1
	s_waitcnt lgkmcnt(6)
	global_store_short v[0:1], v15, off offset:128
	s_or_b64 exec, exec, s[18:19]
	s_and_saveexec_b64 s[18:19], s[22:23]
	s_cbranch_execz .LBB14_121
.LBB14_130:                             ;   in Loop: Header=BB14_11 Depth=1
	s_waitcnt lgkmcnt(5)
	global_store_short v[0:1], v7, off offset:256
	s_or_b64 exec, exec, s[18:19]
	s_and_saveexec_b64 s[18:19], s[24:25]
	s_cbranch_execz .LBB14_122
.LBB14_131:                             ;   in Loop: Header=BB14_11 Depth=1
	s_waitcnt lgkmcnt(4)
	global_store_short v[0:1], v6, off offset:384
	s_or_b64 exec, exec, s[18:19]
	s_and_saveexec_b64 s[18:19], s[26:27]
	s_cbranch_execz .LBB14_123
.LBB14_132:                             ;   in Loop: Header=BB14_11 Depth=1
	s_waitcnt lgkmcnt(3)
	global_store_short v[0:1], v5, off offset:512
	s_or_b64 exec, exec, s[18:19]
	s_and_saveexec_b64 s[18:19], s[28:29]
	s_cbranch_execz .LBB14_124
.LBB14_133:                             ;   in Loop: Header=BB14_11 Depth=1
	s_waitcnt lgkmcnt(2)
	global_store_short v[0:1], v4, off offset:640
	s_or_b64 exec, exec, s[18:19]
	s_and_saveexec_b64 s[18:19], s[30:31]
	s_cbranch_execz .LBB14_125
.LBB14_134:                             ;   in Loop: Header=BB14_11 Depth=1
	s_waitcnt lgkmcnt(1)
	global_store_short v[0:1], v3, off offset:768
	s_or_b64 exec, exec, s[18:19]
	s_and_saveexec_b64 s[18:19], s[34:35]
	s_cbranch_execz .LBB14_10
.LBB14_135:                             ;   in Loop: Header=BB14_11 Depth=1
	s_waitcnt lgkmcnt(0)
	global_store_short v[0:1], v2, off offset:896
	s_branch .LBB14_10
.LBB14_136:
	s_endpgm
.LBB14_137:
	s_mov_b64 s[68:69], 0
	s_load_dwordx2 s[4:5], s[0:1], 0x20
	s_cmp_eq_u64 s[6:7], 0
	s_cbranch_scc0 .LBB14_2
	s_branch .LBB14_3
	.section	.rodata,"a",@progbits
	.p2align	6, 0x0
	.amdhsa_kernel _Z25selective_scan_fwd_kernelI32Selective_Scan_fwd_kernel_traitsILi64ELi8ELi1ELb0ELb1ELb1ELb0ELb1EN3c108BFloat16EfS2_EEv13SSMParamsBase
		.amdhsa_group_segment_fixed_size 0
		.amdhsa_private_segment_fixed_size 0
		.amdhsa_kernarg_size 248
		.amdhsa_user_sgpr_count 2
		.amdhsa_user_sgpr_dispatch_ptr 0
		.amdhsa_user_sgpr_queue_ptr 0
		.amdhsa_user_sgpr_kernarg_segment_ptr 1
		.amdhsa_user_sgpr_dispatch_id 0
		.amdhsa_user_sgpr_kernarg_preload_length 0
		.amdhsa_user_sgpr_kernarg_preload_offset 0
		.amdhsa_user_sgpr_private_segment_size 0
		.amdhsa_uses_dynamic_stack 0
		.amdhsa_enable_private_segment 0
		.amdhsa_system_sgpr_workgroup_id_x 1
		.amdhsa_system_sgpr_workgroup_id_y 1
		.amdhsa_system_sgpr_workgroup_id_z 0
		.amdhsa_system_sgpr_workgroup_info 0
		.amdhsa_system_vgpr_workitem_id 0
		.amdhsa_next_free_vgpr 96
		.amdhsa_next_free_sgpr 100
		.amdhsa_accum_offset 96
		.amdhsa_reserve_vcc 1
		.amdhsa_float_round_mode_32 0
		.amdhsa_float_round_mode_16_64 0
		.amdhsa_float_denorm_mode_32 3
		.amdhsa_float_denorm_mode_16_64 3
		.amdhsa_dx10_clamp 1
		.amdhsa_ieee_mode 1
		.amdhsa_fp16_overflow 0
		.amdhsa_tg_split 0
		.amdhsa_exception_fp_ieee_invalid_op 0
		.amdhsa_exception_fp_denorm_src 0
		.amdhsa_exception_fp_ieee_div_zero 0
		.amdhsa_exception_fp_ieee_overflow 0
		.amdhsa_exception_fp_ieee_underflow 0
		.amdhsa_exception_fp_ieee_inexact 0
		.amdhsa_exception_int_div_zero 0
	.end_amdhsa_kernel
	.section	.text._Z25selective_scan_fwd_kernelI32Selective_Scan_fwd_kernel_traitsILi64ELi8ELi1ELb0ELb1ELb1ELb0ELb1EN3c108BFloat16EfS2_EEv13SSMParamsBase,"axG",@progbits,_Z25selective_scan_fwd_kernelI32Selective_Scan_fwd_kernel_traitsILi64ELi8ELi1ELb0ELb1ELb1ELb0ELb1EN3c108BFloat16EfS2_EEv13SSMParamsBase,comdat
.Lfunc_end14:
	.size	_Z25selective_scan_fwd_kernelI32Selective_Scan_fwd_kernel_traitsILi64ELi8ELi1ELb0ELb1ELb1ELb0ELb1EN3c108BFloat16EfS2_EEv13SSMParamsBase, .Lfunc_end14-_Z25selective_scan_fwd_kernelI32Selective_Scan_fwd_kernel_traitsILi64ELi8ELi1ELb0ELb1ELb1ELb0ELb1EN3c108BFloat16EfS2_EEv13SSMParamsBase
                                        ; -- End function
	.section	.AMDGPU.csdata,"",@progbits
; Kernel info:
; codeLenInByte = 10516
; NumSgprs: 106
; NumVgprs: 96
; NumAgprs: 0
; TotalNumVgprs: 96
; ScratchSize: 0
; MemoryBound: 0
; FloatMode: 240
; IeeeMode: 1
; LDSByteSize: 0 bytes/workgroup (compile time only)
; SGPRBlocks: 13
; VGPRBlocks: 11
; NumSGPRsForWavesPerEU: 106
; NumVGPRsForWavesPerEU: 96
; AccumOffset: 96
; Occupancy: 5
; WaveLimiterHint : 1
; COMPUTE_PGM_RSRC2:SCRATCH_EN: 0
; COMPUTE_PGM_RSRC2:USER_SGPR: 2
; COMPUTE_PGM_RSRC2:TRAP_HANDLER: 0
; COMPUTE_PGM_RSRC2:TGID_X_EN: 1
; COMPUTE_PGM_RSRC2:TGID_Y_EN: 1
; COMPUTE_PGM_RSRC2:TGID_Z_EN: 0
; COMPUTE_PGM_RSRC2:TIDIG_COMP_CNT: 0
; COMPUTE_PGM_RSRC3_GFX90A:ACCUM_OFFSET: 23
; COMPUTE_PGM_RSRC3_GFX90A:TG_SPLIT: 0
	.section	.text._Z25selective_scan_fwd_kernelI32Selective_Scan_fwd_kernel_traitsILi64ELi8ELi1ELb0ELb1ELb1ELb0ELb0EN3c108BFloat16EfS2_EEv13SSMParamsBase,"axG",@progbits,_Z25selective_scan_fwd_kernelI32Selective_Scan_fwd_kernel_traitsILi64ELi8ELi1ELb0ELb1ELb1ELb0ELb0EN3c108BFloat16EfS2_EEv13SSMParamsBase,comdat
	.protected	_Z25selective_scan_fwd_kernelI32Selective_Scan_fwd_kernel_traitsILi64ELi8ELi1ELb0ELb1ELb1ELb0ELb0EN3c108BFloat16EfS2_EEv13SSMParamsBase ; -- Begin function _Z25selective_scan_fwd_kernelI32Selective_Scan_fwd_kernel_traitsILi64ELi8ELi1ELb0ELb1ELb1ELb0ELb0EN3c108BFloat16EfS2_EEv13SSMParamsBase
	.globl	_Z25selective_scan_fwd_kernelI32Selective_Scan_fwd_kernel_traitsILi64ELi8ELi1ELb0ELb1ELb1ELb0ELb0EN3c108BFloat16EfS2_EEv13SSMParamsBase
	.p2align	8
	.type	_Z25selective_scan_fwd_kernelI32Selective_Scan_fwd_kernel_traitsILi64ELi8ELi1ELb0ELb1ELb1ELb0ELb0EN3c108BFloat16EfS2_EEv13SSMParamsBase,@function
_Z25selective_scan_fwd_kernelI32Selective_Scan_fwd_kernel_traitsILi64ELi8ELi1ELb0ELb1ELb1ELb0ELb0EN3c108BFloat16EfS2_EEv13SSMParamsBase: ; @_Z25selective_scan_fwd_kernelI32Selective_Scan_fwd_kernel_traitsILi64ELi8ELi1ELb0ELb1ELb1ELb0ELb0EN3c108BFloat16EfS2_EEv13SSMParamsBase
; %bb.0:
	s_load_dword s27, s[0:1], 0x18
	s_load_dwordx4 s[4:7], s[0:1], 0xe8
	s_mov_b32 s20, s3
	s_waitcnt lgkmcnt(0)
	s_abs_i32 s26, s27
	v_cvt_f32_u32_e32 v1, s26
	s_cmp_eq_u64 s[6:7], 0
	v_rcp_iflag_f32_e32 v1, v1
	s_nop 0
	v_mul_f32_e32 v1, 0x4f7ffffe, v1
	v_cvt_u32_f32_e32 v1, v1
	s_nop 0
	v_readfirstlane_b32 s22, v1
	s_cbranch_scc1 .LBB15_3
; %bb.1:
	s_ashr_i32 s3, s2, 31
	s_add_u32 s6, s6, s2
	s_addc_u32 s7, s7, s3
	v_mov_b32_e32 v1, 0
	global_load_ubyte v1, v1, s[6:7]
	s_waitcnt vmcnt(0)
	v_and_b32_e32 v1, 1, v1
	v_cmp_eq_u32_e64 s[68:69], 1, v1
	s_load_dwordx2 s[6:7], s[0:1], 0x20
	s_cmp_eq_u64 s[4:5], 0
	s_cbranch_scc1 .LBB15_4
.LBB15_2:
	s_ashr_i32 s3, s2, 31
	s_lshl_b64 s[8:9], s[2:3], 2
	s_add_u32 s4, s4, s8
	s_addc_u32 s5, s5, s9
	s_load_dword s24, s[4:5], 0x0
	s_waitcnt lgkmcnt(0)
	s_ashr_i32 s25, s24, 31
	s_cmp_eq_u64 s[6:7], s[24:25]
	s_cbranch_scc0 .LBB15_5
	s_branch .LBB15_137
.LBB15_3:
	s_mov_b64 s[68:69], 0
	s_load_dwordx2 s[6:7], s[0:1], 0x20
	s_cmp_eq_u64 s[4:5], 0
	s_cbranch_scc0 .LBB15_2
.LBB15_4:
	s_mov_b32 s24, s2
	s_ashr_i32 s25, s24, 31
	s_waitcnt lgkmcnt(0)
	s_cmp_eq_u64 s[6:7], s[24:25]
	s_cbranch_scc1 .LBB15_137
.LBB15_5:
	s_load_dwordx16 s[4:19], s[0:1], 0x88
	s_load_dwordx2 s[30:31], s[0:1], 0x8
	s_mov_b32 s33, 0
	s_mov_b32 s96, 0
	s_waitcnt lgkmcnt(0)
	s_cmp_eq_u64 s[10:11], 0
	s_cbranch_scc1 .LBB15_7
; %bb.6:
	s_ashr_i32 s21, s20, 31
	s_lshl_b64 s[28:29], s[20:21], 2
	s_add_u32 s10, s10, s28
	s_addc_u32 s11, s11, s29
	s_load_dword s96, s[10:11], 0x0
.LBB15_7:
	s_cmp_eq_u64 s[16:17], 0
	s_cbranch_scc1 .LBB15_9
; %bb.8:
	s_ashr_i32 s21, s20, 31
	s_lshl_b64 s[10:11], s[20:21], 2
	s_add_u32 s10, s16, s10
	s_addc_u32 s11, s17, s11
	s_load_dword s33, s[10:11], 0x0
.LBB15_9:
	s_cmp_lt_i32 s30, 1
	s_cbranch_scc1 .LBB15_137
; %bb.10:
	s_sub_i32 s3, 0, s26
	s_mul_i32 s3, s3, s22
	s_mul_hi_u32 s3, s22, s3
	s_abs_i32 s21, s20
	s_add_i32 s3, s22, s3
	s_load_dwordx8 s[56:63], s[0:1], 0x2c
	s_load_dwordx2 s[10:11], s[0:1], 0x5c
	s_load_dwordx4 s[64:67], s[0:1], 0x4c
	s_load_dwordx4 s[52:55], s[0:1], 0x7c
	s_load_dwordx2 s[22:23], s[0:1], 0x6c
	s_load_dwordx2 s[16:17], s[0:1], 0xc8
	s_mul_hi_u32 s3, s21, s3
	s_load_dword s25, s[0:1], 0x28
	s_ashr_i32 s0, s20, 31
	s_ashr_i32 s1, s27, 31
	s_xor_b32 s0, s0, s1
	s_mul_i32 s1, s3, s26
	s_sub_i32 s1, s21, s1
	s_add_i32 s21, s3, 1
	s_sub_i32 s27, s1, s26
	s_cmp_ge_u32 s1, s26
	s_cselect_b32 s3, s21, s3
	s_cselect_b32 s1, s27, s1
	s_add_i32 s21, s3, 1
	s_cmp_ge_u32 s1, s26
	s_cselect_b32 s1, s21, s3
	s_xor_b32 s1, s1, s0
	s_waitcnt lgkmcnt(0)
	s_mul_i32 s72, s66, s2
	s_mov_b32 s73, 0
	s_sub_i32 s3, s1, s0
	s_lshl_b64 s[0:1], s[72:73], 1
	s_add_u32 s12, s12, s0
	s_mul_i32 s72, s67, s20
	s_addc_u32 s13, s13, s1
	s_lshl_b64 s[0:1], s[72:73], 1
	s_add_u32 s66, s12, s0
	s_mul_i32 s72, s10, s2
	s_addc_u32 s67, s13, s1
	s_lshl_b64 s[0:1], s[72:73], 1
	s_add_u32 s10, s14, s0
	s_mul_i32 s72, s11, s20
	s_addc_u32 s12, s15, s1
	s_lshl_b64 s[0:1], s[72:73], 1
	s_add_u32 s74, s10, s0
	s_mul_i32 s72, s56, s20
	s_addc_u32 s75, s12, s1
	s_lshl_b64 s[0:1], s[72:73], 2
	s_add_u32 s55, s4, s0
	s_mul_i32 s72, s58, s2
	s_addc_u32 s56, s5, s1
	s_lshl_b64 s[0:1], s[72:73], 1
	s_add_u32 s4, s6, s0
	s_mul_i32 s72, s3, s61
	s_addc_u32 s5, s7, s1
	s_lshl_b64 s[0:1], s[72:73], 1
	s_add_u32 s58, s4, s0
	s_mul_i32 s72, s62, s2
	s_addc_u32 s59, s5, s1
	s_lshl_b64 s[0:1], s[72:73], 1
	s_add_u32 s4, s8, s0
	s_mul_i32 s72, s3, s65
	s_addc_u32 s5, s9, s1
	s_lshl_b64 s[0:1], s[72:73], 1
	s_add_u32 s62, s4, s0
	s_mul_i32 s72, s24, s52
	s_addc_u32 s63, s5, s1
	s_lshl_b64 s[0:1], s[72:73], 1
	s_add_u32 s3, s16, s0
	s_mul_i32 s72, s53, s20
	s_addc_u32 s4, s17, s1
	s_lshl_b64 s[0:1], s[72:73], 1
	s_add_u32 s61, s3, s0
	v_mbcnt_lo_u32_b32 v1, -1, 0
	s_addc_u32 s65, s4, s1
	s_add_i32 s0, s30, 0x7ff
	v_mbcnt_hi_u32_b32 v10, -1, v1
	s_lshr_b32 s3, s0, 11
	v_lshrrev_b32_e32 v1, 5, v10
	v_and_b32_e32 v1, 2, v1
	s_bitcmp1_b32 s25, 0
	v_add_u32_e32 v38, 64, v10
	v_or_b32_e32 v39, 0x80, v10
	v_add_u32_e32 v40, 0xc0, v10
	v_or_b32_e32 v41, 0x100, v10
	;; [unrolled: 2-line block ×3, first 2 shown]
	v_add_u32_e32 v44, 0x1c0, v10
	v_add_u32_e32 v1, v1, v10
	s_cselect_b64 s[76:77], -1, 0
	s_cmp_gt_i32 s31, 0
	v_lshl_add_u32 v45, v1, 1, 0
	v_lshrrev_b32_e32 v1, 5, v38
	v_lshrrev_b32_e32 v2, 5, v39
	;; [unrolled: 1-line block ×7, first 2 shown]
	s_cselect_b64 s[0:1], -1, 0
                                        ; implicit-def: $vgpr95 : SGPR spill to VGPR lane
	v_and_b32_e32 v1, 6, v1
	v_and_b32_e32 v2, 6, v2
	;; [unrolled: 1-line block ×7, first 2 shown]
	v_writelane_b32 v95, s0, 0
	v_add_lshl_u32 v1, v1, v10, 1
	v_add_lshl_u32 v2, v2, v10, 1
	;; [unrolled: 1-line block ×7, first 2 shown]
	v_writelane_b32 v95, s1, 1
	s_add_i32 s0, 0, 0x420
	v_add_u32_e32 v54, s0, v1
	v_add_u32_e32 v55, s0, v2
	;; [unrolled: 1-line block ×7, first 2 shown]
	v_writelane_b32 v95, s30, 2
	s_and_b32 s0, s30, 0x1ff
	s_cmp_eq_u32 s0, 0
	v_writelane_b32 v95, s31, 3
	s_cselect_b64 s[80:81], -1, 0
	v_writelane_b32 v95, s3, 4
	s_add_i32 s3, s3, -1
	s_mul_i32 s72, s22, s2
	v_writelane_b32 v95, s3, 5
	s_lshl_b64 s[2:3], s[72:73], 1
	v_add_u32_e32 v46, 0, v1
	v_lshrrev_b32_e32 v8, 2, v10
	v_and_b32_e32 v1, 15, v10
	s_add_u32 s18, s18, s2
	s_mul_i32 s72, s23, s20
	v_and_b32_e32 v8, 30, v8
	v_cmp_ne_u32_e64 s[0:1], 0, v1
	v_cmp_lt_u32_e64 s[52:53], 1, v1
	v_cmp_lt_u32_e64 s[4:5], 3, v1
	v_cmp_lt_u32_e64 s[6:7], 7, v1
	v_and_b32_e32 v1, 16, v10
	s_addc_u32 s19, s19, s3
	s_lshl_b64 s[2:3], s[72:73], 1
	v_add_u32_e32 v47, 0, v2
	v_lshl_add_u32 v8, v10, 3, v8
	v_cmp_ne_u32_e64 s[8:9], 0, v1
	v_add_u32_e32 v1, -1, v10
	v_and_b32_e32 v2, 64, v10
	s_add_u32 s2, s18, s2
	v_mov_b32_e32 v9, 0
	v_lshl_add_u32 v53, v8, 1, 0
	v_cmp_lt_i32_e32 vcc, v1, v2
	s_addc_u32 s3, s19, s3
	v_lshlrev_b32_e32 v8, 1, v10
	v_lshlrev_b32_e32 v11, 3, v0
	v_cndmask_b32_e32 v1, v1, v10, vcc
	v_lshl_add_u64 v[12:13], s[2:3], 0, v[8:9]
	s_add_i32 s2, 0, 0x848
	v_add_u32_e32 v48, 0, v3
	v_add_u32_e32 v49, 0, v4
	;; [unrolled: 1-line block ×5, first 2 shown]
	v_cmp_lt_u32_e64 s[10:11], 31, v10
	v_cmp_eq_u32_e64 s[12:13], 63, v0
	v_lshlrev_b32_e32 v61, 2, v1
	v_cmp_gt_u32_e64 s[14:15], 64, v0
	v_cmp_eq_u32_e64 s[16:17], 0, v0
	v_or_b32_e32 v66, 5, v11
	v_or_b32_e32 v67, 6, v11
	;; [unrolled: 1-line block ×3, first 2 shown]
	v_lshlrev_b32_e32 v8, 1, v10
	s_mov_b32 s99, 0x41a00000
	s_mov_b32 s38, 0x3fb8aa3b
	;; [unrolled: 1-line block ×6, first 2 shown]
	v_mov_b32_e32 v69, 0x3ecc95a3
	s_mov_b32 s43, 0x3f317218
	s_mov_b32 s98, 0x33800000
	v_writelane_b32 v95, s2, 6
	s_mov_b32 s70, 0xc2fc0000
	s_movk_i32 s71, 0x7fff
	s_mov_b32 s78, 0x5040100
	v_mov_b32_e32 v70, 0x7f800000
	v_mov_b32_e32 v14, 0x3f317218
	;; [unrolled: 1-line block ×5, first 2 shown]
	s_mov_b32 s79, 0
                                        ; implicit-def: $vgpr0
	s_branch .LBB15_12
.LBB15_11:                              ;   in Loop: Header=BB15_12 Depth=1
	s_or_b64 exec, exec, s[2:3]
	s_add_u32 s74, s74, 0x400
	s_addc_u32 s75, s75, 0
	s_add_u32 s66, s66, 0x400
	s_addc_u32 s67, s67, 0
	;; [unrolled: 2-line block ×4, first 2 shown]
	s_add_i32 s79, s79, 1
	v_readlane_b32 s2, v95, 4
	s_cmp_eq_u32 s79, s2
	s_cbranch_scc1 .LBB15_137
.LBB15_12:                              ; =>This Loop Header: Depth=1
                                        ;     Child Loop BB15_61 Depth 2
	s_lshl_b32 s82, s79, 9
	v_readlane_b32 s2, v95, 2
	s_sub_i32 s50, s2, s82
	v_readlane_b32 s3, v95, 3
	v_lshl_add_u64 v[0:1], s[66:67], 0, v[8:9]
	v_cmp_gt_u32_e64 s[18:19], s50, v10
	s_waitcnt lgkmcnt(0)
	v_mov_b32_e32 v2, 0
	s_waitcnt lgkmcnt(0)
	; wave barrier
	s_and_saveexec_b64 s[2:3], s[18:19]
	s_cbranch_execz .LBB15_14
; %bb.13:                               ;   in Loop: Header=BB15_12 Depth=1
	global_load_ushort v2, v[0:1], off
.LBB15_14:                              ;   in Loop: Header=BB15_12 Depth=1
	s_or_b64 exec, exec, s[2:3]
	v_cmp_gt_u32_e64 s[20:21], s50, v38
	v_mov_b32_e32 v3, 0
	v_mov_b32_e32 v4, 0
	s_and_saveexec_b64 s[2:3], s[20:21]
	s_cbranch_execz .LBB15_16
; %bb.15:                               ;   in Loop: Header=BB15_12 Depth=1
	global_load_ushort v4, v[0:1], off offset:128
.LBB15_16:                              ;   in Loop: Header=BB15_12 Depth=1
	s_or_b64 exec, exec, s[2:3]
	v_cmp_gt_u32_e64 s[22:23], s50, v39
	s_and_saveexec_b64 s[2:3], s[22:23]
	s_cbranch_execz .LBB15_18
; %bb.17:                               ;   in Loop: Header=BB15_12 Depth=1
	global_load_ushort v3, v[0:1], off offset:256
.LBB15_18:                              ;   in Loop: Header=BB15_12 Depth=1
	s_or_b64 exec, exec, s[2:3]
	v_cmp_gt_u32_e64 s[24:25], s50, v40
	v_mov_b32_e32 v5, 0
	v_mov_b32_e32 v7, 0
	s_and_saveexec_b64 s[2:3], s[24:25]
	s_cbranch_execz .LBB15_20
; %bb.19:                               ;   in Loop: Header=BB15_12 Depth=1
	global_load_ushort v7, v[0:1], off offset:384
.LBB15_20:                              ;   in Loop: Header=BB15_12 Depth=1
	s_or_b64 exec, exec, s[2:3]
	v_cmp_gt_u32_e64 s[26:27], s50, v41
	s_and_saveexec_b64 s[2:3], s[26:27]
	s_cbranch_execz .LBB15_22
; %bb.21:                               ;   in Loop: Header=BB15_12 Depth=1
	global_load_ushort v5, v[0:1], off offset:512
.LBB15_22:                              ;   in Loop: Header=BB15_12 Depth=1
	;; [unrolled: 16-line block ×3, first 2 shown]
	s_or_b64 exec, exec, s[2:3]
	v_cmp_gt_u32_e64 s[34:35], s50, v44
	v_mov_b32_e32 v6, 0
	v_mov_b32_e32 v17, 0
	s_and_saveexec_b64 s[2:3], s[34:35]
	s_cbranch_execz .LBB15_28
; %bb.27:                               ;   in Loop: Header=BB15_12 Depth=1
	global_load_ushort v17, v[0:1], off offset:896
.LBB15_28:                              ;   in Loop: Header=BB15_12 Depth=1
	s_or_b64 exec, exec, s[2:3]
	s_waitcnt vmcnt(0)
	ds_write_b16 v45, v2
	ds_write_b16 v46, v4 offset:128
	ds_write_b16 v47, v3 offset:256
	;; [unrolled: 1-line block ×7, first 2 shown]
	; wave barrier
	ds_read_b128 v[0:3], v53
	v_lshl_add_u64 v[4:5], s[74:75], 0, v[8:9]
	s_waitcnt lgkmcnt(0)
	; wave barrier
	s_waitcnt lgkmcnt(0)
	s_and_saveexec_b64 s[2:3], s[18:19]
	s_cbranch_execz .LBB15_30
; %bb.29:                               ;   in Loop: Header=BB15_12 Depth=1
	global_load_ushort v6, v[4:5], off
.LBB15_30:                              ;   in Loop: Header=BB15_12 Depth=1
	s_or_b64 exec, exec, s[2:3]
	v_mov_b32_e32 v7, 0
	v_mov_b32_e32 v15, 0
	s_and_saveexec_b64 s[2:3], s[20:21]
	s_cbranch_execz .LBB15_32
; %bb.31:                               ;   in Loop: Header=BB15_12 Depth=1
	global_load_ushort v15, v[4:5], off offset:128
.LBB15_32:                              ;   in Loop: Header=BB15_12 Depth=1
	s_or_b64 exec, exec, s[2:3]
	s_and_saveexec_b64 s[2:3], s[22:23]
	s_cbranch_execz .LBB15_34
; %bb.33:                               ;   in Loop: Header=BB15_12 Depth=1
	global_load_ushort v7, v[4:5], off offset:256
.LBB15_34:                              ;   in Loop: Header=BB15_12 Depth=1
	s_or_b64 exec, exec, s[2:3]
	v_mov_b32_e32 v16, 0
	v_mov_b32_e32 v17, 0
	s_and_saveexec_b64 s[2:3], s[24:25]
	s_cbranch_execz .LBB15_36
; %bb.35:                               ;   in Loop: Header=BB15_12 Depth=1
	global_load_ushort v17, v[4:5], off offset:384
.LBB15_36:                              ;   in Loop: Header=BB15_12 Depth=1
	s_or_b64 exec, exec, s[2:3]
	s_and_saveexec_b64 s[2:3], s[26:27]
	s_cbranch_execz .LBB15_38
; %bb.37:                               ;   in Loop: Header=BB15_12 Depth=1
	global_load_ushort v16, v[4:5], off offset:512
.LBB15_38:                              ;   in Loop: Header=BB15_12 Depth=1
	s_or_b64 exec, exec, s[2:3]
	v_mov_b32_e32 v18, 0
	v_mov_b32_e32 v19, 0
	s_and_saveexec_b64 s[2:3], s[28:29]
	s_cbranch_execnz .LBB15_127
; %bb.39:                               ;   in Loop: Header=BB15_12 Depth=1
	s_or_b64 exec, exec, s[2:3]
	s_and_saveexec_b64 s[2:3], s[30:31]
	s_cbranch_execnz .LBB15_128
.LBB15_40:                              ;   in Loop: Header=BB15_12 Depth=1
	s_or_b64 exec, exec, s[2:3]
	v_mov_b32_e32 v20, 0
	s_and_saveexec_b64 s[2:3], s[34:35]
	s_cbranch_execz .LBB15_42
.LBB15_41:                              ;   in Loop: Header=BB15_12 Depth=1
	global_load_ushort v20, v[4:5], off offset:896
.LBB15_42:                              ;   in Loop: Header=BB15_12 Depth=1
	s_or_b64 exec, exec, s[2:3]
	s_waitcnt vmcnt(0)
	ds_write_b16 v45, v6
	ds_write_b16 v46, v15 offset:128
	ds_write_b16 v47, v7 offset:256
	;; [unrolled: 1-line block ×7, first 2 shown]
	; wave barrier
	ds_read_b128 v[4:7], v53
	s_waitcnt lgkmcnt(0)
	v_lshlrev_b32_e32 v15, 16, v4
	v_add_f32_e32 v74, s33, v15
	v_cmp_ge_f32_e32 vcc, s99, v74
	s_and_b64 s[2:3], s[76:77], vcc
	s_and_saveexec_b64 s[36:37], s[2:3]
	s_cbranch_execz .LBB15_44
; %bb.43:                               ;   in Loop: Header=BB15_12 Depth=1
	v_mul_f32_e32 v15, 0x3fb8aa3b, v74
	v_rndne_f32_e32 v16, v15
	v_sub_f32_e32 v17, v15, v16
	v_fma_f32 v15, v74, s38, -v15
	v_fmac_f32_e32 v15, 0x32a5705f, v74
	v_add_f32_e32 v15, v17, v15
	v_cvt_i32_f32_e32 v16, v16
	v_exp_f32_e32 v15, v15
	v_cmp_ngt_f32_e32 vcc, s39, v74
	v_ldexp_f32 v15, v15, v16
	s_nop 0
	v_cndmask_b32_e32 v15, 0, v15, vcc
	v_cmp_nlt_f32_e32 vcc, s40, v74
	s_nop 1
	v_cndmask_b32_e32 v32, v70, v15, vcc
	v_add_f32_e32 v15, 1.0, v32
	v_add_f32_e32 v16, -1.0, v15
	v_sub_f32_e32 v17, v16, v15
	v_add_f32_e32 v17, 1.0, v17
	v_sub_f32_e32 v16, v32, v16
	v_add_f32_e32 v18, v16, v17
	v_frexp_mant_f32_e32 v19, v15
	v_cvt_f64_f32_e32 v[16:17], v15
	v_frexp_exp_i32_f64_e32 v16, v[16:17]
	v_cmp_gt_f32_e32 vcc, s42, v19
	v_cmp_gt_f32_e64 s[2:3], s98, v32
	s_nop 0
	v_subbrev_co_u32_e32 v24, vcc, 0, v16, vcc
	v_sub_u32_e32 v16, 0, v24
	v_ldexp_f32 v15, v15, v16
	v_ldexp_f32 v16, v18, v16
	v_add_f32_e32 v18, -1.0, v15
	v_add_f32_e32 v17, 1.0, v18
	v_sub_f32_e32 v17, v15, v17
	v_add_f32_e32 v19, v16, v17
	v_add_f32_e32 v17, 1.0, v15
	v_add_f32_e32 v20, -1.0, v17
	v_sub_f32_e32 v15, v15, v20
	v_add_f32_e32 v15, v16, v15
	v_add_f32_e32 v25, v17, v15
	v_rcp_f32_e32 v26, v25
	v_sub_f32_e32 v16, v17, v25
	v_add_f32_e32 v17, v18, v19
	v_add_f32_e32 v15, v15, v16
	v_mul_f32_e32 v28, v17, v26
	v_sub_f32_e32 v16, v18, v17
	v_mul_f32_e32 v18, v25, v28
	v_fma_f32 v20, v28, v25, -v18
	v_fmac_f32_e32 v20, v28, v15
	v_add_f32_e32 v27, v19, v16
	v_add_f32_e32 v16, v18, v20
	v_sub_f32_e32 v19, v17, v16
	v_pk_add_f32 v[22:23], v[16:17], v[18:19] neg_lo:[0,1] neg_hi:[0,1]
	v_mov_b32_e32 v21, v16
	v_pk_add_f32 v[16:17], v[22:23], v[20:21] neg_lo:[0,1] neg_hi:[0,1]
	v_cmp_eq_f32_e32 vcc, s41, v32
	v_add_f32_e32 v17, v27, v17
	v_add_f32_e32 v16, v16, v17
	;; [unrolled: 1-line block ×3, first 2 shown]
	v_mul_f32_e32 v27, v26, v17
	v_mul_f32_e32 v18, v25, v27
	v_fma_f32 v20, v27, v25, -v18
	v_fmac_f32_e32 v20, v27, v15
	v_sub_f32_e32 v15, v19, v17
	v_add_f32_e32 v15, v16, v15
	v_add_f32_e32 v16, v18, v20
	v_sub_f32_e32 v19, v17, v16
	v_pk_add_f32 v[22:23], v[16:17], v[18:19] neg_lo:[0,1] neg_hi:[0,1]
	v_mov_b32_e32 v21, v16
	v_pk_add_f32 v[16:17], v[22:23], v[20:21] neg_lo:[0,1] neg_hi:[0,1]
	s_or_b64 vcc, s[2:3], vcc
	v_add_f32_e32 v15, v15, v17
	v_add_f32_e32 v15, v16, v15
	;; [unrolled: 1-line block ×4, first 2 shown]
	v_sub_f32_e32 v16, v17, v28
	v_mul_f32_e32 v15, v26, v15
	v_sub_f32_e32 v16, v27, v16
	v_add_f32_e32 v18, v16, v15
	v_add_f32_e32 v20, v17, v18
	v_cvt_f32_i32_e32 v16, v24
	v_mul_f32_e32 v21, v20, v20
	v_sub_f32_e32 v17, v20, v17
	v_fmamk_f32 v15, v21, 0x3e9b6dac, v69
	v_sub_f32_e32 v17, v18, v17
	v_fmaak_f32 v15, v21, v15, 0x3f2aaada
	v_ldexp_f32 v22, v17, 1
	v_mul_f32_e32 v17, v20, v21
	v_ldexp_f32 v19, v20, 1
	v_pk_mul_f32 v[20:21], v[16:17], v[14:15]
	s_nop 0
	v_fma_f32 v18, v16, s43, -v20
	v_fmac_f32_e32 v18, 0xb102e308, v16
	v_pk_add_f32 v[16:17], v[20:21], v[18:19]
	s_nop 0
	v_sub_f32_e32 v15, v17, v19
	v_sub_f32_e32 v15, v21, v15
	v_add_f32_e32 v23, v22, v15
	v_mov_b32_e32 v22, v20
	v_pk_add_f32 v[20:21], v[16:17], v[20:21] neg_lo:[0,1] neg_hi:[0,1]
	v_pk_add_f32 v[24:25], v[16:17], v[22:23]
	v_mov_b32_e32 v19, v16
	v_mov_b32_e32 v21, v25
	v_pk_add_f32 v[26:27], v[18:19], v[20:21] neg_lo:[0,1] neg_hi:[0,1]
	v_pk_add_f32 v[18:19], v[18:19], v[20:21]
	v_mov_b32_e32 v22, v23
	v_mov_b32_e32 v20, v19
	v_pk_add_f32 v[28:29], v[20:21], v[16:17] neg_lo:[0,1] neg_hi:[0,1]
	v_mov_b32_e32 v18, v25
	v_mov_b32_e32 v15, v28
	v_pk_add_f32 v[30:31], v[24:25], v[14:15] neg_lo:[0,1] neg_hi:[0,1]
	v_mov_b32_e32 v24, v17
	v_mov_b32_e32 v25, v28
	;; [unrolled: 1-line block ×3, first 2 shown]
	v_pk_add_f32 v[18:19], v[18:19], v[24:25] neg_lo:[0,1] neg_hi:[0,1]
	v_mov_b32_e32 v23, v16
	v_pk_add_f32 v[16:17], v[22:23], v[18:19] neg_lo:[0,1] neg_hi:[0,1]
	v_mov_b32_e32 v30, v26
	v_pk_add_f32 v[18:19], v[30:31], v[16:17]
	s_nop 0
	v_mov_b32_e32 v22, v19
	v_pk_add_f32 v[22:23], v[18:19], v[22:23]
	s_nop 0
	v_pk_add_f32 v[20:21], v[20:21], v[22:23]
	v_mov_b32_e32 v17, v22
	v_mov_b32_e32 v19, v20
	v_pk_add_f32 v[24:25], v[18:19], v[26:27] neg_lo:[0,1] neg_hi:[0,1]
	s_nop 0
	v_sub_f32_e32 v15, v18, v24
	v_pk_add_f32 v[16:17], v[16:17], v[24:25] neg_lo:[0,1] neg_hi:[0,1]
	v_sub_f32_e32 v15, v26, v15
	v_add_f32_e32 v15, v16, v15
	v_add_f32_e32 v15, v15, v17
	v_add_f32_e32 v15, v20, v15
	v_cndmask_b32_e32 v74, v15, v32, vcc
.LBB15_44:                              ;   in Loop: Header=BB15_12 Depth=1
	s_or_b64 exec, exec, s[36:37]
	v_and_b32_e32 v4, 0xffff0000, v4
	v_add_f32_e32 v75, s33, v4
	v_cmp_ge_f32_e32 vcc, s99, v75
	s_and_b64 s[2:3], s[76:77], vcc
	s_and_saveexec_b64 s[36:37], s[2:3]
	s_cbranch_execz .LBB15_46
; %bb.45:                               ;   in Loop: Header=BB15_12 Depth=1
	v_mul_f32_e32 v4, 0x3fb8aa3b, v75
	v_rndne_f32_e32 v15, v4
	v_sub_f32_e32 v16, v4, v15
	v_fma_f32 v4, v75, s38, -v4
	v_fmac_f32_e32 v4, 0x32a5705f, v75
	v_add_f32_e32 v4, v16, v4
	v_cvt_i32_f32_e32 v15, v15
	v_exp_f32_e32 v4, v4
	v_cmp_ngt_f32_e32 vcc, s39, v75
	v_ldexp_f32 v4, v4, v15
	s_nop 0
	v_cndmask_b32_e32 v4, 0, v4, vcc
	v_cmp_nlt_f32_e32 vcc, s40, v75
	s_nop 1
	v_cndmask_b32_e32 v30, v70, v4, vcc
	v_add_f32_e32 v4, 1.0, v30
	v_add_f32_e32 v15, -1.0, v4
	v_sub_f32_e32 v16, v15, v4
	v_add_f32_e32 v16, 1.0, v16
	v_sub_f32_e32 v15, v30, v15
	v_add_f32_e32 v15, v15, v16
	v_frexp_mant_f32_e32 v18, v4
	v_cvt_f64_f32_e32 v[16:17], v4
	v_frexp_exp_i32_f64_e32 v16, v[16:17]
	v_cmp_gt_f32_e32 vcc, s42, v18
	v_cmp_gt_f32_e64 s[2:3], s98, v30
	s_nop 0
	v_subbrev_co_u32_e32 v24, vcc, 0, v16, vcc
	v_sub_u32_e32 v16, 0, v24
	v_ldexp_f32 v4, v4, v16
	v_ldexp_f32 v15, v15, v16
	v_add_f32_e32 v16, -1.0, v4
	v_add_f32_e32 v17, 1.0, v16
	v_sub_f32_e32 v17, v4, v17
	v_add_f32_e32 v18, v15, v17
	v_add_f32_e32 v17, 1.0, v4
	v_add_f32_e32 v19, -1.0, v17
	v_sub_f32_e32 v4, v4, v19
	v_add_f32_e32 v4, v15, v4
	v_add_f32_e32 v15, v17, v4
	v_rcp_f32_e32 v25, v15
	v_sub_f32_e32 v17, v17, v15
	v_add_f32_e32 v4, v4, v17
	v_add_f32_e32 v17, v16, v18
	v_sub_f32_e32 v16, v16, v17
	v_mul_f32_e32 v27, v17, v25
	v_add_f32_e32 v26, v18, v16
	v_mul_f32_e32 v18, v15, v27
	v_fma_f32 v20, v27, v15, -v18
	v_fmac_f32_e32 v20, v27, v4
	v_add_f32_e32 v16, v18, v20
	v_sub_f32_e32 v19, v17, v16
	v_pk_add_f32 v[22:23], v[16:17], v[18:19] neg_lo:[0,1] neg_hi:[0,1]
	v_mov_b32_e32 v21, v16
	v_pk_add_f32 v[16:17], v[22:23], v[20:21] neg_lo:[0,1] neg_hi:[0,1]
	v_cmp_eq_f32_e32 vcc, s41, v30
	v_add_f32_e32 v17, v26, v17
	v_add_f32_e32 v16, v16, v17
	;; [unrolled: 1-line block ×3, first 2 shown]
	v_mul_f32_e32 v26, v25, v17
	v_mul_f32_e32 v18, v15, v26
	v_fma_f32 v20, v26, v15, -v18
	v_fmac_f32_e32 v20, v26, v4
	v_sub_f32_e32 v4, v19, v17
	v_add_f32_e32 v4, v16, v4
	v_add_f32_e32 v16, v18, v20
	v_sub_f32_e32 v19, v17, v16
	v_pk_add_f32 v[22:23], v[16:17], v[18:19] neg_lo:[0,1] neg_hi:[0,1]
	v_mov_b32_e32 v21, v16
	v_pk_add_f32 v[16:17], v[22:23], v[20:21] neg_lo:[0,1] neg_hi:[0,1]
	s_or_b64 vcc, s[2:3], vcc
	v_add_f32_e32 v4, v4, v17
	v_add_f32_e32 v4, v16, v4
	;; [unrolled: 1-line block ×4, first 2 shown]
	v_sub_f32_e32 v15, v17, v27
	v_mul_f32_e32 v4, v25, v4
	v_sub_f32_e32 v15, v26, v15
	v_add_f32_e32 v4, v15, v4
	v_add_f32_e32 v18, v17, v4
	v_cvt_f32_i32_e32 v16, v24
	v_mul_f32_e32 v20, v18, v18
	v_fmamk_f32 v15, v20, 0x3e9b6dac, v69
	v_sub_f32_e32 v17, v18, v17
	v_fmaak_f32 v15, v20, v15, 0x3f2aaada
	v_sub_f32_e32 v4, v4, v17
	v_mul_f32_e32 v17, v18, v20
	v_pk_mul_f32 v[20:21], v[16:17], v[14:15]
	v_ldexp_f32 v19, v18, 1
	v_fma_f32 v18, v16, s43, -v20
	v_fmac_f32_e32 v18, 0xb102e308, v16
	v_pk_add_f32 v[16:17], v[20:21], v[18:19]
	v_ldexp_f32 v4, v4, 1
	v_sub_f32_e32 v15, v17, v19
	v_sub_f32_e32 v15, v21, v15
	v_add_f32_e32 v23, v4, v15
	v_mov_b32_e32 v22, v20
	v_pk_add_f32 v[20:21], v[16:17], v[20:21] neg_lo:[0,1] neg_hi:[0,1]
	v_pk_add_f32 v[24:25], v[16:17], v[22:23]
	v_mov_b32_e32 v19, v16
	v_mov_b32_e32 v21, v25
	v_pk_add_f32 v[26:27], v[18:19], v[20:21] neg_lo:[0,1] neg_hi:[0,1]
	v_pk_add_f32 v[18:19], v[18:19], v[20:21]
	s_nop 0
	v_mov_b32_e32 v4, v19
	v_pk_add_f32 v[20:21], v[4:5], v[16:17] neg_lo:[0,1] neg_hi:[0,1]
	v_mov_b32_e32 v18, v25
	v_mov_b32_e32 v15, v20
	v_pk_add_f32 v[28:29], v[24:25], v[14:15] neg_lo:[0,1] neg_hi:[0,1]
	v_mov_b32_e32 v24, v17
	v_mov_b32_e32 v25, v20
	;; [unrolled: 1-line block ×3, first 2 shown]
	v_pk_add_f32 v[18:19], v[18:19], v[24:25] neg_lo:[0,1] neg_hi:[0,1]
	v_mov_b32_e32 v20, v23
	v_mov_b32_e32 v21, v16
	v_pk_add_f32 v[16:17], v[20:21], v[18:19] neg_lo:[0,1] neg_hi:[0,1]
	v_mov_b32_e32 v28, v26
	v_pk_add_f32 v[18:19], v[28:29], v[16:17]
	s_nop 0
	v_mov_b32_e32 v20, v19
	v_pk_add_f32 v[20:21], v[18:19], v[20:21]
	s_nop 0
	v_pk_add_f32 v[22:23], v[4:5], v[20:21]
	v_mov_b32_e32 v17, v20
	v_mov_b32_e32 v19, v22
	v_pk_add_f32 v[24:25], v[18:19], v[26:27] neg_lo:[0,1] neg_hi:[0,1]
	s_nop 0
	v_sub_f32_e32 v4, v18, v24
	v_pk_add_f32 v[16:17], v[16:17], v[24:25] neg_lo:[0,1] neg_hi:[0,1]
	v_sub_f32_e32 v4, v26, v4
	v_add_f32_e32 v4, v16, v4
	v_add_f32_e32 v4, v4, v17
	;; [unrolled: 1-line block ×3, first 2 shown]
	v_cndmask_b32_e32 v75, v4, v30, vcc
.LBB15_46:                              ;   in Loop: Header=BB15_12 Depth=1
	s_or_b64 exec, exec, s[36:37]
	v_lshlrev_b32_e32 v4, 16, v5
	v_add_f32_e32 v76, s33, v4
	v_cmp_ge_f32_e32 vcc, s99, v76
	s_and_b64 s[2:3], s[76:77], vcc
	s_and_saveexec_b64 s[36:37], s[2:3]
	s_cbranch_execz .LBB15_48
; %bb.47:                               ;   in Loop: Header=BB15_12 Depth=1
	v_mul_f32_e32 v4, 0x3fb8aa3b, v76
	v_rndne_f32_e32 v15, v4
	v_sub_f32_e32 v16, v4, v15
	v_fma_f32 v4, v76, s38, -v4
	v_fmac_f32_e32 v4, 0x32a5705f, v76
	v_add_f32_e32 v4, v16, v4
	v_cvt_i32_f32_e32 v15, v15
	v_exp_f32_e32 v4, v4
	v_cmp_ngt_f32_e32 vcc, s39, v76
	v_ldexp_f32 v4, v4, v15
	s_nop 0
	v_cndmask_b32_e32 v4, 0, v4, vcc
	v_cmp_nlt_f32_e32 vcc, s40, v76
	s_nop 1
	v_cndmask_b32_e32 v30, v70, v4, vcc
	v_add_f32_e32 v4, 1.0, v30
	v_add_f32_e32 v15, -1.0, v4
	v_sub_f32_e32 v16, v15, v4
	v_add_f32_e32 v16, 1.0, v16
	v_sub_f32_e32 v15, v30, v15
	v_add_f32_e32 v15, v15, v16
	v_frexp_mant_f32_e32 v18, v4
	v_cvt_f64_f32_e32 v[16:17], v4
	v_frexp_exp_i32_f64_e32 v16, v[16:17]
	v_cmp_gt_f32_e32 vcc, s42, v18
	v_cmp_gt_f32_e64 s[2:3], s98, v30
	s_nop 0
	v_subbrev_co_u32_e32 v24, vcc, 0, v16, vcc
	v_sub_u32_e32 v16, 0, v24
	v_ldexp_f32 v4, v4, v16
	v_ldexp_f32 v15, v15, v16
	v_add_f32_e32 v16, -1.0, v4
	v_add_f32_e32 v17, 1.0, v16
	v_sub_f32_e32 v17, v4, v17
	v_add_f32_e32 v18, v15, v17
	v_add_f32_e32 v17, 1.0, v4
	v_add_f32_e32 v19, -1.0, v17
	v_sub_f32_e32 v4, v4, v19
	v_add_f32_e32 v4, v15, v4
	v_add_f32_e32 v15, v17, v4
	v_rcp_f32_e32 v25, v15
	v_sub_f32_e32 v17, v17, v15
	v_add_f32_e32 v4, v4, v17
	v_add_f32_e32 v17, v16, v18
	v_sub_f32_e32 v16, v16, v17
	v_mul_f32_e32 v27, v17, v25
	v_add_f32_e32 v26, v18, v16
	v_mul_f32_e32 v18, v15, v27
	v_fma_f32 v20, v27, v15, -v18
	v_fmac_f32_e32 v20, v27, v4
	v_add_f32_e32 v16, v18, v20
	v_sub_f32_e32 v19, v17, v16
	v_pk_add_f32 v[22:23], v[16:17], v[18:19] neg_lo:[0,1] neg_hi:[0,1]
	v_mov_b32_e32 v21, v16
	v_pk_add_f32 v[16:17], v[22:23], v[20:21] neg_lo:[0,1] neg_hi:[0,1]
	v_cmp_eq_f32_e32 vcc, s41, v30
	v_add_f32_e32 v17, v26, v17
	v_add_f32_e32 v16, v16, v17
	;; [unrolled: 1-line block ×3, first 2 shown]
	v_mul_f32_e32 v26, v25, v17
	v_mul_f32_e32 v18, v15, v26
	v_fma_f32 v20, v26, v15, -v18
	v_fmac_f32_e32 v20, v26, v4
	v_sub_f32_e32 v4, v19, v17
	v_add_f32_e32 v4, v16, v4
	v_add_f32_e32 v16, v18, v20
	v_sub_f32_e32 v19, v17, v16
	v_pk_add_f32 v[22:23], v[16:17], v[18:19] neg_lo:[0,1] neg_hi:[0,1]
	v_mov_b32_e32 v21, v16
	v_pk_add_f32 v[16:17], v[22:23], v[20:21] neg_lo:[0,1] neg_hi:[0,1]
	s_or_b64 vcc, s[2:3], vcc
	v_add_f32_e32 v4, v4, v17
	v_add_f32_e32 v4, v16, v4
	;; [unrolled: 1-line block ×4, first 2 shown]
	v_sub_f32_e32 v15, v17, v27
	v_mul_f32_e32 v4, v25, v4
	v_sub_f32_e32 v15, v26, v15
	v_add_f32_e32 v4, v15, v4
	v_add_f32_e32 v18, v17, v4
	v_cvt_f32_i32_e32 v16, v24
	v_mul_f32_e32 v20, v18, v18
	v_fmamk_f32 v15, v20, 0x3e9b6dac, v69
	v_sub_f32_e32 v17, v18, v17
	v_fmaak_f32 v15, v20, v15, 0x3f2aaada
	v_sub_f32_e32 v4, v4, v17
	v_mul_f32_e32 v17, v18, v20
	v_pk_mul_f32 v[20:21], v[16:17], v[14:15]
	v_ldexp_f32 v19, v18, 1
	v_fma_f32 v18, v16, s43, -v20
	v_fmac_f32_e32 v18, 0xb102e308, v16
	v_pk_add_f32 v[16:17], v[20:21], v[18:19]
	v_ldexp_f32 v4, v4, 1
	v_sub_f32_e32 v15, v17, v19
	v_sub_f32_e32 v15, v21, v15
	v_add_f32_e32 v23, v4, v15
	v_mov_b32_e32 v22, v20
	v_pk_add_f32 v[20:21], v[16:17], v[20:21] neg_lo:[0,1] neg_hi:[0,1]
	v_pk_add_f32 v[24:25], v[16:17], v[22:23]
	v_mov_b32_e32 v19, v16
	v_mov_b32_e32 v21, v25
	v_pk_add_f32 v[26:27], v[18:19], v[20:21] neg_lo:[0,1] neg_hi:[0,1]
	v_pk_add_f32 v[18:19], v[18:19], v[20:21]
	s_nop 0
	v_mov_b32_e32 v4, v19
	v_pk_add_f32 v[20:21], v[4:5], v[16:17] neg_lo:[0,1] neg_hi:[0,1]
	v_mov_b32_e32 v18, v25
	v_mov_b32_e32 v15, v20
	v_pk_add_f32 v[28:29], v[24:25], v[14:15] neg_lo:[0,1] neg_hi:[0,1]
	v_mov_b32_e32 v24, v17
	v_mov_b32_e32 v25, v20
	;; [unrolled: 1-line block ×3, first 2 shown]
	v_pk_add_f32 v[18:19], v[18:19], v[24:25] neg_lo:[0,1] neg_hi:[0,1]
	v_mov_b32_e32 v20, v23
	v_mov_b32_e32 v21, v16
	v_pk_add_f32 v[16:17], v[20:21], v[18:19] neg_lo:[0,1] neg_hi:[0,1]
	v_mov_b32_e32 v28, v26
	v_pk_add_f32 v[18:19], v[28:29], v[16:17]
	s_nop 0
	v_mov_b32_e32 v20, v19
	v_pk_add_f32 v[20:21], v[18:19], v[20:21]
	s_nop 0
	v_pk_add_f32 v[22:23], v[4:5], v[20:21]
	v_mov_b32_e32 v17, v20
	v_mov_b32_e32 v19, v22
	v_pk_add_f32 v[24:25], v[18:19], v[26:27] neg_lo:[0,1] neg_hi:[0,1]
	s_nop 0
	v_sub_f32_e32 v4, v18, v24
	v_pk_add_f32 v[16:17], v[16:17], v[24:25] neg_lo:[0,1] neg_hi:[0,1]
	v_sub_f32_e32 v4, v26, v4
	v_add_f32_e32 v4, v16, v4
	v_add_f32_e32 v4, v4, v17
	;; [unrolled: 1-line block ×3, first 2 shown]
	v_cndmask_b32_e32 v76, v4, v30, vcc
.LBB15_48:                              ;   in Loop: Header=BB15_12 Depth=1
	s_or_b64 exec, exec, s[36:37]
	v_and_b32_e32 v4, 0xffff0000, v5
	v_add_f32_e32 v77, s33, v4
	v_cmp_ge_f32_e32 vcc, s99, v77
	s_and_b64 s[2:3], s[76:77], vcc
	s_and_saveexec_b64 s[36:37], s[2:3]
	s_cbranch_execz .LBB15_50
; %bb.49:                               ;   in Loop: Header=BB15_12 Depth=1
	v_mul_f32_e32 v4, 0x3fb8aa3b, v77
	v_rndne_f32_e32 v5, v4
	v_sub_f32_e32 v15, v4, v5
	v_fma_f32 v4, v77, s38, -v4
	v_fmac_f32_e32 v4, 0x32a5705f, v77
	v_add_f32_e32 v4, v15, v4
	v_cvt_i32_f32_e32 v5, v5
	v_exp_f32_e32 v4, v4
	v_cmp_ngt_f32_e32 vcc, s39, v77
	v_ldexp_f32 v4, v4, v5
	s_nop 0
	v_cndmask_b32_e32 v4, 0, v4, vcc
	v_cmp_nlt_f32_e32 vcc, s40, v77
	s_nop 1
	v_cndmask_b32_e32 v30, v70, v4, vcc
	v_add_f32_e32 v15, 1.0, v30
	v_add_f32_e32 v4, -1.0, v15
	v_sub_f32_e32 v5, v4, v15
	v_add_f32_e32 v5, 1.0, v5
	v_sub_f32_e32 v4, v30, v4
	v_add_f32_e32 v16, v4, v5
	v_frexp_mant_f32_e32 v17, v15
	v_cvt_f64_f32_e32 v[4:5], v15
	v_frexp_exp_i32_f64_e32 v4, v[4:5]
	v_cmp_gt_f32_e32 vcc, s42, v17
	v_cmp_gt_f32_e64 s[2:3], s98, v30
	s_nop 0
	v_subbrev_co_u32_e32 v22, vcc, 0, v4, vcc
	v_sub_u32_e32 v4, 0, v22
	v_ldexp_f32 v5, v15, v4
	v_add_f32_e32 v15, -1.0, v5
	v_add_f32_e32 v17, 1.0, v5
	v_ldexp_f32 v4, v16, v4
	v_add_f32_e32 v16, 1.0, v15
	v_add_f32_e32 v18, -1.0, v17
	v_sub_f32_e32 v16, v5, v16
	v_sub_f32_e32 v5, v5, v18
	v_add_f32_e32 v16, v4, v16
	v_add_f32_e32 v4, v4, v5
	v_add_f32_e32 v23, v17, v4
	v_rcp_f32_e32 v25, v23
	v_sub_f32_e32 v5, v17, v23
	v_add_f32_e32 v24, v4, v5
	v_add_f32_e32 v5, v15, v16
	v_sub_f32_e32 v4, v15, v5
	v_mul_f32_e32 v26, v5, v25
	v_add_f32_e32 v15, v16, v4
	v_mul_f32_e32 v16, v23, v26
	v_fma_f32 v18, v26, v23, -v16
	v_fmac_f32_e32 v18, v26, v24
	v_add_f32_e32 v4, v16, v18
	v_sub_f32_e32 v17, v5, v4
	v_pk_add_f32 v[20:21], v[4:5], v[16:17] neg_lo:[0,1] neg_hi:[0,1]
	v_mov_b32_e32 v19, v4
	v_pk_add_f32 v[4:5], v[20:21], v[18:19] neg_lo:[0,1] neg_hi:[0,1]
	v_cmp_eq_f32_e32 vcc, s41, v30
	v_add_f32_e32 v5, v15, v5
	v_add_f32_e32 v4, v4, v5
	;; [unrolled: 1-line block ×3, first 2 shown]
	v_mul_f32_e32 v15, v25, v5
	v_mul_f32_e32 v16, v23, v15
	v_fma_f32 v18, v15, v23, -v16
	v_fmac_f32_e32 v18, v15, v24
	v_sub_f32_e32 v17, v17, v5
	v_add_f32_e32 v23, v4, v17
	v_add_f32_e32 v4, v16, v18
	v_sub_f32_e32 v17, v5, v4
	v_pk_add_f32 v[20:21], v[4:5], v[16:17] neg_lo:[0,1] neg_hi:[0,1]
	v_mov_b32_e32 v19, v4
	v_pk_add_f32 v[4:5], v[20:21], v[18:19] neg_lo:[0,1] neg_hi:[0,1]
	s_or_b64 vcc, s[2:3], vcc
	v_add_f32_e32 v5, v23, v5
	v_add_f32_e32 v4, v4, v5
	;; [unrolled: 1-line block ×4, first 2 shown]
	v_sub_f32_e32 v16, v5, v26
	v_mul_f32_e32 v4, v25, v4
	v_sub_f32_e32 v15, v15, v16
	v_add_f32_e32 v16, v15, v4
	v_add_f32_e32 v18, v5, v16
	v_mul_f32_e32 v19, v18, v18
	v_fmamk_f32 v4, v19, 0x3e9b6dac, v69
	v_fmaak_f32 v15, v19, v4, 0x3f2aaada
	v_cvt_f32_i32_e32 v4, v22
	v_sub_f32_e32 v5, v18, v5
	v_sub_f32_e32 v5, v16, v5
	v_ldexp_f32 v20, v5, 1
	v_mul_f32_e32 v5, v18, v19
	v_ldexp_f32 v17, v18, 1
	v_pk_mul_f32 v[18:19], v[4:5], v[14:15]
	s_nop 0
	v_fma_f32 v16, v4, s43, -v18
	v_fmac_f32_e32 v16, 0xb102e308, v4
	v_pk_add_f32 v[4:5], v[18:19], v[16:17]
	s_nop 0
	v_sub_f32_e32 v15, v5, v17
	v_sub_f32_e32 v15, v19, v15
	v_add_f32_e32 v21, v20, v15
	v_mov_b32_e32 v20, v18
	v_pk_add_f32 v[18:19], v[4:5], v[18:19] neg_lo:[0,1] neg_hi:[0,1]
	v_pk_add_f32 v[22:23], v[4:5], v[20:21]
	v_mov_b32_e32 v17, v4
	v_mov_b32_e32 v19, v23
	v_pk_add_f32 v[24:25], v[16:17], v[18:19] neg_lo:[0,1] neg_hi:[0,1]
	v_pk_add_f32 v[16:17], v[16:17], v[18:19]
	v_mov_b32_e32 v20, v21
	v_mov_b32_e32 v18, v17
	v_pk_add_f32 v[26:27], v[18:19], v[4:5] neg_lo:[0,1] neg_hi:[0,1]
	v_mov_b32_e32 v16, v23
	v_mov_b32_e32 v15, v26
	v_pk_add_f32 v[28:29], v[22:23], v[14:15] neg_lo:[0,1] neg_hi:[0,1]
	v_mov_b32_e32 v22, v5
	v_mov_b32_e32 v23, v26
	;; [unrolled: 1-line block ×3, first 2 shown]
	v_pk_add_f32 v[16:17], v[16:17], v[22:23] neg_lo:[0,1] neg_hi:[0,1]
	v_mov_b32_e32 v21, v4
	v_pk_add_f32 v[4:5], v[20:21], v[16:17] neg_lo:[0,1] neg_hi:[0,1]
	v_mov_b32_e32 v28, v24
	v_pk_add_f32 v[16:17], v[28:29], v[4:5]
	s_nop 0
	v_mov_b32_e32 v20, v17
	v_pk_add_f32 v[20:21], v[16:17], v[20:21]
	s_nop 0
	v_pk_add_f32 v[18:19], v[18:19], v[20:21]
	v_mov_b32_e32 v5, v20
	v_mov_b32_e32 v17, v18
	v_pk_add_f32 v[22:23], v[16:17], v[24:25] neg_lo:[0,1] neg_hi:[0,1]
	s_nop 0
	v_sub_f32_e32 v15, v16, v22
	v_pk_add_f32 v[4:5], v[4:5], v[22:23] neg_lo:[0,1] neg_hi:[0,1]
	v_sub_f32_e32 v15, v24, v15
	v_add_f32_e32 v4, v4, v15
	v_add_f32_e32 v4, v4, v5
	;; [unrolled: 1-line block ×3, first 2 shown]
	v_cndmask_b32_e32 v77, v4, v30, vcc
.LBB15_50:                              ;   in Loop: Header=BB15_12 Depth=1
	s_or_b64 exec, exec, s[36:37]
	v_lshlrev_b32_e32 v4, 16, v6
	v_add_f32_e32 v78, s33, v4
	v_cmp_ge_f32_e32 vcc, s99, v78
	s_and_b64 s[2:3], s[76:77], vcc
	s_and_saveexec_b64 s[36:37], s[2:3]
	s_cbranch_execz .LBB15_52
; %bb.51:                               ;   in Loop: Header=BB15_12 Depth=1
	v_mul_f32_e32 v4, 0x3fb8aa3b, v78
	v_rndne_f32_e32 v5, v4
	v_sub_f32_e32 v15, v4, v5
	v_fma_f32 v4, v78, s38, -v4
	v_fmac_f32_e32 v4, 0x32a5705f, v78
	v_add_f32_e32 v4, v15, v4
	v_cvt_i32_f32_e32 v5, v5
	v_exp_f32_e32 v4, v4
	v_cmp_ngt_f32_e32 vcc, s39, v78
	v_ldexp_f32 v4, v4, v5
	s_nop 0
	v_cndmask_b32_e32 v4, 0, v4, vcc
	v_cmp_nlt_f32_e32 vcc, s40, v78
	s_nop 1
	v_cndmask_b32_e32 v30, v70, v4, vcc
	v_add_f32_e32 v15, 1.0, v30
	v_add_f32_e32 v4, -1.0, v15
	v_sub_f32_e32 v5, v4, v15
	v_add_f32_e32 v5, 1.0, v5
	v_sub_f32_e32 v4, v30, v4
	v_add_f32_e32 v16, v4, v5
	v_frexp_mant_f32_e32 v17, v15
	v_cvt_f64_f32_e32 v[4:5], v15
	v_frexp_exp_i32_f64_e32 v4, v[4:5]
	v_cmp_gt_f32_e32 vcc, s42, v17
	v_cmp_gt_f32_e64 s[2:3], s98, v30
	s_nop 0
	v_subbrev_co_u32_e32 v22, vcc, 0, v4, vcc
	v_sub_u32_e32 v4, 0, v22
	v_ldexp_f32 v5, v15, v4
	v_add_f32_e32 v15, -1.0, v5
	v_add_f32_e32 v17, 1.0, v5
	v_ldexp_f32 v4, v16, v4
	v_add_f32_e32 v16, 1.0, v15
	v_add_f32_e32 v18, -1.0, v17
	v_sub_f32_e32 v16, v5, v16
	v_sub_f32_e32 v5, v5, v18
	v_add_f32_e32 v16, v4, v16
	v_add_f32_e32 v4, v4, v5
	;; [unrolled: 1-line block ×3, first 2 shown]
	v_rcp_f32_e32 v25, v23
	v_sub_f32_e32 v5, v17, v23
	v_add_f32_e32 v24, v4, v5
	v_add_f32_e32 v5, v15, v16
	v_sub_f32_e32 v4, v15, v5
	v_mul_f32_e32 v26, v5, v25
	v_add_f32_e32 v15, v16, v4
	v_mul_f32_e32 v16, v23, v26
	v_fma_f32 v18, v26, v23, -v16
	v_fmac_f32_e32 v18, v26, v24
	v_add_f32_e32 v4, v16, v18
	v_sub_f32_e32 v17, v5, v4
	v_pk_add_f32 v[20:21], v[4:5], v[16:17] neg_lo:[0,1] neg_hi:[0,1]
	v_mov_b32_e32 v19, v4
	v_pk_add_f32 v[4:5], v[20:21], v[18:19] neg_lo:[0,1] neg_hi:[0,1]
	v_cmp_eq_f32_e32 vcc, s41, v30
	v_add_f32_e32 v5, v15, v5
	v_add_f32_e32 v4, v4, v5
	;; [unrolled: 1-line block ×3, first 2 shown]
	v_mul_f32_e32 v15, v25, v5
	v_mul_f32_e32 v16, v23, v15
	v_fma_f32 v18, v15, v23, -v16
	v_fmac_f32_e32 v18, v15, v24
	v_sub_f32_e32 v17, v17, v5
	v_add_f32_e32 v23, v4, v17
	v_add_f32_e32 v4, v16, v18
	v_sub_f32_e32 v17, v5, v4
	v_pk_add_f32 v[20:21], v[4:5], v[16:17] neg_lo:[0,1] neg_hi:[0,1]
	v_mov_b32_e32 v19, v4
	v_pk_add_f32 v[4:5], v[20:21], v[18:19] neg_lo:[0,1] neg_hi:[0,1]
	s_or_b64 vcc, s[2:3], vcc
	v_add_f32_e32 v5, v23, v5
	v_add_f32_e32 v4, v4, v5
	;; [unrolled: 1-line block ×4, first 2 shown]
	v_sub_f32_e32 v16, v5, v26
	v_mul_f32_e32 v4, v25, v4
	v_sub_f32_e32 v15, v15, v16
	v_add_f32_e32 v16, v15, v4
	v_add_f32_e32 v18, v5, v16
	v_mul_f32_e32 v19, v18, v18
	v_fmamk_f32 v4, v19, 0x3e9b6dac, v69
	v_fmaak_f32 v15, v19, v4, 0x3f2aaada
	v_cvt_f32_i32_e32 v4, v22
	v_sub_f32_e32 v5, v18, v5
	v_sub_f32_e32 v5, v16, v5
	v_ldexp_f32 v20, v5, 1
	v_mul_f32_e32 v5, v18, v19
	v_ldexp_f32 v17, v18, 1
	v_pk_mul_f32 v[18:19], v[4:5], v[14:15]
	s_nop 0
	v_fma_f32 v16, v4, s43, -v18
	v_fmac_f32_e32 v16, 0xb102e308, v4
	v_pk_add_f32 v[4:5], v[18:19], v[16:17]
	s_nop 0
	v_sub_f32_e32 v15, v5, v17
	v_sub_f32_e32 v15, v19, v15
	v_add_f32_e32 v21, v20, v15
	v_mov_b32_e32 v20, v18
	v_pk_add_f32 v[18:19], v[4:5], v[18:19] neg_lo:[0,1] neg_hi:[0,1]
	v_pk_add_f32 v[22:23], v[4:5], v[20:21]
	v_mov_b32_e32 v17, v4
	v_mov_b32_e32 v19, v23
	v_pk_add_f32 v[24:25], v[16:17], v[18:19] neg_lo:[0,1] neg_hi:[0,1]
	v_pk_add_f32 v[16:17], v[16:17], v[18:19]
	v_mov_b32_e32 v20, v21
	v_mov_b32_e32 v18, v17
	v_pk_add_f32 v[26:27], v[18:19], v[4:5] neg_lo:[0,1] neg_hi:[0,1]
	v_mov_b32_e32 v16, v23
	v_mov_b32_e32 v15, v26
	v_pk_add_f32 v[28:29], v[22:23], v[14:15] neg_lo:[0,1] neg_hi:[0,1]
	v_mov_b32_e32 v22, v5
	v_mov_b32_e32 v23, v26
	;; [unrolled: 1-line block ×3, first 2 shown]
	v_pk_add_f32 v[16:17], v[16:17], v[22:23] neg_lo:[0,1] neg_hi:[0,1]
	v_mov_b32_e32 v21, v4
	v_pk_add_f32 v[4:5], v[20:21], v[16:17] neg_lo:[0,1] neg_hi:[0,1]
	v_mov_b32_e32 v28, v24
	v_pk_add_f32 v[16:17], v[28:29], v[4:5]
	s_nop 0
	v_mov_b32_e32 v20, v17
	v_pk_add_f32 v[20:21], v[16:17], v[20:21]
	s_nop 0
	v_pk_add_f32 v[18:19], v[18:19], v[20:21]
	v_mov_b32_e32 v5, v20
	v_mov_b32_e32 v17, v18
	v_pk_add_f32 v[22:23], v[16:17], v[24:25] neg_lo:[0,1] neg_hi:[0,1]
	s_nop 0
	v_sub_f32_e32 v15, v16, v22
	v_pk_add_f32 v[4:5], v[4:5], v[22:23] neg_lo:[0,1] neg_hi:[0,1]
	v_sub_f32_e32 v15, v24, v15
	v_add_f32_e32 v4, v4, v15
	v_add_f32_e32 v4, v4, v5
	;; [unrolled: 1-line block ×3, first 2 shown]
	v_cndmask_b32_e32 v78, v4, v30, vcc
.LBB15_52:                              ;   in Loop: Header=BB15_12 Depth=1
	s_or_b64 exec, exec, s[36:37]
	v_and_b32_e32 v4, 0xffff0000, v6
	v_add_f32_e32 v79, s33, v4
	v_cmp_ge_f32_e32 vcc, s99, v79
	s_and_b64 s[2:3], s[76:77], vcc
	s_and_saveexec_b64 s[36:37], s[2:3]
	s_cbranch_execz .LBB15_54
; %bb.53:                               ;   in Loop: Header=BB15_12 Depth=1
	v_mul_f32_e32 v4, 0x3fb8aa3b, v79
	v_rndne_f32_e32 v5, v4
	v_sub_f32_e32 v6, v4, v5
	v_fma_f32 v4, v79, s38, -v4
	v_fmac_f32_e32 v4, 0x32a5705f, v79
	v_add_f32_e32 v4, v6, v4
	v_cvt_i32_f32_e32 v5, v5
	v_exp_f32_e32 v4, v4
	v_cmp_ngt_f32_e32 vcc, s39, v79
	v_ldexp_f32 v4, v4, v5
	s_nop 0
	v_cndmask_b32_e32 v4, 0, v4, vcc
	v_cmp_nlt_f32_e32 vcc, s40, v79
	s_nop 1
	v_cndmask_b32_e32 v28, v70, v4, vcc
	v_add_f32_e32 v6, 1.0, v28
	v_add_f32_e32 v4, -1.0, v6
	v_sub_f32_e32 v5, v4, v6
	v_add_f32_e32 v5, 1.0, v5
	v_sub_f32_e32 v4, v28, v4
	v_add_f32_e32 v15, v4, v5
	v_frexp_mant_f32_e32 v16, v6
	v_cvt_f64_f32_e32 v[4:5], v6
	v_frexp_exp_i32_f64_e32 v4, v[4:5]
	v_cmp_gt_f32_e32 vcc, s42, v16
	v_cmp_gt_f32_e64 s[2:3], s98, v28
	s_nop 0
	v_subbrev_co_u32_e32 v22, vcc, 0, v4, vcc
	v_sub_u32_e32 v4, 0, v22
	v_ldexp_f32 v5, v6, v4
	v_add_f32_e32 v6, -1.0, v5
	v_add_f32_e32 v16, 1.0, v5
	v_ldexp_f32 v4, v15, v4
	v_add_f32_e32 v15, 1.0, v6
	v_add_f32_e32 v17, -1.0, v16
	v_sub_f32_e32 v15, v5, v15
	v_sub_f32_e32 v5, v5, v17
	v_add_f32_e32 v15, v4, v15
	v_add_f32_e32 v4, v4, v5
	v_add_f32_e32 v23, v16, v4
	v_rcp_f32_e32 v25, v23
	v_sub_f32_e32 v5, v16, v23
	v_add_f32_e32 v24, v4, v5
	v_add_f32_e32 v5, v6, v15
	v_sub_f32_e32 v4, v6, v5
	v_add_f32_e32 v6, v15, v4
	v_mul_f32_e32 v15, v5, v25
	v_mul_f32_e32 v16, v23, v15
	v_fma_f32 v18, v15, v23, -v16
	v_fmac_f32_e32 v18, v15, v24
	v_add_f32_e32 v4, v16, v18
	v_sub_f32_e32 v17, v5, v4
	v_pk_add_f32 v[20:21], v[4:5], v[16:17] neg_lo:[0,1] neg_hi:[0,1]
	v_mov_b32_e32 v19, v4
	v_pk_add_f32 v[4:5], v[20:21], v[18:19] neg_lo:[0,1] neg_hi:[0,1]
	v_cmp_eq_f32_e32 vcc, s41, v28
	v_add_f32_e32 v5, v6, v5
	v_add_f32_e32 v4, v4, v5
	;; [unrolled: 1-line block ×3, first 2 shown]
	v_mul_f32_e32 v6, v25, v5
	v_mul_f32_e32 v16, v23, v6
	v_fma_f32 v18, v6, v23, -v16
	v_fmac_f32_e32 v18, v6, v24
	v_sub_f32_e32 v17, v17, v5
	v_add_f32_e32 v23, v4, v17
	v_add_f32_e32 v4, v16, v18
	v_sub_f32_e32 v17, v5, v4
	v_pk_add_f32 v[20:21], v[4:5], v[16:17] neg_lo:[0,1] neg_hi:[0,1]
	v_mov_b32_e32 v19, v4
	v_pk_add_f32 v[4:5], v[20:21], v[18:19] neg_lo:[0,1] neg_hi:[0,1]
	s_or_b64 vcc, s[2:3], vcc
	v_add_f32_e32 v5, v23, v5
	v_add_f32_e32 v4, v4, v5
	;; [unrolled: 1-line block ×4, first 2 shown]
	v_sub_f32_e32 v15, v5, v15
	v_mul_f32_e32 v4, v25, v4
	v_sub_f32_e32 v6, v6, v15
	v_add_f32_e32 v6, v6, v4
	v_add_f32_e32 v16, v5, v6
	v_mul_f32_e32 v18, v16, v16
	v_fmamk_f32 v4, v18, 0x3e9b6dac, v69
	v_fmaak_f32 v15, v18, v4, 0x3f2aaada
	v_cvt_f32_i32_e32 v4, v22
	v_sub_f32_e32 v5, v16, v5
	v_sub_f32_e32 v5, v6, v5
	v_ldexp_f32 v6, v5, 1
	v_mul_f32_e32 v5, v16, v18
	v_pk_mul_f32 v[18:19], v[4:5], v[14:15]
	v_ldexp_f32 v17, v16, 1
	v_fma_f32 v16, v4, s43, -v18
	v_fmac_f32_e32 v16, 0xb102e308, v4
	v_pk_add_f32 v[4:5], v[18:19], v[16:17]
	v_mov_b32_e32 v20, v18
	v_sub_f32_e32 v15, v5, v17
	v_sub_f32_e32 v15, v19, v15
	v_add_f32_e32 v21, v6, v15
	v_pk_add_f32 v[18:19], v[4:5], v[18:19] neg_lo:[0,1] neg_hi:[0,1]
	v_pk_add_f32 v[22:23], v[4:5], v[20:21]
	v_mov_b32_e32 v17, v4
	v_mov_b32_e32 v19, v23
	v_pk_add_f32 v[24:25], v[16:17], v[18:19] neg_lo:[0,1] neg_hi:[0,1]
	v_pk_add_f32 v[16:17], v[16:17], v[18:19]
	s_nop 0
	v_mov_b32_e32 v6, v17
	v_pk_add_f32 v[18:19], v[6:7], v[4:5] neg_lo:[0,1] neg_hi:[0,1]
	v_mov_b32_e32 v16, v23
	v_mov_b32_e32 v15, v18
	v_pk_add_f32 v[26:27], v[22:23], v[14:15] neg_lo:[0,1] neg_hi:[0,1]
	v_mov_b32_e32 v22, v5
	v_mov_b32_e32 v23, v18
	;; [unrolled: 1-line block ×3, first 2 shown]
	v_pk_add_f32 v[16:17], v[16:17], v[22:23] neg_lo:[0,1] neg_hi:[0,1]
	v_mov_b32_e32 v18, v21
	v_mov_b32_e32 v19, v4
	v_pk_add_f32 v[4:5], v[18:19], v[16:17] neg_lo:[0,1] neg_hi:[0,1]
	v_mov_b32_e32 v26, v24
	v_pk_add_f32 v[16:17], v[26:27], v[4:5]
	s_nop 0
	v_mov_b32_e32 v18, v17
	v_pk_add_f32 v[18:19], v[16:17], v[18:19]
	s_nop 0
	v_pk_add_f32 v[20:21], v[6:7], v[18:19]
	v_mov_b32_e32 v5, v18
	v_mov_b32_e32 v17, v20
	v_pk_add_f32 v[22:23], v[16:17], v[24:25] neg_lo:[0,1] neg_hi:[0,1]
	s_nop 0
	v_sub_f32_e32 v6, v16, v22
	v_pk_add_f32 v[4:5], v[4:5], v[22:23] neg_lo:[0,1] neg_hi:[0,1]
	v_sub_f32_e32 v6, v24, v6
	v_add_f32_e32 v4, v4, v6
	v_add_f32_e32 v4, v4, v5
	;; [unrolled: 1-line block ×3, first 2 shown]
	v_cndmask_b32_e32 v79, v4, v28, vcc
.LBB15_54:                              ;   in Loop: Header=BB15_12 Depth=1
	s_or_b64 exec, exec, s[36:37]
	v_lshlrev_b32_e32 v4, 16, v7
	v_add_f32_e32 v80, s33, v4
	v_cmp_ge_f32_e32 vcc, s99, v80
	s_and_b64 s[2:3], s[76:77], vcc
	s_and_saveexec_b64 s[36:37], s[2:3]
	s_cbranch_execz .LBB15_56
; %bb.55:                               ;   in Loop: Header=BB15_12 Depth=1
	v_mul_f32_e32 v4, 0x3fb8aa3b, v80
	v_rndne_f32_e32 v5, v4
	v_sub_f32_e32 v6, v4, v5
	v_fma_f32 v4, v80, s38, -v4
	v_fmac_f32_e32 v4, 0x32a5705f, v80
	v_add_f32_e32 v4, v6, v4
	v_cvt_i32_f32_e32 v5, v5
	v_exp_f32_e32 v4, v4
	v_cmp_ngt_f32_e32 vcc, s39, v80
	v_ldexp_f32 v4, v4, v5
	s_nop 0
	v_cndmask_b32_e32 v4, 0, v4, vcc
	v_cmp_nlt_f32_e32 vcc, s40, v80
	s_nop 1
	v_cndmask_b32_e32 v28, v70, v4, vcc
	v_add_f32_e32 v6, 1.0, v28
	v_add_f32_e32 v4, -1.0, v6
	v_sub_f32_e32 v5, v4, v6
	v_add_f32_e32 v5, 1.0, v5
	v_sub_f32_e32 v4, v28, v4
	v_add_f32_e32 v15, v4, v5
	v_frexp_mant_f32_e32 v16, v6
	v_cvt_f64_f32_e32 v[4:5], v6
	v_frexp_exp_i32_f64_e32 v4, v[4:5]
	v_cmp_gt_f32_e32 vcc, s42, v16
	v_cmp_gt_f32_e64 s[2:3], s98, v28
	s_nop 0
	v_subbrev_co_u32_e32 v22, vcc, 0, v4, vcc
	v_sub_u32_e32 v4, 0, v22
	v_ldexp_f32 v5, v6, v4
	v_add_f32_e32 v6, -1.0, v5
	v_add_f32_e32 v16, 1.0, v5
	v_ldexp_f32 v4, v15, v4
	v_add_f32_e32 v15, 1.0, v6
	v_add_f32_e32 v17, -1.0, v16
	v_sub_f32_e32 v15, v5, v15
	v_sub_f32_e32 v5, v5, v17
	v_add_f32_e32 v15, v4, v15
	v_add_f32_e32 v4, v4, v5
	;; [unrolled: 1-line block ×3, first 2 shown]
	v_rcp_f32_e32 v25, v23
	v_sub_f32_e32 v5, v16, v23
	v_add_f32_e32 v24, v4, v5
	v_add_f32_e32 v5, v6, v15
	v_sub_f32_e32 v4, v6, v5
	v_add_f32_e32 v6, v15, v4
	v_mul_f32_e32 v15, v5, v25
	v_mul_f32_e32 v16, v23, v15
	v_fma_f32 v18, v15, v23, -v16
	v_fmac_f32_e32 v18, v15, v24
	v_add_f32_e32 v4, v16, v18
	v_sub_f32_e32 v17, v5, v4
	v_pk_add_f32 v[20:21], v[4:5], v[16:17] neg_lo:[0,1] neg_hi:[0,1]
	v_mov_b32_e32 v19, v4
	v_pk_add_f32 v[4:5], v[20:21], v[18:19] neg_lo:[0,1] neg_hi:[0,1]
	v_cmp_eq_f32_e32 vcc, s41, v28
	v_add_f32_e32 v5, v6, v5
	v_add_f32_e32 v4, v4, v5
	;; [unrolled: 1-line block ×3, first 2 shown]
	v_mul_f32_e32 v6, v25, v5
	v_mul_f32_e32 v16, v23, v6
	v_fma_f32 v18, v6, v23, -v16
	v_fmac_f32_e32 v18, v6, v24
	v_sub_f32_e32 v17, v17, v5
	v_add_f32_e32 v23, v4, v17
	v_add_f32_e32 v4, v16, v18
	v_sub_f32_e32 v17, v5, v4
	v_pk_add_f32 v[20:21], v[4:5], v[16:17] neg_lo:[0,1] neg_hi:[0,1]
	v_mov_b32_e32 v19, v4
	v_pk_add_f32 v[4:5], v[20:21], v[18:19] neg_lo:[0,1] neg_hi:[0,1]
	s_or_b64 vcc, s[2:3], vcc
	v_add_f32_e32 v5, v23, v5
	v_add_f32_e32 v4, v4, v5
	;; [unrolled: 1-line block ×4, first 2 shown]
	v_sub_f32_e32 v15, v5, v15
	v_mul_f32_e32 v4, v25, v4
	v_sub_f32_e32 v6, v6, v15
	v_add_f32_e32 v6, v6, v4
	v_add_f32_e32 v16, v5, v6
	v_mul_f32_e32 v18, v16, v16
	v_fmamk_f32 v4, v18, 0x3e9b6dac, v69
	v_fmaak_f32 v15, v18, v4, 0x3f2aaada
	v_cvt_f32_i32_e32 v4, v22
	v_sub_f32_e32 v5, v16, v5
	v_sub_f32_e32 v5, v6, v5
	v_ldexp_f32 v6, v5, 1
	v_mul_f32_e32 v5, v16, v18
	v_pk_mul_f32 v[18:19], v[4:5], v[14:15]
	v_ldexp_f32 v17, v16, 1
	v_fma_f32 v16, v4, s43, -v18
	v_fmac_f32_e32 v16, 0xb102e308, v4
	v_pk_add_f32 v[4:5], v[18:19], v[16:17]
	v_mov_b32_e32 v20, v18
	v_sub_f32_e32 v15, v5, v17
	v_sub_f32_e32 v15, v19, v15
	v_add_f32_e32 v21, v6, v15
	v_pk_add_f32 v[18:19], v[4:5], v[18:19] neg_lo:[0,1] neg_hi:[0,1]
	v_pk_add_f32 v[22:23], v[4:5], v[20:21]
	v_mov_b32_e32 v17, v4
	v_mov_b32_e32 v19, v23
	v_pk_add_f32 v[24:25], v[16:17], v[18:19] neg_lo:[0,1] neg_hi:[0,1]
	v_pk_add_f32 v[16:17], v[16:17], v[18:19]
	s_nop 0
	v_mov_b32_e32 v6, v17
	v_pk_add_f32 v[18:19], v[6:7], v[4:5] neg_lo:[0,1] neg_hi:[0,1]
	v_mov_b32_e32 v16, v23
	v_mov_b32_e32 v15, v18
	v_pk_add_f32 v[26:27], v[22:23], v[14:15] neg_lo:[0,1] neg_hi:[0,1]
	v_mov_b32_e32 v22, v5
	v_mov_b32_e32 v23, v18
	v_mov_b32_e32 v25, v17
	v_pk_add_f32 v[16:17], v[16:17], v[22:23] neg_lo:[0,1] neg_hi:[0,1]
	v_mov_b32_e32 v18, v21
	v_mov_b32_e32 v19, v4
	v_pk_add_f32 v[4:5], v[18:19], v[16:17] neg_lo:[0,1] neg_hi:[0,1]
	v_mov_b32_e32 v26, v24
	v_pk_add_f32 v[16:17], v[26:27], v[4:5]
	s_nop 0
	v_mov_b32_e32 v18, v17
	v_pk_add_f32 v[18:19], v[16:17], v[18:19]
	s_nop 0
	v_pk_add_f32 v[20:21], v[6:7], v[18:19]
	v_mov_b32_e32 v5, v18
	v_mov_b32_e32 v17, v20
	v_pk_add_f32 v[22:23], v[16:17], v[24:25] neg_lo:[0,1] neg_hi:[0,1]
	s_nop 0
	v_sub_f32_e32 v6, v16, v22
	v_pk_add_f32 v[4:5], v[4:5], v[22:23] neg_lo:[0,1] neg_hi:[0,1]
	v_sub_f32_e32 v6, v24, v6
	v_add_f32_e32 v4, v4, v6
	v_add_f32_e32 v4, v4, v5
	;; [unrolled: 1-line block ×3, first 2 shown]
	v_cndmask_b32_e32 v80, v4, v28, vcc
.LBB15_56:                              ;   in Loop: Header=BB15_12 Depth=1
	s_or_b64 exec, exec, s[36:37]
	v_and_b32_e32 v4, 0xffff0000, v7
	v_add_f32_e32 v15, s33, v4
	v_cmp_ge_f32_e32 vcc, s99, v15
	s_and_b64 s[2:3], s[76:77], vcc
	s_and_saveexec_b64 s[36:37], s[2:3]
	s_cbranch_execz .LBB15_58
; %bb.57:                               ;   in Loop: Header=BB15_12 Depth=1
	v_mul_f32_e32 v4, 0x3fb8aa3b, v15
	v_rndne_f32_e32 v5, v4
	v_sub_f32_e32 v6, v4, v5
	v_fma_f32 v4, v15, s38, -v4
	v_fmac_f32_e32 v4, 0x32a5705f, v15
	v_add_f32_e32 v4, v6, v4
	v_cvt_i32_f32_e32 v5, v5
	v_exp_f32_e32 v4, v4
	v_cmp_ngt_f32_e32 vcc, s39, v15
	v_ldexp_f32 v4, v4, v5
	s_nop 0
	v_cndmask_b32_e32 v4, 0, v4, vcc
	v_cmp_nlt_f32_e32 vcc, s40, v15
	s_nop 1
	v_cndmask_b32_e32 v28, v70, v4, vcc
	v_add_f32_e32 v6, 1.0, v28
	v_add_f32_e32 v4, -1.0, v6
	v_sub_f32_e32 v5, v4, v6
	v_add_f32_e32 v5, 1.0, v5
	v_sub_f32_e32 v4, v28, v4
	v_add_f32_e32 v7, v4, v5
	v_frexp_mant_f32_e32 v15, v6
	v_cvt_f64_f32_e32 v[4:5], v6
	v_frexp_exp_i32_f64_e32 v4, v[4:5]
	v_cmp_gt_f32_e32 vcc, s42, v15
	v_cmp_gt_f32_e64 s[2:3], s98, v28
	s_nop 0
	v_subbrev_co_u32_e32 v20, vcc, 0, v4, vcc
	v_sub_u32_e32 v4, 0, v20
	v_ldexp_f32 v5, v6, v4
	v_add_f32_e32 v6, -1.0, v5
	v_add_f32_e32 v15, 1.0, v5
	v_ldexp_f32 v4, v7, v4
	v_add_f32_e32 v7, 1.0, v6
	v_add_f32_e32 v16, -1.0, v15
	v_sub_f32_e32 v7, v5, v7
	v_sub_f32_e32 v5, v5, v16
	v_add_f32_e32 v7, v4, v7
	v_add_f32_e32 v4, v4, v5
	;; [unrolled: 1-line block ×3, first 2 shown]
	v_rcp_f32_e32 v22, v21
	v_sub_f32_e32 v5, v15, v21
	v_add_f32_e32 v15, v4, v5
	v_add_f32_e32 v5, v6, v7
	v_mul_f32_e32 v24, v5, v22
	v_sub_f32_e32 v4, v6, v5
	v_mul_f32_e32 v6, v21, v24
	v_fma_f32 v16, v24, v21, -v6
	v_fmac_f32_e32 v16, v24, v15
	v_add_f32_e32 v23, v7, v4
	v_add_f32_e32 v4, v6, v16
	v_sub_f32_e32 v7, v5, v4
	v_pk_add_f32 v[18:19], v[4:5], v[6:7] neg_lo:[0,1] neg_hi:[0,1]
	v_mov_b32_e32 v17, v4
	v_pk_add_f32 v[4:5], v[18:19], v[16:17] neg_lo:[0,1] neg_hi:[0,1]
	v_cmp_eq_f32_e32 vcc, s41, v28
	v_add_f32_e32 v5, v23, v5
	v_add_f32_e32 v4, v4, v5
	;; [unrolled: 1-line block ×3, first 2 shown]
	v_mul_f32_e32 v23, v22, v5
	v_mul_f32_e32 v6, v21, v23
	v_fma_f32 v16, v23, v21, -v6
	v_fmac_f32_e32 v16, v23, v15
	v_sub_f32_e32 v7, v7, v5
	v_add_f32_e32 v15, v4, v7
	v_add_f32_e32 v4, v6, v16
	v_sub_f32_e32 v7, v5, v4
	v_pk_add_f32 v[18:19], v[4:5], v[6:7] neg_lo:[0,1] neg_hi:[0,1]
	v_mov_b32_e32 v17, v4
	v_pk_add_f32 v[4:5], v[18:19], v[16:17] neg_lo:[0,1] neg_hi:[0,1]
	s_or_b64 vcc, s[2:3], vcc
	v_add_f32_e32 v5, v15, v5
	v_add_f32_e32 v4, v4, v5
	;; [unrolled: 1-line block ×4, first 2 shown]
	v_sub_f32_e32 v6, v5, v24
	v_mul_f32_e32 v4, v22, v4
	v_sub_f32_e32 v6, v23, v6
	v_add_f32_e32 v6, v6, v4
	v_add_f32_e32 v16, v5, v6
	v_mul_f32_e32 v17, v16, v16
	v_fmamk_f32 v4, v17, 0x3e9b6dac, v69
	v_fmaak_f32 v15, v17, v4, 0x3f2aaada
	v_cvt_f32_i32_e32 v4, v20
	v_sub_f32_e32 v5, v16, v5
	v_sub_f32_e32 v5, v6, v5
	v_ldexp_f32 v18, v5, 1
	v_mul_f32_e32 v5, v16, v17
	v_ldexp_f32 v7, v16, 1
	v_pk_mul_f32 v[16:17], v[4:5], v[14:15]
	s_nop 0
	v_fma_f32 v6, v4, s43, -v16
	v_fmac_f32_e32 v6, 0xb102e308, v4
	v_pk_add_f32 v[4:5], v[16:17], v[6:7]
	s_nop 0
	v_sub_f32_e32 v7, v5, v7
	v_sub_f32_e32 v7, v17, v7
	v_add_f32_e32 v19, v18, v7
	v_mov_b32_e32 v18, v16
	v_pk_add_f32 v[16:17], v[4:5], v[16:17] neg_lo:[0,1] neg_hi:[0,1]
	v_pk_add_f32 v[20:21], v[4:5], v[18:19]
	v_mov_b32_e32 v7, v4
	v_mov_b32_e32 v17, v21
	v_pk_add_f32 v[22:23], v[6:7], v[16:17] neg_lo:[0,1] neg_hi:[0,1]
	v_pk_add_f32 v[6:7], v[6:7], v[16:17]
	v_mov_b32_e32 v18, v19
	v_mov_b32_e32 v16, v7
	v_pk_add_f32 v[24:25], v[16:17], v[4:5] neg_lo:[0,1] neg_hi:[0,1]
	v_mov_b32_e32 v6, v21
	v_mov_b32_e32 v15, v24
	v_pk_add_f32 v[26:27], v[20:21], v[14:15] neg_lo:[0,1] neg_hi:[0,1]
	v_mov_b32_e32 v20, v5
	v_mov_b32_e32 v21, v24
	;; [unrolled: 1-line block ×3, first 2 shown]
	v_pk_add_f32 v[6:7], v[6:7], v[20:21] neg_lo:[0,1] neg_hi:[0,1]
	v_mov_b32_e32 v19, v4
	v_pk_add_f32 v[4:5], v[18:19], v[6:7] neg_lo:[0,1] neg_hi:[0,1]
	v_mov_b32_e32 v26, v22
	v_pk_add_f32 v[6:7], v[26:27], v[4:5]
	s_nop 0
	v_mov_b32_e32 v18, v7
	v_pk_add_f32 v[18:19], v[6:7], v[18:19]
	s_nop 0
	v_pk_add_f32 v[16:17], v[16:17], v[18:19]
	v_mov_b32_e32 v5, v18
	v_mov_b32_e32 v7, v16
	v_pk_add_f32 v[20:21], v[6:7], v[22:23] neg_lo:[0,1] neg_hi:[0,1]
	s_nop 0
	v_sub_f32_e32 v6, v6, v20
	v_pk_add_f32 v[4:5], v[4:5], v[20:21] neg_lo:[0,1] neg_hi:[0,1]
	v_sub_f32_e32 v6, v22, v6
	v_add_f32_e32 v4, v4, v6
	v_add_f32_e32 v4, v4, v5
	;; [unrolled: 1-line block ×3, first 2 shown]
	v_cndmask_b32_e32 v15, v4, v28, vcc
.LBB15_58:                              ;   in Loop: Header=BB15_12 Depth=1
	s_or_b64 exec, exec, s[36:37]
	v_readlane_b32 s2, v95, 0
	v_lshlrev_b32_e32 v4, 16, v3
	v_and_b32_e32 v7, 0xffff0000, v3
	v_and_b32_e32 v3, 0xffff0000, v2
	v_lshlrev_b32_e32 v2, 16, v2
	v_and_b32_e32 v5, 0xffff0000, v1
	v_lshlrev_b32_e32 v1, 16, v1
	;; [unrolled: 2-line block ×3, first 2 shown]
	v_readlane_b32 s3, v95, 1
	v_mul_f32_e32 v16, s96, v4
	v_mul_f32_e32 v19, s96, v3
	;; [unrolled: 1-line block ×8, first 2 shown]
	s_and_b64 vcc, exec, s[2:3]
	s_waitcnt lgkmcnt(0)
	; wave barrier
	s_cbranch_vccz .LBB15_119
; %bb.59:                               ;   in Loop: Header=BB15_12 Depth=1
	s_cmp_lg_u32 s79, 0
	v_readlane_b32 s36, v95, 5
	v_mul_f32_e32 v88, v74, v0
	s_cselect_b64 s[2:3], -1, 0
	s_cmp_eq_u32 s79, s36
	v_cmp_gt_u32_e32 vcc, s50, v11
	v_or_b32_e32 v0, 1, v11
	s_cselect_b64 s[84:85], -1, 0
	s_or_b64 s[36:37], s[80:81], vcc
	v_cmp_gt_u32_e32 vcc, s50, v0
	v_or_b32_e32 v0, 2, v11
	s_or_b64 s[38:39], s[80:81], vcc
	v_cmp_gt_u32_e32 vcc, s50, v0
	v_or_b32_e32 v0, 3, v11
	s_or_b64 s[40:41], s[80:81], vcc
	v_cmp_gt_u32_e32 vcc, s50, v0
	v_or_b32_e32 v0, 4, v11
	s_or_b64 s[42:43], s[80:81], vcc
	v_cmp_gt_u32_e32 vcc, s50, v0
	s_or_b64 s[44:45], s[80:81], vcc
	v_cmp_gt_u32_e32 vcc, s50, v66
	;; [unrolled: 2-line block ×3, first 2 shown]
	v_readlane_b32 s92, v95, 2
	s_mov_b32 s72, 0
	s_or_b64 s[48:49], s[80:81], vcc
	v_cmp_gt_u32_e32 vcc, s50, v68
	v_readlane_b32 s93, v95, 3
	v_mul_f32_e32 v81, v15, v7
	v_lshl_add_u64 v[24:25], s[58:59], 0, v[8:9]
	v_lshl_add_u64 v[26:27], s[62:63], 0, v[8:9]
	v_mul_f32_e32 v82, v80, v4
	v_mul_f32_e32 v83, v79, v3
	;; [unrolled: 1-line block ×6, first 2 shown]
	s_or_b64 s[50:51], s[80:81], vcc
	s_mov_b32 s86, s72
	s_mov_b32 s88, s72
	;; [unrolled: 1-line block ×4, first 2 shown]
	v_readlane_b32 s97, v95, 6
	s_branch .LBB15_61
.LBB15_60:                              ;   in Loop: Header=BB15_61 Depth=2
	s_or_b64 exec, exec, s[92:93]
	v_mul_f32_e32 v29, v89, v64
	v_fma_f32 v30, v89, v65, v4
	v_cndmask_b32_e64 v4, v30, v4, s[16:17]
	v_cndmask_b32_e64 v29, v29, v89, s[16:17]
	s_waitcnt lgkmcnt(0)
	v_fmac_f32_e32 v4, v28, v29
	v_fmac_f32_e32 v5, v4, v90
	;; [unrolled: 1-line block ×8, first 2 shown]
	v_and_b32_e32 v29, 0xffff0000, v0
	v_and_b32_e32 v31, 0xffff0000, v1
	v_lshlrev_b32_e32 v28, 16, v0
	v_lshlrev_b32_e32 v30, 16, v1
	v_and_b32_e32 v1, 0xffff0000, v2
	v_and_b32_e32 v37, 0xffff0000, v3
	v_lshlrev_b32_e32 v0, 16, v2
	v_lshlrev_b32_e32 v36, 16, v3
	s_add_i32 s97, s97, 8
	s_add_i32 s83, s83, -1
	s_add_i32 s90, s90, s54
	s_add_i32 s88, s88, s64
	;; [unrolled: 1-line block ×4, first 2 shown]
	v_pk_fma_f32 v[20:21], v[32:33], v[30:31], v[20:21]
	v_pk_fma_f32 v[22:23], v[4:5], v[28:29], v[22:23]
	;; [unrolled: 1-line block ×3, first 2 shown]
	s_cmp_eq_u32 s83, 0
	v_pk_fma_f32 v[18:19], v[6:7], v[0:1], v[18:19]
	s_cbranch_scc1 .LBB15_118
.LBB15_61:                              ;   Parent Loop BB15_12 Depth=1
                                        ; =>  This Inner Loop Header: Depth=2
	s_lshl_b64 s[92:93], s[72:73], 2
	s_add_u32 s92, s55, s92
	s_addc_u32 s93, s56, s93
	global_load_dword v28, v9, s[92:93]
	s_mov_b32 s87, s73
	v_lshl_add_u64 v[0:1], s[86:87], 1, v[24:25]
	v_mov_b32_e32 v2, 0
	v_mov_b32_e32 v3, 0
	s_and_saveexec_b64 s[92:93], s[18:19]
	s_cbranch_execz .LBB15_63
; %bb.62:                               ;   in Loop: Header=BB15_61 Depth=2
	global_load_ushort v3, v[0:1], off
.LBB15_63:                              ;   in Loop: Header=BB15_61 Depth=2
	s_or_b64 exec, exec, s[92:93]
	s_and_saveexec_b64 s[92:93], s[20:21]
	s_cbranch_execz .LBB15_65
; %bb.64:                               ;   in Loop: Header=BB15_61 Depth=2
	global_load_ushort v2, v[0:1], off offset:128
.LBB15_65:                              ;   in Loop: Header=BB15_61 Depth=2
	s_or_b64 exec, exec, s[92:93]
	v_mov_b32_e32 v4, 0
	v_mov_b32_e32 v5, 0
	s_and_saveexec_b64 s[92:93], s[22:23]
	s_cbranch_execz .LBB15_67
; %bb.66:                               ;   in Loop: Header=BB15_61 Depth=2
	global_load_ushort v5, v[0:1], off offset:256
.LBB15_67:                              ;   in Loop: Header=BB15_61 Depth=2
	s_or_b64 exec, exec, s[92:93]
	s_and_saveexec_b64 s[92:93], s[24:25]
	s_cbranch_execz .LBB15_69
; %bb.68:                               ;   in Loop: Header=BB15_61 Depth=2
	global_load_ushort v4, v[0:1], off offset:384
.LBB15_69:                              ;   in Loop: Header=BB15_61 Depth=2
	s_or_b64 exec, exec, s[92:93]
	v_mov_b32_e32 v6, 0
	v_mov_b32_e32 v7, 0
	s_and_saveexec_b64 s[92:93], s[26:27]
	s_cbranch_execz .LBB15_71
; %bb.70:                               ;   in Loop: Header=BB15_61 Depth=2
	global_load_ushort v7, v[0:1], off offset:512
.LBB15_71:                              ;   in Loop: Header=BB15_61 Depth=2
	;; [unrolled: 14-line block ×3, first 2 shown]
	s_or_b64 exec, exec, s[92:93]
	s_and_saveexec_b64 s[92:93], s[34:35]
	s_cbranch_execz .LBB15_77
; %bb.76:                               ;   in Loop: Header=BB15_61 Depth=2
	global_load_ushort v29, v[0:1], off offset:896
.LBB15_77:                              ;   in Loop: Header=BB15_61 Depth=2
	s_or_b64 exec, exec, s[92:93]
	s_waitcnt vmcnt(0)
	ds_write_b16 v45, v3
	ds_write_b16 v46, v2 offset:128
	ds_write_b16 v47, v5 offset:256
	;; [unrolled: 1-line block ×7, first 2 shown]
	; wave barrier
	ds_read_b128 v[4:7], v53
	s_mov_b32 s89, s73
	v_lshl_add_u64 v[0:1], s[88:89], 1, v[26:27]
	v_mov_b32_e32 v2, 0
	v_mov_b32_e32 v3, 0
	s_and_saveexec_b64 s[92:93], s[18:19]
	s_cbranch_execz .LBB15_79
; %bb.78:                               ;   in Loop: Header=BB15_61 Depth=2
	global_load_ushort v3, v[0:1], off
.LBB15_79:                              ;   in Loop: Header=BB15_61 Depth=2
	s_or_b64 exec, exec, s[92:93]
	s_and_saveexec_b64 s[92:93], s[20:21]
	s_cbranch_execz .LBB15_81
; %bb.80:                               ;   in Loop: Header=BB15_61 Depth=2
	global_load_ushort v2, v[0:1], off offset:128
.LBB15_81:                              ;   in Loop: Header=BB15_61 Depth=2
	s_or_b64 exec, exec, s[92:93]
	v_mov_b32_e32 v29, 0
	v_mov_b32_e32 v30, 0
	s_and_saveexec_b64 s[92:93], s[22:23]
	s_cbranch_execz .LBB15_83
; %bb.82:                               ;   in Loop: Header=BB15_61 Depth=2
	global_load_ushort v30, v[0:1], off offset:256
.LBB15_83:                              ;   in Loop: Header=BB15_61 Depth=2
	s_or_b64 exec, exec, s[92:93]
	s_and_saveexec_b64 s[92:93], s[24:25]
	s_cbranch_execz .LBB15_85
; %bb.84:                               ;   in Loop: Header=BB15_61 Depth=2
	global_load_ushort v29, v[0:1], off offset:384
.LBB15_85:                              ;   in Loop: Header=BB15_61 Depth=2
	s_or_b64 exec, exec, s[92:93]
	v_mov_b32_e32 v31, 0
	v_mov_b32_e32 v32, 0
	s_and_saveexec_b64 s[92:93], s[26:27]
	s_cbranch_execz .LBB15_87
; %bb.86:                               ;   in Loop: Header=BB15_61 Depth=2
	global_load_ushort v32, v[0:1], off offset:512
.LBB15_87:                              ;   in Loop: Header=BB15_61 Depth=2
	;; [unrolled: 14-line block ×3, first 2 shown]
	s_or_b64 exec, exec, s[92:93]
	s_and_saveexec_b64 s[92:93], s[34:35]
	s_cbranch_execz .LBB15_93
; %bb.92:                               ;   in Loop: Header=BB15_61 Depth=2
	global_load_ushort v33, v[0:1], off offset:896
.LBB15_93:                              ;   in Loop: Header=BB15_61 Depth=2
	s_or_b64 exec, exec, s[92:93]
	s_waitcnt vmcnt(0)
	ds_write_b16 v45, v3 offset:1056
	ds_write_b16 v54, v2 offset:128
	;; [unrolled: 1-line block ×8, first 2 shown]
	; wave barrier
	ds_read_b128 v[0:3], v53 offset:1056
	s_andn2_b64 vcc, exec, s[2:3]
	s_cbranch_vccnz .LBB15_95
; %bb.94:                               ;   in Loop: Header=BB15_61 Depth=2
	v_mov_b32_e32 v29, s97
	ds_read_b64 v[30:31], v29
	s_waitcnt lgkmcnt(0)
	v_mov_b32_e32 v29, v31
	s_cbranch_execz .LBB15_96
	s_branch .LBB15_99
.LBB15_95:                              ;   in Loop: Header=BB15_61 Depth=2
                                        ; implicit-def: $vgpr30
                                        ; implicit-def: $vgpr29
.LBB15_96:                              ;   in Loop: Header=BB15_61 Depth=2
	s_andn2_b64 vcc, exec, s[68:69]
	v_mov_b32_e32 v29, 0
	s_cbranch_vccnz .LBB15_98
; %bb.97:                               ;   in Loop: Header=BB15_61 Depth=2
	s_mov_b32 s91, s73
	s_lshl_b64 s[92:93], s[90:91], 1
	s_add_u32 s92, s61, s92
	s_addc_u32 s93, s65, s93
	global_load_ushort v29, v9, s[92:93]
	s_waitcnt vmcnt(0)
	v_lshlrev_b32_e32 v29, 16, v29
.LBB15_98:                              ;   in Loop: Header=BB15_61 Depth=2
	v_mov_b32_e32 v30, 1.0
.LBB15_99:                              ;   in Loop: Header=BB15_61 Depth=2
	v_mul_f32_e32 v28, 0x3fb8aa3b, v28
	s_waitcnt lgkmcnt(9)
	v_lshlrev_b32_e32 v31, 16, v4
	v_and_b32_e32 v32, 0xffff0000, v4
	v_mul_f32_e32 v4, v28, v74
	v_cmp_gt_f32_e32 vcc, s70, v4
	v_lshlrev_b32_e32 v35, 16, v6
	v_and_b32_e32 v36, 0xffff0000, v6
	v_cndmask_b32_e32 v4, 0, v71, vcc
	v_mul_f32_e32 v6, v28, v75
	v_lshlrev_b32_e32 v33, 16, v5
	v_and_b32_e32 v34, 0xffff0000, v5
	v_fmac_f32_e32 v4, v28, v74
	v_cndmask_b32_e32 v5, 1.0, v72, vcc
	v_cmp_gt_f32_e32 vcc, s70, v6
	v_exp_f32_e32 v4, v4
	v_lshlrev_b32_e32 v37, 16, v7
	v_cndmask_b32_e32 v6, 0, v71, vcc
	v_fmac_f32_e32 v6, v28, v75
	v_exp_f32_e32 v6, v6
	v_and_b32_e32 v63, 0xffff0000, v7
	v_mul_f32_e32 v5, v4, v5
	v_mul_f32_e32 v7, v28, v76
	v_cndmask_b32_e64 v89, 1.0, v5, s[36:37]
	v_cndmask_b32_e32 v5, 1.0, v72, vcc
	v_cmp_gt_f32_e32 vcc, s70, v7
	v_mul_f32_e32 v4, v88, v31
	v_mul_f32_e32 v6, v6, v5
	v_cndmask_b32_e32 v7, 0, v71, vcc
	v_mul_f32_e32 v31, v28, v77
	v_fmac_f32_e32 v7, v28, v76
	v_cndmask_b32_e64 v90, 1.0, v6, s[38:39]
	v_cndmask_b32_e32 v6, 1.0, v72, vcc
	v_cmp_gt_f32_e32 vcc, s70, v31
	v_exp_f32_e32 v7, v7
	v_mul_f32_e32 v5, v87, v32
	v_cndmask_b32_e32 v31, 0, v71, vcc
	v_fmac_f32_e32 v31, v28, v77
	v_exp_f32_e32 v31, v31
	v_mul_f32_e32 v6, v7, v6
	v_cndmask_b32_e64 v91, 1.0, v6, s[40:41]
	v_cndmask_b32_e32 v6, 1.0, v72, vcc
	v_mul_f32_e32 v6, v31, v6
	v_mul_f32_e32 v31, v28, v78
	v_cmp_gt_f32_e32 vcc, s70, v31
	v_mul_f32_e32 v7, v86, v33
	v_cndmask_b32_e64 v32, 0, v7, s[40:41]
	v_cndmask_b32_e32 v31, 0, v71, vcc
	v_fmac_f32_e32 v31, v28, v78
	v_exp_f32_e32 v31, v31
	v_mul_f32_e32 v7, v85, v34
	v_cndmask_b32_e64 v92, 1.0, v6, s[42:43]
	v_cndmask_b32_e32 v6, 1.0, v72, vcc
	v_cndmask_b32_e64 v33, 0, v7, s[42:43]
	v_mul_f32_e32 v7, v31, v6
	v_mul_f32_e32 v31, v28, v79
	v_cmp_gt_f32_e32 vcc, s70, v31
	v_mul_f32_e32 v34, v28, v80
	v_cndmask_b32_e64 v93, 1.0, v7, s[44:45]
	v_cndmask_b32_e32 v31, 0, v71, vcc
	v_fmac_f32_e32 v31, v28, v79
	v_exp_f32_e32 v31, v31
	v_cndmask_b32_e32 v7, 1.0, v72, vcc
	v_cmp_gt_f32_e32 vcc, s70, v34
	v_mul_f32_e32 v6, v84, v35
	v_mul_f32_e32 v31, v31, v7
	v_cndmask_b32_e32 v34, 0, v71, vcc
	v_mul_f32_e32 v35, v28, v15
	v_fmac_f32_e32 v34, v28, v80
	v_cndmask_b32_e64 v94, 1.0, v31, s[46:47]
	v_cndmask_b32_e32 v31, 1.0, v72, vcc
	v_cmp_gt_f32_e32 vcc, s70, v35
	v_exp_f32_e32 v34, v34
	v_cndmask_b32_e64 v4, 0, v4, s[36:37]
	v_cndmask_b32_e32 v35, 0, v71, vcc
	v_fmac_f32_e32 v35, v28, v15
	v_exp_f32_e32 v28, v35
	v_mul_f32_e32 v31, v34, v31
	v_cndmask_b32_e64 v62, 1.0, v31, s[48:49]
	v_cndmask_b32_e32 v31, 1.0, v72, vcc
	v_cndmask_b32_e64 v5, 0, v5, s[38:39]
	v_mul_f32_e32 v28, v28, v31
	v_mul_f32_e32 v31, v81, v63
	v_cndmask_b32_e64 v35, 0, v31, s[50:51]
	v_cndmask_b32_e64 v63, 1.0, v28, s[50:51]
	v_mul_f32_e32 v28, v90, v89
	v_fma_f32 v31, v90, v4, v5
	v_mul_f32_e32 v28, v28, v91
	v_fma_f32 v31, v31, v91, v32
	v_cndmask_b32_e64 v6, 0, v6, s[44:45]
	v_mul_f32_e32 v7, v83, v36
	v_mul_f32_e32 v28, v28, v92
	v_fma_f32 v31, v31, v92, v33
	v_cndmask_b32_e64 v7, 0, v7, s[46:47]
	v_mul_f32_e32 v34, v82, v37
	;; [unrolled: 4-line block ×3, first 2 shown]
	v_fma_f32 v31, v31, v94, v7
	v_mul_f32_e32 v28, v28, v62
	v_fma_f32 v36, v31, v62, v34
	v_mul_f32_e32 v31, v28, v63
	v_fma_f32 v28, v36, v63, v35
	s_nop 0
	v_mov_b32_dpp v37, v31 row_shr:1 row_mask:0xf bank_mask:0xf
	v_mov_b32_dpp v36, v28 row_shr:1 row_mask:0xf bank_mask:0xf
	s_and_saveexec_b64 s[92:93], s[0:1]
; %bb.100:                              ;   in Loop: Header=BB15_61 Depth=2
	v_mul_f32_e32 v37, v31, v37
	v_fmac_f32_e32 v28, v31, v36
	v_mov_b32_e32 v31, v37
; %bb.101:                              ;   in Loop: Header=BB15_61 Depth=2
	s_or_b64 exec, exec, s[92:93]
	s_nop 0
	v_mov_b32_dpp v36, v31 row_shr:2 row_mask:0xf bank_mask:0xf
	v_mov_b32_dpp v37, v28 row_shr:2 row_mask:0xf bank_mask:0xf
	s_and_saveexec_b64 s[92:93], s[52:53]
; %bb.102:                              ;   in Loop: Header=BB15_61 Depth=2
	v_fmac_f32_e32 v28, v31, v37
	v_mul_f32_e32 v31, v31, v36
; %bb.103:                              ;   in Loop: Header=BB15_61 Depth=2
	s_or_b64 exec, exec, s[92:93]
	s_nop 0
	v_mov_b32_dpp v36, v31 row_shr:4 row_mask:0xf bank_mask:0xf
	v_mov_b32_dpp v37, v28 row_shr:4 row_mask:0xf bank_mask:0xf
	s_and_saveexec_b64 s[92:93], s[4:5]
; %bb.104:                              ;   in Loop: Header=BB15_61 Depth=2
	v_fmac_f32_e32 v28, v31, v37
	v_mul_f32_e32 v31, v31, v36
	;; [unrolled: 9-line block ×3, first 2 shown]
; %bb.107:                              ;   in Loop: Header=BB15_61 Depth=2
	s_or_b64 exec, exec, s[92:93]
	s_nop 0
	v_mov_b32_dpp v36, v31 row_bcast:15 row_mask:0xf bank_mask:0xf
	v_mov_b32_dpp v37, v28 row_bcast:15 row_mask:0xf bank_mask:0xf
	s_and_saveexec_b64 s[92:93], s[8:9]
; %bb.108:                              ;   in Loop: Header=BB15_61 Depth=2
	v_fmac_f32_e32 v28, v31, v37
	v_mul_f32_e32 v31, v31, v36
; %bb.109:                              ;   in Loop: Header=BB15_61 Depth=2
	s_or_b64 exec, exec, s[92:93]
	s_nop 0
	v_mov_b32_dpp v36, v31 row_bcast:31 row_mask:0xf bank_mask:0xf
	v_mov_b32_dpp v37, v28 row_bcast:31 row_mask:0xf bank_mask:0xf
	v_mov_b32_e32 v64, v28
	v_mul_f32_e32 v36, v31, v36
	v_fmac_f32_e32 v64, v31, v37
	v_cndmask_b32_e64 v36, v31, v36, s[10:11]
	v_cndmask_b32_e64 v37, v28, v64, s[10:11]
	s_and_saveexec_b64 s[92:93], s[12:13]
	s_cbranch_execz .LBB15_111
; %bb.110:                              ;   in Loop: Header=BB15_61 Depth=2
	ds_write_b64 v9, v[36:37] offset:2112
.LBB15_111:                             ;   in Loop: Header=BB15_61 Depth=2
	s_or_b64 exec, exec, s[92:93]
	ds_bpermute_b32 v64, v61, v36
	ds_bpermute_b32 v65, v61, v37
	s_waitcnt lgkmcnt(0)
	; wave barrier
	s_waitcnt lgkmcnt(0)
	s_and_saveexec_b64 s[92:93], s[14:15]
	s_cbranch_execz .LBB15_115
; %bb.112:                              ;   in Loop: Header=BB15_61 Depth=2
	ds_read_b64 v[36:37], v9 offset:2112
	s_and_saveexec_b64 s[94:95], s[16:17]
	s_cbranch_execz .LBB15_114
; %bb.113:                              ;   in Loop: Header=BB15_61 Depth=2
	v_mov_b32_e32 v31, v29
	ds_write_b64 v9, v[30:31] offset:2112
.LBB15_114:                             ;   in Loop: Header=BB15_61 Depth=2
	s_or_b64 exec, exec, s[94:95]
	s_waitcnt lgkmcnt(0)
	v_mul_f32_e32 v31, v36, v29
	v_pk_add_f32 v[28:29], v[30:31], v[36:37]
	v_mul_f32_e32 v30, v30, v36
.LBB15_115:                             ;   in Loop: Header=BB15_61 Depth=2
	s_or_b64 exec, exec, s[92:93]
	s_waitcnt lgkmcnt(0)
	; wave barrier
	ds_read_b32 v28, v9 offset:2116
	s_and_saveexec_b64 s[92:93], s[16:17]
	s_cbranch_execz .LBB15_60
; %bb.116:                              ;   in Loop: Header=BB15_61 Depth=2
	v_mov_b32_e32 v31, v29
	v_mov_b32_e32 v36, s97
	s_andn2_b64 vcc, exec, s[84:85]
	ds_write_b64 v36, v[30:31]
	s_cbranch_vccnz .LBB15_60
; %bb.117:                              ;   in Loop: Header=BB15_61 Depth=2
	v_bfe_u32 v30, v29, 16, 1
	s_mov_b32 s91, s73
	v_add3_u32 v30, v29, v30, s71
	s_lshl_b64 s[94:95], s[90:91], 1
	v_lshrrev_b32_e32 v30, 16, v30
	v_cmp_o_f32_e32 vcc, v29, v29
	s_add_u32 s94, s61, s94
	s_addc_u32 s95, s65, s95
	v_cndmask_b32_e32 v29, v73, v30, vcc
	global_store_short v9, v29, s[94:95]
	s_branch .LBB15_60
.LBB15_118:                             ;   in Loop: Header=BB15_12 Depth=1
	s_mov_b32 s38, 0x3fb8aa3b
	s_mov_b32 s39, 0xc2ce8ed0
	;; [unrolled: 1-line block ×6, first 2 shown]
.LBB15_119:                             ;   in Loop: Header=BB15_12 Depth=1
	v_bfe_u32 v0, v22, 16, 1
	v_bfe_u32 v1, v23, 16, 1
	v_add3_u32 v0, v22, v0, s71
	v_bfe_u32 v2, v20, 16, 1
	v_add3_u32 v1, v23, v1, s71
	v_lshrrev_b32_e32 v0, 16, v0
	v_cmp_o_f32_e32 vcc, v22, v22
	v_bfe_u32 v3, v21, 16, 1
	v_add3_u32 v2, v20, v2, s71
	v_lshrrev_b32_e32 v1, 16, v1
	v_cndmask_b32_e32 v0, v73, v0, vcc
	v_cmp_o_f32_e32 vcc, v23, v23
	v_add3_u32 v3, v21, v3, s71
	v_lshrrev_b32_e32 v2, 16, v2
	v_cndmask_b32_e32 v4, v73, v1, vcc
	v_cmp_o_f32_e32 vcc, v20, v20
	v_lshrrev_b32_e32 v3, 16, v3
	v_bfe_u32 v6, v16, 16, 1
	v_cndmask_b32_e32 v1, v73, v2, vcc
	v_cmp_o_f32_e32 vcc, v21, v21
	v_bfe_u32 v2, v18, 16, 1
	v_add3_u32 v2, v18, v2, s71
	v_cndmask_b32_e32 v5, v73, v3, vcc
	v_bfe_u32 v3, v19, 16, 1
	v_add3_u32 v3, v19, v3, s71
	v_lshrrev_b32_e32 v2, 16, v2
	v_cmp_o_f32_e32 vcc, v18, v18
	v_bfe_u32 v7, v17, 16, 1
	v_add3_u32 v6, v16, v6, s71
	v_lshrrev_b32_e32 v3, 16, v3
	v_cndmask_b32_e32 v2, v73, v2, vcc
	v_cmp_o_f32_e32 vcc, v19, v19
	v_add3_u32 v7, v17, v7, s71
	v_lshrrev_b32_e32 v6, 16, v6
	v_cndmask_b32_e32 v15, v73, v3, vcc
	v_cmp_o_f32_e32 vcc, v16, v16
	v_lshrrev_b32_e32 v7, 16, v7
	v_perm_b32 v2, v15, v2, s78
	v_cndmask_b32_e32 v3, v73, v6, vcc
	v_cmp_o_f32_e32 vcc, v17, v17
	v_perm_b32 v1, v5, v1, s78
	v_perm_b32 v0, v4, v0, s78
	v_cndmask_b32_e32 v6, v73, v7, vcc
	v_perm_b32 v3, v6, v3, s78
	s_waitcnt lgkmcnt(0)
	; wave barrier
	ds_write_b128 v53, v[0:3]
	; wave barrier
	ds_read_u16 v15, v46 offset:128
	ds_read_u16 v7, v47 offset:256
	;; [unrolled: 1-line block ×7, first 2 shown]
	s_mov_b32 s83, s73
	v_lshl_add_u64 v[0:1], s[82:83], 1, v[12:13]
	s_and_saveexec_b64 s[2:3], s[18:19]
	s_cbranch_execnz .LBB15_129
; %bb.120:                              ;   in Loop: Header=BB15_12 Depth=1
	s_or_b64 exec, exec, s[2:3]
	s_and_saveexec_b64 s[2:3], s[20:21]
	s_cbranch_execnz .LBB15_130
.LBB15_121:                             ;   in Loop: Header=BB15_12 Depth=1
	s_or_b64 exec, exec, s[2:3]
	s_and_saveexec_b64 s[2:3], s[22:23]
	s_cbranch_execnz .LBB15_131
.LBB15_122:                             ;   in Loop: Header=BB15_12 Depth=1
	s_or_b64 exec, exec, s[2:3]
	s_and_saveexec_b64 s[2:3], s[24:25]
	s_cbranch_execnz .LBB15_132
.LBB15_123:                             ;   in Loop: Header=BB15_12 Depth=1
	s_or_b64 exec, exec, s[2:3]
	s_and_saveexec_b64 s[2:3], s[26:27]
	s_cbranch_execnz .LBB15_133
.LBB15_124:                             ;   in Loop: Header=BB15_12 Depth=1
	s_or_b64 exec, exec, s[2:3]
	s_and_saveexec_b64 s[2:3], s[28:29]
	s_cbranch_execnz .LBB15_134
.LBB15_125:                             ;   in Loop: Header=BB15_12 Depth=1
	s_or_b64 exec, exec, s[2:3]
	s_and_saveexec_b64 s[2:3], s[30:31]
	s_cbranch_execnz .LBB15_135
.LBB15_126:                             ;   in Loop: Header=BB15_12 Depth=1
	s_or_b64 exec, exec, s[2:3]
	s_and_saveexec_b64 s[2:3], s[34:35]
	s_cbranch_execz .LBB15_11
	s_branch .LBB15_136
.LBB15_127:                             ;   in Loop: Header=BB15_12 Depth=1
	global_load_ushort v19, v[4:5], off offset:640
	s_or_b64 exec, exec, s[2:3]
	s_and_saveexec_b64 s[2:3], s[30:31]
	s_cbranch_execz .LBB15_40
.LBB15_128:                             ;   in Loop: Header=BB15_12 Depth=1
	global_load_ushort v18, v[4:5], off offset:768
	s_or_b64 exec, exec, s[2:3]
	v_mov_b32_e32 v20, 0
	s_and_saveexec_b64 s[2:3], s[34:35]
	s_cbranch_execnz .LBB15_41
	s_branch .LBB15_42
.LBB15_129:                             ;   in Loop: Header=BB15_12 Depth=1
	ds_read_u16 v16, v45
	s_waitcnt lgkmcnt(0)
	global_store_short v[0:1], v16, off
	s_or_b64 exec, exec, s[2:3]
	s_and_saveexec_b64 s[2:3], s[20:21]
	s_cbranch_execz .LBB15_121
.LBB15_130:                             ;   in Loop: Header=BB15_12 Depth=1
	s_waitcnt lgkmcnt(6)
	global_store_short v[0:1], v15, off offset:128
	s_or_b64 exec, exec, s[2:3]
	s_and_saveexec_b64 s[2:3], s[22:23]
	s_cbranch_execz .LBB15_122
.LBB15_131:                             ;   in Loop: Header=BB15_12 Depth=1
	s_waitcnt lgkmcnt(5)
	global_store_short v[0:1], v7, off offset:256
	s_or_b64 exec, exec, s[2:3]
	s_and_saveexec_b64 s[2:3], s[24:25]
	s_cbranch_execz .LBB15_123
.LBB15_132:                             ;   in Loop: Header=BB15_12 Depth=1
	s_waitcnt lgkmcnt(4)
	global_store_short v[0:1], v6, off offset:384
	s_or_b64 exec, exec, s[2:3]
	s_and_saveexec_b64 s[2:3], s[26:27]
	s_cbranch_execz .LBB15_124
.LBB15_133:                             ;   in Loop: Header=BB15_12 Depth=1
	s_waitcnt lgkmcnt(3)
	global_store_short v[0:1], v5, off offset:512
	s_or_b64 exec, exec, s[2:3]
	s_and_saveexec_b64 s[2:3], s[28:29]
	s_cbranch_execz .LBB15_125
.LBB15_134:                             ;   in Loop: Header=BB15_12 Depth=1
	s_waitcnt lgkmcnt(2)
	global_store_short v[0:1], v4, off offset:640
	s_or_b64 exec, exec, s[2:3]
	s_and_saveexec_b64 s[2:3], s[30:31]
	s_cbranch_execz .LBB15_126
.LBB15_135:                             ;   in Loop: Header=BB15_12 Depth=1
	s_waitcnt lgkmcnt(1)
	global_store_short v[0:1], v3, off offset:768
	s_or_b64 exec, exec, s[2:3]
	s_and_saveexec_b64 s[2:3], s[34:35]
	s_cbranch_execz .LBB15_11
.LBB15_136:                             ;   in Loop: Header=BB15_12 Depth=1
	s_waitcnt lgkmcnt(0)
	global_store_short v[0:1], v2, off offset:896
	s_branch .LBB15_11
.LBB15_137:
	s_endpgm
	.section	.rodata,"a",@progbits
	.p2align	6, 0x0
	.amdhsa_kernel _Z25selective_scan_fwd_kernelI32Selective_Scan_fwd_kernel_traitsILi64ELi8ELi1ELb0ELb1ELb1ELb0ELb0EN3c108BFloat16EfS2_EEv13SSMParamsBase
		.amdhsa_group_segment_fixed_size 0
		.amdhsa_private_segment_fixed_size 0
		.amdhsa_kernarg_size 248
		.amdhsa_user_sgpr_count 2
		.amdhsa_user_sgpr_dispatch_ptr 0
		.amdhsa_user_sgpr_queue_ptr 0
		.amdhsa_user_sgpr_kernarg_segment_ptr 1
		.amdhsa_user_sgpr_dispatch_id 0
		.amdhsa_user_sgpr_kernarg_preload_length 0
		.amdhsa_user_sgpr_kernarg_preload_offset 0
		.amdhsa_user_sgpr_private_segment_size 0
		.amdhsa_uses_dynamic_stack 0
		.amdhsa_enable_private_segment 0
		.amdhsa_system_sgpr_workgroup_id_x 1
		.amdhsa_system_sgpr_workgroup_id_y 1
		.amdhsa_system_sgpr_workgroup_id_z 0
		.amdhsa_system_sgpr_workgroup_info 0
		.amdhsa_system_vgpr_workitem_id 0
		.amdhsa_next_free_vgpr 96
		.amdhsa_next_free_sgpr 100
		.amdhsa_accum_offset 96
		.amdhsa_reserve_vcc 1
		.amdhsa_float_round_mode_32 0
		.amdhsa_float_round_mode_16_64 0
		.amdhsa_float_denorm_mode_32 3
		.amdhsa_float_denorm_mode_16_64 3
		.amdhsa_dx10_clamp 1
		.amdhsa_ieee_mode 1
		.amdhsa_fp16_overflow 0
		.amdhsa_tg_split 0
		.amdhsa_exception_fp_ieee_invalid_op 0
		.amdhsa_exception_fp_denorm_src 0
		.amdhsa_exception_fp_ieee_div_zero 0
		.amdhsa_exception_fp_ieee_overflow 0
		.amdhsa_exception_fp_ieee_underflow 0
		.amdhsa_exception_fp_ieee_inexact 0
		.amdhsa_exception_int_div_zero 0
	.end_amdhsa_kernel
	.section	.text._Z25selective_scan_fwd_kernelI32Selective_Scan_fwd_kernel_traitsILi64ELi8ELi1ELb0ELb1ELb1ELb0ELb0EN3c108BFloat16EfS2_EEv13SSMParamsBase,"axG",@progbits,_Z25selective_scan_fwd_kernelI32Selective_Scan_fwd_kernel_traitsILi64ELi8ELi1ELb0ELb1ELb1ELb0ELb0EN3c108BFloat16EfS2_EEv13SSMParamsBase,comdat
.Lfunc_end15:
	.size	_Z25selective_scan_fwd_kernelI32Selective_Scan_fwd_kernel_traitsILi64ELi8ELi1ELb0ELb1ELb1ELb0ELb0EN3c108BFloat16EfS2_EEv13SSMParamsBase, .Lfunc_end15-_Z25selective_scan_fwd_kernelI32Selective_Scan_fwd_kernel_traitsILi64ELi8ELi1ELb0ELb1ELb1ELb0ELb0EN3c108BFloat16EfS2_EEv13SSMParamsBase
                                        ; -- End function
	.section	.AMDGPU.csdata,"",@progbits
; Kernel info:
; codeLenInByte = 10532
; NumSgprs: 106
; NumVgprs: 96
; NumAgprs: 0
; TotalNumVgprs: 96
; ScratchSize: 0
; MemoryBound: 0
; FloatMode: 240
; IeeeMode: 1
; LDSByteSize: 0 bytes/workgroup (compile time only)
; SGPRBlocks: 13
; VGPRBlocks: 11
; NumSGPRsForWavesPerEU: 106
; NumVGPRsForWavesPerEU: 96
; AccumOffset: 96
; Occupancy: 5
; WaveLimiterHint : 0
; COMPUTE_PGM_RSRC2:SCRATCH_EN: 0
; COMPUTE_PGM_RSRC2:USER_SGPR: 2
; COMPUTE_PGM_RSRC2:TRAP_HANDLER: 0
; COMPUTE_PGM_RSRC2:TGID_X_EN: 1
; COMPUTE_PGM_RSRC2:TGID_Y_EN: 1
; COMPUTE_PGM_RSRC2:TGID_Z_EN: 0
; COMPUTE_PGM_RSRC2:TIDIG_COMP_CNT: 0
; COMPUTE_PGM_RSRC3_GFX90A:ACCUM_OFFSET: 23
; COMPUTE_PGM_RSRC3_GFX90A:TG_SPLIT: 0
	.section	.text._Z25selective_scan_fwd_kernelI32Selective_Scan_fwd_kernel_traitsILi64ELi16ELi1ELb1ELb1ELb1ELb1ELb1EN3c108BFloat16EfS2_EEv13SSMParamsBase,"axG",@progbits,_Z25selective_scan_fwd_kernelI32Selective_Scan_fwd_kernel_traitsILi64ELi16ELi1ELb1ELb1ELb1ELb1ELb1EN3c108BFloat16EfS2_EEv13SSMParamsBase,comdat
	.protected	_Z25selective_scan_fwd_kernelI32Selective_Scan_fwd_kernel_traitsILi64ELi16ELi1ELb1ELb1ELb1ELb1ELb1EN3c108BFloat16EfS2_EEv13SSMParamsBase ; -- Begin function _Z25selective_scan_fwd_kernelI32Selective_Scan_fwd_kernel_traitsILi64ELi16ELi1ELb1ELb1ELb1ELb1ELb1EN3c108BFloat16EfS2_EEv13SSMParamsBase
	.globl	_Z25selective_scan_fwd_kernelI32Selective_Scan_fwd_kernel_traitsILi64ELi16ELi1ELb1ELb1ELb1ELb1ELb1EN3c108BFloat16EfS2_EEv13SSMParamsBase
	.p2align	8
	.type	_Z25selective_scan_fwd_kernelI32Selective_Scan_fwd_kernel_traitsILi64ELi16ELi1ELb1ELb1ELb1ELb1ELb1EN3c108BFloat16EfS2_EEv13SSMParamsBase,@function
_Z25selective_scan_fwd_kernelI32Selective_Scan_fwd_kernel_traitsILi64ELi16ELi1ELb1ELb1ELb1ELb1ELb1EN3c108BFloat16EfS2_EEv13SSMParamsBase: ; @_Z25selective_scan_fwd_kernelI32Selective_Scan_fwd_kernel_traitsILi64ELi16ELi1ELb1ELb1ELb1ELb1ELb1EN3c108BFloat16EfS2_EEv13SSMParamsBase
; %bb.0:
	s_load_dword s36, s[0:1], 0x18
	s_load_dwordx4 s[4:7], s[0:1], 0xe8
	s_load_dwordx8 s[20:27], s[0:1], 0xc8
	s_mov_b32 s34, s3
	s_ashr_i32 s3, s2, 31
	s_lshl_b64 s[8:9], s[2:3], 2
	s_waitcnt lgkmcnt(0)
	s_abs_i32 s33, s36
	v_cvt_f32_u32_e32 v1, s33
	s_add_u32 s28, s26, s8
	s_addc_u32 s29, s27, s9
	s_cmp_eq_u64 s[6:7], 0
	v_rcp_iflag_f32_e32 v1, v1
                                        ; implicit-def: $vgpr95 : SGPR spill to VGPR lane
	s_nop 0
	v_mul_f32_e32 v1, 0x4f7ffffe, v1
	v_cvt_u32_f32_e32 v1, v1
	s_nop 0
	v_readfirstlane_b32 s37, v1
	s_cbranch_scc1 .LBB16_2
; %bb.1:
	s_add_u32 s6, s6, s2
	s_addc_u32 s7, s7, s3
	v_mov_b32_e32 v1, 0
	global_load_ubyte v1, v1, s[6:7]
	s_waitcnt vmcnt(0)
	v_and_b32_e32 v1, 1, v1
	v_cmp_eq_u32_e64 s[6:7], 1, v1
	s_branch .LBB16_3
.LBB16_2:
	s_mov_b64 s[6:7], 0
.LBB16_3:
	s_nop 0
	v_writelane_b32 v95, s6, 0
	s_cmp_eq_u64 s[4:5], 0
	s_nop 0
	v_writelane_b32 v95, s7, 1
	s_load_dwordx2 s[6:7], s[0:1], 0x20
	s_cbranch_scc1 .LBB16_5
; %bb.4:
	s_add_u32 s2, s4, s8
	s_addc_u32 s3, s5, s9
	s_load_dword s2, s[2:3], 0x0
	s_waitcnt lgkmcnt(0)
	s_ashr_i32 s3, s2, 31
.LBB16_5:
	s_waitcnt lgkmcnt(0)
	s_cmp_eq_u64 s[6:7], s[2:3]
	s_cbranch_scc1 .LBB16_298
; %bb.6:
	s_load_dwordx16 s[4:19], s[0:1], 0x88
	s_load_dwordx2 s[26:27], s[28:29], 0x0
	s_mov_b32 s3, 0
	v_writelane_b32 v95, s3, 2
	v_writelane_b32 v95, s3, 3
	s_waitcnt lgkmcnt(0)
	s_cmp_eq_u64 s[10:11], 0
	s_cbranch_scc1 .LBB16_8
; %bb.7:
	s_ashr_i32 s35, s34, 31
	s_lshl_b64 s[28:29], s[34:35], 2
	s_add_u32 s10, s10, s28
	s_addc_u32 s11, s11, s29
	s_load_dword s3, s[10:11], 0x0
	s_waitcnt lgkmcnt(0)
	v_writelane_b32 v95, s3, 3
.LBB16_8:
	s_cmp_eq_u64 s[16:17], 0
	s_cbranch_scc1 .LBB16_10
; %bb.9:
	s_ashr_i32 s35, s34, 31
	s_lshl_b64 s[10:11], s[34:35], 2
	s_add_u32 s10, s16, s10
	s_addc_u32 s11, s17, s11
	s_load_dword s3, s[10:11], 0x0
	s_waitcnt lgkmcnt(0)
	v_writelane_b32 v95, s3, 2
.LBB16_10:
	s_sub_i32 s35, s27, s26
	s_cmp_lt_i32 s35, 1
	s_cbranch_scc1 .LBB16_298
; %bb.11:
	v_mbcnt_lo_u32_b32 v1, -1, 0
	v_mbcnt_hi_u32_b32 v20, -1, v1
	s_sub_i32 s3, 0, s33
	v_lshrrev_b32_e32 v1, 5, v20
	s_mul_i32 s3, s3, s37
	v_and_b32_e32 v1, 2, v1
	s_mul_hi_u32 s3, s37, s3
	v_add_u32_e32 v1, v1, v20
	s_abs_i32 s16, s34
	s_add_i32 s37, s37, s3
	v_add_u32_e32 v2, 64, v20
	v_lshl_add_u32 v1, v1, 1, 0
	s_load_dwordx8 s[40:47], s[0:1], 0x2c
	s_load_dwordx2 s[10:11], s[0:1], 0x7c
	s_load_dwordx4 s[28:31], s[0:1], 0x6c
	s_load_dwordx8 s[48:55], s[0:1], 0x4c
	s_mul_hi_u32 s3, s16, s37
	s_load_dword s37, s[0:1], 0xc
	s_load_dword s17, s[0:1], 0x28
	scratch_store_dword off, v1, off        ; 4-byte Folded Spill
	scratch_store_dword off, v2, off offset:184 ; 4-byte Folded Spill
	v_lshrrev_b32_e32 v1, 5, v2
	v_and_b32_e32 v1, 6, v1
	v_add_lshl_u32 v1, v1, v20, 1
	v_or_b32_e32 v3, 0x80, v20
	v_add_u32_e32 v2, 0, v1
	scratch_store_dword off, v2, off offset:8 ; 4-byte Folded Spill
	scratch_store_dword off, v3, off offset:188 ; 4-byte Folded Spill
	v_lshrrev_b32_e32 v2, 5, v3
	v_and_b32_e32 v2, 6, v2
	s_load_dword s97, s[0:1], 0x84
	s_ashr_i32 s0, s34, 31
	s_ashr_i32 s1, s36, 31
	v_add_lshl_u32 v2, v2, v20, 1
	s_xor_b32 s0, s0, s1
	s_mul_i32 s1, s3, s33
	v_add_u32_e32 v4, 0xc0, v20
	v_add_u32_e32 v3, 0, v2
	s_sub_i32 s1, s16, s1
	scratch_store_dword off, v3, off offset:12 ; 4-byte Folded Spill
	scratch_store_dword off, v4, off offset:192 ; 4-byte Folded Spill
	v_lshrrev_b32_e32 v3, 5, v4
	s_add_i32 s16, s3, 1
	s_sub_i32 s27, s1, s33
	v_and_b32_e32 v3, 14, v3
	s_cmp_ge_u32 s1, s33
	v_add_lshl_u32 v3, v3, v20, 1
	s_cselect_b32 s3, s16, s3
	v_or_b32_e32 v5, 0x100, v20
	v_add_u32_e32 v4, 0, v3
	s_cselect_b32 s1, s27, s1
	s_add_i32 s16, s3, 1
	scratch_store_dword off, v4, off offset:16 ; 4-byte Folded Spill
	scratch_store_dword off, v5, off offset:196 ; 4-byte Folded Spill
	v_lshrrev_b32_e32 v4, 5, v5
	s_cmp_ge_u32 s1, s33
	v_and_b32_e32 v4, 10, v4
	s_cselect_b32 s1, s16, s3
	v_add_lshl_u32 v4, v4, v20, 1
	s_xor_b32 s1, s1, s0
	s_waitcnt lgkmcnt(0)
	s_mul_i32 s98, s26, s50
	s_mov_b32 s99, 0
	v_add_u32_e32 v6, 0x140, v20
	v_add_u32_e32 v5, 0, v4
	s_sub_i32 s3, s1, s0
	s_lshl_b64 s[0:1], s[98:99], 1
	scratch_store_dword off, v5, off offset:20 ; 4-byte Folded Spill
	scratch_store_dword off, v6, off offset:200 ; 4-byte Folded Spill
	v_lshrrev_b32_e32 v5, 5, v6
	s_add_u32 s12, s12, s0
	s_mul_i32 s98, s51, s34
	v_and_b32_e32 v5, 14, v5
	s_addc_u32 s13, s13, s1
	s_lshl_b64 s[0:1], s[98:99], 1
	v_add_lshl_u32 v5, v5, v20, 1
	s_add_u32 s38, s12, s0
	s_mul_i32 s98, s26, s52
	v_or_b32_e32 v7, 0x180, v20
	v_add_u32_e32 v6, 0, v5
	s_addc_u32 s39, s13, s1
	s_lshl_b64 s[0:1], s[98:99], 1
	scratch_store_dword off, v6, off offset:24 ; 4-byte Folded Spill
	scratch_store_dword off, v7, off offset:204 ; 4-byte Folded Spill
	v_lshrrev_b32_e32 v6, 5, v7
	s_add_u32 s12, s14, s0
	s_mul_i32 s98, s53, s34
	v_and_b32_e32 v6, 14, v6
	s_addc_u32 s13, s15, s1
	s_lshl_b64 s[0:1], s[98:99], 1
	v_add_lshl_u32 v6, v6, v20, 1
	s_add_u32 s0, s12, s0
	v_add_u32_e32 v8, 0x1c0, v20
	v_add_u32_e32 v7, 0, v6
	s_addc_u32 s1, s13, s1
	scratch_store_dword off, v7, off offset:28 ; 4-byte Folded Spill
	scratch_store_dword off, v8, off offset:208 ; 4-byte Folded Spill
	v_lshrrev_b32_e32 v7, 5, v8
	v_writelane_b32 v95, s0, 4
	s_mul_i32 s98, s40, s34
	v_and_b32_e32 v7, 30, v7
	v_writelane_b32 v95, s1, 5
	s_lshl_b64 s[0:1], s[98:99], 2
	v_add_lshl_u32 v7, v7, v20, 1
	s_add_u32 s0, s4, s0
	v_or_b32_e32 v9, 0x200, v20
	v_add_u32_e32 v8, 0, v7
	v_writelane_b32 v95, s0, 6
	s_addc_u32 s0, s5, s1
	s_mul_i32 s98, s26, s42
	scratch_store_dword off, v8, off offset:32 ; 4-byte Folded Spill
	scratch_store_dword off, v9, off offset:212 ; 4-byte Folded Spill
	v_lshrrev_b32_e32 v8, 5, v9
	v_writelane_b32 v95, s0, 7
	s_lshl_b64 s[0:1], s[98:99], 1
	v_and_b32_e32 v8, 18, v8
	s_add_u32 s4, s6, s0
	s_mul_i32 s98, s3, s45
	v_add_lshl_u32 v8, v8, v20, 1
	s_addc_u32 s5, s7, s1
	s_lshl_b64 s[0:1], s[98:99], 1
	v_add_u32_e32 v10, 0x240, v20
	v_add_u32_e32 v9, 0, v8
	s_add_u32 s0, s4, s0
	scratch_store_dword off, v9, off offset:36 ; 4-byte Folded Spill
	scratch_store_dword off, v10, off offset:216 ; 4-byte Folded Spill
	v_lshrrev_b32_e32 v9, 5, v10
	s_addc_u32 s1, s5, s1
	v_and_b32_e32 v9, 22, v9
	v_writelane_b32 v95, s0, 8
	v_add_lshl_u32 v9, v9, v20, 1
	v_or_b32_e32 v11, 0x280, v20
	v_writelane_b32 v95, s1, 9
	v_add_u32_e32 v10, 0, v9
	v_writelane_b32 v95, s40, 10
	scratch_store_dword off, v10, off offset:40 ; 4-byte Folded Spill
	scratch_store_dword off, v11, off offset:220 ; 4-byte Folded Spill
	v_lshrrev_b32_e32 v10, 5, v11
	v_writelane_b32 v95, s41, 11
	v_and_b32_e32 v10, 22, v10
	v_writelane_b32 v95, s42, 12
	s_mul_i32 s98, s26, s46
	v_add_lshl_u32 v10, v10, v20, 1
	v_writelane_b32 v95, s43, 13
	s_lshl_b64 s[0:1], s[98:99], 1
	v_add_u32_e32 v12, 0x2c0, v20
	v_add_u32_e32 v11, 0, v10
	v_writelane_b32 v95, s44, 14
	s_add_u32 s4, s8, s0
	s_mul_i32 s98, s3, s49
	scratch_store_dword off, v11, off offset:44 ; 4-byte Folded Spill
	scratch_store_dword off, v12, off offset:224 ; 4-byte Folded Spill
	v_lshrrev_b32_e32 v11, 5, v12
	v_writelane_b32 v95, s45, 15
	s_addc_u32 s5, s9, s1
	s_lshl_b64 s[0:1], s[98:99], 1
	v_and_b32_e32 v11, 30, v11
	v_writelane_b32 v95, s46, 16
	s_add_u32 s0, s4, s0
	v_add_lshl_u32 v11, v11, v20, 1
	v_writelane_b32 v95, s47, 17
	s_addc_u32 s1, s5, s1
	v_or_b32_e32 v13, 0x300, v20
	v_add_u32_e32 v12, 0, v11
	v_writelane_b32 v95, s0, 18
	s_mul_i32 s98, s2, s10
	scratch_store_dword off, v12, off offset:48 ; 4-byte Folded Spill
	scratch_store_dword off, v13, off offset:228 ; 4-byte Folded Spill
	v_lshrrev_b32_e32 v12, 5, v13
	v_writelane_b32 v95, s1, 19
	s_lshl_b64 s[0:1], s[98:99], 1
	v_and_b32_e32 v12, 26, v12
	s_add_u32 s2, s20, s0
	s_mul_i32 s98, s11, s34
	v_add_lshl_u32 v12, v12, v20, 1
	s_addc_u32 s3, s21, s1
	s_lshl_b64 s[0:1], s[98:99], 1
	v_add_u32_e32 v14, 0x340, v20
	v_add_u32_e32 v13, 0, v12
	s_add_u32 s0, s2, s0
	scratch_store_dword off, v13, off offset:52 ; 4-byte Folded Spill
	scratch_store_dword off, v14, off offset:232 ; 4-byte Folded Spill
	v_lshrrev_b32_e32 v13, 5, v14
	v_writelane_b32 v95, s0, 20
	s_addc_u32 s0, s3, s1
	v_and_b32_e32 v13, 30, v13
	v_writelane_b32 v95, s0, 21
	s_add_i32 s0, s35, 0x7ff
	v_add_lshl_u32 v13, v13, v20, 1
	s_lshr_b32 s1, s0, 11
	v_or_b32_e32 v15, 0x380, v20
	v_add_u32_e32 v14, 0, v13
	scratch_store_dword off, v14, off offset:56 ; 4-byte Folded Spill
	scratch_store_dword off, v15, off offset:236 ; 4-byte Folded Spill
	v_lshrrev_b32_e32 v14, 5, v15
	s_bitcmp1_b32 s17, 0
	v_and_b32_e32 v14, 30, v14
	s_cselect_b64 s[6:7], -1, 0
	s_cmp_gt_i32 s37, 0
	v_add_lshl_u32 v14, v14, v20, 1
	s_cselect_b64 s[2:3], -1, 0
	s_add_i32 s0, 0, 0x840
	v_add_u32_e32 v15, 0, v14
	v_add_u32_e32 v1, s0, v1
	;; [unrolled: 1-line block ×3, first 2 shown]
	scratch_store_dword off, v15, off offset:60 ; 4-byte Folded Spill
	scratch_store_dword off, v16, off offset:240 ; 4-byte Folded Spill
	;; [unrolled: 1-line block ×3, first 2 shown]
	v_add_u32_e32 v1, s0, v2
	scratch_store_dword off, v1, off offset:104 ; 4-byte Folded Spill
	v_add_u32_e32 v1, s0, v3
	scratch_store_dword off, v1, off offset:108 ; 4-byte Folded Spill
	;; [unrolled: 2-line block ×7, first 2 shown]
	v_add_u32_e32 v1, s0, v9
	v_lshrrev_b32_e32 v15, 5, v16
	scratch_store_dword off, v1, off offset:132 ; 4-byte Folded Spill
	v_add_u32_e32 v1, s0, v10
	v_and_b32_e32 v15, 62, v15
	scratch_store_dword off, v1, off offset:136 ; 4-byte Folded Spill
	v_add_u32_e32 v1, s0, v11
	v_add_lshl_u32 v15, v15, v20, 1
	scratch_store_dword off, v1, off offset:140 ; 4-byte Folded Spill
	v_add_u32_e32 v1, s0, v12
	v_add_u32_e32 v16, 0, v15
	v_lshrrev_b32_e32 v18, 1, v20
	scratch_store_dword off, v1, off offset:144 ; 4-byte Folded Spill
	v_add_u32_e32 v1, s0, v13
	scratch_store_dword off, v16, off offset:64 ; 4-byte Folded Spill
	v_lshlrev_b32_e32 v16, 4, v20
	v_and_b32_e32 v18, 62, v18
	scratch_store_dword off, v1, off offset:148 ; 4-byte Folded Spill
	v_add_u32_e32 v1, s0, v14
	v_add_lshl_u32 v16, v18, v16, 1
	v_writelane_b32 v95, s37, 22
	scratch_store_dword off, v1, off offset:152 ; 4-byte Folded Spill
	v_add_u32_e32 v1, s0, v15
	v_writelane_b32 v95, s2, 23
	scratch_store_dword off, v1, off offset:156 ; 4-byte Folded Spill
	v_add_u32_e32 v1, s0, v16
	s_and_b32 s0, s35, 0x3ff
	v_writelane_b32 v95, s3, 24
	s_cmp_eq_u32 s0, 0
	v_writelane_b32 v95, s35, 25
	s_cselect_b64 s[2:3], -1, 0
	v_writelane_b32 v95, s2, 26
	s_add_i32 s0, s1, -1
	s_mul_i32 s98, s26, s28
	v_writelane_b32 v95, s3, 27
	v_writelane_b32 v95, s1, 28
	;; [unrolled: 1-line block ×3, first 2 shown]
	s_lshl_b64 s[0:1], s[98:99], 1
	scratch_store_dword off, v1, off offset:160 ; 4-byte Folded Spill
	v_and_b32_e32 v1, 15, v20
	s_add_u32 s4, s18, s0
	s_addc_u32 s5, s19, s1
	v_cmp_ne_u32_e64 s[0:1], 0, v1
	v_cmp_lt_u32_e64 s[2:3], 3, v1
	s_mul_i32 s98, s29, s34
	v_writelane_b32 v95, s0, 30
	v_and_b32_e32 v2, 64, v20
	v_lshlrev_b32_e32 v19, 4, v0
	v_writelane_b32 v95, s1, 31
	v_cmp_lt_u32_e64 s[0:1], 1, v1
	v_cmp_eq_u32_e64 s[16:17], 0, v0
	v_add_u32_e32 v18, 0, v16
	v_writelane_b32 v95, s0, 32
	v_mov_b32_e32 v17, 0
	scratch_store_dword off, v18, off offset:4 ; 4-byte Folded Spill
	v_writelane_b32 v95, s1, 33
	v_cmp_lt_u32_e64 s[0:1], 7, v1
	v_and_b32_e32 v1, 16, v20
	v_lshlrev_b32_e32 v16, 1, v20
	v_writelane_b32 v95, s0, 34
	v_cmp_lt_u32_e64 s[12:13], 31, v20
	s_mov_b32 s8, 0xc2ce8ed0
	v_writelane_b32 v95, s1, 35
	v_cmp_ne_u32_e64 s[0:1], 0, v1
	v_add_u32_e32 v1, -1, v20
	v_cmp_lt_i32_e32 vcc, v1, v2
	v_writelane_b32 v95, s0, 36
	s_mov_b32 s9, 0x42b17218
	v_cndmask_b32_e32 v1, v1, v20, vcc
	v_writelane_b32 v95, s1, 37
	s_lshl_b64 s[0:1], s[98:99], 1
	s_add_u32 s0, s4, s0
	s_mul_i32 s98, s26, s54
	s_addc_u32 s1, s5, s1
	s_lshl_b64 s[4:5], s[98:99], 1
	s_add_u32 s14, s22, s4
	v_writelane_b32 v95, s48, 38
	s_mul_i32 s98, s55, s34
	s_addc_u32 s15, s23, s5
	s_lshl_b64 s[4:5], s[98:99], 1
	s_add_u32 s18, s14, s4
	s_mul_i32 s98, s26, s30
	s_addc_u32 s19, s15, s5
	s_lshl_b64 s[14:15], s[98:99], 1
	s_add_u32 s22, s24, s14
	v_cmp_eq_u32_e64 s[4:5], 63, v0
	v_lshlrev_b32_e32 v1, 2, v1
	s_addc_u32 s23, s25, s15
	v_cmp_gt_u32_e64 s[14:15], 64, v0
	v_mov_b32_e32 v0, v20
	scratch_store_dwordx2 off, v[0:1], off offset:176 ; 8-byte Folded Spill
	v_or_b32_e32 v0, 1, v19
	scratch_store_dword off, v0, off offset:272 ; 4-byte Folded Spill
	v_or_b32_e32 v0, 2, v19
	scratch_store_dword off, v0, off offset:276 ; 4-byte Folded Spill
	;; [unrolled: 2-line block ×6, first 2 shown]
                                        ; implicit-def: $vgpr0
	v_writelane_b32 v95, s49, 39
	v_or_b32_e32 v0, 7, v19
	v_writelane_b32 v95, s50, 40
	scratch_store_dword off, v0, off offset:296 ; 4-byte Folded Spill
	v_or_b32_e32 v0, 8, v19
	v_writelane_b32 v95, s51, 41
	scratch_store_dword off, v0, off offset:300 ; 4-byte Folded Spill
	;; [unrolled: 3-line block ×4, first 2 shown]
	v_or_b32_e32 v0, 11, v19
	v_writelane_b32 v95, s54, 44
	s_mul_i32 s98, s31, s34
	scratch_store_dword off, v0, off offset:312 ; 4-byte Folded Spill
	v_or_b32_e32 v0, 12, v19
	v_writelane_b32 v95, s55, 45
	s_lshl_b64 s[20:21], s[98:99], 1
	scratch_store_dword off, v0, off offset:316 ; 4-byte Folded Spill
	v_or_b32_e32 v0, 13, v19
	v_writelane_b32 v95, s4, 46
	s_add_u32 s20, s22, s20
	scratch_store_dword off, v0, off offset:320 ; 4-byte Folded Spill
	v_or_b32_e32 v0, 14, v19
	v_writelane_b32 v95, s5, 47
	scratch_store_dword off, v1, off offset:164 ; 4-byte Folded Spill
	s_addc_u32 s21, s23, s21
	s_add_i32 s22, 0, 0x1088
	scratch_store_dword off, v0, off offset:324 ; 4-byte Folded Spill
	scratch_store_dword off, v19, off offset:268 ; 4-byte Folded Spill
	v_or_b32_e32 v0, 15, v19
	v_writelane_b32 v95, s22, 48
	scratch_store_dword off, v0, off offset:328 ; 4-byte Folded Spill
	v_lshl_add_u64 v[0:1], s[0:1], 0, v[16:17]
	scratch_store_dwordx2 off, v[0:1], off offset:244 ; 8-byte Folded Spill
	v_lshl_add_u64 v[0:1], s[18:19], 0, v[16:17]
	v_writelane_b32 v95, s97, 49
	scratch_store_dwordx2 off, v[0:1], off offset:252 ; 8-byte Folded Spill
	v_lshl_add_u64 v[0:1], s[20:21], 0, v[16:17]
	v_writelane_b32 v95, s6, 50
	s_mov_b32 s4, 0x41a00000
	s_mov_b32 s5, 0x3fb8aa3b
	;; [unrolled: 1-line block ×7, first 2 shown]
	v_mov_b32_e32 v39, 0x7f800000
	v_mov_b32_e32 v22, 0x42800000
	;; [unrolled: 1-line block ×3, first 2 shown]
	s_mov_b32 s1, 0
	scratch_store_dwordx2 off, v[0:1], off offset:260 ; 8-byte Folded Spill
	v_mov_b32_e32 v0, 0x3f317218
	v_writelane_b32 v95, s7, 51
	scratch_store_dwordx2 off, v[0:1], off offset:168 ; 8-byte Folded Spill
	s_branch .LBB16_13
.LBB16_12:                              ;   in Loop: Header=BB16_13 Depth=1
	s_or_b64 exec, exec, s[18:19]
	v_readlane_b32 s0, v95, 4
	v_readlane_b32 s1, v95, 5
	s_add_u32 s0, s0, 0x800
	s_addc_u32 s1, s1, 0
	v_writelane_b32 v95, s0, 4
	s_nop 1
	v_writelane_b32 v95, s1, 5
	s_nop 0
	v_readlane_b32 s38, v95, 55
	v_readlane_b32 s39, v95, 56
	s_add_u32 s38, s38, 0x800
	s_addc_u32 s39, s39, 0
	v_readlane_b32 s0, v95, 8
	v_readlane_b32 s1, v95, 9
	s_add_u32 s0, s0, 0x800
	s_addc_u32 s1, s1, 0
	v_writelane_b32 v95, s0, 8
	s_nop 1
	v_writelane_b32 v95, s1, 9
	s_nop 0
	v_readlane_b32 s0, v95, 18
	v_readlane_b32 s1, v95, 19
	s_add_u32 s0, s0, 0x800
	s_addc_u32 s1, s1, 0
	v_writelane_b32 v95, s0, 18
	s_nop 1
	v_writelane_b32 v95, s1, 19
	s_nop 0
	v_readlane_b32 s1, v95, 52
	s_add_i32 s1, s1, 1
	v_readlane_b32 s0, v95, 28
	s_cmp_lg_u32 s1, s0
	s_cbranch_scc0 .LBB16_298
.LBB16_13:                              ; =>This Loop Header: Depth=1
                                        ;     Child Loop BB16_110 Depth 2
	s_waitcnt lgkmcnt(0)
	; wave barrier
	s_waitcnt vmcnt(63) expcnt(7) lgkmcnt(15)
	scratch_load_dwordx2 v[0:1], off, off offset:176 ; 8-byte Folded Reload
	s_lshl_b32 s20, s1, 10
	v_writelane_b32 v95, s1, 52
	s_mov_b32 s18, s20
	v_readlane_b32 s0, v95, 25
	v_writelane_b32 v95, s18, 53
	s_sub_i32 s82, s0, s20
	s_waitcnt vmcnt(0) lgkmcnt(0)
	v_mov_b32_e32 v2, v0
	v_writelane_b32 v95, s19, 54
	v_lshlrev_b32_e32 v16, 1, v2
	v_writelane_b32 v95, s38, 55
	v_cmp_gt_u32_e64 s[18:19], s82, v2
	v_mov_b32_e32 v2, 0
	v_writelane_b32 v95, s39, 56
	v_lshl_add_u64 v[0:1], s[38:39], 0, v[16:17]
	s_and_saveexec_b64 s[20:21], s[18:19]
	s_cbranch_execz .LBB16_15
; %bb.14:                               ;   in Loop: Header=BB16_13 Depth=1
	global_load_ushort v2, v[0:1], off
.LBB16_15:                              ;   in Loop: Header=BB16_13 Depth=1
	s_or_b64 exec, exec, s[20:21]
	scratch_load_dword v3, off, off offset:184 ; 4-byte Folded Reload
	v_mov_b32_e32 v4, 0
	s_waitcnt vmcnt(0)
	v_cmp_gt_u32_e64 s[20:21], s82, v3
	v_mov_b32_e32 v3, 0
	s_and_saveexec_b64 s[22:23], s[20:21]
	s_cbranch_execz .LBB16_17
; %bb.16:                               ;   in Loop: Header=BB16_13 Depth=1
	global_load_ushort v4, v[0:1], off offset:128
.LBB16_17:                              ;   in Loop: Header=BB16_13 Depth=1
	s_or_b64 exec, exec, s[22:23]
	scratch_load_dword v5, off, off offset:188 ; 4-byte Folded Reload
	s_waitcnt vmcnt(0)
	v_cmp_gt_u32_e64 s[22:23], s82, v5
	s_and_saveexec_b64 s[24:25], s[22:23]
	s_cbranch_execz .LBB16_19
; %bb.18:                               ;   in Loop: Header=BB16_13 Depth=1
	global_load_ushort v3, v[0:1], off offset:256
.LBB16_19:                              ;   in Loop: Header=BB16_13 Depth=1
	s_or_b64 exec, exec, s[24:25]
	scratch_load_dword v5, off, off offset:192 ; 4-byte Folded Reload
	v_mov_b32_e32 v6, 0
	s_waitcnt vmcnt(0)
	v_cmp_gt_u32_e64 s[24:25], s82, v5
	v_mov_b32_e32 v5, 0
	s_and_saveexec_b64 s[26:27], s[24:25]
	s_cbranch_execz .LBB16_21
; %bb.20:                               ;   in Loop: Header=BB16_13 Depth=1
	global_load_ushort v6, v[0:1], off offset:384
.LBB16_21:                              ;   in Loop: Header=BB16_13 Depth=1
	s_or_b64 exec, exec, s[26:27]
	scratch_load_dword v7, off, off offset:196 ; 4-byte Folded Reload
	s_waitcnt vmcnt(0)
	v_cmp_gt_u32_e64 s[26:27], s82, v7
	s_and_saveexec_b64 s[28:29], s[26:27]
	s_cbranch_execz .LBB16_23
; %bb.22:                               ;   in Loop: Header=BB16_13 Depth=1
	global_load_ushort v5, v[0:1], off offset:512
.LBB16_23:                              ;   in Loop: Header=BB16_13 Depth=1
	;; [unrolled: 20-line block ×4, first 2 shown]
	s_or_b64 exec, exec, s[38:39]
	scratch_load_dword v10, off, off offset:216 ; 4-byte Folded Reload
	v_mov_b32_e32 v12, 0
	v_mov_b32_e32 v13, 0
	s_waitcnt vmcnt(0)
	v_cmp_gt_u32_e64 s[38:39], s82, v10
	s_and_saveexec_b64 s[40:41], s[38:39]
	s_cbranch_execz .LBB16_33
; %bb.32:                               ;   in Loop: Header=BB16_13 Depth=1
	global_load_ushort v13, v[0:1], off offset:1152
.LBB16_33:                              ;   in Loop: Header=BB16_13 Depth=1
	s_or_b64 exec, exec, s[40:41]
	scratch_load_dword v10, off, off offset:220 ; 4-byte Folded Reload
	s_waitcnt vmcnt(0)
	v_cmp_gt_u32_e64 s[40:41], s82, v10
	s_and_saveexec_b64 s[42:43], s[40:41]
	s_cbranch_execz .LBB16_35
; %bb.34:                               ;   in Loop: Header=BB16_13 Depth=1
	global_load_ushort v12, v[0:1], off offset:1280
.LBB16_35:                              ;   in Loop: Header=BB16_13 Depth=1
	s_or_b64 exec, exec, s[42:43]
	scratch_load_dword v10, off, off offset:224 ; 4-byte Folded Reload
	v_mov_b32_e32 v14, 0
	v_mov_b32_e32 v15, 0
	s_waitcnt vmcnt(0)
	v_cmp_gt_u32_e64 s[42:43], s82, v10
	s_and_saveexec_b64 s[44:45], s[42:43]
	s_cbranch_execz .LBB16_37
; %bb.36:                               ;   in Loop: Header=BB16_13 Depth=1
	global_load_ushort v15, v[0:1], off offset:1408
.LBB16_37:                              ;   in Loop: Header=BB16_13 Depth=1
	s_or_b64 exec, exec, s[44:45]
	scratch_load_dword v10, off, off offset:228 ; 4-byte Folded Reload
	s_waitcnt vmcnt(0)
	v_cmp_gt_u32_e64 s[44:45], s82, v10
	s_and_saveexec_b64 s[46:47], s[44:45]
	s_cbranch_execz .LBB16_39
; %bb.38:                               ;   in Loop: Header=BB16_13 Depth=1
	global_load_ushort v14, v[0:1], off offset:1536
.LBB16_39:                              ;   in Loop: Header=BB16_13 Depth=1
	;; [unrolled: 20-line block ×3, first 2 shown]
	s_or_b64 exec, exec, s[50:51]
	scratch_load_dword v10, off, off offset:240 ; 4-byte Folded Reload
	v_mov_b32_e32 v20, 0
	s_waitcnt vmcnt(0)
	v_cmp_gt_u32_e64 s[50:51], s82, v10
	v_mov_b32_e32 v10, 0
	s_and_saveexec_b64 s[52:53], s[50:51]
	s_cbranch_execz .LBB16_45
; %bb.44:                               ;   in Loop: Header=BB16_13 Depth=1
	global_load_ushort v20, v[0:1], off offset:1920
.LBB16_45:                              ;   in Loop: Header=BB16_13 Depth=1
	s_or_b64 exec, exec, s[52:53]
	scratch_load_dword v0, off, off         ; 4-byte Folded Reload
	v_readlane_b32 s0, v95, 4
	v_readlane_b32 s1, v95, 5
	s_waitcnt vmcnt(0)
	ds_write_b16 v0, v2
	scratch_load_dword v0, off, off offset:8 ; 4-byte Folded Reload
	s_waitcnt vmcnt(0)
	ds_write_b16 v0, v4 offset:128
	scratch_load_dword v0, off, off offset:12 ; 4-byte Folded Reload
	s_waitcnt vmcnt(0)
	ds_write_b16 v0, v3 offset:256
	;; [unrolled: 3-line block ×8, first 2 shown]
	scratch_load_dword v0, off, off offset:40 ; 4-byte Folded Reload
	v_lshl_add_u64 v[8:9], s[0:1], 0, v[16:17]
	s_waitcnt vmcnt(0)
	ds_write_b16 v0, v13 offset:1152
	scratch_load_dword v0, off, off offset:44 ; 4-byte Folded Reload
	s_waitcnt vmcnt(0)
	ds_write_b16 v0, v12 offset:1280
	scratch_load_dword v0, off, off offset:48 ; 4-byte Folded Reload
	;; [unrolled: 3-line block ×6, first 2 shown]
	s_waitcnt vmcnt(0)
	ds_write_b16 v0, v20 offset:1920
	; wave barrier
	scratch_load_dword v4, off, off offset:4 ; 4-byte Folded Reload
	s_waitcnt vmcnt(0)
	ds_read_b128 v[0:3], v4
	ds_read_b128 v[4:7], v4 offset:16
	s_waitcnt lgkmcnt(0)
	; wave barrier
	s_waitcnt lgkmcnt(0)
	s_and_saveexec_b64 s[52:53], s[18:19]
	s_cbranch_execz .LBB16_47
; %bb.46:                               ;   in Loop: Header=BB16_13 Depth=1
	global_load_ushort v10, v[8:9], off
.LBB16_47:                              ;   in Loop: Header=BB16_13 Depth=1
	s_or_b64 exec, exec, s[52:53]
	v_mov_b32_e32 v11, 0
	v_mov_b32_e32 v12, 0
	s_and_saveexec_b64 s[52:53], s[20:21]
	s_cbranch_execz .LBB16_49
; %bb.48:                               ;   in Loop: Header=BB16_13 Depth=1
	global_load_ushort v12, v[8:9], off offset:128
.LBB16_49:                              ;   in Loop: Header=BB16_13 Depth=1
	s_or_b64 exec, exec, s[52:53]
	s_and_saveexec_b64 s[52:53], s[22:23]
	s_cbranch_execz .LBB16_51
; %bb.50:                               ;   in Loop: Header=BB16_13 Depth=1
	global_load_ushort v11, v[8:9], off offset:256
.LBB16_51:                              ;   in Loop: Header=BB16_13 Depth=1
	s_or_b64 exec, exec, s[52:53]
	v_mov_b32_e32 v13, 0
	v_mov_b32_e32 v14, 0
	s_and_saveexec_b64 s[52:53], s[24:25]
	s_cbranch_execz .LBB16_53
; %bb.52:                               ;   in Loop: Header=BB16_13 Depth=1
	global_load_ushort v14, v[8:9], off offset:384
.LBB16_53:                              ;   in Loop: Header=BB16_13 Depth=1
	s_or_b64 exec, exec, s[52:53]
	s_and_saveexec_b64 s[52:53], s[26:27]
	s_cbranch_execz .LBB16_55
; %bb.54:                               ;   in Loop: Header=BB16_13 Depth=1
	global_load_ushort v13, v[8:9], off offset:512
.LBB16_55:                              ;   in Loop: Header=BB16_13 Depth=1
	;; [unrolled: 14-line block ×6, first 2 shown]
	s_or_b64 exec, exec, s[52:53]
	v_mov_b32_e32 v27, 0
	v_mov_b32_e32 v28, 0
	s_and_saveexec_b64 s[52:53], s[46:47]
	s_cbranch_execnz .LBB16_267
; %bb.72:                               ;   in Loop: Header=BB16_13 Depth=1
	s_or_b64 exec, exec, s[52:53]
	s_and_saveexec_b64 s[52:53], s[48:49]
	s_cbranch_execnz .LBB16_268
.LBB16_73:                              ;   in Loop: Header=BB16_13 Depth=1
	s_or_b64 exec, exec, s[52:53]
	v_mov_b32_e32 v29, 0
	s_and_saveexec_b64 s[52:53], s[50:51]
	s_cbranch_execz .LBB16_75
.LBB16_74:                              ;   in Loop: Header=BB16_13 Depth=1
	global_load_ushort v29, v[8:9], off offset:1920
.LBB16_75:                              ;   in Loop: Header=BB16_13 Depth=1
	s_or_b64 exec, exec, s[52:53]
	scratch_load_dword v8, off, off         ; 4-byte Folded Reload
	v_readlane_b32 s0, v95, 2
	s_waitcnt vmcnt(0)
	ds_write_b16 v8, v10
	scratch_load_dword v8, off, off offset:8 ; 4-byte Folded Reload
	s_waitcnt vmcnt(0)
	ds_write_b16 v8, v12 offset:128
	scratch_load_dword v8, off, off offset:12 ; 4-byte Folded Reload
	s_waitcnt vmcnt(0)
	ds_write_b16 v8, v11 offset:256
	;; [unrolled: 3-line block ×15, first 2 shown]
	; wave barrier
	scratch_load_dword v8, off, off offset:4 ; 4-byte Folded Reload
	s_waitcnt vmcnt(0)
	ds_read_b128 v[12:15], v8
	ds_read_b128 v[8:11], v8 offset:16
	s_waitcnt lgkmcnt(1)
	v_lshlrev_b32_e32 v18, 16, v12
	v_add_f32_e32 v25, s0, v18
	v_cmp_ge_f32_e32 vcc, s4, v25
	s_and_b64 s[0:1], s[6:7], vcc
	s_and_saveexec_b64 s[54:55], s[0:1]
	s_cbranch_execz .LBB16_77
; %bb.76:                               ;   in Loop: Header=BB16_13 Depth=1
	v_mul_f32_e32 v18, 0x3fb8aa3b, v25
	v_rndne_f32_e32 v19, v18
	v_sub_f32_e32 v20, v18, v19
	v_fma_f32 v18, v25, s5, -v18
	v_fmac_f32_e32 v18, 0x32a5705f, v25
	v_add_f32_e32 v18, v20, v18
	v_cvt_i32_f32_e32 v19, v19
	v_exp_f32_e32 v18, v18
	v_cmp_ngt_f32_e32 vcc, s8, v25
	v_ldexp_f32 v18, v18, v19
	s_nop 0
	v_cndmask_b32_e32 v18, 0, v18, vcc
	v_cmp_nlt_f32_e32 vcc, s9, v25
	s_nop 1
	v_cndmask_b32_e32 v36, v39, v18, vcc
	v_add_f32_e32 v20, 1.0, v36
	v_add_f32_e32 v18, -1.0, v20
	v_sub_f32_e32 v19, v18, v20
	v_add_f32_e32 v19, 1.0, v19
	v_sub_f32_e32 v18, v36, v18
	v_add_f32_e32 v21, v18, v19
	v_frexp_mant_f32_e32 v24, v20
	v_cvt_f64_f32_e32 v[18:19], v20
	v_frexp_exp_i32_f64_e32 v18, v[18:19]
	v_cmp_gt_f32_e32 vcc, s11, v24
	v_cmp_gt_f32_e64 s[52:53], s57, v36
	s_nop 0
	v_subbrev_co_u32_e32 v28, vcc, 0, v18, vcc
	v_sub_u32_e32 v18, 0, v28
	v_ldexp_f32 v19, v20, v18
	v_add_f32_e32 v20, -1.0, v19
	v_add_f32_e32 v24, 1.0, v19
	v_ldexp_f32 v18, v21, v18
	v_add_f32_e32 v21, 1.0, v20
	v_add_f32_e32 v25, -1.0, v24
	v_sub_f32_e32 v21, v19, v21
	v_sub_f32_e32 v19, v19, v25
	v_add_f32_e32 v21, v18, v21
	v_add_f32_e32 v18, v18, v19
	;; [unrolled: 1-line block ×3, first 2 shown]
	v_rcp_f32_e32 v31, v29
	v_sub_f32_e32 v19, v24, v29
	v_add_f32_e32 v30, v18, v19
	v_add_f32_e32 v19, v20, v21
	v_mul_f32_e32 v33, v19, v31
	v_sub_f32_e32 v18, v20, v19
	v_mul_f32_e32 v20, v29, v33
	v_fma_f32 v24, v33, v29, -v20
	v_fmac_f32_e32 v24, v33, v30
	v_add_f32_e32 v32, v21, v18
	v_add_f32_e32 v18, v20, v24
	v_sub_f32_e32 v21, v19, v18
	v_pk_add_f32 v[26:27], v[18:19], v[20:21] neg_lo:[0,1] neg_hi:[0,1]
	v_mov_b32_e32 v25, v18
	v_pk_add_f32 v[18:19], v[26:27], v[24:25] neg_lo:[0,1] neg_hi:[0,1]
	v_cmp_eq_f32_e32 vcc, s10, v36
	v_add_f32_e32 v19, v32, v19
	v_add_f32_e32 v18, v18, v19
	;; [unrolled: 1-line block ×3, first 2 shown]
	v_mul_f32_e32 v32, v31, v19
	v_mul_f32_e32 v20, v29, v32
	v_fma_f32 v24, v32, v29, -v20
	v_fmac_f32_e32 v24, v32, v30
	v_sub_f32_e32 v21, v21, v19
	v_add_f32_e32 v29, v18, v21
	v_add_f32_e32 v18, v20, v24
	v_sub_f32_e32 v21, v19, v18
	v_pk_add_f32 v[26:27], v[18:19], v[20:21] neg_lo:[0,1] neg_hi:[0,1]
	v_mov_b32_e32 v25, v18
	v_pk_add_f32 v[18:19], v[26:27], v[24:25] neg_lo:[0,1] neg_hi:[0,1]
	scratch_load_dwordx2 v[26:27], off, off offset:168 ; 8-byte Folded Reload
	v_add_f32_e32 v19, v29, v19
	v_add_f32_e32 v18, v18, v19
	;; [unrolled: 1-line block ×4, first 2 shown]
	v_sub_f32_e32 v20, v19, v33
	v_mul_f32_e32 v18, v31, v18
	v_sub_f32_e32 v20, v32, v20
	v_add_f32_e32 v20, v20, v18
	v_add_f32_e32 v24, v19, v20
	v_mul_f32_e32 v25, v24, v24
	v_mov_b32_e32 v18, 0x3ecc95a3
	v_fmamk_f32 v18, v25, 0x3e9b6dac, v18
	v_fmaak_f32 v31, v25, v18, 0x3f2aaada
	v_cvt_f32_i32_e32 v18, v28
	v_sub_f32_e32 v19, v24, v19
	v_sub_f32_e32 v19, v20, v19
	v_ldexp_f32 v21, v24, 1
	s_or_b64 vcc, s[52:53], vcc
	s_waitcnt vmcnt(0)
	v_mov_b32_e32 v30, v26
	v_ldexp_f32 v26, v19, 1
	v_mul_f32_e32 v19, v24, v25
	v_mov_b32_e32 v20, v30
	v_pk_mul_f32 v[24:25], v[18:19], v[30:31]
	scratch_store_dwordx2 off, v[20:21], off offset:168 ; 8-byte Folded Spill
	v_fma_f32 v20, v18, s56, -v24
	v_fmac_f32_e32 v20, 0xb102e308, v18
	v_pk_add_f32 v[18:19], v[24:25], v[20:21]
	s_nop 0
	v_sub_f32_e32 v21, v19, v21
	v_sub_f32_e32 v21, v25, v21
	v_add_f32_e32 v27, v26, v21
	v_mov_b32_e32 v26, v24
	v_pk_add_f32 v[24:25], v[18:19], v[24:25] neg_lo:[0,1] neg_hi:[0,1]
	v_pk_add_f32 v[28:29], v[18:19], v[26:27]
	v_mov_b32_e32 v21, v18
	v_mov_b32_e32 v25, v29
	v_pk_add_f32 v[30:31], v[20:21], v[24:25] neg_lo:[0,1] neg_hi:[0,1]
	v_pk_add_f32 v[20:21], v[20:21], v[24:25]
	v_mov_b32_e32 v26, v27
	v_mov_b32_e32 v24, v21
	v_pk_add_f32 v[32:33], v[24:25], v[18:19] neg_lo:[0,1] neg_hi:[0,1]
	v_mov_b32_e32 v20, v29
	v_mov_b32_e32 v25, v32
	v_pk_add_f32 v[34:35], v[28:29], v[24:25] neg_lo:[0,1] neg_hi:[0,1]
	v_mov_b32_e32 v28, v19
	v_mov_b32_e32 v29, v32
	;; [unrolled: 1-line block ×3, first 2 shown]
	v_pk_add_f32 v[20:21], v[20:21], v[28:29] neg_lo:[0,1] neg_hi:[0,1]
	v_mov_b32_e32 v27, v18
	v_pk_add_f32 v[18:19], v[26:27], v[20:21] neg_lo:[0,1] neg_hi:[0,1]
	v_mov_b32_e32 v34, v30
	v_pk_add_f32 v[20:21], v[34:35], v[18:19]
	s_nop 0
	v_mov_b32_e32 v26, v21
	v_pk_add_f32 v[26:27], v[20:21], v[26:27]
	s_nop 0
	v_pk_add_f32 v[24:25], v[24:25], v[26:27]
	v_mov_b32_e32 v19, v26
	v_mov_b32_e32 v21, v24
	v_pk_add_f32 v[28:29], v[20:21], v[30:31] neg_lo:[0,1] neg_hi:[0,1]
	s_nop 0
	v_sub_f32_e32 v20, v20, v28
	v_pk_add_f32 v[18:19], v[18:19], v[28:29] neg_lo:[0,1] neg_hi:[0,1]
	v_sub_f32_e32 v20, v30, v20
	v_add_f32_e32 v18, v18, v20
	v_add_f32_e32 v18, v18, v19
	;; [unrolled: 1-line block ×3, first 2 shown]
	v_cndmask_b32_e32 v25, v18, v36, vcc
.LBB16_77:                              ;   in Loop: Header=BB16_13 Depth=1
	s_or_b64 exec, exec, s[54:55]
	v_and_b32_e32 v12, 0xffff0000, v12
	v_readlane_b32 s0, v95, 2
	s_nop 1
	v_add_f32_e32 v18, s0, v12
	v_cmp_ge_f32_e32 vcc, s4, v18
	s_and_b64 s[0:1], s[6:7], vcc
	s_and_saveexec_b64 s[54:55], s[0:1]
	s_cbranch_execz .LBB16_79
; %bb.78:                               ;   in Loop: Header=BB16_13 Depth=1
	v_mul_f32_e32 v12, 0x3fb8aa3b, v18
	v_rndne_f32_e32 v19, v12
	v_sub_f32_e32 v20, v12, v19
	v_fma_f32 v12, v18, s5, -v12
	v_fmac_f32_e32 v12, 0x32a5705f, v18
	v_add_f32_e32 v12, v20, v12
	v_cvt_i32_f32_e32 v19, v19
	v_exp_f32_e32 v12, v12
	v_cmp_ngt_f32_e32 vcc, s8, v18
	v_ldexp_f32 v12, v12, v19
	s_nop 0
	v_cndmask_b32_e32 v12, 0, v12, vcc
	v_cmp_nlt_f32_e32 vcc, s9, v18
	s_nop 1
	v_cndmask_b32_e32 v36, v39, v12, vcc
	v_add_f32_e32 v12, 1.0, v36
	v_add_f32_e32 v18, -1.0, v12
	v_sub_f32_e32 v19, v18, v12
	v_add_f32_e32 v19, 1.0, v19
	v_sub_f32_e32 v18, v36, v18
	v_add_f32_e32 v20, v18, v19
	v_frexp_mant_f32_e32 v21, v12
	v_cvt_f64_f32_e32 v[18:19], v12
	v_frexp_exp_i32_f64_e32 v18, v[18:19]
	v_cmp_gt_f32_e32 vcc, s11, v21
	v_cmp_gt_f32_e64 s[52:53], s57, v36
	s_nop 0
	v_subbrev_co_u32_e32 v24, vcc, 0, v18, vcc
	v_sub_u32_e32 v18, 0, v24
	v_ldexp_f32 v12, v12, v18
	v_ldexp_f32 v18, v20, v18
	v_add_f32_e32 v20, -1.0, v12
	v_add_f32_e32 v19, 1.0, v20
	v_sub_f32_e32 v19, v12, v19
	v_add_f32_e32 v21, v18, v19
	v_add_f32_e32 v19, 1.0, v12
	v_add_f32_e32 v26, -1.0, v19
	v_sub_f32_e32 v12, v12, v26
	v_add_f32_e32 v12, v18, v12
	v_add_f32_e32 v30, v19, v12
	v_rcp_f32_e32 v31, v30
	v_sub_f32_e32 v18, v19, v30
	v_add_f32_e32 v19, v20, v21
	v_add_f32_e32 v12, v12, v18
	v_mul_f32_e32 v33, v19, v31
	v_sub_f32_e32 v18, v20, v19
	v_mul_f32_e32 v20, v30, v33
	v_fma_f32 v26, v33, v30, -v20
	v_fmac_f32_e32 v26, v33, v12
	v_add_f32_e32 v32, v21, v18
	v_add_f32_e32 v18, v20, v26
	v_sub_f32_e32 v21, v19, v18
	v_pk_add_f32 v[28:29], v[18:19], v[20:21] neg_lo:[0,1] neg_hi:[0,1]
	v_mov_b32_e32 v27, v18
	v_pk_add_f32 v[18:19], v[28:29], v[26:27] neg_lo:[0,1] neg_hi:[0,1]
	v_cmp_eq_f32_e32 vcc, s10, v36
	v_add_f32_e32 v19, v32, v19
	v_add_f32_e32 v18, v18, v19
	;; [unrolled: 1-line block ×3, first 2 shown]
	v_mul_f32_e32 v32, v31, v19
	v_mul_f32_e32 v20, v30, v32
	v_fma_f32 v26, v32, v30, -v20
	v_fmac_f32_e32 v26, v32, v12
	v_sub_f32_e32 v12, v21, v19
	v_add_f32_e32 v12, v18, v12
	v_add_f32_e32 v18, v20, v26
	v_sub_f32_e32 v21, v19, v18
	v_pk_add_f32 v[28:29], v[18:19], v[20:21] neg_lo:[0,1] neg_hi:[0,1]
	v_mov_b32_e32 v27, v18
	v_pk_add_f32 v[18:19], v[28:29], v[26:27] neg_lo:[0,1] neg_hi:[0,1]
	scratch_load_dwordx2 v[28:29], off, off offset:168 ; 8-byte Folded Reload
	v_add_f32_e32 v12, v12, v19
	v_add_f32_e32 v12, v18, v12
	;; [unrolled: 1-line block ×4, first 2 shown]
	v_sub_f32_e32 v18, v19, v33
	v_mul_f32_e32 v12, v31, v12
	v_sub_f32_e32 v18, v32, v18
	v_add_f32_e32 v12, v18, v12
	v_add_f32_e32 v20, v19, v12
	v_mul_f32_e32 v26, v20, v20
	v_mov_b32_e32 v18, 0x3ecc95a3
	v_fmamk_f32 v18, v26, 0x3e9b6dac, v18
	s_waitcnt vmcnt(0)
	v_fmaak_f32 v29, v26, v18, 0x3f2aaada
	v_cvt_f32_i32_e32 v18, v24
	v_sub_f32_e32 v19, v20, v19
	v_sub_f32_e32 v12, v12, v19
	v_mul_f32_e32 v19, v20, v26
	v_ldexp_f32 v21, v20, 1
	v_ldexp_f32 v12, v12, 1
	s_or_b64 vcc, s[52:53], vcc
	v_mov_b32_e32 v20, v28
	v_pk_mul_f32 v[26:27], v[18:19], v[28:29]
	scratch_store_dwordx2 off, v[20:21], off offset:168 ; 8-byte Folded Spill
	v_fma_f32 v20, v18, s56, -v26
	v_fmac_f32_e32 v20, 0xb102e308, v18
	v_pk_add_f32 v[18:19], v[26:27], v[20:21]
	v_mov_b32_e32 v28, v26
	v_sub_f32_e32 v21, v19, v21
	v_sub_f32_e32 v21, v27, v21
	v_add_f32_e32 v29, v12, v21
	v_pk_add_f32 v[26:27], v[18:19], v[26:27] neg_lo:[0,1] neg_hi:[0,1]
	v_pk_add_f32 v[30:31], v[18:19], v[28:29]
	v_mov_b32_e32 v21, v18
	v_mov_b32_e32 v27, v31
	v_pk_add_f32 v[32:33], v[20:21], v[26:27] neg_lo:[0,1] neg_hi:[0,1]
	v_pk_add_f32 v[20:21], v[20:21], v[26:27]
	s_nop 0
	v_mov_b32_e32 v12, v21
	v_pk_add_f32 v[26:27], v[12:13], v[18:19] neg_lo:[0,1] neg_hi:[0,1]
	v_mov_b32_e32 v20, v31
	v_mov_b32_e32 v27, v26
	v_pk_add_f32 v[34:35], v[30:31], v[26:27] neg_lo:[0,1] neg_hi:[0,1]
	v_mov_b32_e32 v30, v19
	v_mov_b32_e32 v31, v26
	;; [unrolled: 1-line block ×3, first 2 shown]
	v_pk_add_f32 v[20:21], v[20:21], v[30:31] neg_lo:[0,1] neg_hi:[0,1]
	v_mov_b32_e32 v26, v29
	v_mov_b32_e32 v27, v18
	v_pk_add_f32 v[18:19], v[26:27], v[20:21] neg_lo:[0,1] neg_hi:[0,1]
	v_mov_b32_e32 v34, v32
	v_pk_add_f32 v[20:21], v[34:35], v[18:19]
	s_nop 0
	v_mov_b32_e32 v24, v21
	v_pk_add_f32 v[26:27], v[20:21], v[24:25]
	s_nop 0
	v_pk_add_f32 v[28:29], v[12:13], v[26:27]
	v_mov_b32_e32 v19, v26
	v_mov_b32_e32 v21, v28
	v_pk_add_f32 v[30:31], v[20:21], v[32:33] neg_lo:[0,1] neg_hi:[0,1]
	s_nop 0
	v_sub_f32_e32 v12, v20, v30
	v_pk_add_f32 v[18:19], v[18:19], v[30:31] neg_lo:[0,1] neg_hi:[0,1]
	v_sub_f32_e32 v12, v32, v12
	v_add_f32_e32 v12, v18, v12
	v_add_f32_e32 v12, v12, v19
	;; [unrolled: 1-line block ×3, first 2 shown]
	v_cndmask_b32_e32 v18, v12, v36, vcc
.LBB16_79:                              ;   in Loop: Header=BB16_13 Depth=1
	s_or_b64 exec, exec, s[54:55]
	v_lshlrev_b32_e32 v12, 16, v13
	v_readlane_b32 s0, v95, 2
	s_nop 1
	v_add_f32_e32 v20, s0, v12
	v_cmp_ge_f32_e32 vcc, s4, v20
	s_and_b64 s[0:1], s[6:7], vcc
	s_and_saveexec_b64 s[54:55], s[0:1]
	s_cbranch_execz .LBB16_81
; %bb.80:                               ;   in Loop: Header=BB16_13 Depth=1
	v_mul_f32_e32 v12, 0x3fb8aa3b, v20
	v_rndne_f32_e32 v19, v12
	v_sub_f32_e32 v21, v12, v19
	v_fma_f32 v12, v20, s5, -v12
	v_fmac_f32_e32 v12, 0x32a5705f, v20
	v_add_f32_e32 v12, v21, v12
	v_cvt_i32_f32_e32 v19, v19
	v_exp_f32_e32 v12, v12
	v_cmp_ngt_f32_e32 vcc, s8, v20
	v_ldexp_f32 v12, v12, v19
	s_nop 0
	v_cndmask_b32_e32 v12, 0, v12, vcc
	v_cmp_nlt_f32_e32 vcc, s9, v20
	s_nop 1
	v_cndmask_b32_e32 v38, v39, v12, vcc
	v_add_f32_e32 v12, 1.0, v38
	v_add_f32_e32 v19, -1.0, v12
	v_sub_f32_e32 v20, v19, v12
	v_add_f32_e32 v20, 1.0, v20
	v_sub_f32_e32 v19, v38, v19
	v_add_f32_e32 v19, v19, v20
	v_frexp_mant_f32_e32 v24, v12
	v_cvt_f64_f32_e32 v[20:21], v12
	v_frexp_exp_i32_f64_e32 v20, v[20:21]
	v_cmp_gt_f32_e32 vcc, s11, v24
	v_cmp_gt_f32_e64 s[52:53], s57, v38
	s_nop 0
	v_subbrev_co_u32_e32 v24, vcc, 0, v20, vcc
	v_sub_u32_e32 v20, 0, v24
	v_ldexp_f32 v12, v12, v20
	v_ldexp_f32 v19, v19, v20
	v_add_f32_e32 v20, -1.0, v12
	v_add_f32_e32 v21, 1.0, v20
	v_sub_f32_e32 v21, v12, v21
	v_add_f32_e32 v26, v19, v21
	v_add_f32_e32 v21, 1.0, v12
	v_add_f32_e32 v27, -1.0, v21
	v_sub_f32_e32 v12, v12, v27
	v_add_f32_e32 v12, v19, v12
	v_add_f32_e32 v19, v21, v12
	v_rcp_f32_e32 v32, v19
	v_sub_f32_e32 v21, v21, v19
	v_add_f32_e32 v12, v12, v21
	v_add_f32_e32 v21, v20, v26
	v_sub_f32_e32 v20, v20, v21
	v_mul_f32_e32 v34, v21, v32
	v_add_f32_e32 v33, v26, v20
	v_mul_f32_e32 v26, v19, v34
	v_fma_f32 v28, v34, v19, -v26
	v_fmac_f32_e32 v28, v34, v12
	v_add_f32_e32 v20, v26, v28
	v_sub_f32_e32 v27, v21, v20
	v_pk_add_f32 v[30:31], v[20:21], v[26:27] neg_lo:[0,1] neg_hi:[0,1]
	v_mov_b32_e32 v29, v20
	v_pk_add_f32 v[20:21], v[30:31], v[28:29] neg_lo:[0,1] neg_hi:[0,1]
	v_cmp_eq_f32_e32 vcc, s10, v38
	v_add_f32_e32 v21, v33, v21
	v_add_f32_e32 v20, v20, v21
	;; [unrolled: 1-line block ×3, first 2 shown]
	v_mul_f32_e32 v33, v32, v21
	v_mul_f32_e32 v26, v19, v33
	v_fma_f32 v28, v33, v19, -v26
	v_fmac_f32_e32 v28, v33, v12
	v_sub_f32_e32 v12, v27, v21
	v_add_f32_e32 v12, v20, v12
	v_add_f32_e32 v20, v26, v28
	v_sub_f32_e32 v27, v21, v20
	v_pk_add_f32 v[30:31], v[20:21], v[26:27] neg_lo:[0,1] neg_hi:[0,1]
	v_mov_b32_e32 v29, v20
	v_pk_add_f32 v[20:21], v[30:31], v[28:29] neg_lo:[0,1] neg_hi:[0,1]
	scratch_load_dwordx2 v[28:29], off, off offset:168 ; 8-byte Folded Reload
	v_add_f32_e32 v12, v12, v21
	v_add_f32_e32 v12, v20, v12
	;; [unrolled: 1-line block ×4, first 2 shown]
	v_sub_f32_e32 v20, v19, v34
	v_mul_f32_e32 v12, v32, v12
	v_sub_f32_e32 v20, v33, v20
	v_add_f32_e32 v12, v20, v12
	v_add_f32_e32 v21, v19, v12
	v_mul_f32_e32 v26, v21, v21
	v_mov_b32_e32 v20, 0x3ecc95a3
	v_fmamk_f32 v20, v26, 0x3e9b6dac, v20
	s_waitcnt vmcnt(0)
	v_fmaak_f32 v29, v26, v20, 0x3f2aaada
	v_cvt_f32_i32_e32 v20, v24
	v_sub_f32_e32 v19, v21, v19
	v_ldexp_f32 v27, v21, 1
	v_mul_f32_e32 v21, v21, v26
	v_sub_f32_e32 v12, v12, v19
	v_ldexp_f32 v12, v12, 1
	s_or_b64 vcc, s[52:53], vcc
	v_mov_b32_e32 v24, v28
	v_pk_mul_f32 v[28:29], v[20:21], v[28:29]
	scratch_store_dwordx2 off, v[24:25], off offset:168 ; 8-byte Folded Spill
	v_fma_f32 v26, v20, s56, -v28
	v_fmac_f32_e32 v26, 0xb102e308, v20
	v_pk_add_f32 v[20:21], v[28:29], v[26:27]
	v_mov_b32_e32 v30, v28
	v_sub_f32_e32 v19, v21, v27
	v_sub_f32_e32 v19, v29, v19
	v_add_f32_e32 v31, v12, v19
	v_pk_add_f32 v[28:29], v[20:21], v[28:29] neg_lo:[0,1] neg_hi:[0,1]
	v_pk_add_f32 v[32:33], v[20:21], v[30:31]
	v_mov_b32_e32 v27, v20
	v_mov_b32_e32 v29, v33
	v_pk_add_f32 v[34:35], v[26:27], v[28:29] neg_lo:[0,1] neg_hi:[0,1]
	v_pk_add_f32 v[26:27], v[26:27], v[28:29]
	s_nop 0
	v_mov_b32_e32 v12, v27
	v_pk_add_f32 v[28:29], v[12:13], v[20:21] neg_lo:[0,1] neg_hi:[0,1]
	v_mov_b32_e32 v26, v33
	v_mov_b32_e32 v19, v28
	v_pk_add_f32 v[36:37], v[32:33], v[18:19] neg_lo:[0,1] neg_hi:[0,1]
	v_mov_b32_e32 v32, v21
	v_mov_b32_e32 v33, v28
	;; [unrolled: 1-line block ×3, first 2 shown]
	v_pk_add_f32 v[26:27], v[26:27], v[32:33] neg_lo:[0,1] neg_hi:[0,1]
	v_mov_b32_e32 v28, v31
	v_mov_b32_e32 v29, v20
	v_pk_add_f32 v[20:21], v[28:29], v[26:27] neg_lo:[0,1] neg_hi:[0,1]
	v_mov_b32_e32 v36, v34
	v_pk_add_f32 v[26:27], v[36:37], v[20:21]
	s_nop 0
	v_mov_b32_e32 v24, v27
	v_pk_add_f32 v[28:29], v[26:27], v[24:25]
	s_nop 0
	v_pk_add_f32 v[30:31], v[12:13], v[28:29]
	v_mov_b32_e32 v21, v28
	v_mov_b32_e32 v27, v30
	v_pk_add_f32 v[32:33], v[26:27], v[34:35] neg_lo:[0,1] neg_hi:[0,1]
	s_nop 0
	v_sub_f32_e32 v12, v26, v32
	v_pk_add_f32 v[20:21], v[20:21], v[32:33] neg_lo:[0,1] neg_hi:[0,1]
	v_sub_f32_e32 v12, v34, v12
	v_add_f32_e32 v12, v20, v12
	v_add_f32_e32 v12, v12, v21
	;; [unrolled: 1-line block ×3, first 2 shown]
	v_cndmask_b32_e32 v20, v12, v38, vcc
.LBB16_81:                              ;   in Loop: Header=BB16_13 Depth=1
	s_or_b64 exec, exec, s[54:55]
	v_and_b32_e32 v12, 0xffff0000, v13
	v_readlane_b32 s0, v95, 2
	s_nop 1
	v_add_f32_e32 v94, s0, v12
	v_cmp_ge_f32_e32 vcc, s4, v94
	s_and_b64 s[0:1], s[6:7], vcc
	s_and_saveexec_b64 s[54:55], s[0:1]
	s_cbranch_execz .LBB16_83
; %bb.82:                               ;   in Loop: Header=BB16_13 Depth=1
	v_mul_f32_e32 v12, 0x3fb8aa3b, v94
	v_rndne_f32_e32 v13, v12
	v_sub_f32_e32 v19, v12, v13
	v_fma_f32 v12, v94, s5, -v12
	v_fmac_f32_e32 v12, 0x32a5705f, v94
	v_add_f32_e32 v12, v19, v12
	v_cvt_i32_f32_e32 v13, v13
	v_exp_f32_e32 v12, v12
	v_cmp_ngt_f32_e32 vcc, s8, v94
	v_ldexp_f32 v12, v12, v13
	s_nop 0
	v_cndmask_b32_e32 v12, 0, v12, vcc
	v_cmp_nlt_f32_e32 vcc, s9, v94
	s_nop 1
	v_cndmask_b32_e32 v21, v39, v12, vcc
	v_add_f32_e32 v19, 1.0, v21
	v_add_f32_e32 v12, -1.0, v19
	v_sub_f32_e32 v13, v12, v19
	v_add_f32_e32 v13, 1.0, v13
	v_sub_f32_e32 v12, v21, v12
	v_add_f32_e32 v24, v12, v13
	v_frexp_mant_f32_e32 v26, v19
	v_cvt_f64_f32_e32 v[12:13], v19
	v_frexp_exp_i32_f64_e32 v12, v[12:13]
	v_cmp_gt_f32_e32 vcc, s11, v26
	v_cmp_gt_f32_e64 s[52:53], s57, v21
	s_nop 0
	v_subbrev_co_u32_e32 v32, vcc, 0, v12, vcc
	v_sub_u32_e32 v12, 0, v32
	v_ldexp_f32 v13, v19, v12
	v_add_f32_e32 v19, -1.0, v13
	v_add_f32_e32 v26, 1.0, v13
	v_ldexp_f32 v12, v24, v12
	v_add_f32_e32 v24, 1.0, v19
	v_add_f32_e32 v27, -1.0, v26
	v_sub_f32_e32 v24, v13, v24
	v_sub_f32_e32 v13, v13, v27
	v_add_f32_e32 v24, v12, v24
	v_add_f32_e32 v12, v12, v13
	;; [unrolled: 1-line block ×3, first 2 shown]
	v_rcp_f32_e32 v35, v33
	v_sub_f32_e32 v13, v26, v33
	v_add_f32_e32 v34, v12, v13
	v_add_f32_e32 v13, v19, v24
	v_sub_f32_e32 v12, v19, v13
	v_add_f32_e32 v19, v24, v12
	v_mul_f32_e32 v24, v13, v35
	v_mul_f32_e32 v26, v33, v24
	v_fma_f32 v28, v24, v33, -v26
	v_fmac_f32_e32 v28, v24, v34
	v_add_f32_e32 v12, v26, v28
	v_sub_f32_e32 v27, v13, v12
	v_pk_add_f32 v[30:31], v[12:13], v[26:27] neg_lo:[0,1] neg_hi:[0,1]
	v_mov_b32_e32 v29, v12
	v_pk_add_f32 v[12:13], v[30:31], v[28:29] neg_lo:[0,1] neg_hi:[0,1]
	v_cmp_eq_f32_e32 vcc, s10, v21
	v_add_f32_e32 v13, v19, v13
	v_add_f32_e32 v12, v12, v13
	;; [unrolled: 1-line block ×3, first 2 shown]
	v_mul_f32_e32 v19, v35, v13
	v_mul_f32_e32 v26, v33, v19
	v_fma_f32 v28, v19, v33, -v26
	v_fmac_f32_e32 v28, v19, v34
	v_sub_f32_e32 v27, v27, v13
	v_add_f32_e32 v33, v12, v27
	v_add_f32_e32 v12, v26, v28
	v_sub_f32_e32 v27, v13, v12
	v_pk_add_f32 v[30:31], v[12:13], v[26:27] neg_lo:[0,1] neg_hi:[0,1]
	v_mov_b32_e32 v29, v12
	v_pk_add_f32 v[12:13], v[30:31], v[28:29] neg_lo:[0,1] neg_hi:[0,1]
	scratch_load_dwordx2 v[28:29], off, off offset:168 ; 8-byte Folded Reload
	v_add_f32_e32 v13, v33, v13
	v_add_f32_e32 v12, v12, v13
	v_add_f32_e32 v13, v24, v19
	v_add_f32_e32 v12, v27, v12
	v_sub_f32_e32 v24, v13, v24
	v_mul_f32_e32 v12, v35, v12
	v_sub_f32_e32 v19, v19, v24
	v_add_f32_e32 v19, v19, v12
	v_add_f32_e32 v24, v13, v19
	v_mul_f32_e32 v26, v24, v24
	v_mov_b32_e32 v12, 0x3ecc95a3
	v_fmamk_f32 v12, v26, 0x3e9b6dac, v12
	s_waitcnt vmcnt(0)
	v_fmaak_f32 v29, v26, v12, 0x3f2aaada
	v_cvt_f32_i32_e32 v12, v32
	v_sub_f32_e32 v13, v24, v13
	v_sub_f32_e32 v13, v19, v13
	v_ldexp_f32 v19, v13, 1
	v_mul_f32_e32 v13, v24, v26
	v_ldexp_f32 v27, v24, 1
	s_or_b64 vcc, s[52:53], vcc
	v_mov_b32_e32 v24, v28
	v_pk_mul_f32 v[28:29], v[12:13], v[28:29]
	scratch_store_dwordx2 off, v[24:25], off offset:168 ; 8-byte Folded Spill
	v_fma_f32 v26, v12, s56, -v28
	v_fmac_f32_e32 v26, 0xb102e308, v12
	v_pk_add_f32 v[12:13], v[28:29], v[26:27]
	v_mov_b32_e32 v30, v28
	v_sub_f32_e32 v24, v13, v27
	v_sub_f32_e32 v24, v29, v24
	v_add_f32_e32 v31, v19, v24
	v_pk_add_f32 v[28:29], v[12:13], v[28:29] neg_lo:[0,1] neg_hi:[0,1]
	v_pk_add_f32 v[32:33], v[12:13], v[30:31]
	v_mov_b32_e32 v27, v12
	v_mov_b32_e32 v29, v33
	v_pk_add_f32 v[34:35], v[26:27], v[28:29] neg_lo:[0,1] neg_hi:[0,1]
	v_pk_add_f32 v[26:27], v[26:27], v[28:29]
	s_nop 0
	v_mov_b32_e32 v24, v27
	v_pk_add_f32 v[28:29], v[24:25], v[12:13] neg_lo:[0,1] neg_hi:[0,1]
	v_mov_b32_e32 v26, v33
	v_mov_b32_e32 v19, v28
	v_pk_add_f32 v[36:37], v[32:33], v[18:19] neg_lo:[0,1] neg_hi:[0,1]
	v_mov_b32_e32 v32, v13
	v_mov_b32_e32 v33, v28
	;; [unrolled: 1-line block ×3, first 2 shown]
	v_pk_add_f32 v[26:27], v[26:27], v[32:33] neg_lo:[0,1] neg_hi:[0,1]
	v_mov_b32_e32 v28, v31
	v_mov_b32_e32 v29, v12
	v_pk_add_f32 v[12:13], v[28:29], v[26:27] neg_lo:[0,1] neg_hi:[0,1]
	v_mov_b32_e32 v36, v34
	v_pk_add_f32 v[26:27], v[36:37], v[12:13]
	s_nop 0
	v_mov_b32_e32 v28, v27
	v_pk_add_f32 v[28:29], v[26:27], v[28:29]
	s_nop 0
	v_pk_add_f32 v[30:31], v[24:25], v[28:29]
	v_mov_b32_e32 v13, v28
	v_mov_b32_e32 v27, v30
	v_pk_add_f32 v[32:33], v[26:27], v[34:35] neg_lo:[0,1] neg_hi:[0,1]
	s_nop 0
	v_sub_f32_e32 v19, v26, v32
	v_pk_add_f32 v[12:13], v[12:13], v[32:33] neg_lo:[0,1] neg_hi:[0,1]
	v_sub_f32_e32 v19, v34, v19
	v_add_f32_e32 v12, v12, v19
	v_add_f32_e32 v12, v12, v13
	;; [unrolled: 1-line block ×3, first 2 shown]
	v_cndmask_b32_e32 v94, v12, v21, vcc
.LBB16_83:                              ;   in Loop: Header=BB16_13 Depth=1
	s_or_b64 exec, exec, s[54:55]
	v_lshlrev_b32_e32 v12, 16, v14
	v_readlane_b32 s0, v95, 2
	s_nop 1
	v_add_f32_e32 v62, s0, v12
	v_cmp_ge_f32_e32 vcc, s4, v62
	s_and_b64 s[0:1], s[6:7], vcc
	s_and_saveexec_b64 s[54:55], s[0:1]
	s_cbranch_execz .LBB16_85
; %bb.84:                               ;   in Loop: Header=BB16_13 Depth=1
	v_mul_f32_e32 v12, 0x3fb8aa3b, v62
	v_rndne_f32_e32 v13, v12
	v_sub_f32_e32 v19, v12, v13
	v_fma_f32 v12, v62, s5, -v12
	v_fmac_f32_e32 v12, 0x32a5705f, v62
	v_add_f32_e32 v12, v19, v12
	v_cvt_i32_f32_e32 v13, v13
	v_exp_f32_e32 v12, v12
	v_cmp_ngt_f32_e32 vcc, s8, v62
	v_ldexp_f32 v12, v12, v13
	s_nop 0
	v_cndmask_b32_e32 v12, 0, v12, vcc
	v_cmp_nlt_f32_e32 vcc, s9, v62
	s_nop 1
	v_cndmask_b32_e32 v21, v39, v12, vcc
	v_add_f32_e32 v19, 1.0, v21
	v_add_f32_e32 v12, -1.0, v19
	v_sub_f32_e32 v13, v12, v19
	v_add_f32_e32 v13, 1.0, v13
	v_sub_f32_e32 v12, v21, v12
	v_add_f32_e32 v24, v12, v13
	v_frexp_mant_f32_e32 v26, v19
	v_cvt_f64_f32_e32 v[12:13], v19
	v_frexp_exp_i32_f64_e32 v12, v[12:13]
	v_cmp_gt_f32_e32 vcc, s11, v26
	v_cmp_gt_f32_e64 s[52:53], s57, v21
	s_nop 0
	v_subbrev_co_u32_e32 v32, vcc, 0, v12, vcc
	v_sub_u32_e32 v12, 0, v32
	v_ldexp_f32 v13, v19, v12
	v_add_f32_e32 v19, -1.0, v13
	v_add_f32_e32 v26, 1.0, v13
	v_ldexp_f32 v12, v24, v12
	v_add_f32_e32 v24, 1.0, v19
	v_add_f32_e32 v27, -1.0, v26
	v_sub_f32_e32 v24, v13, v24
	v_sub_f32_e32 v13, v13, v27
	v_add_f32_e32 v24, v12, v24
	v_add_f32_e32 v12, v12, v13
	;; [unrolled: 1-line block ×3, first 2 shown]
	v_rcp_f32_e32 v35, v33
	v_sub_f32_e32 v13, v26, v33
	v_add_f32_e32 v34, v12, v13
	v_add_f32_e32 v13, v19, v24
	v_sub_f32_e32 v12, v19, v13
	v_add_f32_e32 v19, v24, v12
	v_mul_f32_e32 v24, v13, v35
	v_mul_f32_e32 v26, v33, v24
	v_fma_f32 v28, v24, v33, -v26
	v_fmac_f32_e32 v28, v24, v34
	v_add_f32_e32 v12, v26, v28
	v_sub_f32_e32 v27, v13, v12
	v_pk_add_f32 v[30:31], v[12:13], v[26:27] neg_lo:[0,1] neg_hi:[0,1]
	v_mov_b32_e32 v29, v12
	v_pk_add_f32 v[12:13], v[30:31], v[28:29] neg_lo:[0,1] neg_hi:[0,1]
	v_cmp_eq_f32_e32 vcc, s10, v21
	v_add_f32_e32 v13, v19, v13
	v_add_f32_e32 v12, v12, v13
	;; [unrolled: 1-line block ×3, first 2 shown]
	v_mul_f32_e32 v19, v35, v13
	v_mul_f32_e32 v26, v33, v19
	v_fma_f32 v28, v19, v33, -v26
	v_fmac_f32_e32 v28, v19, v34
	v_sub_f32_e32 v27, v27, v13
	v_add_f32_e32 v33, v12, v27
	v_add_f32_e32 v12, v26, v28
	v_sub_f32_e32 v27, v13, v12
	v_pk_add_f32 v[30:31], v[12:13], v[26:27] neg_lo:[0,1] neg_hi:[0,1]
	v_mov_b32_e32 v29, v12
	v_pk_add_f32 v[12:13], v[30:31], v[28:29] neg_lo:[0,1] neg_hi:[0,1]
	scratch_load_dwordx2 v[28:29], off, off offset:168 ; 8-byte Folded Reload
	v_add_f32_e32 v13, v33, v13
	v_add_f32_e32 v12, v12, v13
	;; [unrolled: 1-line block ×4, first 2 shown]
	v_sub_f32_e32 v24, v13, v24
	v_mul_f32_e32 v12, v35, v12
	v_sub_f32_e32 v19, v19, v24
	v_add_f32_e32 v19, v19, v12
	v_add_f32_e32 v24, v13, v19
	v_mul_f32_e32 v26, v24, v24
	v_mov_b32_e32 v12, 0x3ecc95a3
	v_fmamk_f32 v12, v26, 0x3e9b6dac, v12
	s_waitcnt vmcnt(0)
	v_fmaak_f32 v29, v26, v12, 0x3f2aaada
	v_cvt_f32_i32_e32 v12, v32
	v_sub_f32_e32 v13, v24, v13
	v_sub_f32_e32 v13, v19, v13
	v_ldexp_f32 v19, v13, 1
	v_mul_f32_e32 v13, v24, v26
	v_ldexp_f32 v27, v24, 1
	s_or_b64 vcc, s[52:53], vcc
	v_mov_b32_e32 v24, v28
	v_pk_mul_f32 v[28:29], v[12:13], v[28:29]
	scratch_store_dwordx2 off, v[24:25], off offset:168 ; 8-byte Folded Spill
	v_fma_f32 v26, v12, s56, -v28
	v_fmac_f32_e32 v26, 0xb102e308, v12
	v_pk_add_f32 v[12:13], v[28:29], v[26:27]
	v_mov_b32_e32 v30, v28
	v_sub_f32_e32 v24, v13, v27
	v_sub_f32_e32 v24, v29, v24
	v_add_f32_e32 v31, v19, v24
	v_pk_add_f32 v[28:29], v[12:13], v[28:29] neg_lo:[0,1] neg_hi:[0,1]
	v_pk_add_f32 v[32:33], v[12:13], v[30:31]
	v_mov_b32_e32 v27, v12
	v_mov_b32_e32 v29, v33
	v_pk_add_f32 v[34:35], v[26:27], v[28:29] neg_lo:[0,1] neg_hi:[0,1]
	v_pk_add_f32 v[26:27], v[26:27], v[28:29]
	s_nop 0
	v_mov_b32_e32 v24, v27
	v_pk_add_f32 v[28:29], v[24:25], v[12:13] neg_lo:[0,1] neg_hi:[0,1]
	v_mov_b32_e32 v26, v33
	v_mov_b32_e32 v19, v28
	v_pk_add_f32 v[36:37], v[32:33], v[18:19] neg_lo:[0,1] neg_hi:[0,1]
	v_mov_b32_e32 v32, v13
	v_mov_b32_e32 v33, v28
	;; [unrolled: 1-line block ×3, first 2 shown]
	v_pk_add_f32 v[26:27], v[26:27], v[32:33] neg_lo:[0,1] neg_hi:[0,1]
	v_mov_b32_e32 v28, v31
	v_mov_b32_e32 v29, v12
	v_pk_add_f32 v[12:13], v[28:29], v[26:27] neg_lo:[0,1] neg_hi:[0,1]
	v_mov_b32_e32 v36, v34
	v_pk_add_f32 v[26:27], v[36:37], v[12:13]
	s_nop 0
	v_mov_b32_e32 v28, v27
	v_pk_add_f32 v[28:29], v[26:27], v[28:29]
	s_nop 0
	v_pk_add_f32 v[30:31], v[24:25], v[28:29]
	v_mov_b32_e32 v13, v28
	v_mov_b32_e32 v27, v30
	v_pk_add_f32 v[32:33], v[26:27], v[34:35] neg_lo:[0,1] neg_hi:[0,1]
	s_nop 0
	v_sub_f32_e32 v19, v26, v32
	v_pk_add_f32 v[12:13], v[12:13], v[32:33] neg_lo:[0,1] neg_hi:[0,1]
	v_sub_f32_e32 v19, v34, v19
	v_add_f32_e32 v12, v12, v19
	v_add_f32_e32 v12, v12, v13
	;; [unrolled: 1-line block ×3, first 2 shown]
	v_cndmask_b32_e32 v62, v12, v21, vcc
.LBB16_85:                              ;   in Loop: Header=BB16_13 Depth=1
	s_or_b64 exec, exec, s[54:55]
	v_and_b32_e32 v12, 0xffff0000, v14
	v_readlane_b32 s0, v95, 2
	s_nop 1
	v_add_f32_e32 v63, s0, v12
	v_cmp_ge_f32_e32 vcc, s4, v63
	s_and_b64 s[0:1], s[6:7], vcc
	s_and_saveexec_b64 s[54:55], s[0:1]
	s_cbranch_execz .LBB16_87
; %bb.86:                               ;   in Loop: Header=BB16_13 Depth=1
	v_mul_f32_e32 v12, 0x3fb8aa3b, v63
	v_rndne_f32_e32 v13, v12
	v_sub_f32_e32 v14, v12, v13
	v_fma_f32 v12, v63, s5, -v12
	v_fmac_f32_e32 v12, 0x32a5705f, v63
	v_add_f32_e32 v12, v14, v12
	v_cvt_i32_f32_e32 v13, v13
	v_exp_f32_e32 v12, v12
	v_cmp_ngt_f32_e32 vcc, s8, v63
	v_ldexp_f32 v12, v12, v13
	s_nop 0
	v_cndmask_b32_e32 v12, 0, v12, vcc
	v_cmp_nlt_f32_e32 vcc, s9, v63
	s_nop 1
	v_cndmask_b32_e32 v21, v39, v12, vcc
	v_add_f32_e32 v14, 1.0, v21
	v_add_f32_e32 v12, -1.0, v14
	v_sub_f32_e32 v13, v12, v14
	v_add_f32_e32 v13, 1.0, v13
	v_sub_f32_e32 v12, v21, v12
	v_add_f32_e32 v19, v12, v13
	v_frexp_mant_f32_e32 v24, v14
	v_cvt_f64_f32_e32 v[12:13], v14
	v_frexp_exp_i32_f64_e32 v12, v[12:13]
	v_cmp_gt_f32_e32 vcc, s11, v24
	v_cmp_gt_f32_e64 s[52:53], s57, v21
	s_nop 0
	v_subbrev_co_u32_e32 v24, vcc, 0, v12, vcc
	v_sub_u32_e32 v12, 0, v24
	v_ldexp_f32 v13, v14, v12
	v_add_f32_e32 v14, -1.0, v13
	v_add_f32_e32 v26, 1.0, v13
	v_ldexp_f32 v12, v19, v12
	v_add_f32_e32 v19, 1.0, v14
	v_add_f32_e32 v27, -1.0, v26
	v_sub_f32_e32 v19, v13, v19
	v_sub_f32_e32 v13, v13, v27
	v_add_f32_e32 v19, v12, v19
	v_add_f32_e32 v12, v12, v13
	v_add_f32_e32 v32, v26, v12
	v_rcp_f32_e32 v34, v32
	v_sub_f32_e32 v13, v26, v32
	v_add_f32_e32 v33, v12, v13
	v_add_f32_e32 v13, v14, v19
	v_sub_f32_e32 v12, v14, v13
	v_add_f32_e32 v14, v19, v12
	v_mul_f32_e32 v19, v13, v34
	v_mul_f32_e32 v26, v32, v19
	v_fma_f32 v28, v19, v32, -v26
	v_fmac_f32_e32 v28, v19, v33
	v_add_f32_e32 v12, v26, v28
	v_sub_f32_e32 v27, v13, v12
	v_pk_add_f32 v[30:31], v[12:13], v[26:27] neg_lo:[0,1] neg_hi:[0,1]
	v_mov_b32_e32 v29, v12
	v_pk_add_f32 v[12:13], v[30:31], v[28:29] neg_lo:[0,1] neg_hi:[0,1]
	v_cmp_eq_f32_e32 vcc, s10, v21
	v_add_f32_e32 v13, v14, v13
	v_add_f32_e32 v12, v12, v13
	;; [unrolled: 1-line block ×3, first 2 shown]
	v_mul_f32_e32 v14, v34, v13
	v_mul_f32_e32 v26, v32, v14
	v_fma_f32 v28, v14, v32, -v26
	v_fmac_f32_e32 v28, v14, v33
	v_sub_f32_e32 v27, v27, v13
	v_add_f32_e32 v32, v12, v27
	v_add_f32_e32 v12, v26, v28
	v_sub_f32_e32 v27, v13, v12
	v_pk_add_f32 v[30:31], v[12:13], v[26:27] neg_lo:[0,1] neg_hi:[0,1]
	v_mov_b32_e32 v29, v12
	v_pk_add_f32 v[12:13], v[30:31], v[28:29] neg_lo:[0,1] neg_hi:[0,1]
	scratch_load_dwordx2 v[28:29], off, off offset:168 ; 8-byte Folded Reload
	v_add_f32_e32 v13, v32, v13
	v_add_f32_e32 v12, v12, v13
	;; [unrolled: 1-line block ×4, first 2 shown]
	v_sub_f32_e32 v19, v13, v19
	v_mul_f32_e32 v12, v34, v12
	v_sub_f32_e32 v14, v14, v19
	v_add_f32_e32 v14, v14, v12
	v_add_f32_e32 v19, v13, v14
	v_mul_f32_e32 v26, v19, v19
	v_mov_b32_e32 v12, 0x3ecc95a3
	v_fmamk_f32 v12, v26, 0x3e9b6dac, v12
	s_waitcnt vmcnt(0)
	v_fmaak_f32 v29, v26, v12, 0x3f2aaada
	v_cvt_f32_i32_e32 v12, v24
	v_sub_f32_e32 v13, v19, v13
	v_sub_f32_e32 v13, v14, v13
	v_ldexp_f32 v14, v13, 1
	v_mul_f32_e32 v13, v19, v26
	v_ldexp_f32 v27, v19, 1
	s_or_b64 vcc, s[52:53], vcc
	v_mov_b32_e32 v24, v28
	v_pk_mul_f32 v[28:29], v[12:13], v[28:29]
	scratch_store_dwordx2 off, v[24:25], off offset:168 ; 8-byte Folded Spill
	v_fma_f32 v26, v12, s56, -v28
	v_fmac_f32_e32 v26, 0xb102e308, v12
	v_pk_add_f32 v[12:13], v[28:29], v[26:27]
	v_mov_b32_e32 v30, v28
	v_sub_f32_e32 v19, v13, v27
	v_sub_f32_e32 v19, v29, v19
	v_add_f32_e32 v31, v14, v19
	v_pk_add_f32 v[28:29], v[12:13], v[28:29] neg_lo:[0,1] neg_hi:[0,1]
	v_pk_add_f32 v[32:33], v[12:13], v[30:31]
	v_mov_b32_e32 v27, v12
	v_mov_b32_e32 v29, v33
	v_pk_add_f32 v[34:35], v[26:27], v[28:29] neg_lo:[0,1] neg_hi:[0,1]
	v_pk_add_f32 v[26:27], v[26:27], v[28:29]
	s_nop 0
	v_mov_b32_e32 v14, v27
	v_pk_add_f32 v[28:29], v[14:15], v[12:13] neg_lo:[0,1] neg_hi:[0,1]
	v_mov_b32_e32 v26, v33
	v_mov_b32_e32 v19, v28
	v_pk_add_f32 v[36:37], v[32:33], v[18:19] neg_lo:[0,1] neg_hi:[0,1]
	v_mov_b32_e32 v32, v13
	v_mov_b32_e32 v33, v28
	;; [unrolled: 1-line block ×3, first 2 shown]
	v_pk_add_f32 v[26:27], v[26:27], v[32:33] neg_lo:[0,1] neg_hi:[0,1]
	v_mov_b32_e32 v28, v31
	v_mov_b32_e32 v29, v12
	v_pk_add_f32 v[12:13], v[28:29], v[26:27] neg_lo:[0,1] neg_hi:[0,1]
	v_mov_b32_e32 v36, v34
	v_pk_add_f32 v[26:27], v[36:37], v[12:13]
	s_nop 0
	v_mov_b32_e32 v24, v27
	v_pk_add_f32 v[28:29], v[26:27], v[24:25]
	s_nop 0
	v_pk_add_f32 v[30:31], v[14:15], v[28:29]
	v_mov_b32_e32 v13, v28
	v_mov_b32_e32 v27, v30
	v_pk_add_f32 v[32:33], v[26:27], v[34:35] neg_lo:[0,1] neg_hi:[0,1]
	s_nop 0
	v_sub_f32_e32 v14, v26, v32
	v_pk_add_f32 v[12:13], v[12:13], v[32:33] neg_lo:[0,1] neg_hi:[0,1]
	v_sub_f32_e32 v14, v34, v14
	v_add_f32_e32 v12, v12, v14
	v_add_f32_e32 v12, v12, v13
	v_add_f32_e32 v12, v30, v12
	v_cndmask_b32_e32 v63, v12, v21, vcc
.LBB16_87:                              ;   in Loop: Header=BB16_13 Depth=1
	s_or_b64 exec, exec, s[54:55]
	v_lshlrev_b32_e32 v12, 16, v15
	v_readlane_b32 s0, v95, 2
	s_nop 1
	v_add_f32_e32 v64, s0, v12
	v_cmp_ge_f32_e32 vcc, s4, v64
	s_and_b64 s[0:1], s[6:7], vcc
	s_and_saveexec_b64 s[54:55], s[0:1]
	s_cbranch_execz .LBB16_89
; %bb.88:                               ;   in Loop: Header=BB16_13 Depth=1
	v_mul_f32_e32 v12, 0x3fb8aa3b, v64
	v_rndne_f32_e32 v13, v12
	v_sub_f32_e32 v14, v12, v13
	v_fma_f32 v12, v64, s5, -v12
	v_fmac_f32_e32 v12, 0x32a5705f, v64
	v_add_f32_e32 v12, v14, v12
	v_cvt_i32_f32_e32 v13, v13
	v_exp_f32_e32 v12, v12
	v_cmp_ngt_f32_e32 vcc, s8, v64
	v_ldexp_f32 v12, v12, v13
	s_nop 0
	v_cndmask_b32_e32 v12, 0, v12, vcc
	v_cmp_nlt_f32_e32 vcc, s9, v64
	s_nop 1
	v_cndmask_b32_e32 v21, v39, v12, vcc
	v_add_f32_e32 v14, 1.0, v21
	v_add_f32_e32 v12, -1.0, v14
	v_sub_f32_e32 v13, v12, v14
	v_add_f32_e32 v13, 1.0, v13
	v_sub_f32_e32 v12, v21, v12
	v_add_f32_e32 v19, v12, v13
	v_frexp_mant_f32_e32 v24, v14
	v_cvt_f64_f32_e32 v[12:13], v14
	v_frexp_exp_i32_f64_e32 v12, v[12:13]
	v_cmp_gt_f32_e32 vcc, s11, v24
	v_cmp_gt_f32_e64 s[52:53], s57, v21
	s_nop 0
	v_subbrev_co_u32_e32 v24, vcc, 0, v12, vcc
	v_sub_u32_e32 v12, 0, v24
	v_ldexp_f32 v13, v14, v12
	v_add_f32_e32 v14, -1.0, v13
	v_add_f32_e32 v26, 1.0, v13
	v_ldexp_f32 v12, v19, v12
	v_add_f32_e32 v19, 1.0, v14
	v_add_f32_e32 v27, -1.0, v26
	v_sub_f32_e32 v19, v13, v19
	v_sub_f32_e32 v13, v13, v27
	v_add_f32_e32 v19, v12, v19
	v_add_f32_e32 v12, v12, v13
	;; [unrolled: 1-line block ×3, first 2 shown]
	v_rcp_f32_e32 v34, v32
	v_sub_f32_e32 v13, v26, v32
	v_add_f32_e32 v33, v12, v13
	v_add_f32_e32 v13, v14, v19
	v_sub_f32_e32 v12, v14, v13
	v_add_f32_e32 v14, v19, v12
	v_mul_f32_e32 v19, v13, v34
	v_mul_f32_e32 v26, v32, v19
	v_fma_f32 v28, v19, v32, -v26
	v_fmac_f32_e32 v28, v19, v33
	v_add_f32_e32 v12, v26, v28
	v_sub_f32_e32 v27, v13, v12
	v_pk_add_f32 v[30:31], v[12:13], v[26:27] neg_lo:[0,1] neg_hi:[0,1]
	v_mov_b32_e32 v29, v12
	v_pk_add_f32 v[12:13], v[30:31], v[28:29] neg_lo:[0,1] neg_hi:[0,1]
	v_cmp_eq_f32_e32 vcc, s10, v21
	v_add_f32_e32 v13, v14, v13
	v_add_f32_e32 v12, v12, v13
	;; [unrolled: 1-line block ×3, first 2 shown]
	v_mul_f32_e32 v14, v34, v13
	v_mul_f32_e32 v26, v32, v14
	v_fma_f32 v28, v14, v32, -v26
	v_fmac_f32_e32 v28, v14, v33
	v_sub_f32_e32 v27, v27, v13
	v_add_f32_e32 v32, v12, v27
	v_add_f32_e32 v12, v26, v28
	v_sub_f32_e32 v27, v13, v12
	v_pk_add_f32 v[30:31], v[12:13], v[26:27] neg_lo:[0,1] neg_hi:[0,1]
	v_mov_b32_e32 v29, v12
	v_pk_add_f32 v[12:13], v[30:31], v[28:29] neg_lo:[0,1] neg_hi:[0,1]
	scratch_load_dwordx2 v[28:29], off, off offset:168 ; 8-byte Folded Reload
	v_add_f32_e32 v13, v32, v13
	v_add_f32_e32 v12, v12, v13
	v_add_f32_e32 v13, v19, v14
	v_add_f32_e32 v12, v27, v12
	v_sub_f32_e32 v19, v13, v19
	v_mul_f32_e32 v12, v34, v12
	v_sub_f32_e32 v14, v14, v19
	v_add_f32_e32 v14, v14, v12
	v_add_f32_e32 v19, v13, v14
	v_mul_f32_e32 v26, v19, v19
	v_mov_b32_e32 v12, 0x3ecc95a3
	v_fmamk_f32 v12, v26, 0x3e9b6dac, v12
	s_waitcnt vmcnt(0)
	v_fmaak_f32 v29, v26, v12, 0x3f2aaada
	v_cvt_f32_i32_e32 v12, v24
	v_sub_f32_e32 v13, v19, v13
	v_sub_f32_e32 v13, v14, v13
	v_ldexp_f32 v14, v13, 1
	v_mul_f32_e32 v13, v19, v26
	v_ldexp_f32 v27, v19, 1
	s_or_b64 vcc, s[52:53], vcc
	v_mov_b32_e32 v24, v28
	v_pk_mul_f32 v[28:29], v[12:13], v[28:29]
	scratch_store_dwordx2 off, v[24:25], off offset:168 ; 8-byte Folded Spill
	v_fma_f32 v26, v12, s56, -v28
	v_fmac_f32_e32 v26, 0xb102e308, v12
	v_pk_add_f32 v[12:13], v[28:29], v[26:27]
	v_mov_b32_e32 v30, v28
	v_sub_f32_e32 v19, v13, v27
	v_sub_f32_e32 v19, v29, v19
	v_add_f32_e32 v31, v14, v19
	v_pk_add_f32 v[28:29], v[12:13], v[28:29] neg_lo:[0,1] neg_hi:[0,1]
	v_pk_add_f32 v[32:33], v[12:13], v[30:31]
	v_mov_b32_e32 v27, v12
	v_mov_b32_e32 v29, v33
	v_pk_add_f32 v[34:35], v[26:27], v[28:29] neg_lo:[0,1] neg_hi:[0,1]
	v_pk_add_f32 v[26:27], v[26:27], v[28:29]
	s_nop 0
	v_mov_b32_e32 v14, v27
	v_pk_add_f32 v[28:29], v[14:15], v[12:13] neg_lo:[0,1] neg_hi:[0,1]
	v_mov_b32_e32 v26, v33
	v_mov_b32_e32 v19, v28
	v_pk_add_f32 v[36:37], v[32:33], v[18:19] neg_lo:[0,1] neg_hi:[0,1]
	v_mov_b32_e32 v32, v13
	v_mov_b32_e32 v33, v28
	;; [unrolled: 1-line block ×3, first 2 shown]
	v_pk_add_f32 v[26:27], v[26:27], v[32:33] neg_lo:[0,1] neg_hi:[0,1]
	v_mov_b32_e32 v28, v31
	v_mov_b32_e32 v29, v12
	v_pk_add_f32 v[12:13], v[28:29], v[26:27] neg_lo:[0,1] neg_hi:[0,1]
	v_mov_b32_e32 v36, v34
	v_pk_add_f32 v[26:27], v[36:37], v[12:13]
	s_nop 0
	v_mov_b32_e32 v24, v27
	v_pk_add_f32 v[28:29], v[26:27], v[24:25]
	s_nop 0
	v_pk_add_f32 v[30:31], v[14:15], v[28:29]
	v_mov_b32_e32 v13, v28
	v_mov_b32_e32 v27, v30
	v_pk_add_f32 v[32:33], v[26:27], v[34:35] neg_lo:[0,1] neg_hi:[0,1]
	s_nop 0
	v_sub_f32_e32 v14, v26, v32
	v_pk_add_f32 v[12:13], v[12:13], v[32:33] neg_lo:[0,1] neg_hi:[0,1]
	v_sub_f32_e32 v14, v34, v14
	v_add_f32_e32 v12, v12, v14
	v_add_f32_e32 v12, v12, v13
	;; [unrolled: 1-line block ×3, first 2 shown]
	v_cndmask_b32_e32 v64, v12, v21, vcc
.LBB16_89:                              ;   in Loop: Header=BB16_13 Depth=1
	s_or_b64 exec, exec, s[54:55]
	v_and_b32_e32 v12, 0xffff0000, v15
	v_readlane_b32 s0, v95, 2
	s_nop 1
	v_add_f32_e32 v65, s0, v12
	v_cmp_ge_f32_e32 vcc, s4, v65
	s_and_b64 s[0:1], s[6:7], vcc
	s_and_saveexec_b64 s[54:55], s[0:1]
	s_cbranch_execz .LBB16_91
; %bb.90:                               ;   in Loop: Header=BB16_13 Depth=1
	v_mul_f32_e32 v12, 0x3fb8aa3b, v65
	v_rndne_f32_e32 v13, v12
	v_sub_f32_e32 v14, v12, v13
	v_fma_f32 v12, v65, s5, -v12
	v_fmac_f32_e32 v12, 0x32a5705f, v65
	v_add_f32_e32 v12, v14, v12
	v_cvt_i32_f32_e32 v13, v13
	v_exp_f32_e32 v12, v12
	v_cmp_ngt_f32_e32 vcc, s8, v65
	v_ldexp_f32 v12, v12, v13
	s_nop 0
	v_cndmask_b32_e32 v12, 0, v12, vcc
	v_cmp_nlt_f32_e32 vcc, s9, v65
	s_nop 1
	v_cndmask_b32_e32 v21, v39, v12, vcc
	v_add_f32_e32 v14, 1.0, v21
	v_add_f32_e32 v12, -1.0, v14
	v_sub_f32_e32 v13, v12, v14
	v_add_f32_e32 v13, 1.0, v13
	v_sub_f32_e32 v12, v21, v12
	v_add_f32_e32 v15, v12, v13
	v_frexp_mant_f32_e32 v19, v14
	v_cvt_f64_f32_e32 v[12:13], v14
	v_frexp_exp_i32_f64_e32 v12, v[12:13]
	v_cmp_gt_f32_e32 vcc, s11, v19
	v_cmp_gt_f32_e64 s[52:53], s57, v21
	s_nop 0
	v_subbrev_co_u32_e32 v19, vcc, 0, v12, vcc
	v_sub_u32_e32 v12, 0, v19
	v_ldexp_f32 v13, v14, v12
	v_add_f32_e32 v14, -1.0, v13
	v_add_f32_e32 v24, 1.0, v13
	v_ldexp_f32 v12, v15, v12
	v_add_f32_e32 v15, 1.0, v14
	v_add_f32_e32 v26, -1.0, v24
	v_sub_f32_e32 v15, v13, v15
	v_sub_f32_e32 v13, v13, v26
	v_add_f32_e32 v15, v12, v15
	v_add_f32_e32 v12, v12, v13
	;; [unrolled: 1-line block ×3, first 2 shown]
	v_rcp_f32_e32 v31, v30
	v_sub_f32_e32 v13, v24, v30
	v_add_f32_e32 v24, v12, v13
	v_add_f32_e32 v13, v14, v15
	v_mul_f32_e32 v33, v13, v31
	v_sub_f32_e32 v12, v14, v13
	v_mul_f32_e32 v14, v30, v33
	v_fma_f32 v26, v33, v30, -v14
	v_fmac_f32_e32 v26, v33, v24
	v_add_f32_e32 v32, v15, v12
	v_add_f32_e32 v12, v14, v26
	v_sub_f32_e32 v15, v13, v12
	v_pk_add_f32 v[28:29], v[12:13], v[14:15] neg_lo:[0,1] neg_hi:[0,1]
	v_mov_b32_e32 v27, v12
	v_pk_add_f32 v[12:13], v[28:29], v[26:27] neg_lo:[0,1] neg_hi:[0,1]
	v_cmp_eq_f32_e32 vcc, s10, v21
	v_add_f32_e32 v13, v32, v13
	v_add_f32_e32 v12, v12, v13
	;; [unrolled: 1-line block ×3, first 2 shown]
	v_mul_f32_e32 v32, v31, v13
	v_mul_f32_e32 v14, v30, v32
	v_fma_f32 v26, v32, v30, -v14
	v_fmac_f32_e32 v26, v32, v24
	v_sub_f32_e32 v15, v15, v13
	v_add_f32_e32 v24, v12, v15
	v_add_f32_e32 v12, v14, v26
	v_sub_f32_e32 v15, v13, v12
	v_pk_add_f32 v[28:29], v[12:13], v[14:15] neg_lo:[0,1] neg_hi:[0,1]
	v_mov_b32_e32 v27, v12
	v_pk_add_f32 v[12:13], v[28:29], v[26:27] neg_lo:[0,1] neg_hi:[0,1]
	scratch_load_dwordx2 v[28:29], off, off offset:168 ; 8-byte Folded Reload
	v_add_f32_e32 v13, v24, v13
	v_add_f32_e32 v12, v12, v13
	;; [unrolled: 1-line block ×4, first 2 shown]
	v_sub_f32_e32 v14, v13, v33
	v_mul_f32_e32 v12, v31, v12
	v_sub_f32_e32 v14, v32, v14
	v_add_f32_e32 v14, v14, v12
	v_add_f32_e32 v24, v13, v14
	v_mul_f32_e32 v26, v24, v24
	v_mov_b32_e32 v12, 0x3ecc95a3
	v_fmamk_f32 v12, v26, 0x3e9b6dac, v12
	s_waitcnt vmcnt(0)
	v_fmaak_f32 v29, v26, v12, 0x3f2aaada
	v_cvt_f32_i32_e32 v12, v19
	v_sub_f32_e32 v13, v24, v13
	v_sub_f32_e32 v13, v14, v13
	v_ldexp_f32 v19, v13, 1
	v_mul_f32_e32 v13, v24, v26
	v_ldexp_f32 v15, v24, 1
	s_or_b64 vcc, s[52:53], vcc
	v_mov_b32_e32 v14, v28
	v_pk_mul_f32 v[26:27], v[12:13], v[28:29]
	scratch_store_dwordx2 off, v[14:15], off offset:168 ; 8-byte Folded Spill
	v_fma_f32 v14, v12, s56, -v26
	v_fmac_f32_e32 v14, 0xb102e308, v12
	v_pk_add_f32 v[12:13], v[26:27], v[14:15]
	v_mov_b32_e32 v28, v26
	v_sub_f32_e32 v15, v13, v15
	v_sub_f32_e32 v15, v27, v15
	v_add_f32_e32 v29, v19, v15
	v_pk_add_f32 v[26:27], v[12:13], v[26:27] neg_lo:[0,1] neg_hi:[0,1]
	v_pk_add_f32 v[30:31], v[12:13], v[28:29]
	v_mov_b32_e32 v15, v12
	v_mov_b32_e32 v27, v31
	v_pk_add_f32 v[32:33], v[14:15], v[26:27] neg_lo:[0,1] neg_hi:[0,1]
	v_pk_add_f32 v[14:15], v[14:15], v[26:27]
	s_nop 0
	v_mov_b32_e32 v24, v15
	v_pk_add_f32 v[26:27], v[24:25], v[12:13] neg_lo:[0,1] neg_hi:[0,1]
	v_mov_b32_e32 v14, v31
	v_mov_b32_e32 v19, v26
	v_pk_add_f32 v[34:35], v[30:31], v[18:19] neg_lo:[0,1] neg_hi:[0,1]
	v_mov_b32_e32 v30, v13
	v_mov_b32_e32 v31, v26
	;; [unrolled: 1-line block ×3, first 2 shown]
	v_pk_add_f32 v[14:15], v[14:15], v[30:31] neg_lo:[0,1] neg_hi:[0,1]
	v_mov_b32_e32 v26, v29
	v_mov_b32_e32 v27, v12
	v_pk_add_f32 v[12:13], v[26:27], v[14:15] neg_lo:[0,1] neg_hi:[0,1]
	v_mov_b32_e32 v34, v32
	v_pk_add_f32 v[14:15], v[34:35], v[12:13]
	s_nop 0
	v_mov_b32_e32 v26, v15
	v_pk_add_f32 v[26:27], v[14:15], v[26:27]
	s_nop 0
	v_pk_add_f32 v[28:29], v[24:25], v[26:27]
	v_mov_b32_e32 v13, v26
	v_mov_b32_e32 v15, v28
	v_pk_add_f32 v[30:31], v[14:15], v[32:33] neg_lo:[0,1] neg_hi:[0,1]
	s_nop 0
	v_sub_f32_e32 v14, v14, v30
	v_pk_add_f32 v[12:13], v[12:13], v[30:31] neg_lo:[0,1] neg_hi:[0,1]
	v_sub_f32_e32 v14, v32, v14
	v_add_f32_e32 v12, v12, v14
	v_add_f32_e32 v12, v12, v13
	;; [unrolled: 1-line block ×3, first 2 shown]
	v_cndmask_b32_e32 v65, v12, v21, vcc
.LBB16_91:                              ;   in Loop: Header=BB16_13 Depth=1
	s_or_b64 exec, exec, s[54:55]
	s_waitcnt lgkmcnt(0)
	v_lshlrev_b32_e32 v12, 16, v8
	v_readlane_b32 s0, v95, 2
	s_nop 1
	v_add_f32_e32 v66, s0, v12
	v_cmp_ge_f32_e32 vcc, s4, v66
	s_and_b64 s[0:1], s[6:7], vcc
	s_and_saveexec_b64 s[54:55], s[0:1]
	s_cbranch_execz .LBB16_93
; %bb.92:                               ;   in Loop: Header=BB16_13 Depth=1
	v_mul_f32_e32 v12, 0x3fb8aa3b, v66
	v_rndne_f32_e32 v13, v12
	v_sub_f32_e32 v14, v12, v13
	v_fma_f32 v12, v66, s5, -v12
	v_fmac_f32_e32 v12, 0x32a5705f, v66
	v_add_f32_e32 v12, v14, v12
	v_cvt_i32_f32_e32 v13, v13
	v_exp_f32_e32 v12, v12
	v_cmp_ngt_f32_e32 vcc, s8, v66
	v_ldexp_f32 v12, v12, v13
	s_nop 0
	v_cndmask_b32_e32 v12, 0, v12, vcc
	v_cmp_nlt_f32_e32 vcc, s9, v66
	s_nop 1
	v_cndmask_b32_e32 v21, v39, v12, vcc
	v_add_f32_e32 v14, 1.0, v21
	v_add_f32_e32 v12, -1.0, v14
	v_sub_f32_e32 v13, v12, v14
	v_add_f32_e32 v13, 1.0, v13
	v_sub_f32_e32 v12, v21, v12
	v_add_f32_e32 v15, v12, v13
	v_frexp_mant_f32_e32 v19, v14
	v_cvt_f64_f32_e32 v[12:13], v14
	v_frexp_exp_i32_f64_e32 v12, v[12:13]
	v_cmp_gt_f32_e32 vcc, s11, v19
	v_cmp_gt_f32_e64 s[52:53], s57, v21
	s_nop 0
	v_subbrev_co_u32_e32 v19, vcc, 0, v12, vcc
	v_sub_u32_e32 v12, 0, v19
	v_ldexp_f32 v13, v14, v12
	v_add_f32_e32 v14, -1.0, v13
	v_add_f32_e32 v24, 1.0, v13
	v_ldexp_f32 v12, v15, v12
	v_add_f32_e32 v15, 1.0, v14
	v_add_f32_e32 v26, -1.0, v24
	v_sub_f32_e32 v15, v13, v15
	v_sub_f32_e32 v13, v13, v26
	v_add_f32_e32 v15, v12, v15
	v_add_f32_e32 v12, v12, v13
	;; [unrolled: 1-line block ×3, first 2 shown]
	v_rcp_f32_e32 v31, v30
	v_sub_f32_e32 v13, v24, v30
	v_add_f32_e32 v24, v12, v13
	v_add_f32_e32 v13, v14, v15
	v_mul_f32_e32 v33, v13, v31
	v_sub_f32_e32 v12, v14, v13
	v_mul_f32_e32 v14, v30, v33
	v_fma_f32 v26, v33, v30, -v14
	v_fmac_f32_e32 v26, v33, v24
	v_add_f32_e32 v32, v15, v12
	v_add_f32_e32 v12, v14, v26
	v_sub_f32_e32 v15, v13, v12
	v_pk_add_f32 v[28:29], v[12:13], v[14:15] neg_lo:[0,1] neg_hi:[0,1]
	v_mov_b32_e32 v27, v12
	v_pk_add_f32 v[12:13], v[28:29], v[26:27] neg_lo:[0,1] neg_hi:[0,1]
	v_cmp_eq_f32_e32 vcc, s10, v21
	v_add_f32_e32 v13, v32, v13
	v_add_f32_e32 v12, v12, v13
	;; [unrolled: 1-line block ×3, first 2 shown]
	v_mul_f32_e32 v32, v31, v13
	v_mul_f32_e32 v14, v30, v32
	v_fma_f32 v26, v32, v30, -v14
	v_fmac_f32_e32 v26, v32, v24
	v_sub_f32_e32 v15, v15, v13
	v_add_f32_e32 v24, v12, v15
	v_add_f32_e32 v12, v14, v26
	v_sub_f32_e32 v15, v13, v12
	v_pk_add_f32 v[28:29], v[12:13], v[14:15] neg_lo:[0,1] neg_hi:[0,1]
	v_mov_b32_e32 v27, v12
	v_pk_add_f32 v[12:13], v[28:29], v[26:27] neg_lo:[0,1] neg_hi:[0,1]
	scratch_load_dwordx2 v[28:29], off, off offset:168 ; 8-byte Folded Reload
	v_add_f32_e32 v13, v24, v13
	v_add_f32_e32 v12, v12, v13
	;; [unrolled: 1-line block ×4, first 2 shown]
	v_sub_f32_e32 v14, v13, v33
	v_mul_f32_e32 v12, v31, v12
	v_sub_f32_e32 v14, v32, v14
	v_add_f32_e32 v14, v14, v12
	v_add_f32_e32 v24, v13, v14
	v_mul_f32_e32 v26, v24, v24
	v_mov_b32_e32 v12, 0x3ecc95a3
	v_fmamk_f32 v12, v26, 0x3e9b6dac, v12
	s_waitcnt vmcnt(0)
	v_fmaak_f32 v29, v26, v12, 0x3f2aaada
	v_cvt_f32_i32_e32 v12, v19
	v_sub_f32_e32 v13, v24, v13
	v_sub_f32_e32 v13, v14, v13
	v_ldexp_f32 v19, v13, 1
	v_mul_f32_e32 v13, v24, v26
	v_ldexp_f32 v15, v24, 1
	s_or_b64 vcc, s[52:53], vcc
	v_mov_b32_e32 v14, v28
	v_pk_mul_f32 v[26:27], v[12:13], v[28:29]
	scratch_store_dwordx2 off, v[14:15], off offset:168 ; 8-byte Folded Spill
	v_fma_f32 v14, v12, s56, -v26
	v_fmac_f32_e32 v14, 0xb102e308, v12
	v_pk_add_f32 v[12:13], v[26:27], v[14:15]
	v_mov_b32_e32 v28, v26
	v_sub_f32_e32 v15, v13, v15
	v_sub_f32_e32 v15, v27, v15
	v_add_f32_e32 v29, v19, v15
	v_pk_add_f32 v[26:27], v[12:13], v[26:27] neg_lo:[0,1] neg_hi:[0,1]
	v_pk_add_f32 v[30:31], v[12:13], v[28:29]
	v_mov_b32_e32 v15, v12
	v_mov_b32_e32 v27, v31
	v_pk_add_f32 v[32:33], v[14:15], v[26:27] neg_lo:[0,1] neg_hi:[0,1]
	v_pk_add_f32 v[14:15], v[14:15], v[26:27]
	s_nop 0
	v_mov_b32_e32 v24, v15
	v_pk_add_f32 v[26:27], v[24:25], v[12:13] neg_lo:[0,1] neg_hi:[0,1]
	v_mov_b32_e32 v14, v31
	v_mov_b32_e32 v19, v26
	v_pk_add_f32 v[34:35], v[30:31], v[18:19] neg_lo:[0,1] neg_hi:[0,1]
	v_mov_b32_e32 v30, v13
	v_mov_b32_e32 v31, v26
	;; [unrolled: 1-line block ×3, first 2 shown]
	v_pk_add_f32 v[14:15], v[14:15], v[30:31] neg_lo:[0,1] neg_hi:[0,1]
	v_mov_b32_e32 v26, v29
	v_mov_b32_e32 v27, v12
	v_pk_add_f32 v[12:13], v[26:27], v[14:15] neg_lo:[0,1] neg_hi:[0,1]
	v_mov_b32_e32 v34, v32
	v_pk_add_f32 v[14:15], v[34:35], v[12:13]
	s_nop 0
	v_mov_b32_e32 v26, v15
	v_pk_add_f32 v[26:27], v[14:15], v[26:27]
	s_nop 0
	v_pk_add_f32 v[28:29], v[24:25], v[26:27]
	v_mov_b32_e32 v13, v26
	v_mov_b32_e32 v15, v28
	v_pk_add_f32 v[30:31], v[14:15], v[32:33] neg_lo:[0,1] neg_hi:[0,1]
	s_nop 0
	v_sub_f32_e32 v14, v14, v30
	v_pk_add_f32 v[12:13], v[12:13], v[30:31] neg_lo:[0,1] neg_hi:[0,1]
	v_sub_f32_e32 v14, v32, v14
	v_add_f32_e32 v12, v12, v14
	v_add_f32_e32 v12, v12, v13
	v_add_f32_e32 v12, v28, v12
	v_cndmask_b32_e32 v66, v12, v21, vcc
.LBB16_93:                              ;   in Loop: Header=BB16_13 Depth=1
	s_or_b64 exec, exec, s[54:55]
	v_and_b32_e32 v8, 0xffff0000, v8
	v_readlane_b32 s0, v95, 2
	s_nop 1
	v_add_f32_e32 v67, s0, v8
	v_cmp_ge_f32_e32 vcc, s4, v67
	s_and_b64 s[0:1], s[6:7], vcc
	s_and_saveexec_b64 s[54:55], s[0:1]
	s_cbranch_execz .LBB16_95
; %bb.94:                               ;   in Loop: Header=BB16_13 Depth=1
	v_mul_f32_e32 v8, 0x3fb8aa3b, v67
	v_rndne_f32_e32 v12, v8
	v_sub_f32_e32 v13, v8, v12
	v_fma_f32 v8, v67, s5, -v8
	v_fmac_f32_e32 v8, 0x32a5705f, v67
	v_add_f32_e32 v8, v13, v8
	v_cvt_i32_f32_e32 v12, v12
	v_exp_f32_e32 v8, v8
	v_cmp_ngt_f32_e32 vcc, s8, v67
	v_ldexp_f32 v8, v8, v12
	s_nop 0
	v_cndmask_b32_e32 v8, 0, v8, vcc
	v_cmp_nlt_f32_e32 vcc, s9, v67
	s_nop 1
	v_cndmask_b32_e32 v21, v39, v8, vcc
	v_add_f32_e32 v8, 1.0, v21
	v_add_f32_e32 v12, -1.0, v8
	v_sub_f32_e32 v13, v12, v8
	v_add_f32_e32 v13, 1.0, v13
	v_sub_f32_e32 v12, v21, v12
	v_add_f32_e32 v14, v12, v13
	v_frexp_mant_f32_e32 v15, v8
	v_cvt_f64_f32_e32 v[12:13], v8
	v_frexp_exp_i32_f64_e32 v12, v[12:13]
	v_cmp_gt_f32_e32 vcc, s11, v15
	v_cmp_gt_f32_e64 s[52:53], s57, v21
	s_nop 0
	v_subbrev_co_u32_e32 v19, vcc, 0, v12, vcc
	v_sub_u32_e32 v12, 0, v19
	v_ldexp_f32 v8, v8, v12
	v_ldexp_f32 v12, v14, v12
	v_add_f32_e32 v14, -1.0, v8
	v_add_f32_e32 v13, 1.0, v14
	v_sub_f32_e32 v13, v8, v13
	v_add_f32_e32 v15, v12, v13
	v_add_f32_e32 v13, 1.0, v8
	v_add_f32_e32 v24, -1.0, v13
	v_sub_f32_e32 v8, v8, v24
	v_add_f32_e32 v8, v12, v8
	v_add_f32_e32 v24, v13, v8
	v_rcp_f32_e32 v30, v24
	v_sub_f32_e32 v12, v13, v24
	v_add_f32_e32 v13, v14, v15
	v_add_f32_e32 v8, v8, v12
	v_mul_f32_e32 v32, v13, v30
	v_sub_f32_e32 v12, v14, v13
	v_mul_f32_e32 v14, v24, v32
	v_fma_f32 v26, v32, v24, -v14
	v_fmac_f32_e32 v26, v32, v8
	v_add_f32_e32 v31, v15, v12
	v_add_f32_e32 v12, v14, v26
	v_sub_f32_e32 v15, v13, v12
	v_pk_add_f32 v[28:29], v[12:13], v[14:15] neg_lo:[0,1] neg_hi:[0,1]
	v_mov_b32_e32 v27, v12
	v_pk_add_f32 v[12:13], v[28:29], v[26:27] neg_lo:[0,1] neg_hi:[0,1]
	v_cmp_eq_f32_e32 vcc, s10, v21
	v_add_f32_e32 v13, v31, v13
	v_add_f32_e32 v12, v12, v13
	;; [unrolled: 1-line block ×3, first 2 shown]
	v_mul_f32_e32 v31, v30, v13
	v_mul_f32_e32 v14, v24, v31
	v_fma_f32 v26, v31, v24, -v14
	v_fmac_f32_e32 v26, v31, v8
	v_sub_f32_e32 v8, v15, v13
	v_add_f32_e32 v8, v12, v8
	v_add_f32_e32 v12, v14, v26
	v_sub_f32_e32 v15, v13, v12
	v_pk_add_f32 v[28:29], v[12:13], v[14:15] neg_lo:[0,1] neg_hi:[0,1]
	v_mov_b32_e32 v27, v12
	v_pk_add_f32 v[12:13], v[28:29], v[26:27] neg_lo:[0,1] neg_hi:[0,1]
	scratch_load_dwordx2 v[26:27], off, off offset:168 ; 8-byte Folded Reload
	v_add_f32_e32 v8, v8, v13
	v_add_f32_e32 v8, v12, v8
	;; [unrolled: 1-line block ×4, first 2 shown]
	v_sub_f32_e32 v12, v13, v32
	v_mul_f32_e32 v8, v30, v8
	v_sub_f32_e32 v12, v31, v12
	v_add_f32_e32 v8, v12, v8
	v_add_f32_e32 v14, v13, v8
	v_mul_f32_e32 v24, v14, v14
	v_mov_b32_e32 v12, 0x3ecc95a3
	v_fmamk_f32 v12, v24, 0x3e9b6dac, v12
	s_waitcnt vmcnt(0)
	v_fmaak_f32 v27, v24, v12, 0x3f2aaada
	v_cvt_f32_i32_e32 v12, v19
	v_sub_f32_e32 v13, v14, v13
	v_sub_f32_e32 v8, v8, v13
	v_mul_f32_e32 v13, v14, v24
	v_ldexp_f32 v15, v14, 1
	v_ldexp_f32 v8, v8, 1
	s_or_b64 vcc, s[52:53], vcc
	v_mov_b32_e32 v14, v26
	v_pk_mul_f32 v[26:27], v[12:13], v[26:27]
	scratch_store_dwordx2 off, v[14:15], off offset:168 ; 8-byte Folded Spill
	v_fma_f32 v14, v12, s56, -v26
	v_fmac_f32_e32 v14, 0xb102e308, v12
	v_pk_add_f32 v[12:13], v[26:27], v[14:15]
	v_mov_b32_e32 v28, v26
	v_sub_f32_e32 v15, v13, v15
	v_sub_f32_e32 v15, v27, v15
	v_add_f32_e32 v29, v8, v15
	v_pk_add_f32 v[26:27], v[12:13], v[26:27] neg_lo:[0,1] neg_hi:[0,1]
	v_pk_add_f32 v[30:31], v[12:13], v[28:29]
	v_mov_b32_e32 v15, v12
	v_mov_b32_e32 v27, v31
	v_pk_add_f32 v[32:33], v[14:15], v[26:27] neg_lo:[0,1] neg_hi:[0,1]
	v_pk_add_f32 v[14:15], v[14:15], v[26:27]
	s_nop 0
	v_mov_b32_e32 v8, v15
	v_pk_add_f32 v[26:27], v[8:9], v[12:13] neg_lo:[0,1] neg_hi:[0,1]
	v_mov_b32_e32 v14, v31
	v_mov_b32_e32 v19, v26
	v_pk_add_f32 v[34:35], v[30:31], v[18:19] neg_lo:[0,1] neg_hi:[0,1]
	v_mov_b32_e32 v30, v13
	v_mov_b32_e32 v31, v26
	;; [unrolled: 1-line block ×3, first 2 shown]
	v_pk_add_f32 v[14:15], v[14:15], v[30:31] neg_lo:[0,1] neg_hi:[0,1]
	v_mov_b32_e32 v26, v29
	v_mov_b32_e32 v27, v12
	v_pk_add_f32 v[12:13], v[26:27], v[14:15] neg_lo:[0,1] neg_hi:[0,1]
	v_mov_b32_e32 v34, v32
	v_pk_add_f32 v[14:15], v[34:35], v[12:13]
	s_nop 0
	v_mov_b32_e32 v24, v15
	v_pk_add_f32 v[26:27], v[14:15], v[24:25]
	s_nop 0
	v_pk_add_f32 v[28:29], v[8:9], v[26:27]
	v_mov_b32_e32 v13, v26
	v_mov_b32_e32 v15, v28
	v_pk_add_f32 v[30:31], v[14:15], v[32:33] neg_lo:[0,1] neg_hi:[0,1]
	s_nop 0
	v_sub_f32_e32 v8, v14, v30
	v_pk_add_f32 v[12:13], v[12:13], v[30:31] neg_lo:[0,1] neg_hi:[0,1]
	v_sub_f32_e32 v8, v32, v8
	v_add_f32_e32 v8, v12, v8
	v_add_f32_e32 v8, v8, v13
	;; [unrolled: 1-line block ×3, first 2 shown]
	v_cndmask_b32_e32 v67, v8, v21, vcc
.LBB16_95:                              ;   in Loop: Header=BB16_13 Depth=1
	s_or_b64 exec, exec, s[54:55]
	v_lshlrev_b32_e32 v8, 16, v9
	v_readlane_b32 s0, v95, 2
	s_nop 1
	v_add_f32_e32 v68, s0, v8
	v_cmp_ge_f32_e32 vcc, s4, v68
	s_and_b64 s[0:1], s[6:7], vcc
	s_and_saveexec_b64 s[54:55], s[0:1]
	s_cbranch_execz .LBB16_97
; %bb.96:                               ;   in Loop: Header=BB16_13 Depth=1
	v_mul_f32_e32 v8, 0x3fb8aa3b, v68
	v_rndne_f32_e32 v12, v8
	v_sub_f32_e32 v13, v8, v12
	v_fma_f32 v8, v68, s5, -v8
	v_fmac_f32_e32 v8, 0x32a5705f, v68
	v_add_f32_e32 v8, v13, v8
	v_cvt_i32_f32_e32 v12, v12
	v_exp_f32_e32 v8, v8
	v_cmp_ngt_f32_e32 vcc, s8, v68
	v_ldexp_f32 v8, v8, v12
	s_nop 0
	v_cndmask_b32_e32 v8, 0, v8, vcc
	v_cmp_nlt_f32_e32 vcc, s9, v68
	s_nop 1
	v_cndmask_b32_e32 v21, v39, v8, vcc
	v_add_f32_e32 v8, 1.0, v21
	v_add_f32_e32 v12, -1.0, v8
	v_sub_f32_e32 v13, v12, v8
	v_add_f32_e32 v13, 1.0, v13
	v_sub_f32_e32 v12, v21, v12
	v_add_f32_e32 v14, v12, v13
	v_frexp_mant_f32_e32 v15, v8
	v_cvt_f64_f32_e32 v[12:13], v8
	v_frexp_exp_i32_f64_e32 v12, v[12:13]
	v_cmp_gt_f32_e32 vcc, s11, v15
	v_cmp_gt_f32_e64 s[52:53], s57, v21
	s_nop 0
	v_subbrev_co_u32_e32 v19, vcc, 0, v12, vcc
	v_sub_u32_e32 v12, 0, v19
	v_ldexp_f32 v8, v8, v12
	v_ldexp_f32 v12, v14, v12
	v_add_f32_e32 v14, -1.0, v8
	v_add_f32_e32 v13, 1.0, v14
	v_sub_f32_e32 v13, v8, v13
	v_add_f32_e32 v15, v12, v13
	v_add_f32_e32 v13, 1.0, v8
	v_add_f32_e32 v24, -1.0, v13
	v_sub_f32_e32 v8, v8, v24
	v_add_f32_e32 v8, v12, v8
	v_add_f32_e32 v24, v13, v8
	v_rcp_f32_e32 v30, v24
	v_sub_f32_e32 v12, v13, v24
	v_add_f32_e32 v13, v14, v15
	v_add_f32_e32 v8, v8, v12
	v_mul_f32_e32 v32, v13, v30
	v_sub_f32_e32 v12, v14, v13
	v_mul_f32_e32 v14, v24, v32
	v_fma_f32 v26, v32, v24, -v14
	v_fmac_f32_e32 v26, v32, v8
	v_add_f32_e32 v31, v15, v12
	v_add_f32_e32 v12, v14, v26
	v_sub_f32_e32 v15, v13, v12
	v_pk_add_f32 v[28:29], v[12:13], v[14:15] neg_lo:[0,1] neg_hi:[0,1]
	v_mov_b32_e32 v27, v12
	v_pk_add_f32 v[12:13], v[28:29], v[26:27] neg_lo:[0,1] neg_hi:[0,1]
	v_cmp_eq_f32_e32 vcc, s10, v21
	v_add_f32_e32 v13, v31, v13
	v_add_f32_e32 v12, v12, v13
	v_add_f32_e32 v13, v15, v12
	v_mul_f32_e32 v31, v30, v13
	v_mul_f32_e32 v14, v24, v31
	v_fma_f32 v26, v31, v24, -v14
	v_fmac_f32_e32 v26, v31, v8
	v_sub_f32_e32 v8, v15, v13
	v_add_f32_e32 v8, v12, v8
	v_add_f32_e32 v12, v14, v26
	v_sub_f32_e32 v15, v13, v12
	v_pk_add_f32 v[28:29], v[12:13], v[14:15] neg_lo:[0,1] neg_hi:[0,1]
	v_mov_b32_e32 v27, v12
	v_pk_add_f32 v[12:13], v[28:29], v[26:27] neg_lo:[0,1] neg_hi:[0,1]
	scratch_load_dwordx2 v[26:27], off, off offset:168 ; 8-byte Folded Reload
	v_add_f32_e32 v8, v8, v13
	v_add_f32_e32 v8, v12, v8
	;; [unrolled: 1-line block ×4, first 2 shown]
	v_sub_f32_e32 v12, v13, v32
	v_mul_f32_e32 v8, v30, v8
	v_sub_f32_e32 v12, v31, v12
	v_add_f32_e32 v8, v12, v8
	v_add_f32_e32 v14, v13, v8
	v_mul_f32_e32 v24, v14, v14
	v_mov_b32_e32 v12, 0x3ecc95a3
	v_fmamk_f32 v12, v24, 0x3e9b6dac, v12
	s_waitcnt vmcnt(0)
	v_fmaak_f32 v27, v24, v12, 0x3f2aaada
	v_cvt_f32_i32_e32 v12, v19
	v_sub_f32_e32 v13, v14, v13
	v_sub_f32_e32 v8, v8, v13
	v_mul_f32_e32 v13, v14, v24
	v_ldexp_f32 v15, v14, 1
	v_ldexp_f32 v8, v8, 1
	s_or_b64 vcc, s[52:53], vcc
	v_mov_b32_e32 v14, v26
	v_pk_mul_f32 v[26:27], v[12:13], v[26:27]
	scratch_store_dwordx2 off, v[14:15], off offset:168 ; 8-byte Folded Spill
	v_fma_f32 v14, v12, s56, -v26
	v_fmac_f32_e32 v14, 0xb102e308, v12
	v_pk_add_f32 v[12:13], v[26:27], v[14:15]
	v_mov_b32_e32 v28, v26
	v_sub_f32_e32 v15, v13, v15
	v_sub_f32_e32 v15, v27, v15
	v_add_f32_e32 v29, v8, v15
	v_pk_add_f32 v[26:27], v[12:13], v[26:27] neg_lo:[0,1] neg_hi:[0,1]
	v_pk_add_f32 v[30:31], v[12:13], v[28:29]
	v_mov_b32_e32 v15, v12
	v_mov_b32_e32 v27, v31
	v_pk_add_f32 v[32:33], v[14:15], v[26:27] neg_lo:[0,1] neg_hi:[0,1]
	v_pk_add_f32 v[14:15], v[14:15], v[26:27]
	s_nop 0
	v_mov_b32_e32 v8, v15
	v_pk_add_f32 v[26:27], v[8:9], v[12:13] neg_lo:[0,1] neg_hi:[0,1]
	v_mov_b32_e32 v14, v31
	v_mov_b32_e32 v19, v26
	v_pk_add_f32 v[34:35], v[30:31], v[18:19] neg_lo:[0,1] neg_hi:[0,1]
	v_mov_b32_e32 v30, v13
	v_mov_b32_e32 v31, v26
	;; [unrolled: 1-line block ×3, first 2 shown]
	v_pk_add_f32 v[14:15], v[14:15], v[30:31] neg_lo:[0,1] neg_hi:[0,1]
	v_mov_b32_e32 v26, v29
	v_mov_b32_e32 v27, v12
	v_pk_add_f32 v[12:13], v[26:27], v[14:15] neg_lo:[0,1] neg_hi:[0,1]
	v_mov_b32_e32 v34, v32
	v_pk_add_f32 v[14:15], v[34:35], v[12:13]
	s_nop 0
	v_mov_b32_e32 v24, v15
	v_pk_add_f32 v[26:27], v[14:15], v[24:25]
	s_nop 0
	v_pk_add_f32 v[28:29], v[8:9], v[26:27]
	v_mov_b32_e32 v13, v26
	v_mov_b32_e32 v15, v28
	v_pk_add_f32 v[30:31], v[14:15], v[32:33] neg_lo:[0,1] neg_hi:[0,1]
	s_nop 0
	v_sub_f32_e32 v8, v14, v30
	v_pk_add_f32 v[12:13], v[12:13], v[30:31] neg_lo:[0,1] neg_hi:[0,1]
	v_sub_f32_e32 v8, v32, v8
	v_add_f32_e32 v8, v12, v8
	v_add_f32_e32 v8, v8, v13
	;; [unrolled: 1-line block ×3, first 2 shown]
	v_cndmask_b32_e32 v68, v8, v21, vcc
.LBB16_97:                              ;   in Loop: Header=BB16_13 Depth=1
	s_or_b64 exec, exec, s[54:55]
	v_and_b32_e32 v8, 0xffff0000, v9
	v_readlane_b32 s0, v95, 2
	s_nop 1
	v_add_f32_e32 v69, s0, v8
	v_cmp_ge_f32_e32 vcc, s4, v69
	s_and_b64 s[0:1], s[6:7], vcc
	s_and_saveexec_b64 s[54:55], s[0:1]
	s_cbranch_execz .LBB16_99
; %bb.98:                               ;   in Loop: Header=BB16_13 Depth=1
	v_mul_f32_e32 v8, 0x3fb8aa3b, v69
	v_rndne_f32_e32 v9, v8
	v_sub_f32_e32 v12, v8, v9
	v_fma_f32 v8, v69, s5, -v8
	v_fmac_f32_e32 v8, 0x32a5705f, v69
	v_add_f32_e32 v8, v12, v8
	v_cvt_i32_f32_e32 v9, v9
	v_exp_f32_e32 v8, v8
	v_cmp_ngt_f32_e32 vcc, s8, v69
	v_ldexp_f32 v8, v8, v9
	s_nop 0
	v_cndmask_b32_e32 v8, 0, v8, vcc
	v_cmp_nlt_f32_e32 vcc, s9, v69
	s_nop 1
	v_cndmask_b32_e32 v19, v39, v8, vcc
	v_add_f32_e32 v12, 1.0, v19
	v_add_f32_e32 v8, -1.0, v12
	v_sub_f32_e32 v9, v8, v12
	v_add_f32_e32 v9, 1.0, v9
	v_sub_f32_e32 v8, v19, v8
	v_add_f32_e32 v13, v8, v9
	v_frexp_mant_f32_e32 v14, v12
	v_cvt_f64_f32_e32 v[8:9], v12
	v_frexp_exp_i32_f64_e32 v8, v[8:9]
	v_cmp_gt_f32_e32 vcc, s11, v14
	v_cmp_gt_f32_e64 s[52:53], s57, v19
	s_nop 0
	v_subbrev_co_u32_e32 v21, vcc, 0, v8, vcc
	v_sub_u32_e32 v8, 0, v21
	v_ldexp_f32 v9, v12, v8
	v_add_f32_e32 v12, -1.0, v9
	v_add_f32_e32 v14, 1.0, v9
	v_ldexp_f32 v8, v13, v8
	v_add_f32_e32 v13, 1.0, v12
	v_add_f32_e32 v15, -1.0, v14
	v_sub_f32_e32 v13, v9, v13
	v_sub_f32_e32 v9, v9, v15
	v_add_f32_e32 v13, v8, v13
	v_add_f32_e32 v8, v8, v9
	;; [unrolled: 1-line block ×3, first 2 shown]
	v_rcp_f32_e32 v29, v24
	v_sub_f32_e32 v9, v14, v24
	v_add_f32_e32 v28, v8, v9
	v_add_f32_e32 v9, v12, v13
	v_mul_f32_e32 v31, v9, v29
	v_sub_f32_e32 v8, v12, v9
	v_mul_f32_e32 v12, v24, v31
	v_fma_f32 v14, v31, v24, -v12
	v_fmac_f32_e32 v14, v31, v28
	v_add_f32_e32 v30, v13, v8
	v_add_f32_e32 v8, v12, v14
	v_sub_f32_e32 v13, v9, v8
	v_pk_add_f32 v[26:27], v[8:9], v[12:13] neg_lo:[0,1] neg_hi:[0,1]
	v_mov_b32_e32 v15, v8
	v_pk_add_f32 v[8:9], v[26:27], v[14:15] neg_lo:[0,1] neg_hi:[0,1]
	v_cmp_eq_f32_e32 vcc, s10, v19
	v_add_f32_e32 v9, v30, v9
	v_add_f32_e32 v8, v8, v9
	;; [unrolled: 1-line block ×3, first 2 shown]
	v_mul_f32_e32 v30, v29, v9
	v_mul_f32_e32 v12, v24, v30
	v_fma_f32 v14, v30, v24, -v12
	v_fmac_f32_e32 v14, v30, v28
	v_sub_f32_e32 v13, v13, v9
	v_add_f32_e32 v24, v8, v13
	v_add_f32_e32 v8, v12, v14
	v_sub_f32_e32 v13, v9, v8
	v_pk_add_f32 v[26:27], v[8:9], v[12:13] neg_lo:[0,1] neg_hi:[0,1]
	v_mov_b32_e32 v15, v8
	v_pk_add_f32 v[8:9], v[26:27], v[14:15] neg_lo:[0,1] neg_hi:[0,1]
	scratch_load_dwordx2 v[26:27], off, off offset:168 ; 8-byte Folded Reload
	v_add_f32_e32 v9, v24, v9
	v_add_f32_e32 v8, v8, v9
	;; [unrolled: 1-line block ×4, first 2 shown]
	v_sub_f32_e32 v12, v9, v31
	v_mul_f32_e32 v8, v29, v8
	v_sub_f32_e32 v12, v30, v12
	v_add_f32_e32 v12, v12, v8
	v_add_f32_e32 v14, v9, v12
	v_mul_f32_e32 v15, v14, v14
	v_mov_b32_e32 v8, 0x3ecc95a3
	v_fmamk_f32 v8, v15, 0x3e9b6dac, v8
	s_waitcnt vmcnt(0)
	v_fmaak_f32 v27, v15, v8, 0x3f2aaada
	v_cvt_f32_i32_e32 v8, v21
	v_sub_f32_e32 v9, v14, v9
	v_sub_f32_e32 v9, v12, v9
	v_ldexp_f32 v21, v9, 1
	v_mul_f32_e32 v9, v14, v15
	v_ldexp_f32 v13, v14, 1
	s_or_b64 vcc, s[52:53], vcc
	v_mov_b32_e32 v12, v26
	v_pk_mul_f32 v[14:15], v[8:9], v[26:27]
	scratch_store_dwordx2 off, v[12:13], off offset:168 ; 8-byte Folded Spill
	v_fma_f32 v12, v8, s56, -v14
	v_fmac_f32_e32 v12, 0xb102e308, v8
	v_pk_add_f32 v[8:9], v[14:15], v[12:13]
	v_mov_b32_e32 v26, v14
	v_sub_f32_e32 v13, v9, v13
	v_sub_f32_e32 v13, v15, v13
	v_add_f32_e32 v27, v21, v13
	v_pk_add_f32 v[14:15], v[8:9], v[14:15] neg_lo:[0,1] neg_hi:[0,1]
	v_pk_add_f32 v[28:29], v[8:9], v[26:27]
	v_mov_b32_e32 v13, v8
	v_mov_b32_e32 v15, v29
	v_pk_add_f32 v[30:31], v[12:13], v[14:15] neg_lo:[0,1] neg_hi:[0,1]
	v_pk_add_f32 v[12:13], v[12:13], v[14:15]
	v_mov_b32_e32 v26, v27
	v_mov_b32_e32 v14, v13
	v_pk_add_f32 v[32:33], v[14:15], v[8:9] neg_lo:[0,1] neg_hi:[0,1]
	v_mov_b32_e32 v12, v29
	v_mov_b32_e32 v15, v32
	v_pk_add_f32 v[34:35], v[28:29], v[14:15] neg_lo:[0,1] neg_hi:[0,1]
	v_mov_b32_e32 v28, v9
	v_mov_b32_e32 v29, v32
	;; [unrolled: 1-line block ×3, first 2 shown]
	v_pk_add_f32 v[12:13], v[12:13], v[28:29] neg_lo:[0,1] neg_hi:[0,1]
	v_mov_b32_e32 v27, v8
	v_pk_add_f32 v[8:9], v[26:27], v[12:13] neg_lo:[0,1] neg_hi:[0,1]
	v_mov_b32_e32 v34, v30
	v_pk_add_f32 v[12:13], v[34:35], v[8:9]
	s_nop 0
	v_mov_b32_e32 v24, v13
	v_pk_add_f32 v[26:27], v[12:13], v[24:25]
	s_nop 0
	v_pk_add_f32 v[14:15], v[14:15], v[26:27]
	v_mov_b32_e32 v9, v26
	v_mov_b32_e32 v13, v14
	v_pk_add_f32 v[28:29], v[12:13], v[30:31] neg_lo:[0,1] neg_hi:[0,1]
	s_nop 0
	v_sub_f32_e32 v12, v12, v28
	v_pk_add_f32 v[8:9], v[8:9], v[28:29] neg_lo:[0,1] neg_hi:[0,1]
	v_sub_f32_e32 v12, v30, v12
	v_add_f32_e32 v8, v8, v12
	v_add_f32_e32 v8, v8, v9
	;; [unrolled: 1-line block ×3, first 2 shown]
	v_cndmask_b32_e32 v69, v8, v19, vcc
.LBB16_99:                              ;   in Loop: Header=BB16_13 Depth=1
	s_or_b64 exec, exec, s[54:55]
	v_lshlrev_b32_e32 v8, 16, v10
	v_readlane_b32 s0, v95, 2
	s_nop 1
	v_add_f32_e32 v70, s0, v8
	v_cmp_ge_f32_e32 vcc, s4, v70
	s_and_b64 s[0:1], s[6:7], vcc
	s_and_saveexec_b64 s[54:55], s[0:1]
	s_cbranch_execz .LBB16_101
; %bb.100:                              ;   in Loop: Header=BB16_13 Depth=1
	v_mul_f32_e32 v8, 0x3fb8aa3b, v70
	v_rndne_f32_e32 v9, v8
	v_sub_f32_e32 v12, v8, v9
	v_fma_f32 v8, v70, s5, -v8
	v_fmac_f32_e32 v8, 0x32a5705f, v70
	v_add_f32_e32 v8, v12, v8
	v_cvt_i32_f32_e32 v9, v9
	v_exp_f32_e32 v8, v8
	v_cmp_ngt_f32_e32 vcc, s8, v70
	v_ldexp_f32 v8, v8, v9
	s_nop 0
	v_cndmask_b32_e32 v8, 0, v8, vcc
	v_cmp_nlt_f32_e32 vcc, s9, v70
	s_nop 1
	v_cndmask_b32_e32 v19, v39, v8, vcc
	v_add_f32_e32 v12, 1.0, v19
	v_add_f32_e32 v8, -1.0, v12
	v_sub_f32_e32 v9, v8, v12
	v_add_f32_e32 v9, 1.0, v9
	v_sub_f32_e32 v8, v19, v8
	v_add_f32_e32 v13, v8, v9
	v_frexp_mant_f32_e32 v14, v12
	v_cvt_f64_f32_e32 v[8:9], v12
	v_frexp_exp_i32_f64_e32 v8, v[8:9]
	v_cmp_gt_f32_e32 vcc, s11, v14
	v_cmp_gt_f32_e64 s[52:53], s57, v19
	s_nop 0
	v_subbrev_co_u32_e32 v21, vcc, 0, v8, vcc
	v_sub_u32_e32 v8, 0, v21
	v_ldexp_f32 v9, v12, v8
	v_add_f32_e32 v12, -1.0, v9
	v_add_f32_e32 v14, 1.0, v9
	v_ldexp_f32 v8, v13, v8
	v_add_f32_e32 v13, 1.0, v12
	v_add_f32_e32 v15, -1.0, v14
	v_sub_f32_e32 v13, v9, v13
	v_sub_f32_e32 v9, v9, v15
	v_add_f32_e32 v13, v8, v13
	v_add_f32_e32 v8, v8, v9
	;; [unrolled: 1-line block ×3, first 2 shown]
	v_rcp_f32_e32 v29, v24
	v_sub_f32_e32 v9, v14, v24
	v_add_f32_e32 v28, v8, v9
	v_add_f32_e32 v9, v12, v13
	v_mul_f32_e32 v31, v9, v29
	v_sub_f32_e32 v8, v12, v9
	v_mul_f32_e32 v12, v24, v31
	v_fma_f32 v14, v31, v24, -v12
	v_fmac_f32_e32 v14, v31, v28
	v_add_f32_e32 v30, v13, v8
	v_add_f32_e32 v8, v12, v14
	v_sub_f32_e32 v13, v9, v8
	v_pk_add_f32 v[26:27], v[8:9], v[12:13] neg_lo:[0,1] neg_hi:[0,1]
	v_mov_b32_e32 v15, v8
	v_pk_add_f32 v[8:9], v[26:27], v[14:15] neg_lo:[0,1] neg_hi:[0,1]
	v_cmp_eq_f32_e32 vcc, s10, v19
	v_add_f32_e32 v9, v30, v9
	v_add_f32_e32 v8, v8, v9
	;; [unrolled: 1-line block ×3, first 2 shown]
	v_mul_f32_e32 v30, v29, v9
	v_mul_f32_e32 v12, v24, v30
	v_fma_f32 v14, v30, v24, -v12
	v_fmac_f32_e32 v14, v30, v28
	v_sub_f32_e32 v13, v13, v9
	v_add_f32_e32 v24, v8, v13
	v_add_f32_e32 v8, v12, v14
	v_sub_f32_e32 v13, v9, v8
	v_pk_add_f32 v[26:27], v[8:9], v[12:13] neg_lo:[0,1] neg_hi:[0,1]
	v_mov_b32_e32 v15, v8
	v_pk_add_f32 v[8:9], v[26:27], v[14:15] neg_lo:[0,1] neg_hi:[0,1]
	scratch_load_dwordx2 v[26:27], off, off offset:168 ; 8-byte Folded Reload
	v_add_f32_e32 v9, v24, v9
	v_add_f32_e32 v8, v8, v9
	;; [unrolled: 1-line block ×4, first 2 shown]
	v_sub_f32_e32 v12, v9, v31
	v_mul_f32_e32 v8, v29, v8
	v_sub_f32_e32 v12, v30, v12
	v_add_f32_e32 v12, v12, v8
	v_add_f32_e32 v14, v9, v12
	v_mul_f32_e32 v15, v14, v14
	v_mov_b32_e32 v8, 0x3ecc95a3
	v_fmamk_f32 v8, v15, 0x3e9b6dac, v8
	s_waitcnt vmcnt(0)
	v_fmaak_f32 v27, v15, v8, 0x3f2aaada
	v_cvt_f32_i32_e32 v8, v21
	v_sub_f32_e32 v9, v14, v9
	v_sub_f32_e32 v9, v12, v9
	v_ldexp_f32 v21, v9, 1
	v_mul_f32_e32 v9, v14, v15
	v_ldexp_f32 v13, v14, 1
	s_or_b64 vcc, s[52:53], vcc
	v_mov_b32_e32 v12, v26
	v_pk_mul_f32 v[14:15], v[8:9], v[26:27]
	scratch_store_dwordx2 off, v[12:13], off offset:168 ; 8-byte Folded Spill
	v_fma_f32 v12, v8, s56, -v14
	v_fmac_f32_e32 v12, 0xb102e308, v8
	v_pk_add_f32 v[8:9], v[14:15], v[12:13]
	v_mov_b32_e32 v26, v14
	v_sub_f32_e32 v13, v9, v13
	v_sub_f32_e32 v13, v15, v13
	v_add_f32_e32 v27, v21, v13
	v_pk_add_f32 v[14:15], v[8:9], v[14:15] neg_lo:[0,1] neg_hi:[0,1]
	v_pk_add_f32 v[28:29], v[8:9], v[26:27]
	v_mov_b32_e32 v13, v8
	v_mov_b32_e32 v15, v29
	v_pk_add_f32 v[30:31], v[12:13], v[14:15] neg_lo:[0,1] neg_hi:[0,1]
	v_pk_add_f32 v[12:13], v[12:13], v[14:15]
	v_mov_b32_e32 v26, v27
	v_mov_b32_e32 v14, v13
	v_pk_add_f32 v[32:33], v[14:15], v[8:9] neg_lo:[0,1] neg_hi:[0,1]
	v_mov_b32_e32 v12, v29
	v_mov_b32_e32 v15, v32
	v_pk_add_f32 v[34:35], v[28:29], v[14:15] neg_lo:[0,1] neg_hi:[0,1]
	v_mov_b32_e32 v28, v9
	v_mov_b32_e32 v29, v32
	v_mov_b32_e32 v31, v13
	v_pk_add_f32 v[12:13], v[12:13], v[28:29] neg_lo:[0,1] neg_hi:[0,1]
	v_mov_b32_e32 v27, v8
	v_pk_add_f32 v[8:9], v[26:27], v[12:13] neg_lo:[0,1] neg_hi:[0,1]
	v_mov_b32_e32 v34, v30
	v_pk_add_f32 v[12:13], v[34:35], v[8:9]
	s_nop 0
	v_mov_b32_e32 v24, v13
	v_pk_add_f32 v[26:27], v[12:13], v[24:25]
	s_nop 0
	v_pk_add_f32 v[14:15], v[14:15], v[26:27]
	v_mov_b32_e32 v9, v26
	v_mov_b32_e32 v13, v14
	v_pk_add_f32 v[28:29], v[12:13], v[30:31] neg_lo:[0,1] neg_hi:[0,1]
	s_nop 0
	v_sub_f32_e32 v12, v12, v28
	v_pk_add_f32 v[8:9], v[8:9], v[28:29] neg_lo:[0,1] neg_hi:[0,1]
	v_sub_f32_e32 v12, v30, v12
	v_add_f32_e32 v8, v8, v12
	v_add_f32_e32 v8, v8, v9
	;; [unrolled: 1-line block ×3, first 2 shown]
	v_cndmask_b32_e32 v70, v8, v19, vcc
.LBB16_101:                             ;   in Loop: Header=BB16_13 Depth=1
	s_or_b64 exec, exec, s[54:55]
	v_and_b32_e32 v8, 0xffff0000, v10
	v_readlane_b32 s0, v95, 2
	s_nop 1
	v_add_f32_e32 v71, s0, v8
	v_cmp_ge_f32_e32 vcc, s4, v71
	s_and_b64 s[0:1], s[6:7], vcc
	s_and_saveexec_b64 s[54:55], s[0:1]
	s_cbranch_execz .LBB16_103
; %bb.102:                              ;   in Loop: Header=BB16_13 Depth=1
	v_mul_f32_e32 v8, 0x3fb8aa3b, v71
	v_rndne_f32_e32 v9, v8
	v_sub_f32_e32 v10, v8, v9
	v_fma_f32 v8, v71, s5, -v8
	v_fmac_f32_e32 v8, 0x32a5705f, v71
	v_add_f32_e32 v8, v10, v8
	v_cvt_i32_f32_e32 v9, v9
	v_exp_f32_e32 v8, v8
	v_cmp_ngt_f32_e32 vcc, s8, v71
	v_ldexp_f32 v8, v8, v9
	s_nop 0
	v_cndmask_b32_e32 v8, 0, v8, vcc
	v_cmp_nlt_f32_e32 vcc, s9, v71
	s_nop 1
	v_cndmask_b32_e32 v19, v39, v8, vcc
	v_add_f32_e32 v10, 1.0, v19
	v_add_f32_e32 v8, -1.0, v10
	v_sub_f32_e32 v9, v8, v10
	v_add_f32_e32 v9, 1.0, v9
	v_sub_f32_e32 v8, v19, v8
	v_add_f32_e32 v12, v8, v9
	v_frexp_mant_f32_e32 v13, v10
	v_cvt_f64_f32_e32 v[8:9], v10
	v_frexp_exp_i32_f64_e32 v8, v[8:9]
	v_cmp_gt_f32_e32 vcc, s11, v13
	v_cmp_gt_f32_e64 s[52:53], s57, v19
	s_nop 0
	v_subbrev_co_u32_e32 v21, vcc, 0, v8, vcc
	v_sub_u32_e32 v8, 0, v21
	v_ldexp_f32 v9, v10, v8
	v_add_f32_e32 v10, -1.0, v9
	v_add_f32_e32 v13, 1.0, v9
	v_ldexp_f32 v8, v12, v8
	v_add_f32_e32 v12, 1.0, v10
	v_add_f32_e32 v14, -1.0, v13
	v_sub_f32_e32 v12, v9, v12
	v_sub_f32_e32 v9, v9, v14
	v_add_f32_e32 v12, v8, v12
	v_add_f32_e32 v8, v8, v9
	;; [unrolled: 1-line block ×3, first 2 shown]
	v_rcp_f32_e32 v29, v24
	v_sub_f32_e32 v9, v13, v24
	v_add_f32_e32 v28, v8, v9
	v_add_f32_e32 v9, v10, v12
	v_sub_f32_e32 v8, v10, v9
	v_mul_f32_e32 v30, v9, v29
	v_add_f32_e32 v10, v12, v8
	v_mul_f32_e32 v12, v24, v30
	v_fma_f32 v14, v30, v24, -v12
	v_fmac_f32_e32 v14, v30, v28
	v_add_f32_e32 v8, v12, v14
	v_sub_f32_e32 v13, v9, v8
	v_pk_add_f32 v[26:27], v[8:9], v[12:13] neg_lo:[0,1] neg_hi:[0,1]
	v_mov_b32_e32 v15, v8
	v_pk_add_f32 v[8:9], v[26:27], v[14:15] neg_lo:[0,1] neg_hi:[0,1]
	v_cmp_eq_f32_e32 vcc, s10, v19
	v_add_f32_e32 v9, v10, v9
	v_add_f32_e32 v8, v8, v9
	;; [unrolled: 1-line block ×3, first 2 shown]
	v_mul_f32_e32 v10, v29, v9
	v_mul_f32_e32 v12, v24, v10
	v_fma_f32 v14, v10, v24, -v12
	v_fmac_f32_e32 v14, v10, v28
	v_sub_f32_e32 v13, v13, v9
	v_add_f32_e32 v24, v8, v13
	v_add_f32_e32 v8, v12, v14
	v_sub_f32_e32 v13, v9, v8
	v_pk_add_f32 v[26:27], v[8:9], v[12:13] neg_lo:[0,1] neg_hi:[0,1]
	v_mov_b32_e32 v15, v8
	v_pk_add_f32 v[8:9], v[26:27], v[14:15] neg_lo:[0,1] neg_hi:[0,1]
	scratch_load_dwordx2 v[26:27], off, off offset:168 ; 8-byte Folded Reload
	v_add_f32_e32 v9, v24, v9
	v_add_f32_e32 v8, v8, v9
	;; [unrolled: 1-line block ×4, first 2 shown]
	v_sub_f32_e32 v12, v9, v30
	v_mul_f32_e32 v8, v29, v8
	v_sub_f32_e32 v10, v10, v12
	v_add_f32_e32 v10, v10, v8
	v_add_f32_e32 v12, v9, v10
	v_mul_f32_e32 v14, v12, v12
	v_mov_b32_e32 v8, 0x3ecc95a3
	v_fmamk_f32 v8, v14, 0x3e9b6dac, v8
	s_waitcnt vmcnt(0)
	v_fmaak_f32 v27, v14, v8, 0x3f2aaada
	v_cvt_f32_i32_e32 v8, v21
	v_sub_f32_e32 v9, v12, v9
	v_sub_f32_e32 v9, v10, v9
	v_ldexp_f32 v10, v9, 1
	v_mul_f32_e32 v9, v12, v14
	v_ldexp_f32 v13, v12, 1
	s_or_b64 vcc, s[52:53], vcc
	v_mov_b32_e32 v12, v26
	v_pk_mul_f32 v[14:15], v[8:9], v[26:27]
	scratch_store_dwordx2 off, v[12:13], off offset:168 ; 8-byte Folded Spill
	v_fma_f32 v12, v8, s56, -v14
	v_fmac_f32_e32 v12, 0xb102e308, v8
	v_pk_add_f32 v[8:9], v[14:15], v[12:13]
	v_mov_b32_e32 v26, v14
	v_sub_f32_e32 v13, v9, v13
	v_sub_f32_e32 v13, v15, v13
	v_add_f32_e32 v27, v10, v13
	v_pk_add_f32 v[14:15], v[8:9], v[14:15] neg_lo:[0,1] neg_hi:[0,1]
	v_pk_add_f32 v[28:29], v[8:9], v[26:27]
	v_mov_b32_e32 v13, v8
	v_mov_b32_e32 v15, v29
	v_pk_add_f32 v[30:31], v[12:13], v[14:15] neg_lo:[0,1] neg_hi:[0,1]
	v_pk_add_f32 v[12:13], v[12:13], v[14:15]
	s_nop 0
	v_mov_b32_e32 v10, v13
	v_pk_add_f32 v[14:15], v[10:11], v[8:9] neg_lo:[0,1] neg_hi:[0,1]
	v_mov_b32_e32 v12, v29
	v_mov_b32_e32 v15, v14
	v_pk_add_f32 v[32:33], v[28:29], v[14:15] neg_lo:[0,1] neg_hi:[0,1]
	v_mov_b32_e32 v28, v9
	v_mov_b32_e32 v29, v14
	v_mov_b32_e32 v31, v13
	v_pk_add_f32 v[12:13], v[12:13], v[28:29] neg_lo:[0,1] neg_hi:[0,1]
	v_mov_b32_e32 v14, v27
	v_mov_b32_e32 v15, v8
	v_pk_add_f32 v[8:9], v[14:15], v[12:13] neg_lo:[0,1] neg_hi:[0,1]
	v_mov_b32_e32 v32, v30
	v_pk_add_f32 v[12:13], v[32:33], v[8:9]
	s_nop 0
	v_mov_b32_e32 v14, v13
	v_pk_add_f32 v[14:15], v[12:13], v[14:15]
	s_nop 0
	v_pk_add_f32 v[26:27], v[10:11], v[14:15]
	v_mov_b32_e32 v9, v14
	v_mov_b32_e32 v13, v26
	v_pk_add_f32 v[28:29], v[12:13], v[30:31] neg_lo:[0,1] neg_hi:[0,1]
	s_nop 0
	v_sub_f32_e32 v10, v12, v28
	v_pk_add_f32 v[8:9], v[8:9], v[28:29] neg_lo:[0,1] neg_hi:[0,1]
	v_sub_f32_e32 v10, v30, v10
	v_add_f32_e32 v8, v8, v10
	v_add_f32_e32 v8, v8, v9
	;; [unrolled: 1-line block ×3, first 2 shown]
	v_cndmask_b32_e32 v71, v8, v19, vcc
.LBB16_103:                             ;   in Loop: Header=BB16_13 Depth=1
	s_or_b64 exec, exec, s[54:55]
	v_lshlrev_b32_e32 v8, 16, v11
	v_readlane_b32 s0, v95, 2
	s_nop 1
	v_add_f32_e32 v72, s0, v8
	v_cmp_ge_f32_e32 vcc, s4, v72
	s_and_b64 s[0:1], s[6:7], vcc
	s_and_saveexec_b64 s[54:55], s[0:1]
	s_cbranch_execz .LBB16_105
; %bb.104:                              ;   in Loop: Header=BB16_13 Depth=1
	v_mul_f32_e32 v8, 0x3fb8aa3b, v72
	v_rndne_f32_e32 v9, v8
	v_sub_f32_e32 v10, v8, v9
	v_fma_f32 v8, v72, s5, -v8
	v_fmac_f32_e32 v8, 0x32a5705f, v72
	v_add_f32_e32 v8, v10, v8
	v_cvt_i32_f32_e32 v9, v9
	v_exp_f32_e32 v8, v8
	v_cmp_ngt_f32_e32 vcc, s8, v72
	v_ldexp_f32 v8, v8, v9
	s_nop 0
	v_cndmask_b32_e32 v8, 0, v8, vcc
	v_cmp_nlt_f32_e32 vcc, s9, v72
	s_nop 1
	v_cndmask_b32_e32 v19, v39, v8, vcc
	v_add_f32_e32 v10, 1.0, v19
	v_add_f32_e32 v8, -1.0, v10
	v_sub_f32_e32 v9, v8, v10
	v_add_f32_e32 v9, 1.0, v9
	v_sub_f32_e32 v8, v19, v8
	v_add_f32_e32 v12, v8, v9
	v_frexp_mant_f32_e32 v13, v10
	v_cvt_f64_f32_e32 v[8:9], v10
	v_frexp_exp_i32_f64_e32 v8, v[8:9]
	v_cmp_gt_f32_e32 vcc, s11, v13
	v_cmp_gt_f32_e64 s[52:53], s57, v19
	s_nop 0
	v_subbrev_co_u32_e32 v21, vcc, 0, v8, vcc
	v_sub_u32_e32 v8, 0, v21
	v_ldexp_f32 v9, v10, v8
	v_add_f32_e32 v10, -1.0, v9
	v_add_f32_e32 v13, 1.0, v9
	v_ldexp_f32 v8, v12, v8
	v_add_f32_e32 v12, 1.0, v10
	v_add_f32_e32 v14, -1.0, v13
	v_sub_f32_e32 v12, v9, v12
	v_sub_f32_e32 v9, v9, v14
	v_add_f32_e32 v12, v8, v12
	v_add_f32_e32 v8, v8, v9
	;; [unrolled: 1-line block ×3, first 2 shown]
	v_rcp_f32_e32 v29, v24
	v_sub_f32_e32 v9, v13, v24
	v_add_f32_e32 v28, v8, v9
	v_add_f32_e32 v9, v10, v12
	v_sub_f32_e32 v8, v10, v9
	v_mul_f32_e32 v30, v9, v29
	v_add_f32_e32 v10, v12, v8
	v_mul_f32_e32 v12, v24, v30
	v_fma_f32 v14, v30, v24, -v12
	v_fmac_f32_e32 v14, v30, v28
	v_add_f32_e32 v8, v12, v14
	v_sub_f32_e32 v13, v9, v8
	v_pk_add_f32 v[26:27], v[8:9], v[12:13] neg_lo:[0,1] neg_hi:[0,1]
	v_mov_b32_e32 v15, v8
	v_pk_add_f32 v[8:9], v[26:27], v[14:15] neg_lo:[0,1] neg_hi:[0,1]
	v_cmp_eq_f32_e32 vcc, s10, v19
	v_add_f32_e32 v9, v10, v9
	v_add_f32_e32 v8, v8, v9
	;; [unrolled: 1-line block ×3, first 2 shown]
	v_mul_f32_e32 v10, v29, v9
	v_mul_f32_e32 v12, v24, v10
	v_fma_f32 v14, v10, v24, -v12
	v_fmac_f32_e32 v14, v10, v28
	v_sub_f32_e32 v13, v13, v9
	v_add_f32_e32 v24, v8, v13
	v_add_f32_e32 v8, v12, v14
	v_sub_f32_e32 v13, v9, v8
	v_pk_add_f32 v[26:27], v[8:9], v[12:13] neg_lo:[0,1] neg_hi:[0,1]
	v_mov_b32_e32 v15, v8
	v_pk_add_f32 v[8:9], v[26:27], v[14:15] neg_lo:[0,1] neg_hi:[0,1]
	scratch_load_dwordx2 v[26:27], off, off offset:168 ; 8-byte Folded Reload
	v_add_f32_e32 v9, v24, v9
	v_add_f32_e32 v8, v8, v9
	v_add_f32_e32 v9, v30, v10
	v_add_f32_e32 v8, v13, v8
	v_sub_f32_e32 v12, v9, v30
	v_mul_f32_e32 v8, v29, v8
	v_sub_f32_e32 v10, v10, v12
	v_add_f32_e32 v10, v10, v8
	v_add_f32_e32 v12, v9, v10
	v_mul_f32_e32 v14, v12, v12
	v_mov_b32_e32 v8, 0x3ecc95a3
	v_fmamk_f32 v8, v14, 0x3e9b6dac, v8
	s_waitcnt vmcnt(0)
	v_fmaak_f32 v27, v14, v8, 0x3f2aaada
	v_cvt_f32_i32_e32 v8, v21
	v_sub_f32_e32 v9, v12, v9
	v_sub_f32_e32 v9, v10, v9
	v_ldexp_f32 v10, v9, 1
	v_mul_f32_e32 v9, v12, v14
	v_ldexp_f32 v13, v12, 1
	s_or_b64 vcc, s[52:53], vcc
	v_mov_b32_e32 v12, v26
	v_pk_mul_f32 v[14:15], v[8:9], v[26:27]
	scratch_store_dwordx2 off, v[12:13], off offset:168 ; 8-byte Folded Spill
	v_fma_f32 v12, v8, s56, -v14
	v_fmac_f32_e32 v12, 0xb102e308, v8
	v_pk_add_f32 v[8:9], v[14:15], v[12:13]
	v_mov_b32_e32 v26, v14
	v_sub_f32_e32 v13, v9, v13
	v_sub_f32_e32 v13, v15, v13
	v_add_f32_e32 v27, v10, v13
	v_pk_add_f32 v[14:15], v[8:9], v[14:15] neg_lo:[0,1] neg_hi:[0,1]
	v_pk_add_f32 v[28:29], v[8:9], v[26:27]
	v_mov_b32_e32 v13, v8
	v_mov_b32_e32 v15, v29
	v_pk_add_f32 v[30:31], v[12:13], v[14:15] neg_lo:[0,1] neg_hi:[0,1]
	v_pk_add_f32 v[12:13], v[12:13], v[14:15]
	s_nop 0
	v_mov_b32_e32 v10, v13
	v_pk_add_f32 v[14:15], v[10:11], v[8:9] neg_lo:[0,1] neg_hi:[0,1]
	v_mov_b32_e32 v12, v29
	v_mov_b32_e32 v15, v14
	v_pk_add_f32 v[32:33], v[28:29], v[14:15] neg_lo:[0,1] neg_hi:[0,1]
	v_mov_b32_e32 v28, v9
	v_mov_b32_e32 v29, v14
	;; [unrolled: 1-line block ×3, first 2 shown]
	v_pk_add_f32 v[12:13], v[12:13], v[28:29] neg_lo:[0,1] neg_hi:[0,1]
	v_mov_b32_e32 v14, v27
	v_mov_b32_e32 v15, v8
	v_pk_add_f32 v[8:9], v[14:15], v[12:13] neg_lo:[0,1] neg_hi:[0,1]
	v_mov_b32_e32 v32, v30
	v_pk_add_f32 v[12:13], v[32:33], v[8:9]
	s_nop 0
	v_mov_b32_e32 v14, v13
	v_pk_add_f32 v[14:15], v[12:13], v[14:15]
	s_nop 0
	v_pk_add_f32 v[26:27], v[10:11], v[14:15]
	v_mov_b32_e32 v9, v14
	v_mov_b32_e32 v13, v26
	v_pk_add_f32 v[28:29], v[12:13], v[30:31] neg_lo:[0,1] neg_hi:[0,1]
	s_nop 0
	v_sub_f32_e32 v10, v12, v28
	v_pk_add_f32 v[8:9], v[8:9], v[28:29] neg_lo:[0,1] neg_hi:[0,1]
	v_sub_f32_e32 v10, v30, v10
	v_add_f32_e32 v8, v8, v10
	v_add_f32_e32 v8, v8, v9
	;; [unrolled: 1-line block ×3, first 2 shown]
	v_cndmask_b32_e32 v72, v8, v19, vcc
.LBB16_105:                             ;   in Loop: Header=BB16_13 Depth=1
	s_or_b64 exec, exec, s[54:55]
	v_and_b32_e32 v8, 0xffff0000, v11
	v_readlane_b32 s0, v95, 2
	s_nop 1
	v_add_f32_e32 v27, s0, v8
	v_cmp_ge_f32_e32 vcc, s4, v27
	s_and_b64 s[0:1], s[6:7], vcc
	s_and_saveexec_b64 s[54:55], s[0:1]
	s_cbranch_execz .LBB16_107
; %bb.106:                              ;   in Loop: Header=BB16_13 Depth=1
	v_mul_f32_e32 v8, 0x3fb8aa3b, v27
	v_rndne_f32_e32 v9, v8
	v_sub_f32_e32 v10, v8, v9
	v_fma_f32 v8, v27, s5, -v8
	v_fmac_f32_e32 v8, 0x32a5705f, v27
	v_add_f32_e32 v8, v10, v8
	v_cvt_i32_f32_e32 v9, v9
	v_exp_f32_e32 v8, v8
	v_cmp_ngt_f32_e32 vcc, s8, v27
	v_ldexp_f32 v8, v8, v9
	s_nop 0
	v_cndmask_b32_e32 v8, 0, v8, vcc
	v_cmp_nlt_f32_e32 vcc, s9, v27
	s_nop 1
	v_cndmask_b32_e32 v19, v39, v8, vcc
	v_add_f32_e32 v10, 1.0, v19
	v_add_f32_e32 v8, -1.0, v10
	v_sub_f32_e32 v9, v8, v10
	v_add_f32_e32 v9, 1.0, v9
	v_sub_f32_e32 v8, v19, v8
	v_add_f32_e32 v11, v8, v9
	v_frexp_mant_f32_e32 v12, v10
	v_cvt_f64_f32_e32 v[8:9], v10
	v_frexp_exp_i32_f64_e32 v8, v[8:9]
	v_cmp_gt_f32_e32 vcc, s11, v12
	v_cmp_gt_f32_e64 s[52:53], s57, v19
	s_nop 0
	v_subbrev_co_u32_e32 v21, vcc, 0, v8, vcc
	v_sub_u32_e32 v8, 0, v21
	v_ldexp_f32 v9, v10, v8
	v_add_f32_e32 v10, -1.0, v9
	v_add_f32_e32 v12, 1.0, v9
	v_ldexp_f32 v8, v11, v8
	v_add_f32_e32 v11, 1.0, v10
	v_add_f32_e32 v13, -1.0, v12
	v_sub_f32_e32 v11, v9, v11
	v_sub_f32_e32 v9, v9, v13
	v_add_f32_e32 v11, v8, v11
	v_add_f32_e32 v8, v8, v9
	v_add_f32_e32 v24, v12, v8
	v_rcp_f32_e32 v27, v24
	v_sub_f32_e32 v9, v12, v24
	v_add_f32_e32 v26, v8, v9
	v_add_f32_e32 v9, v10, v11
	v_mul_f32_e32 v29, v9, v27
	v_sub_f32_e32 v8, v10, v9
	v_mul_f32_e32 v10, v24, v29
	v_fma_f32 v12, v29, v24, -v10
	v_fmac_f32_e32 v12, v29, v26
	v_add_f32_e32 v28, v11, v8
	v_add_f32_e32 v8, v10, v12
	v_sub_f32_e32 v11, v9, v8
	v_pk_add_f32 v[14:15], v[8:9], v[10:11] neg_lo:[0,1] neg_hi:[0,1]
	v_mov_b32_e32 v13, v8
	v_pk_add_f32 v[8:9], v[14:15], v[12:13] neg_lo:[0,1] neg_hi:[0,1]
	v_cmp_eq_f32_e32 vcc, s10, v19
	v_add_f32_e32 v9, v28, v9
	v_add_f32_e32 v8, v8, v9
	;; [unrolled: 1-line block ×3, first 2 shown]
	v_mul_f32_e32 v28, v27, v9
	v_mul_f32_e32 v10, v24, v28
	v_fma_f32 v12, v28, v24, -v10
	v_fmac_f32_e32 v12, v28, v26
	v_sub_f32_e32 v11, v11, v9
	v_add_f32_e32 v24, v8, v11
	v_add_f32_e32 v8, v10, v12
	v_sub_f32_e32 v11, v9, v8
	v_pk_add_f32 v[14:15], v[8:9], v[10:11] neg_lo:[0,1] neg_hi:[0,1]
	v_mov_b32_e32 v13, v8
	v_pk_add_f32 v[8:9], v[14:15], v[12:13] neg_lo:[0,1] neg_hi:[0,1]
	scratch_load_dwordx2 v[14:15], off, off offset:168 ; 8-byte Folded Reload
	v_add_f32_e32 v9, v24, v9
	v_add_f32_e32 v8, v8, v9
	;; [unrolled: 1-line block ×4, first 2 shown]
	v_sub_f32_e32 v10, v9, v29
	v_mul_f32_e32 v8, v27, v8
	v_sub_f32_e32 v10, v28, v10
	v_add_f32_e32 v10, v10, v8
	v_add_f32_e32 v12, v9, v10
	v_mul_f32_e32 v13, v12, v12
	v_mov_b32_e32 v8, 0x3ecc95a3
	v_fmamk_f32 v8, v13, 0x3e9b6dac, v8
	v_fmaak_f32 v27, v13, v8, 0x3f2aaada
	v_cvt_f32_i32_e32 v8, v21
	v_sub_f32_e32 v9, v12, v9
	v_sub_f32_e32 v9, v10, v9
	v_ldexp_f32 v11, v12, 1
	s_or_b64 vcc, s[52:53], vcc
	s_waitcnt vmcnt(0)
	v_mov_b32_e32 v26, v14
	v_ldexp_f32 v14, v9, 1
	v_mul_f32_e32 v9, v12, v13
	v_mov_b32_e32 v10, v26
	v_pk_mul_f32 v[12:13], v[8:9], v[26:27]
	scratch_store_dwordx2 off, v[10:11], off offset:168 ; 8-byte Folded Spill
	v_fma_f32 v10, v8, s56, -v12
	v_fmac_f32_e32 v10, 0xb102e308, v8
	v_pk_add_f32 v[8:9], v[12:13], v[10:11]
	s_nop 0
	v_sub_f32_e32 v11, v9, v11
	v_sub_f32_e32 v11, v13, v11
	v_add_f32_e32 v15, v14, v11
	v_mov_b32_e32 v14, v12
	v_pk_add_f32 v[12:13], v[8:9], v[12:13] neg_lo:[0,1] neg_hi:[0,1]
	v_pk_add_f32 v[26:27], v[8:9], v[14:15]
	v_mov_b32_e32 v11, v8
	v_mov_b32_e32 v13, v27
	v_pk_add_f32 v[28:29], v[10:11], v[12:13] neg_lo:[0,1] neg_hi:[0,1]
	v_pk_add_f32 v[10:11], v[10:11], v[12:13]
	v_mov_b32_e32 v14, v15
	v_mov_b32_e32 v12, v11
	v_pk_add_f32 v[30:31], v[12:13], v[8:9] neg_lo:[0,1] neg_hi:[0,1]
	v_mov_b32_e32 v10, v27
	v_mov_b32_e32 v13, v30
	v_pk_add_f32 v[32:33], v[26:27], v[12:13] neg_lo:[0,1] neg_hi:[0,1]
	v_mov_b32_e32 v26, v9
	v_mov_b32_e32 v27, v30
	;; [unrolled: 1-line block ×3, first 2 shown]
	v_pk_add_f32 v[10:11], v[10:11], v[26:27] neg_lo:[0,1] neg_hi:[0,1]
	v_mov_b32_e32 v15, v8
	v_pk_add_f32 v[8:9], v[14:15], v[10:11] neg_lo:[0,1] neg_hi:[0,1]
	v_mov_b32_e32 v32, v28
	v_pk_add_f32 v[10:11], v[32:33], v[8:9]
	s_nop 0
	v_mov_b32_e32 v14, v11
	v_pk_add_f32 v[14:15], v[10:11], v[14:15]
	s_nop 0
	v_pk_add_f32 v[12:13], v[12:13], v[14:15]
	v_mov_b32_e32 v9, v14
	v_mov_b32_e32 v11, v12
	v_pk_add_f32 v[26:27], v[10:11], v[28:29] neg_lo:[0,1] neg_hi:[0,1]
	s_nop 0
	v_sub_f32_e32 v10, v10, v26
	v_pk_add_f32 v[8:9], v[8:9], v[26:27] neg_lo:[0,1] neg_hi:[0,1]
	v_sub_f32_e32 v10, v28, v10
	v_add_f32_e32 v8, v8, v10
	v_add_f32_e32 v8, v8, v9
	;; [unrolled: 1-line block ×3, first 2 shown]
	v_cndmask_b32_e32 v27, v8, v19, vcc
.LBB16_107:                             ;   in Loop: Header=BB16_13 Depth=1
	s_or_b64 exec, exec, s[54:55]
	v_lshlrev_b32_e32 v8, 16, v7
	v_readlane_b32 s0, v95, 3
	v_and_b32_e32 v13, 0xffff0000, v7
	v_and_b32_e32 v7, 0xffff0000, v6
	v_lshlrev_b32_e32 v6, 16, v6
	v_and_b32_e32 v9, 0xffff0000, v5
	v_lshlrev_b32_e32 v5, 16, v5
	;; [unrolled: 2-line block ×7, first 2 shown]
	v_mul_f32_e32 v28, s0, v8
	v_mul_f32_e32 v31, s0, v7
	;; [unrolled: 1-line block ×16, first 2 shown]
	v_readlane_b32 s0, v95, 23
	v_readlane_b32 s1, v95, 24
	s_and_b64 vcc, exec, s[0:1]
	s_waitcnt lgkmcnt(0)
	; wave barrier
	s_cbranch_vccz .LBB16_200
; %bb.108:                              ;   in Loop: Header=BB16_13 Depth=1
	v_mul_f32_e32 v87, v25, v0
	scratch_load_dword v0, off, off offset:268 ; 4-byte Folded Reload
	v_readlane_b32 s0, v95, 8
	v_readlane_b32 s1, v95, 9
	v_mul_f32_e32 v6, v70, v6
	v_mul_f32_e32 v5, v68, v5
	v_lshl_add_u64 v[44:45], s[0:1], 0, v[16:17]
	v_readlane_b32 s0, v95, 18
	v_readlane_b32 s1, v95, 19
	s_mov_b32 s98, 0
	v_mul_f32_e32 v13, v27, v13
	v_lshl_add_u64 v[46:47], s[0:1], 0, v[16:17]
	v_readlane_b32 s1, v95, 52
	s_cmp_lg_u32 s1, 0
	v_readlane_b32 s0, v95, 29
	s_cselect_b64 s[86:87], -1, 0
	s_cmp_eq_u32 s1, s0
	v_readlane_b32 s0, v95, 26
	v_readlane_b32 s1, v95, 27
	s_cselect_b64 s[90:91], -1, 0
	v_mul_f32_e32 v8, v72, v8
	v_mul_f32_e32 v7, v71, v7
	scratch_store_dword off, v6, off offset:80 ; 4-byte Folded Spill
	v_mul_f32_e32 v6, v69, v9
	scratch_store_dword off, v5, off offset:88 ; 4-byte Folded Spill
	v_mul_f32_e32 v5, v67, v10
	v_mul_f32_e32 v4, v66, v4
	;; [unrolled: 1-line block ×9, first 2 shown]
	s_mov_b32 s92, s98
	s_mov_b32 s94, s98
	;; [unrolled: 1-line block ×3, first 2 shown]
	scratch_store_dword off, v13, off offset:68 ; 4-byte Folded Spill
	scratch_store_dword off, v8, off offset:72 ; 4-byte Folded Spill
	;; [unrolled: 1-line block ×6, first 2 shown]
	s_waitcnt vmcnt(8)
	v_cmp_gt_u32_e32 vcc, s82, v0
	scratch_load_dword v0, off, off offset:272 ; 4-byte Folded Reload
	s_or_b64 s[52:53], s[0:1], vcc
	s_waitcnt vmcnt(0)
	v_cmp_gt_u32_e32 vcc, s82, v0
	scratch_load_dword v0, off, off offset:276 ; 4-byte Folded Reload
	s_or_b64 s[54:55], s[0:1], vcc
	;; [unrolled: 4-line block ×15, first 2 shown]
	s_waitcnt vmcnt(0)
	v_cmp_gt_u32_e32 vcc, s82, v0
	s_or_b64 s[82:83], s[0:1], vcc
	v_readlane_b32 s0, v95, 22
	v_readlane_b32 s1, v95, 48
	s_branch .LBB16_110
.LBB16_109:                             ;   in Loop: Header=BB16_110 Depth=2
	s_or_b64 exec, exec, s[84:85]
	v_mul_f32_e32 v49, v88, v78
	v_fma_f32 v50, v88, v79, v8
	v_cndmask_b32_e64 v8, v50, v8, s[16:17]
	v_cndmask_b32_e64 v49, v49, v88, s[16:17]
	s_waitcnt lgkmcnt(0)
	v_fmac_f32_e32 v8, v48, v49
	v_fmac_f32_e32 v9, v8, v89
	;; [unrolled: 1-line block ×12, first 2 shown]
	v_readlane_b32 s4, v95, 38
	v_fmac_f32_e32 v52, v57, v74
	v_readlane_b32 s5, v95, 39
	v_readlane_b32 s6, v95, 40
	;; [unrolled: 1-line block ×7, first 2 shown]
	v_fmac_f32_e32 v53, v52, v75
	s_add_i32 s94, s94, s4
	v_readlane_b32 s4, v95, 10
	v_fmac_f32_e32 v58, v53, v76
	v_readlane_b32 s5, v95, 11
	v_readlane_b32 s8, v95, 14
	v_fmac_f32_e32 v59, v58, v21
	v_and_b32_e32 v49, 0xffff0000, v4
	v_and_b32_e32 v51, 0xffff0000, v5
	v_lshlrev_b32_e32 v48, 16, v4
	v_lshlrev_b32_e32 v50, 16, v5
	v_and_b32_e32 v5, 0xffff0000, v6
	v_and_b32_e32 v61, 0xffff0000, v7
	v_lshlrev_b32_e32 v4, 16, v6
	v_lshlrev_b32_e32 v60, 16, v7
	;; [unrolled: 4-line block ×4, first 2 shown]
	s_add_i32 s1, s1, 8
	s_add_i32 s0, s0, -1
	s_add_i32 s96, s96, s97
	s_add_i32 s92, s92, s8
	s_add_i32 s98, s98, s5
	v_pk_fma_f32 v[40:41], v[10:11], v[50:51], v[40:41]
	v_pk_fma_f32 v[42:43], v[8:9], v[48:49], v[42:43]
	;; [unrolled: 1-line block ×7, first 2 shown]
	s_cmp_eq_u32 s0, 0
	v_pk_fma_f32 v[30:31], v[52:53], v[0:1], v[30:31]
	v_readlane_b32 s6, v95, 12
	v_readlane_b32 s7, v95, 13
	;; [unrolled: 1-line block ×5, first 2 shown]
	s_cbranch_scc1 .LBB16_199
.LBB16_110:                             ;   Parent Loop BB16_13 Depth=1
                                        ; =>  This Inner Loop Header: Depth=2
	s_lshl_b64 s[84:85], s[98:99], 2
	v_readlane_b32 s4, v95, 6
	s_add_u32 s84, s4, s84
	v_readlane_b32 s4, v95, 7
	s_addc_u32 s85, s4, s85
	global_load_dword v48, v17, s[84:85]
	s_mov_b32 s93, s99
	v_lshl_add_u64 v[0:1], s[92:93], 1, v[44:45]
	v_mov_b32_e32 v2, 0
	v_mov_b32_e32 v3, 0
	s_and_saveexec_b64 s[84:85], s[18:19]
	s_cbranch_execz .LBB16_112
; %bb.111:                              ;   in Loop: Header=BB16_110 Depth=2
	global_load_ushort v3, v[0:1], off
.LBB16_112:                             ;   in Loop: Header=BB16_110 Depth=2
	s_or_b64 exec, exec, s[84:85]
	s_and_saveexec_b64 s[84:85], s[20:21]
	s_cbranch_execz .LBB16_114
; %bb.113:                              ;   in Loop: Header=BB16_110 Depth=2
	global_load_ushort v2, v[0:1], off offset:128
.LBB16_114:                             ;   in Loop: Header=BB16_110 Depth=2
	s_or_b64 exec, exec, s[84:85]
	v_mov_b32_e32 v4, 0
	v_mov_b32_e32 v5, 0
	s_and_saveexec_b64 s[84:85], s[22:23]
	s_cbranch_execz .LBB16_116
; %bb.115:                              ;   in Loop: Header=BB16_110 Depth=2
	global_load_ushort v5, v[0:1], off offset:256
.LBB16_116:                             ;   in Loop: Header=BB16_110 Depth=2
	s_or_b64 exec, exec, s[84:85]
	s_and_saveexec_b64 s[84:85], s[24:25]
	s_cbranch_execz .LBB16_118
; %bb.117:                              ;   in Loop: Header=BB16_110 Depth=2
	global_load_ushort v4, v[0:1], off offset:384
.LBB16_118:                             ;   in Loop: Header=BB16_110 Depth=2
	s_or_b64 exec, exec, s[84:85]
	v_mov_b32_e32 v6, 0
	v_mov_b32_e32 v7, 0
	s_and_saveexec_b64 s[84:85], s[26:27]
	s_cbranch_execz .LBB16_120
; %bb.119:                              ;   in Loop: Header=BB16_110 Depth=2
	global_load_ushort v7, v[0:1], off offset:512
.LBB16_120:                             ;   in Loop: Header=BB16_110 Depth=2
	;; [unrolled: 14-line block ×7, first 2 shown]
	s_or_b64 exec, exec, s[84:85]
	s_and_saveexec_b64 s[84:85], s[50:51]
	s_cbranch_execz .LBB16_142
; %bb.141:                              ;   in Loop: Header=BB16_110 Depth=2
	global_load_ushort v16, v[0:1], off offset:1920
.LBB16_142:                             ;   in Loop: Header=BB16_110 Depth=2
	s_or_b64 exec, exec, s[84:85]
	scratch_load_dword v0, off, off         ; 4-byte Folded Reload
	s_mov_b32 s95, s99
	s_waitcnt vmcnt(0)
	ds_write_b16 v0, v3
	scratch_load_dword v0, off, off offset:8 ; 4-byte Folded Reload
	v_mov_b32_e32 v3, 0
	s_waitcnt vmcnt(0)
	ds_write_b16 v0, v2 offset:128
	scratch_load_dword v0, off, off offset:12 ; 4-byte Folded Reload
	v_mov_b32_e32 v2, 0
	s_waitcnt vmcnt(0)
	ds_write_b16 v0, v5 offset:256
	scratch_load_dword v0, off, off offset:16 ; 4-byte Folded Reload
	s_waitcnt vmcnt(0)
	ds_write_b16 v0, v4 offset:384
	scratch_load_dword v0, off, off offset:20 ; 4-byte Folded Reload
	;; [unrolled: 3-line block ×13, first 2 shown]
	s_waitcnt vmcnt(0)
	ds_write_b16 v0, v16 offset:1920
	; wave barrier
	scratch_load_dword v0, off, off offset:4 ; 4-byte Folded Reload
	s_waitcnt vmcnt(0)
	ds_read_b128 v[12:15], v0
	ds_read_b128 v[8:11], v0 offset:16
	v_lshl_add_u64 v[0:1], s[94:95], 1, v[46:47]
	s_and_saveexec_b64 s[84:85], s[18:19]
	s_cbranch_execz .LBB16_144
; %bb.143:                              ;   in Loop: Header=BB16_110 Depth=2
	global_load_ushort v3, v[0:1], off
.LBB16_144:                             ;   in Loop: Header=BB16_110 Depth=2
	s_or_b64 exec, exec, s[84:85]
	s_and_saveexec_b64 s[84:85], s[20:21]
	s_cbranch_execz .LBB16_146
; %bb.145:                              ;   in Loop: Header=BB16_110 Depth=2
	global_load_ushort v2, v[0:1], off offset:128
.LBB16_146:                             ;   in Loop: Header=BB16_110 Depth=2
	s_or_b64 exec, exec, s[84:85]
	v_mov_b32_e32 v4, 0
	v_mov_b32_e32 v5, 0
	s_and_saveexec_b64 s[84:85], s[22:23]
	s_cbranch_execz .LBB16_148
; %bb.147:                              ;   in Loop: Header=BB16_110 Depth=2
	global_load_ushort v5, v[0:1], off offset:256
.LBB16_148:                             ;   in Loop: Header=BB16_110 Depth=2
	s_or_b64 exec, exec, s[84:85]
	s_and_saveexec_b64 s[84:85], s[24:25]
	s_cbranch_execz .LBB16_150
; %bb.149:                              ;   in Loop: Header=BB16_110 Depth=2
	global_load_ushort v4, v[0:1], off offset:384
.LBB16_150:                             ;   in Loop: Header=BB16_110 Depth=2
	s_or_b64 exec, exec, s[84:85]
	v_mov_b32_e32 v6, 0
	v_mov_b32_e32 v7, 0
	s_and_saveexec_b64 s[84:85], s[26:27]
	s_cbranch_execz .LBB16_152
; %bb.151:                              ;   in Loop: Header=BB16_110 Depth=2
	global_load_ushort v7, v[0:1], off offset:512
.LBB16_152:                             ;   in Loop: Header=BB16_110 Depth=2
	;; [unrolled: 14-line block ×7, first 2 shown]
	s_or_b64 exec, exec, s[84:85]
	s_and_saveexec_b64 s[84:85], s[50:51]
	s_cbranch_execz .LBB16_174
; %bb.173:                              ;   in Loop: Header=BB16_110 Depth=2
	global_load_ushort v52, v[0:1], off offset:1920
.LBB16_174:                             ;   in Loop: Header=BB16_110 Depth=2
	s_or_b64 exec, exec, s[84:85]
	scratch_load_dword v0, off, off         ; 4-byte Folded Reload
	s_andn2_b64 vcc, exec, s[86:87]
	s_waitcnt vmcnt(0)
	ds_write_b16 v0, v3 offset:2112
	scratch_load_dword v0, off, off offset:100 ; 4-byte Folded Reload
	s_waitcnt vmcnt(0)
	ds_write_b16 v0, v2 offset:128
	scratch_load_dword v0, off, off offset:104 ; 4-byte Folded Reload
	;; [unrolled: 3-line block ×15, first 2 shown]
	s_waitcnt vmcnt(0)
	ds_write_b16 v0, v52 offset:1920
	; wave barrier
	scratch_load_dword v0, off, off offset:4 ; 4-byte Folded Reload
	s_waitcnt vmcnt(0)
	ds_read_b128 v[4:7], v0 offset:2112
	scratch_load_dword v0, off, off offset:160 ; 4-byte Folded Reload
	s_waitcnt vmcnt(0)
	ds_read_b128 v[0:3], v0 offset:16
	s_cbranch_vccnz .LBB16_176
; %bb.175:                              ;   in Loop: Header=BB16_110 Depth=2
	v_mov_b32_e32 v16, s1
	ds_read_b64 v[50:51], v16
	s_waitcnt lgkmcnt(0)
	v_mov_b32_e32 v49, v51
	s_cbranch_execz .LBB16_177
	s_branch .LBB16_180
.LBB16_176:                             ;   in Loop: Header=BB16_110 Depth=2
                                        ; implicit-def: $vgpr50
                                        ; implicit-def: $vgpr49
.LBB16_177:                             ;   in Loop: Header=BB16_110 Depth=2
	v_readlane_b32 s84, v95, 0
	v_readlane_b32 s85, v95, 1
	s_andn2_b64 vcc, exec, s[84:85]
	v_mov_b32_e32 v49, 0
	s_cbranch_vccnz .LBB16_179
; %bb.178:                              ;   in Loop: Header=BB16_110 Depth=2
	s_mov_b32 s97, s99
	s_lshl_b64 s[84:85], s[96:97], 1
	v_readlane_b32 s4, v95, 20
	s_add_u32 s84, s4, s84
	v_readlane_b32 s4, v95, 21
	s_addc_u32 s85, s4, s85
	global_load_ushort v16, v17, s[84:85]
	v_readlane_b32 s97, v95, 49
	s_waitcnt vmcnt(0)
	v_lshlrev_b32_e32 v49, 16, v16
.LBB16_179:                             ;   in Loop: Header=BB16_110 Depth=2
	v_mov_b32_e32 v50, 1.0
.LBB16_180:                             ;   in Loop: Header=BB16_110 Depth=2
	v_mul_f32_e32 v21, 0x3fb8aa3b, v48
	s_waitcnt lgkmcnt(14)
	v_lshlrev_b32_e32 v51, 16, v8
	v_and_b32_e32 v52, 0xffff0000, v8
	v_mul_f32_e32 v8, v21, v25
	v_cmp_gt_f32_e32 vcc, s33, v8
	v_lshlrev_b32_e32 v58, 16, v10
	v_and_b32_e32 v59, 0xffff0000, v10
	v_cndmask_b32_e32 v8, 0, v22, vcc
	v_mul_f32_e32 v10, v21, v18
	v_lshlrev_b32_e32 v53, 16, v9
	v_and_b32_e32 v57, 0xffff0000, v9
	v_fmac_f32_e32 v8, v21, v25
	v_cndmask_b32_e32 v9, 1.0, v23, vcc
	v_cmp_gt_f32_e32 vcc, s33, v10
	v_exp_f32_e32 v8, v8
	v_lshlrev_b32_e32 v60, 16, v11
	v_cndmask_b32_e32 v10, 0, v22, vcc
	v_fmac_f32_e32 v10, v21, v18
	v_exp_f32_e32 v10, v10
	v_and_b32_e32 v48, 0xffff0000, v11
	v_mul_f32_e32 v9, v8, v9
	v_mul_f32_e32 v11, v21, v20
	v_lshlrev_b32_e32 v16, 16, v12
	v_and_b32_e32 v12, 0xffff0000, v12
	v_cndmask_b32_e64 v88, 1.0, v9, s[52:53]
	v_cndmask_b32_e32 v9, 1.0, v23, vcc
	v_cmp_gt_f32_e32 vcc, s33, v11
	v_mul_f32_e32 v10, v10, v9
	v_mul_f32_e32 v9, v86, v12
	v_cndmask_b32_e32 v11, 0, v22, vcc
	v_mul_f32_e32 v12, v21, v94
	v_fmac_f32_e32 v11, v21, v20
	v_cndmask_b32_e64 v89, 1.0, v10, s[54:55]
	v_cndmask_b32_e32 v10, 1.0, v23, vcc
	v_cmp_gt_f32_e32 vcc, s33, v12
	v_exp_f32_e32 v11, v11
	v_lshlrev_b32_e32 v19, 16, v13
	v_cndmask_b32_e32 v12, 0, v22, vcc
	v_fmac_f32_e32 v12, v21, v94
	v_exp_f32_e32 v12, v12
	v_mul_f32_e32 v11, v11, v10
	v_and_b32_e32 v13, 0xffff0000, v13
	v_cndmask_b32_e64 v90, 1.0, v11, s[56:57]
	v_cndmask_b32_e32 v11, 1.0, v23, vcc
	v_mul_f32_e32 v12, v12, v11
	v_mul_f32_e32 v11, v84, v13
	;; [unrolled: 1-line block ×3, first 2 shown]
	v_cmp_gt_f32_e32 vcc, s33, v13
	v_mul_f32_e32 v8, v87, v16
	v_mul_f32_e32 v16, v21, v63
	v_cndmask_b32_e32 v13, 0, v22, vcc
	v_fmac_f32_e32 v13, v21, v62
	v_cndmask_b32_e64 v91, 1.0, v12, s[58:59]
	v_cndmask_b32_e32 v12, 1.0, v23, vcc
	v_cmp_gt_f32_e32 vcc, s33, v16
	v_exp_f32_e32 v13, v13
	v_lshlrev_b32_e32 v24, 16, v14
	v_cndmask_b32_e32 v16, 0, v22, vcc
	v_fmac_f32_e32 v16, v21, v63
	v_exp_f32_e32 v16, v16
	v_mul_f32_e32 v13, v13, v12
	v_and_b32_e32 v14, 0xffff0000, v14
	v_cndmask_b32_e64 v92, 1.0, v13, s[60:61]
	v_cndmask_b32_e32 v13, 1.0, v23, vcc
	v_mul_f32_e32 v16, v16, v13
	v_mul_f32_e32 v13, v82, v14
	;; [unrolled: 1-line block ×3, first 2 shown]
	v_cmp_gt_f32_e32 vcc, s33, v14
	v_mul_f32_e32 v10, v85, v19
	v_mul_f32_e32 v19, v21, v65
	v_cndmask_b32_e32 v14, 0, v22, vcc
	v_fmac_f32_e32 v14, v21, v64
	v_exp_f32_e32 v14, v14
	v_mul_f32_e32 v12, v83, v24
	v_cndmask_b32_e64 v24, 1.0, v16, s[62:63]
	v_cndmask_b32_e32 v16, 1.0, v23, vcc
	v_cmp_gt_f32_e32 vcc, s33, v19
	v_lshlrev_b32_e32 v26, 16, v15
	v_mul_f32_e32 v16, v14, v16
	v_cndmask_b32_e32 v19, 0, v22, vcc
	v_fmac_f32_e32 v19, v21, v65
	v_mul_f32_e32 v14, v81, v26
	v_exp_f32_e32 v26, v19
	v_cndmask_b32_e64 v19, 1.0, v16, s[64:65]
	v_cndmask_b32_e32 v16, 1.0, v23, vcc
	v_cndmask_b32_e64 v8, 0, v8, s[52:53]
	v_mul_f32_e32 v16, v26, v16
	v_mul_f32_e32 v26, v21, v66
	v_cmp_gt_f32_e32 vcc, s33, v26
	v_cndmask_b32_e64 v77, 1.0, v16, s[66:67]
	v_cndmask_b32_e64 v9, 0, v9, s[54:55]
	v_cndmask_b32_e32 v26, 0, v22, vcc
	v_fmac_f32_e32 v26, v21, v66
	v_exp_f32_e32 v26, v26
	v_cndmask_b32_e32 v16, 1.0, v23, vcc
	v_cndmask_b32_e64 v10, 0, v10, s[56:57]
	v_cndmask_b32_e64 v11, 0, v11, s[58:59]
	v_mul_f32_e32 v16, v26, v16
	scratch_load_dword v26, off, off offset:96 ; 4-byte Folded Reload
	v_cndmask_b32_e64 v12, 0, v12, s[60:61]
	v_and_b32_e32 v15, 0xffff0000, v15
	v_cndmask_b32_e64 v13, 0, v13, s[62:63]
	v_cndmask_b32_e64 v14, 0, v14, s[64:65]
	v_mul_f32_e32 v15, v80, v15
	v_cndmask_b32_e64 v15, 0, v15, s[66:67]
	v_readlane_b32 s4, v95, 30
	v_readlane_b32 s5, v95, 31
	s_waitcnt vmcnt(0)
	v_mul_f32_e32 v26, v26, v51
	v_mul_f32_e32 v51, v21, v67
	v_cmp_gt_f32_e32 vcc, s33, v51
	v_cndmask_b32_e64 v54, 0, v26, s[68:69]
	v_cndmask_b32_e64 v26, 1.0, v16, s[68:69]
	v_cndmask_b32_e32 v51, 0, v22, vcc
	v_fmac_f32_e32 v51, v21, v67
	v_exp_f32_e32 v51, v51
	v_cndmask_b32_e32 v16, 1.0, v23, vcc
	v_mul_f32_e32 v16, v51, v16
	scratch_load_dword v51, off, off offset:92 ; 4-byte Folded Reload
	v_cndmask_b32_e64 v93, 1.0, v16, s[70:71]
	s_waitcnt vmcnt(0)
	v_mul_f32_e32 v51, v51, v52
	v_cndmask_b32_e64 v55, 0, v51, s[70:71]
	scratch_load_dword v51, off, off offset:88 ; 4-byte Folded Reload
	v_mul_f32_e32 v52, v21, v68
	v_cmp_gt_f32_e32 vcc, s33, v52
	s_waitcnt vmcnt(0)
	v_mul_f32_e32 v51, v51, v53
	v_cndmask_b32_e64 v56, 0, v51, s[72:73]
	scratch_load_dword v51, off, off offset:84 ; 4-byte Folded Reload
	v_cndmask_b32_e32 v52, 0, v22, vcc
	v_fmac_f32_e32 v52, v21, v68
	v_exp_f32_e32 v52, v52
	v_cndmask_b32_e32 v16, 1.0, v23, vcc
	v_mul_f32_e32 v53, v21, v71
	v_mul_f32_e32 v16, v52, v16
	;; [unrolled: 1-line block ×3, first 2 shown]
	v_cmp_gt_f32_e32 vcc, s33, v52
	v_cndmask_b32_e64 v73, 1.0, v16, s[72:73]
	s_waitcnt vmcnt(0)
	v_mul_f32_e32 v51, v51, v57
	v_cndmask_b32_e32 v52, 0, v22, vcc
	v_fmac_f32_e32 v52, v21, v69
	v_exp_f32_e32 v52, v52
	v_cndmask_b32_e32 v16, 1.0, v23, vcc
	v_cndmask_b32_e64 v57, 0, v51, s[74:75]
	v_mul_f32_e32 v16, v52, v16
	v_mul_f32_e32 v52, v21, v70
	v_cmp_gt_f32_e32 vcc, s33, v52
	v_cndmask_b32_e64 v16, 1.0, v16, s[74:75]
	s_nop 0
	v_cndmask_b32_e32 v52, 0, v22, vcc
	v_fmac_f32_e32 v52, v21, v70
	v_exp_f32_e32 v52, v52
	v_cndmask_b32_e32 v51, 1.0, v23, vcc
	v_cmp_gt_f32_e32 vcc, s33, v53
	v_mul_f32_e32 v51, v52, v51
	scratch_load_dword v52, off, off offset:80 ; 4-byte Folded Reload
	v_cndmask_b32_e32 v53, 0, v22, vcc
	v_fmac_f32_e32 v53, v21, v71
	v_exp_f32_e32 v53, v53
	v_cndmask_b32_e64 v74, 1.0, v51, s[76:77]
	v_cndmask_b32_e32 v51, 1.0, v23, vcc
	v_mul_f32_e32 v51, v53, v51
	scratch_load_dword v53, off, off offset:76 ; 4-byte Folded Reload
	v_cndmask_b32_e64 v75, 1.0, v51, s[78:79]
	s_waitcnt vmcnt(1)
	v_mul_f32_e32 v52, v52, v58
	v_mul_f32_e32 v58, v21, v72
	v_cmp_gt_f32_e32 vcc, s33, v58
	v_cndmask_b32_e64 v52, 0, v52, s[76:77]
	s_nop 0
	v_cndmask_b32_e32 v58, 0, v22, vcc
	v_fmac_f32_e32 v58, v21, v72
	v_exp_f32_e32 v58, v58
	v_cndmask_b32_e32 v51, 1.0, v23, vcc
	v_mul_f32_e32 v51, v58, v51
	scratch_load_dword v58, off, off offset:72 ; 4-byte Folded Reload
	s_waitcnt vmcnt(1)
	v_mul_f32_e32 v53, v53, v59
	v_mul_f32_e32 v59, v21, v27
	v_cmp_gt_f32_e32 vcc, s33, v59
	v_cndmask_b32_e64 v76, 1.0, v51, s[80:81]
	v_cndmask_b32_e64 v53, 0, v53, s[78:79]
	v_cndmask_b32_e32 v59, 0, v22, vcc
	v_fmac_f32_e32 v59, v21, v27
	v_exp_f32_e32 v21, v59
	v_cndmask_b32_e32 v51, 1.0, v23, vcc
	v_mul_f32_e32 v21, v21, v51
	scratch_load_dword v51, off, off offset:68 ; 4-byte Folded Reload
	v_cndmask_b32_e64 v21, 1.0, v21, s[82:83]
	s_waitcnt vmcnt(1)
	v_mul_f32_e32 v58, v58, v60
	v_cndmask_b32_e64 v58, 0, v58, s[80:81]
	s_waitcnt vmcnt(0)
	v_mul_f32_e32 v48, v51, v48
	v_cndmask_b32_e64 v59, 0, v48, s[82:83]
	v_mul_f32_e32 v48, v89, v88
	v_fma_f32 v51, v89, v8, v9
	v_mul_f32_e32 v48, v48, v90
	v_fma_f32 v51, v51, v90, v10
	;; [unrolled: 2-line block ×15, first 2 shown]
	s_nop 0
	v_mov_b32_dpp v61, v51 row_shr:1 row_mask:0xf bank_mask:0xf
	v_mov_b32_dpp v60, v48 row_shr:1 row_mask:0xf bank_mask:0xf
	s_and_saveexec_b64 s[84:85], s[4:5]
; %bb.181:                              ;   in Loop: Header=BB16_110 Depth=2
	v_mul_f32_e32 v61, v51, v61
	v_fmac_f32_e32 v48, v51, v60
	v_mov_b32_e32 v51, v61
; %bb.182:                              ;   in Loop: Header=BB16_110 Depth=2
	s_or_b64 exec, exec, s[84:85]
	v_readlane_b32 s4, v95, 32
	v_mov_b32_dpp v60, v51 row_shr:2 row_mask:0xf bank_mask:0xf
	v_mov_b32_dpp v61, v48 row_shr:2 row_mask:0xf bank_mask:0xf
	v_readlane_b32 s5, v95, 33
	s_and_saveexec_b64 s[84:85], s[4:5]
; %bb.183:                              ;   in Loop: Header=BB16_110 Depth=2
	v_fmac_f32_e32 v48, v51, v61
	v_mul_f32_e32 v51, v51, v60
; %bb.184:                              ;   in Loop: Header=BB16_110 Depth=2
	s_or_b64 exec, exec, s[84:85]
	s_nop 0
	v_mov_b32_dpp v60, v51 row_shr:4 row_mask:0xf bank_mask:0xf
	v_mov_b32_dpp v61, v48 row_shr:4 row_mask:0xf bank_mask:0xf
	s_and_saveexec_b64 s[84:85], s[2:3]
; %bb.185:                              ;   in Loop: Header=BB16_110 Depth=2
	v_fmac_f32_e32 v48, v51, v61
	v_mul_f32_e32 v51, v51, v60
; %bb.186:                              ;   in Loop: Header=BB16_110 Depth=2
	s_or_b64 exec, exec, s[84:85]
	v_readlane_b32 s4, v95, 34
	v_mov_b32_dpp v60, v51 row_shr:8 row_mask:0xf bank_mask:0xf
	v_mov_b32_dpp v61, v48 row_shr:8 row_mask:0xf bank_mask:0xf
	v_readlane_b32 s5, v95, 35
	s_and_saveexec_b64 s[84:85], s[4:5]
; %bb.187:                              ;   in Loop: Header=BB16_110 Depth=2
	v_fmac_f32_e32 v48, v51, v61
	v_mul_f32_e32 v51, v51, v60
; %bb.188:                              ;   in Loop: Header=BB16_110 Depth=2
	s_or_b64 exec, exec, s[84:85]
	v_readlane_b32 s4, v95, 36
	v_mov_b32_dpp v60, v51 row_bcast:15 row_mask:0xf bank_mask:0xf
	v_mov_b32_dpp v61, v48 row_bcast:15 row_mask:0xf bank_mask:0xf
	v_readlane_b32 s5, v95, 37
	s_and_saveexec_b64 s[84:85], s[4:5]
; %bb.189:                              ;   in Loop: Header=BB16_110 Depth=2
	v_fmac_f32_e32 v48, v51, v61
	v_mul_f32_e32 v51, v51, v60
; %bb.190:                              ;   in Loop: Header=BB16_110 Depth=2
	s_or_b64 exec, exec, s[84:85]
	s_nop 0
	v_mov_b32_dpp v60, v51 row_bcast:31 row_mask:0xf bank_mask:0xf
	v_mov_b32_dpp v61, v48 row_bcast:31 row_mask:0xf bank_mask:0xf
	v_mov_b32_e32 v78, v48
	v_mul_f32_e32 v60, v51, v60
	v_fmac_f32_e32 v78, v51, v61
	v_readlane_b32 s4, v95, 46
	v_cndmask_b32_e64 v60, v51, v60, s[12:13]
	v_cndmask_b32_e64 v61, v48, v78, s[12:13]
	v_readlane_b32 s5, v95, 47
	s_and_saveexec_b64 s[84:85], s[4:5]
	s_cbranch_execz .LBB16_192
; %bb.191:                              ;   in Loop: Header=BB16_110 Depth=2
	ds_write_b64 v17, v[60:61] offset:4224
.LBB16_192:                             ;   in Loop: Header=BB16_110 Depth=2
	s_or_b64 exec, exec, s[84:85]
	scratch_load_dword v48, off, off offset:164 ; 4-byte Folded Reload
	s_waitcnt lgkmcnt(0)
	; wave barrier
	s_waitcnt vmcnt(0) lgkmcnt(0)
	ds_bpermute_b32 v78, v48, v60
	ds_bpermute_b32 v79, v48, v61
	s_and_saveexec_b64 s[84:85], s[14:15]
	s_cbranch_execz .LBB16_196
; %bb.193:                              ;   in Loop: Header=BB16_110 Depth=2
	ds_read_b64 v[60:61], v17 offset:4224
	s_and_saveexec_b64 s[88:89], s[16:17]
	s_cbranch_execz .LBB16_195
; %bb.194:                              ;   in Loop: Header=BB16_110 Depth=2
	v_mov_b32_e32 v51, v49
	ds_write_b64 v17, v[50:51] offset:4224
.LBB16_195:                             ;   in Loop: Header=BB16_110 Depth=2
	s_or_b64 exec, exec, s[88:89]
	s_waitcnt lgkmcnt(0)
	v_mul_f32_e32 v51, v60, v49
	v_pk_add_f32 v[48:49], v[50:51], v[60:61]
	v_mul_f32_e32 v50, v50, v60
.LBB16_196:                             ;   in Loop: Header=BB16_110 Depth=2
	s_or_b64 exec, exec, s[84:85]
	s_waitcnt lgkmcnt(0)
	; wave barrier
	s_waitcnt lgkmcnt(0)
	ds_read_b32 v48, v17 offset:4228
	s_and_saveexec_b64 s[84:85], s[16:17]
	s_cbranch_execz .LBB16_109
; %bb.197:                              ;   in Loop: Header=BB16_110 Depth=2
	v_mov_b32_e32 v51, v49
	v_mov_b32_e32 v60, s1
	s_andn2_b64 vcc, exec, s[90:91]
	ds_write_b64 v60, v[50:51]
	s_cbranch_vccnz .LBB16_109
; %bb.198:                              ;   in Loop: Header=BB16_110 Depth=2
	v_bfe_u32 v50, v49, 16, 1
	s_movk_i32 s4, 0x7fff
	s_mov_b32 s97, s99
	v_add3_u32 v50, v49, v50, s4
	s_lshl_b64 s[88:89], s[96:97], 1
	v_readlane_b32 s4, v95, 20
	v_lshrrev_b32_e32 v50, 16, v50
	v_cmp_o_f32_e32 vcc, v49, v49
	v_mov_b32_e32 v49, 0x7fc0
	s_add_u32 s88, s4, s88
	v_readlane_b32 s4, v95, 21
	v_cndmask_b32_e32 v49, v49, v50, vcc
	v_readlane_b32 s97, v95, 49
	s_addc_u32 s89, s4, s89
	global_store_short v17, v49, s[88:89]
	s_branch .LBB16_109
.LBB16_199:                             ;   in Loop: Header=BB16_13 Depth=1
	v_readlane_b32 s6, v95, 50
	v_readlane_b32 s7, v95, 51
	s_mov_b32 s4, 0x41a00000
	s_mov_b32 s5, 0x3fb8aa3b
	;; [unrolled: 1-line block ×8, first 2 shown]
.LBB16_200:                             ;   in Loop: Header=BB16_13 Depth=1
	s_waitcnt lgkmcnt(0)
	; wave barrier
	scratch_load_dword v9, off, off offset:4 ; 4-byte Folded Reload
	v_bfe_u32 v0, v42, 16, 1
	s_movk_i32 s0, 0x7fff
	v_bfe_u32 v1, v43, 16, 1
	v_add3_u32 v0, v42, v0, s0
	v_bfe_u32 v2, v40, 16, 1
	v_add3_u32 v1, v43, v1, s0
	v_lshrrev_b32_e32 v0, 16, v0
	v_cmp_o_f32_e32 vcc, v42, v42
	v_mov_b32_e32 v10, 0x7fc0
	v_bfe_u32 v3, v41, 16, 1
	v_add3_u32 v2, v40, v2, s0
	v_lshrrev_b32_e32 v1, 16, v1
	v_cndmask_b32_e32 v0, v10, v0, vcc
	v_cmp_o_f32_e32 vcc, v43, v43
	v_add3_u32 v3, v41, v3, s0
	v_lshrrev_b32_e32 v2, 16, v2
	v_cndmask_b32_e32 v4, v10, v1, vcc
	v_cmp_o_f32_e32 vcc, v40, v40
	v_lshrrev_b32_e32 v3, 16, v3
	v_bfe_u32 v6, v36, 16, 1
	v_cndmask_b32_e32 v1, v10, v2, vcc
	v_cmp_o_f32_e32 vcc, v41, v41
	v_bfe_u32 v2, v38, 16, 1
	v_add3_u32 v2, v38, v2, s0
	v_cndmask_b32_e32 v5, v10, v3, vcc
	v_bfe_u32 v3, v39, 16, 1
	v_add3_u32 v3, v39, v3, s0
	v_lshrrev_b32_e32 v2, 16, v2
	v_cmp_o_f32_e32 vcc, v38, v38
	v_bfe_u32 v7, v37, 16, 1
	v_add3_u32 v6, v36, v6, s0
	v_lshrrev_b32_e32 v3, 16, v3
	v_cndmask_b32_e32 v2, v10, v2, vcc
	v_cmp_o_f32_e32 vcc, v39, v39
	v_add3_u32 v7, v37, v7, s0
	v_lshrrev_b32_e32 v6, 16, v6
	v_cndmask_b32_e32 v8, v10, v3, vcc
	v_cmp_o_f32_e32 vcc, v36, v36
	v_lshrrev_b32_e32 v7, 16, v7
	s_mov_b32 s1, 0x5040100
	v_cndmask_b32_e32 v3, v10, v6, vcc
	v_cmp_o_f32_e32 vcc, v37, v37
	v_perm_b32 v2, v8, v2, s1
	v_perm_b32 v1, v5, v1, s1
	v_cndmask_b32_e32 v6, v10, v7, vcc
	v_perm_b32 v3, v6, v3, s1
	v_perm_b32 v0, v4, v0, s1
	v_cmp_o_f32_e32 vcc, v34, v34
	v_bfe_u32 v6, v28, 16, 1
	v_bfe_u32 v7, v29, 16, 1
	v_add3_u32 v6, v28, v6, s0
	v_add3_u32 v7, v29, v7, s0
	v_lshrrev_b32_e32 v6, 16, v6
	v_lshrrev_b32_e32 v7, 16, v7
	v_readlane_b32 s52, v95, 53
	v_readlane_b32 s53, v95, 54
	s_mov_b32 s53, s99
	s_mov_b64 s[58:59], s[52:53]
	s_waitcnt vmcnt(0)
	ds_write_b128 v9, v[0:3]
	v_bfe_u32 v0, v34, 16, 1
	v_bfe_u32 v1, v35, 16, 1
	v_add3_u32 v0, v34, v0, s0
	v_bfe_u32 v2, v32, 16, 1
	v_add3_u32 v1, v35, v1, s0
	v_lshrrev_b32_e32 v0, 16, v0
	v_bfe_u32 v3, v33, 16, 1
	v_add3_u32 v2, v32, v2, s0
	v_lshrrev_b32_e32 v1, 16, v1
	v_cndmask_b32_e32 v0, v10, v0, vcc
	v_cmp_o_f32_e32 vcc, v35, v35
	v_add3_u32 v3, v33, v3, s0
	v_lshrrev_b32_e32 v2, 16, v2
	v_cndmask_b32_e32 v4, v10, v1, vcc
	v_cmp_o_f32_e32 vcc, v32, v32
	v_lshrrev_b32_e32 v3, 16, v3
	v_perm_b32 v0, v4, v0, s1
	v_cndmask_b32_e32 v1, v10, v2, vcc
	v_cmp_o_f32_e32 vcc, v33, v33
	v_bfe_u32 v2, v30, 16, 1
	v_add3_u32 v2, v30, v2, s0
	v_cndmask_b32_e32 v5, v10, v3, vcc
	v_bfe_u32 v3, v31, 16, 1
	v_add3_u32 v3, v31, v3, s0
	v_lshrrev_b32_e32 v2, 16, v2
	v_cmp_o_f32_e32 vcc, v30, v30
	v_lshrrev_b32_e32 v3, 16, v3
	v_perm_b32 v1, v5, v1, s1
	v_cndmask_b32_e32 v2, v10, v2, vcc
	v_cmp_o_f32_e32 vcc, v31, v31
	s_nop 1
	v_cndmask_b32_e32 v8, v10, v3, vcc
	v_cmp_o_f32_e32 vcc, v28, v28
	v_perm_b32 v2, v8, v2, s1
	s_nop 0
	v_cndmask_b32_e32 v3, v10, v6, vcc
	v_cmp_o_f32_e32 vcc, v29, v29
	s_nop 1
	v_cndmask_b32_e32 v6, v10, v7, vcc
	v_perm_b32 v3, v6, v3, s1
	ds_write_b128 v9, v[0:3] offset:16
	; wave barrier
	scratch_load_dword v0, off, off offset:8 ; 4-byte Folded Reload
	s_waitcnt vmcnt(0)
	ds_read_u16 v16, v0 offset:128
	scratch_load_dword v0, off, off offset:12 ; 4-byte Folded Reload
	s_waitcnt vmcnt(0)
	ds_read_u16 v15, v0 offset:256
	;; [unrolled: 3-line block ×15, first 2 shown]
	scratch_load_dwordx2 v[0:1], off, off offset:244 ; 8-byte Folded Reload
	s_waitcnt vmcnt(0)
	v_lshl_add_u64 v[0:1], s[52:53], 1, v[0:1]
	s_and_saveexec_b64 s[52:53], s[18:19]
	s_cbranch_execnz .LBB16_269
; %bb.201:                              ;   in Loop: Header=BB16_13 Depth=1
	s_or_b64 exec, exec, s[52:53]
	s_and_saveexec_b64 s[52:53], s[20:21]
	s_cbranch_execnz .LBB16_270
.LBB16_202:                             ;   in Loop: Header=BB16_13 Depth=1
	s_or_b64 exec, exec, s[52:53]
	s_and_saveexec_b64 s[52:53], s[22:23]
	s_cbranch_execnz .LBB16_271
.LBB16_203:                             ;   in Loop: Header=BB16_13 Depth=1
	s_or_b64 exec, exec, s[52:53]
	s_and_saveexec_b64 s[52:53], s[24:25]
	s_cbranch_execnz .LBB16_272
.LBB16_204:                             ;   in Loop: Header=BB16_13 Depth=1
	s_or_b64 exec, exec, s[52:53]
	s_and_saveexec_b64 s[52:53], s[26:27]
	s_cbranch_execnz .LBB16_273
.LBB16_205:                             ;   in Loop: Header=BB16_13 Depth=1
	s_or_b64 exec, exec, s[52:53]
	s_and_saveexec_b64 s[52:53], s[28:29]
	s_cbranch_execnz .LBB16_274
.LBB16_206:                             ;   in Loop: Header=BB16_13 Depth=1
	s_or_b64 exec, exec, s[52:53]
	s_and_saveexec_b64 s[52:53], s[30:31]
	s_cbranch_execnz .LBB16_275
.LBB16_207:                             ;   in Loop: Header=BB16_13 Depth=1
	s_or_b64 exec, exec, s[52:53]
	s_and_saveexec_b64 s[52:53], s[34:35]
	s_cbranch_execnz .LBB16_276
.LBB16_208:                             ;   in Loop: Header=BB16_13 Depth=1
	s_or_b64 exec, exec, s[52:53]
	s_and_saveexec_b64 s[52:53], s[36:37]
	s_cbranch_execnz .LBB16_277
.LBB16_209:                             ;   in Loop: Header=BB16_13 Depth=1
	s_or_b64 exec, exec, s[52:53]
	s_and_saveexec_b64 s[52:53], s[38:39]
	s_cbranch_execnz .LBB16_278
.LBB16_210:                             ;   in Loop: Header=BB16_13 Depth=1
	s_or_b64 exec, exec, s[52:53]
	s_and_saveexec_b64 s[52:53], s[40:41]
	s_cbranch_execnz .LBB16_279
.LBB16_211:                             ;   in Loop: Header=BB16_13 Depth=1
	s_or_b64 exec, exec, s[52:53]
	s_and_saveexec_b64 s[52:53], s[42:43]
	s_cbranch_execnz .LBB16_280
.LBB16_212:                             ;   in Loop: Header=BB16_13 Depth=1
	s_or_b64 exec, exec, s[52:53]
	s_and_saveexec_b64 s[52:53], s[44:45]
	s_cbranch_execnz .LBB16_281
.LBB16_213:                             ;   in Loop: Header=BB16_13 Depth=1
	s_or_b64 exec, exec, s[52:53]
	s_and_saveexec_b64 s[52:53], s[46:47]
	s_cbranch_execnz .LBB16_282
.LBB16_214:                             ;   in Loop: Header=BB16_13 Depth=1
	s_or_b64 exec, exec, s[52:53]
	s_and_saveexec_b64 s[52:53], s[48:49]
	s_cbranch_execnz .LBB16_283
.LBB16_215:                             ;   in Loop: Header=BB16_13 Depth=1
	s_or_b64 exec, exec, s[52:53]
	s_and_saveexec_b64 s[52:53], s[50:51]
	s_cbranch_execz .LBB16_217
.LBB16_216:                             ;   in Loop: Header=BB16_13 Depth=1
	s_waitcnt lgkmcnt(0)
	global_store_short v[0:1], v2, off offset:1920
.LBB16_217:                             ;   in Loop: Header=BB16_13 Depth=1
	s_or_b64 exec, exec, s[52:53]
	s_waitcnt lgkmcnt(0)
	; wave barrier
	s_waitcnt lgkmcnt(0)
	scratch_load_dwordx2 v[0:1], off, off offset:252 ; 8-byte Folded Reload
	v_mov_b32_e32 v2, 0
	v_mov_b32_e32 v3, 0
	s_waitcnt vmcnt(0)
	v_lshl_add_u64 v[0:1], s[58:59], 1, v[0:1]
	s_and_saveexec_b64 s[52:53], s[18:19]
	s_cbranch_execz .LBB16_219
; %bb.218:                              ;   in Loop: Header=BB16_13 Depth=1
	global_load_ushort v3, v[0:1], off
.LBB16_219:                             ;   in Loop: Header=BB16_13 Depth=1
	s_or_b64 exec, exec, s[52:53]
	s_and_saveexec_b64 s[52:53], s[20:21]
	s_cbranch_execz .LBB16_221
; %bb.220:                              ;   in Loop: Header=BB16_13 Depth=1
	global_load_ushort v2, v[0:1], off offset:128
.LBB16_221:                             ;   in Loop: Header=BB16_13 Depth=1
	s_or_b64 exec, exec, s[52:53]
	v_mov_b32_e32 v4, 0
	v_mov_b32_e32 v5, 0
	s_and_saveexec_b64 s[52:53], s[22:23]
	s_cbranch_execz .LBB16_223
; %bb.222:                              ;   in Loop: Header=BB16_13 Depth=1
	global_load_ushort v5, v[0:1], off offset:256
.LBB16_223:                             ;   in Loop: Header=BB16_13 Depth=1
	s_or_b64 exec, exec, s[52:53]
	s_and_saveexec_b64 s[52:53], s[24:25]
	s_cbranch_execz .LBB16_225
; %bb.224:                              ;   in Loop: Header=BB16_13 Depth=1
	global_load_ushort v4, v[0:1], off offset:384
.LBB16_225:                             ;   in Loop: Header=BB16_13 Depth=1
	s_or_b64 exec, exec, s[52:53]
	v_mov_b32_e32 v6, 0
	v_mov_b32_e32 v7, 0
	s_and_saveexec_b64 s[52:53], s[26:27]
	s_cbranch_execz .LBB16_227
; %bb.226:                              ;   in Loop: Header=BB16_13 Depth=1
	global_load_ushort v7, v[0:1], off offset:512
.LBB16_227:                             ;   in Loop: Header=BB16_13 Depth=1
	;; [unrolled: 14-line block ×7, first 2 shown]
	s_or_b64 exec, exec, s[52:53]
	s_and_saveexec_b64 s[52:53], s[50:51]
	s_cbranch_execz .LBB16_249
; %bb.248:                              ;   in Loop: Header=BB16_13 Depth=1
	global_load_ushort v16, v[0:1], off offset:1920
.LBB16_249:                             ;   in Loop: Header=BB16_13 Depth=1
	s_or_b64 exec, exec, s[52:53]
	scratch_load_dword v0, off, off         ; 4-byte Folded Reload
	scratch_load_dword v44, off, off offset:8 ; 4-byte Folded Reload
	scratch_load_dword v45, off, off offset:12 ; 4-byte Folded Reload
	;; [unrolled: 1-line block ×15, first 2 shown]
	s_mov_b32 s53, 0xbfb8aa3b
	s_mov_b32 s54, 0x42ce8ed0
	;; [unrolled: 1-line block ×3, first 2 shown]
	v_mov_b32_e32 v26, 0x7f800000
	s_movk_i32 s52, 0x7fff
	s_waitcnt vmcnt(15)
	ds_write_b16 v0, v3
	s_waitcnt vmcnt(14)
	ds_write_b16 v44, v2 offset:128
	s_waitcnt vmcnt(13)
	ds_write_b16 v45, v5 offset:256
	;; [unrolled: 2-line block ×15, first 2 shown]
	; wave barrier
	scratch_load_dword v59, off, off offset:4 ; 4-byte Folded Reload
	s_waitcnt vmcnt(0)
	ds_read_b128 v[4:7], v59
	ds_read_b128 v[0:3], v59 offset:16
	s_waitcnt lgkmcnt(0)
	; wave barrier
	s_waitcnt lgkmcnt(0)
	v_and_b32_e32 v13, 0xffff0000, v5
	v_and_b32_e32 v11, 0xffff0000, v4
	v_lshlrev_b32_e32 v10, 16, v4
	v_mul_f32_e32 v4, 0xbfb8aa3b, v13
	v_lshlrev_b32_e32 v12, 16, v5
	v_fma_f32 v5, v13, s53, -v4
	v_rndne_f32_e32 v8, v4
	v_fmac_f32_e32 v5, 0xb2a5705f, v13
	v_sub_f32_e32 v4, v4, v8
	v_add_f32_e32 v4, v4, v5
	v_exp_f32_e32 v4, v4
	v_cvt_i32_f32_e32 v5, v8
	v_cmp_nlt_f32_e32 vcc, s54, v13
	v_ldexp_f32 v4, v4, v5
	s_nop 0
	v_cndmask_b32_e32 v4, 0, v4, vcc
	v_cmp_ngt_f32_e32 vcc, s55, v13
	s_nop 1
	v_cndmask_b32_e32 v9, v26, v4, vcc
	v_mul_f32_e32 v4, 0xbfb8aa3b, v11
	v_fma_f32 v5, v11, s53, -v4
	v_rndne_f32_e32 v8, v4
	v_fmac_f32_e32 v5, 0xb2a5705f, v11
	v_sub_f32_e32 v4, v4, v8
	v_add_f32_e32 v4, v4, v5
	v_exp_f32_e32 v4, v4
	v_cvt_i32_f32_e32 v5, v8
	v_cmp_nlt_f32_e32 vcc, s54, v11
	v_ldexp_f32 v4, v4, v5
	s_nop 0
	v_cndmask_b32_e32 v4, 0, v4, vcc
	v_cmp_ngt_f32_e32 vcc, s55, v11
	s_nop 1
	v_cndmask_b32_e32 v5, v26, v4, vcc
	v_mul_f32_e32 v4, 0xbfb8aa3b, v12
	v_rndne_f32_e32 v8, v4
	v_sub_f32_e32 v14, v4, v8
	v_fma_f32 v4, v12, s53, -v4
	v_fmac_f32_e32 v4, 0xb2a5705f, v12
	v_add_f32_e32 v4, v14, v4
	v_exp_f32_e32 v4, v4
	v_cvt_i32_f32_e32 v8, v8
	v_cmp_nlt_f32_e32 vcc, s54, v12
	v_ldexp_f32 v4, v4, v8
	s_nop 0
	v_cndmask_b32_e32 v4, 0, v4, vcc
	v_cmp_ngt_f32_e32 vcc, s55, v12
	s_nop 1
	v_cndmask_b32_e32 v8, v26, v4, vcc
	v_mul_f32_e32 v4, 0xbfb8aa3b, v10
	v_rndne_f32_e32 v14, v4
	v_sub_f32_e32 v15, v4, v14
	v_fma_f32 v4, v10, s53, -v4
	v_fmac_f32_e32 v4, 0xb2a5705f, v10
	v_add_f32_e32 v4, v15, v4
	v_exp_f32_e32 v4, v4
	v_cvt_i32_f32_e32 v14, v14
	v_pk_add_f32 v[8:9], v[8:9], 1.0 op_sel_hi:[1,0]
	v_cmp_nlt_f32_e32 vcc, s54, v10
	v_ldexp_f32 v4, v4, v14
	v_div_scale_f32 v14, s[0:1], v9, v9, v13
	v_rcp_f32_e32 v15, v14
	v_cndmask_b32_e32 v4, 0, v4, vcc
	v_cmp_ngt_f32_e32 vcc, s55, v10
	v_fma_f32 v16, -v14, v15, 1.0
	s_nop 0
	v_cndmask_b32_e32 v4, v26, v4, vcc
	v_fmac_f32_e32 v15, v16, v15
	v_div_scale_f32 v16, vcc, v13, v9, v13
	v_mul_f32_e32 v18, v16, v15
	v_fma_f32 v19, -v14, v18, v16
	v_fmac_f32_e32 v18, v19, v15
	v_fma_f32 v14, -v14, v18, v16
	v_div_fmas_f32 v14, v14, v15, v18
	v_div_fixup_f32 v9, v14, v9, v13
	v_div_scale_f32 v13, s[0:1], v8, v8, v12
	v_rcp_f32_e32 v14, v13
	v_pk_add_f32 v[4:5], v[4:5], 1.0 op_sel_hi:[1,0]
	v_fma_f32 v15, -v13, v14, 1.0
	v_fmac_f32_e32 v14, v15, v14
	v_div_scale_f32 v15, vcc, v12, v8, v12
	v_mul_f32_e32 v16, v15, v14
	v_fma_f32 v18, -v13, v16, v15
	v_fmac_f32_e32 v16, v18, v14
	v_fma_f32 v13, -v13, v16, v15
	v_div_fmas_f32 v13, v13, v14, v16
	v_div_fixup_f32 v8, v13, v8, v12
	v_div_scale_f32 v12, s[0:1], v5, v5, v11
	v_rcp_f32_e32 v13, v12
	s_nop 0
	v_fma_f32 v14, -v12, v13, 1.0
	v_fmac_f32_e32 v13, v14, v13
	v_div_scale_f32 v14, vcc, v11, v5, v11
	v_mul_f32_e32 v15, v14, v13
	v_fma_f32 v16, -v12, v15, v14
	v_fmac_f32_e32 v15, v16, v13
	v_fma_f32 v12, -v12, v15, v14
	v_div_fmas_f32 v12, v12, v13, v15
	v_div_fixup_f32 v5, v12, v5, v11
	v_div_scale_f32 v11, s[0:1], v4, v4, v10
	v_rcp_f32_e32 v12, v11
	s_nop 0
	v_fma_f32 v13, -v11, v12, 1.0
	v_fmac_f32_e32 v12, v13, v12
	v_div_scale_f32 v13, vcc, v10, v4, v10
	v_mul_f32_e32 v14, v13, v12
	v_fma_f32 v15, -v11, v14, v13
	v_fmac_f32_e32 v14, v15, v12
	v_fma_f32 v11, -v11, v14, v13
	v_div_fmas_f32 v11, v11, v12, v14
	v_div_fixup_f32 v4, v11, v4, v10
	v_pk_mul_f32 v[4:5], v[42:43], v[4:5]
	v_pk_mul_f32 v[10:11], v[40:41], v[8:9]
	v_bfe_u32 v8, v4, 16, 1
	v_bfe_u32 v9, v5, 16, 1
	v_add3_u32 v8, v4, v8, s52
	v_bfe_u32 v12, v10, 16, 1
	v_add3_u32 v9, v5, v9, s52
	v_lshrrev_b32_e32 v8, 16, v8
	v_cmp_o_f32_e32 vcc, v4, v4
	v_mov_b32_e32 v40, 0x7fc0
	v_bfe_u32 v13, v11, 16, 1
	v_add3_u32 v12, v10, v12, s52
	v_lshrrev_b32_e32 v9, 16, v9
	v_cndmask_b32_e32 v8, v40, v8, vcc
	v_cmp_o_f32_e32 vcc, v5, v5
	v_add3_u32 v13, v11, v13, s52
	v_lshrrev_b32_e32 v12, 16, v12
	v_cndmask_b32_e32 v9, v40, v9, vcc
	v_cmp_o_f32_e32 vcc, v10, v10
	v_and_b32_e32 v15, 0xffff0000, v7
	v_lshrrev_b32_e32 v13, 16, v13
	v_cndmask_b32_e32 v10, v40, v12, vcc
	v_cmp_o_f32_e32 vcc, v11, v11
	v_mul_f32_e32 v4, 0xbfb8aa3b, v15
	v_lshlrev_b32_e32 v12, 16, v6
	v_cndmask_b32_e32 v11, v40, v13, vcc
	v_and_b32_e32 v13, 0xffff0000, v6
	v_fma_f32 v5, v15, s53, -v4
	v_rndne_f32_e32 v6, v4
	v_fmac_f32_e32 v5, 0xb2a5705f, v15
	v_sub_f32_e32 v4, v4, v6
	v_add_f32_e32 v4, v4, v5
	v_exp_f32_e32 v4, v4
	v_cvt_i32_f32_e32 v5, v6
	v_cmp_nlt_f32_e32 vcc, s54, v15
	v_lshlrev_b32_e32 v14, 16, v7
	v_ldexp_f32 v4, v4, v5
	v_cndmask_b32_e32 v4, 0, v4, vcc
	v_cmp_ngt_f32_e32 vcc, s55, v15
	s_nop 1
	v_cndmask_b32_e32 v7, v26, v4, vcc
	v_mul_f32_e32 v4, 0xbfb8aa3b, v13
	v_fma_f32 v5, v13, s53, -v4
	v_rndne_f32_e32 v6, v4
	v_fmac_f32_e32 v5, 0xb2a5705f, v13
	v_sub_f32_e32 v4, v4, v6
	v_add_f32_e32 v4, v4, v5
	v_exp_f32_e32 v4, v4
	v_cvt_i32_f32_e32 v5, v6
	v_cmp_nlt_f32_e32 vcc, s54, v13
	v_ldexp_f32 v4, v4, v5
	s_nop 0
	v_cndmask_b32_e32 v4, 0, v4, vcc
	v_cmp_ngt_f32_e32 vcc, s55, v13
	s_nop 1
	v_cndmask_b32_e32 v5, v26, v4, vcc
	v_mul_f32_e32 v4, 0xbfb8aa3b, v14
	v_rndne_f32_e32 v6, v4
	v_sub_f32_e32 v16, v4, v6
	v_fma_f32 v4, v14, s53, -v4
	v_fmac_f32_e32 v4, 0xb2a5705f, v14
	v_add_f32_e32 v4, v16, v4
	v_exp_f32_e32 v4, v4
	v_cvt_i32_f32_e32 v6, v6
	v_cmp_nlt_f32_e32 vcc, s54, v14
	v_ldexp_f32 v4, v4, v6
	s_nop 0
	v_cndmask_b32_e32 v4, 0, v4, vcc
	v_cmp_ngt_f32_e32 vcc, s55, v14
	s_nop 1
	v_cndmask_b32_e32 v6, v26, v4, vcc
	v_mul_f32_e32 v4, 0xbfb8aa3b, v12
	v_rndne_f32_e32 v16, v4
	v_sub_f32_e32 v18, v4, v16
	v_fma_f32 v4, v12, s53, -v4
	v_fmac_f32_e32 v4, 0xb2a5705f, v12
	v_add_f32_e32 v4, v18, v4
	v_exp_f32_e32 v4, v4
	v_cvt_i32_f32_e32 v16, v16
	v_pk_add_f32 v[6:7], v[6:7], 1.0 op_sel_hi:[1,0]
	v_cmp_nlt_f32_e32 vcc, s54, v12
	v_ldexp_f32 v4, v4, v16
	v_div_scale_f32 v16, s[0:1], v7, v7, v15
	v_rcp_f32_e32 v18, v16
	v_cndmask_b32_e32 v4, 0, v4, vcc
	v_cmp_ngt_f32_e32 vcc, s55, v12
	v_fma_f32 v19, -v16, v18, 1.0
	s_nop 0
	v_cndmask_b32_e32 v4, v26, v4, vcc
	v_fmac_f32_e32 v18, v19, v18
	v_div_scale_f32 v19, vcc, v15, v7, v15
	v_mul_f32_e32 v20, v19, v18
	v_fma_f32 v21, -v16, v20, v19
	v_fmac_f32_e32 v20, v21, v18
	v_fma_f32 v16, -v16, v20, v19
	v_div_fmas_f32 v16, v16, v18, v20
	v_div_fixup_f32 v7, v16, v7, v15
	v_div_scale_f32 v15, s[0:1], v6, v6, v14
	v_rcp_f32_e32 v16, v15
	v_pk_add_f32 v[4:5], v[4:5], 1.0 op_sel_hi:[1,0]
	v_fma_f32 v18, -v15, v16, 1.0
	v_fmac_f32_e32 v16, v18, v16
	v_div_scale_f32 v18, vcc, v14, v6, v14
	v_mul_f32_e32 v19, v18, v16
	v_fma_f32 v20, -v15, v19, v18
	v_fmac_f32_e32 v19, v20, v16
	v_fma_f32 v15, -v15, v19, v18
	v_div_fmas_f32 v15, v15, v16, v19
	v_div_fixup_f32 v6, v15, v6, v14
	v_div_scale_f32 v14, s[0:1], v5, v5, v13
	v_rcp_f32_e32 v15, v14
	s_nop 0
	v_fma_f32 v16, -v14, v15, 1.0
	v_fmac_f32_e32 v15, v16, v15
	v_div_scale_f32 v16, vcc, v13, v5, v13
	v_mul_f32_e32 v18, v16, v15
	v_fma_f32 v19, -v14, v18, v16
	v_fmac_f32_e32 v18, v19, v15
	v_fma_f32 v14, -v14, v18, v16
	v_div_fmas_f32 v14, v14, v15, v18
	v_div_fixup_f32 v5, v14, v5, v13
	v_div_scale_f32 v13, s[0:1], v4, v4, v12
	v_rcp_f32_e32 v14, v13
	s_nop 0
	v_fma_f32 v15, -v13, v14, 1.0
	v_fmac_f32_e32 v14, v15, v14
	v_div_scale_f32 v15, vcc, v12, v4, v12
	v_mul_f32_e32 v16, v15, v14
	v_fma_f32 v18, -v13, v16, v15
	v_fmac_f32_e32 v16, v18, v14
	v_fma_f32 v13, -v13, v16, v15
	v_div_fmas_f32 v13, v13, v14, v16
	v_div_fixup_f32 v4, v13, v4, v12
	v_pk_mul_f32 v[4:5], v[38:39], v[4:5]
	v_pk_mul_f32 v[12:13], v[36:37], v[6:7]
	v_bfe_u32 v6, v4, 16, 1
	v_bfe_u32 v7, v5, 16, 1
	v_add3_u32 v6, v4, v6, s52
	v_bfe_u32 v14, v12, 16, 1
	v_add3_u32 v7, v5, v7, s52
	v_lshrrev_b32_e32 v6, 16, v6
	v_cmp_o_f32_e32 vcc, v4, v4
	v_bfe_u32 v15, v13, 16, 1
	v_add3_u32 v14, v12, v14, s52
	v_lshrrev_b32_e32 v7, 16, v7
	v_cndmask_b32_e32 v6, v40, v6, vcc
	v_cmp_o_f32_e32 vcc, v5, v5
	v_add3_u32 v15, v13, v15, s52
	v_lshrrev_b32_e32 v14, 16, v14
	v_cndmask_b32_e32 v7, v40, v7, vcc
	v_cmp_o_f32_e32 vcc, v12, v12
	v_lshrrev_b32_e32 v15, 16, v15
	v_and_b32_e32 v18, 0xffff0000, v1
	v_cndmask_b32_e32 v12, v40, v14, vcc
	v_cmp_o_f32_e32 vcc, v13, v13
	v_lshlrev_b32_e32 v14, 16, v0
	v_lshlrev_b32_e32 v16, 16, v1
	v_cndmask_b32_e32 v13, v40, v15, vcc
	v_and_b32_e32 v15, 0xffff0000, v0
	v_mul_f32_e32 v0, 0xbfb8aa3b, v18
	v_fma_f32 v1, v18, s53, -v0
	v_rndne_f32_e32 v4, v0
	v_fmac_f32_e32 v1, 0xb2a5705f, v18
	v_sub_f32_e32 v0, v0, v4
	v_add_f32_e32 v0, v0, v1
	v_exp_f32_e32 v0, v0
	v_cvt_i32_f32_e32 v1, v4
	v_cmp_nlt_f32_e32 vcc, s54, v18
	v_ldexp_f32 v0, v0, v1
	s_nop 0
	v_cndmask_b32_e32 v0, 0, v0, vcc
	v_cmp_ngt_f32_e32 vcc, s55, v18
	s_nop 1
	v_cndmask_b32_e32 v5, v26, v0, vcc
	v_mul_f32_e32 v0, 0xbfb8aa3b, v15
	v_fma_f32 v1, v15, s53, -v0
	v_rndne_f32_e32 v4, v0
	v_fmac_f32_e32 v1, 0xb2a5705f, v15
	v_sub_f32_e32 v0, v0, v4
	v_add_f32_e32 v0, v0, v1
	v_exp_f32_e32 v0, v0
	v_cvt_i32_f32_e32 v1, v4
	v_cmp_nlt_f32_e32 vcc, s54, v15
	v_ldexp_f32 v0, v0, v1
	s_nop 0
	v_cndmask_b32_e32 v0, 0, v0, vcc
	v_cmp_ngt_f32_e32 vcc, s55, v15
	s_nop 1
	v_cndmask_b32_e32 v1, v26, v0, vcc
	v_mul_f32_e32 v0, 0xbfb8aa3b, v16
	v_rndne_f32_e32 v4, v0
	v_sub_f32_e32 v19, v0, v4
	v_fma_f32 v0, v16, s53, -v0
	v_fmac_f32_e32 v0, 0xb2a5705f, v16
	v_add_f32_e32 v0, v19, v0
	v_exp_f32_e32 v0, v0
	v_cvt_i32_f32_e32 v4, v4
	v_cmp_nlt_f32_e32 vcc, s54, v16
	v_ldexp_f32 v0, v0, v4
	s_nop 0
	v_cndmask_b32_e32 v0, 0, v0, vcc
	v_cmp_ngt_f32_e32 vcc, s55, v16
	s_nop 1
	v_cndmask_b32_e32 v4, v26, v0, vcc
	v_mul_f32_e32 v0, 0xbfb8aa3b, v14
	v_rndne_f32_e32 v19, v0
	v_sub_f32_e32 v20, v0, v19
	v_fma_f32 v0, v14, s53, -v0
	v_fmac_f32_e32 v0, 0xb2a5705f, v14
	v_add_f32_e32 v0, v20, v0
	v_exp_f32_e32 v0, v0
	v_cvt_i32_f32_e32 v19, v19
	v_pk_add_f32 v[4:5], v[4:5], 1.0 op_sel_hi:[1,0]
	v_cmp_nlt_f32_e32 vcc, s54, v14
	v_ldexp_f32 v0, v0, v19
	v_div_scale_f32 v19, s[0:1], v5, v5, v18
	v_rcp_f32_e32 v20, v19
	v_cndmask_b32_e32 v0, 0, v0, vcc
	v_cmp_ngt_f32_e32 vcc, s55, v14
	v_fma_f32 v21, -v19, v20, 1.0
	s_nop 0
	v_cndmask_b32_e32 v0, v26, v0, vcc
	v_fmac_f32_e32 v20, v21, v20
	v_div_scale_f32 v21, vcc, v18, v5, v18
	v_mul_f32_e32 v24, v21, v20
	v_fma_f32 v25, -v19, v24, v21
	v_fmac_f32_e32 v24, v25, v20
	v_fma_f32 v19, -v19, v24, v21
	v_div_fmas_f32 v19, v19, v20, v24
	v_div_fixup_f32 v5, v19, v5, v18
	v_div_scale_f32 v18, s[0:1], v4, v4, v16
	v_rcp_f32_e32 v19, v18
	v_pk_add_f32 v[0:1], v[0:1], 1.0 op_sel_hi:[1,0]
	v_fma_f32 v20, -v18, v19, 1.0
	v_fmac_f32_e32 v19, v20, v19
	v_div_scale_f32 v20, vcc, v16, v4, v16
	v_mul_f32_e32 v21, v20, v19
	v_fma_f32 v24, -v18, v21, v20
	v_fmac_f32_e32 v21, v24, v19
	v_fma_f32 v18, -v18, v21, v20
	v_div_fmas_f32 v18, v18, v19, v21
	v_div_fixup_f32 v4, v18, v4, v16
	v_div_scale_f32 v16, s[0:1], v1, v1, v15
	v_rcp_f32_e32 v18, v16
	s_nop 0
	v_fma_f32 v19, -v16, v18, 1.0
	v_fmac_f32_e32 v18, v19, v18
	v_div_scale_f32 v19, vcc, v15, v1, v15
	v_mul_f32_e32 v20, v19, v18
	v_fma_f32 v21, -v16, v20, v19
	v_fmac_f32_e32 v20, v21, v18
	v_fma_f32 v16, -v16, v20, v19
	v_div_fmas_f32 v16, v16, v18, v20
	v_div_fixup_f32 v1, v16, v1, v15
	v_div_scale_f32 v15, s[0:1], v0, v0, v14
	v_rcp_f32_e32 v16, v15
	s_nop 0
	v_fma_f32 v18, -v15, v16, 1.0
	v_fmac_f32_e32 v16, v18, v16
	v_div_scale_f32 v18, vcc, v14, v0, v14
	v_mul_f32_e32 v19, v18, v16
	v_fma_f32 v20, -v15, v19, v18
	v_fmac_f32_e32 v19, v20, v16
	v_fma_f32 v15, -v15, v19, v18
	v_div_fmas_f32 v15, v15, v16, v19
	v_div_fixup_f32 v0, v15, v0, v14
	v_pk_mul_f32 v[0:1], v[34:35], v[0:1]
	v_pk_mul_f32 v[14:15], v[32:33], v[4:5]
	v_bfe_u32 v4, v0, 16, 1
	v_bfe_u32 v5, v1, 16, 1
	v_add3_u32 v4, v0, v4, s52
	v_bfe_u32 v16, v14, 16, 1
	v_add3_u32 v5, v1, v5, s52
	v_lshrrev_b32_e32 v4, 16, v4
	v_cmp_o_f32_e32 vcc, v0, v0
	v_bfe_u32 v18, v15, 16, 1
	v_add3_u32 v16, v14, v16, s52
	v_lshrrev_b32_e32 v5, 16, v5
	v_cndmask_b32_e32 v4, v40, v4, vcc
	v_cmp_o_f32_e32 vcc, v1, v1
	v_add3_u32 v18, v15, v18, s52
	v_lshrrev_b32_e32 v16, 16, v16
	v_cndmask_b32_e32 v5, v40, v5, vcc
	v_cmp_o_f32_e32 vcc, v14, v14
	v_and_b32_e32 v20, 0xffff0000, v3
	v_lshrrev_b32_e32 v18, 16, v18
	v_cndmask_b32_e32 v14, v40, v16, vcc
	v_cmp_o_f32_e32 vcc, v15, v15
	v_mul_f32_e32 v0, 0xbfb8aa3b, v20
	v_lshlrev_b32_e32 v16, 16, v2
	v_cndmask_b32_e32 v15, v40, v18, vcc
	v_and_b32_e32 v18, 0xffff0000, v2
	v_fma_f32 v1, v20, s53, -v0
	v_rndne_f32_e32 v2, v0
	v_fmac_f32_e32 v1, 0xb2a5705f, v20
	v_sub_f32_e32 v0, v0, v2
	v_add_f32_e32 v0, v0, v1
	v_exp_f32_e32 v0, v0
	v_cvt_i32_f32_e32 v1, v2
	v_cmp_nlt_f32_e32 vcc, s54, v20
	v_lshlrev_b32_e32 v19, 16, v3
	v_ldexp_f32 v0, v0, v1
	v_cndmask_b32_e32 v0, 0, v0, vcc
	v_cmp_ngt_f32_e32 vcc, s55, v20
	s_nop 1
	v_cndmask_b32_e32 v3, v26, v0, vcc
	v_mul_f32_e32 v0, 0xbfb8aa3b, v18
	v_fma_f32 v1, v18, s53, -v0
	v_rndne_f32_e32 v2, v0
	v_fmac_f32_e32 v1, 0xb2a5705f, v18
	v_sub_f32_e32 v0, v0, v2
	v_add_f32_e32 v0, v0, v1
	v_exp_f32_e32 v0, v0
	v_cvt_i32_f32_e32 v1, v2
	v_cmp_nlt_f32_e32 vcc, s54, v18
	v_ldexp_f32 v0, v0, v1
	s_nop 0
	v_cndmask_b32_e32 v0, 0, v0, vcc
	v_cmp_ngt_f32_e32 vcc, s55, v18
	s_nop 1
	v_cndmask_b32_e32 v1, v26, v0, vcc
	v_mul_f32_e32 v0, 0xbfb8aa3b, v19
	v_rndne_f32_e32 v2, v0
	v_sub_f32_e32 v21, v0, v2
	v_fma_f32 v0, v19, s53, -v0
	v_fmac_f32_e32 v0, 0xb2a5705f, v19
	v_add_f32_e32 v0, v21, v0
	v_exp_f32_e32 v0, v0
	v_cvt_i32_f32_e32 v2, v2
	v_cmp_nlt_f32_e32 vcc, s54, v19
	v_ldexp_f32 v0, v0, v2
	s_nop 0
	v_cndmask_b32_e32 v0, 0, v0, vcc
	v_cmp_ngt_f32_e32 vcc, s55, v19
	s_nop 1
	v_cndmask_b32_e32 v2, v26, v0, vcc
	v_mul_f32_e32 v0, 0xbfb8aa3b, v16
	v_rndne_f32_e32 v21, v0
	v_sub_f32_e32 v24, v0, v21
	v_fma_f32 v0, v16, s53, -v0
	v_fmac_f32_e32 v0, 0xb2a5705f, v16
	v_add_f32_e32 v0, v24, v0
	v_exp_f32_e32 v0, v0
	v_cvt_i32_f32_e32 v21, v21
	v_pk_add_f32 v[2:3], v[2:3], 1.0 op_sel_hi:[1,0]
	v_cmp_nlt_f32_e32 vcc, s54, v16
	v_ldexp_f32 v0, v0, v21
	v_div_scale_f32 v21, s[0:1], v3, v3, v20
	v_rcp_f32_e32 v24, v21
	v_cndmask_b32_e32 v0, 0, v0, vcc
	v_cmp_ngt_f32_e32 vcc, s55, v16
	v_fma_f32 v25, -v21, v24, 1.0
	s_nop 0
	v_cndmask_b32_e32 v0, v26, v0, vcc
	v_fmac_f32_e32 v24, v25, v24
	v_div_scale_f32 v25, vcc, v20, v3, v20
	v_mul_f32_e32 v26, v25, v24
	v_fma_f32 v27, -v21, v26, v25
	v_fmac_f32_e32 v26, v27, v24
	v_fma_f32 v21, -v21, v26, v25
	v_div_fmas_f32 v21, v21, v24, v26
	v_div_fixup_f32 v3, v21, v3, v20
	v_div_scale_f32 v20, s[0:1], v2, v2, v19
	v_rcp_f32_e32 v21, v20
	v_pk_add_f32 v[0:1], v[0:1], 1.0 op_sel_hi:[1,0]
	v_fma_f32 v24, -v20, v21, 1.0
	v_fmac_f32_e32 v21, v24, v21
	v_div_scale_f32 v24, vcc, v19, v2, v19
	v_mul_f32_e32 v25, v24, v21
	v_fma_f32 v26, -v20, v25, v24
	v_fmac_f32_e32 v25, v26, v21
	v_fma_f32 v20, -v20, v25, v24
	v_div_fmas_f32 v20, v20, v21, v25
	v_div_fixup_f32 v2, v20, v2, v19
	v_div_scale_f32 v19, s[0:1], v1, v1, v18
	v_rcp_f32_e32 v20, v19
	v_pk_mul_f32 v[2:3], v[28:29], v[2:3]
	v_fma_f32 v21, -v19, v20, 1.0
	v_fmac_f32_e32 v20, v21, v20
	v_div_scale_f32 v21, vcc, v18, v1, v18
	v_mul_f32_e32 v24, v21, v20
	v_fma_f32 v25, -v19, v24, v21
	v_fmac_f32_e32 v24, v25, v20
	v_fma_f32 v19, -v19, v24, v21
	v_div_fmas_f32 v19, v19, v20, v24
	v_div_fixup_f32 v1, v19, v1, v18
	v_div_scale_f32 v18, s[0:1], v0, v0, v16
	v_rcp_f32_e32 v19, v18
	s_mov_b32 s0, 0x5040100
	v_fma_f32 v20, -v18, v19, 1.0
	v_fmac_f32_e32 v19, v20, v19
	v_div_scale_f32 v20, vcc, v16, v0, v16
	v_mul_f32_e32 v21, v20, v19
	v_fma_f32 v24, -v18, v21, v20
	v_fmac_f32_e32 v21, v24, v19
	v_fma_f32 v18, -v18, v21, v20
	v_div_fmas_f32 v18, v18, v19, v21
	v_div_fixup_f32 v0, v18, v0, v16
	v_pk_mul_f32 v[0:1], v[30:31], v[0:1]
	v_bfe_u32 v19, v2, 16, 1
	v_bfe_u32 v16, v0, 16, 1
	;; [unrolled: 1-line block ×3, first 2 shown]
	v_add3_u32 v16, v0, v16, s52
	v_add3_u32 v18, v1, v18, s52
	v_lshrrev_b32_e32 v16, 16, v16
	v_cmp_o_f32_e32 vcc, v0, v0
	v_bfe_u32 v20, v3, 16, 1
	v_add3_u32 v19, v2, v19, s52
	v_lshrrev_b32_e32 v18, 16, v18
	v_cndmask_b32_e32 v16, v40, v16, vcc
	v_cmp_o_f32_e32 vcc, v1, v1
	v_add3_u32 v20, v3, v20, s52
	v_lshrrev_b32_e32 v19, 16, v19
	v_cndmask_b32_e32 v18, v40, v18, vcc
	v_cmp_o_f32_e32 vcc, v2, v2
	v_lshrrev_b32_e32 v20, 16, v20
	v_perm_b32 v2, v7, v6, s0
	v_cndmask_b32_e32 v19, v40, v19, vcc
	v_cmp_o_f32_e32 vcc, v3, v3
	v_perm_b32 v3, v13, v12, s0
	v_perm_b32 v1, v11, v10, s0
	v_cndmask_b32_e32 v20, v40, v20, vcc
	v_perm_b32 v0, v9, v8, s0
	ds_write_b128 v59, v[0:3]
	v_perm_b32 v3, v20, v19, s0
	v_perm_b32 v2, v18, v16, s0
	;; [unrolled: 1-line block ×4, first 2 shown]
	ds_write_b128 v59, v[0:3] offset:16
	; wave barrier
	ds_read_u16 v16, v44 offset:128
	ds_read_u16 v15, v45 offset:256
	;; [unrolled: 1-line block ×15, first 2 shown]
	scratch_load_dwordx2 v[0:1], off, off offset:260 ; 8-byte Folded Reload
	s_waitcnt vmcnt(0)
	v_lshl_add_u64 v[0:1], s[58:59], 1, v[0:1]
	s_and_saveexec_b64 s[52:53], s[18:19]
	s_cbranch_execz .LBB16_251
; %bb.250:                              ;   in Loop: Header=BB16_13 Depth=1
	scratch_load_dword v18, off, off        ; 4-byte Folded Reload
	s_waitcnt vmcnt(0)
	ds_read_u16 v18, v18
	s_waitcnt lgkmcnt(0)
	global_store_short v[0:1], v18, off
.LBB16_251:                             ;   in Loop: Header=BB16_13 Depth=1
	s_or_b64 exec, exec, s[52:53]
	s_and_saveexec_b64 s[18:19], s[20:21]
	s_cbranch_execz .LBB16_253
; %bb.252:                              ;   in Loop: Header=BB16_13 Depth=1
	s_waitcnt lgkmcnt(14)
	global_store_short v[0:1], v16, off offset:128
.LBB16_253:                             ;   in Loop: Header=BB16_13 Depth=1
	s_or_b64 exec, exec, s[18:19]
	s_mov_b64 s[18:19], exec
	s_and_b64 s[0:1], s[18:19], s[22:23]
	v_mov_b32_e32 v39, 0x7f800000
	s_mov_b64 exec, s[0:1]
	s_cbranch_execnz .LBB16_284
; %bb.254:                              ;   in Loop: Header=BB16_13 Depth=1
	s_or_b64 exec, exec, s[18:19]
	s_and_saveexec_b64 s[18:19], s[24:25]
	s_cbranch_execnz .LBB16_285
.LBB16_255:                             ;   in Loop: Header=BB16_13 Depth=1
	s_or_b64 exec, exec, s[18:19]
	s_and_saveexec_b64 s[18:19], s[26:27]
	s_cbranch_execnz .LBB16_286
.LBB16_256:                             ;   in Loop: Header=BB16_13 Depth=1
	s_or_b64 exec, exec, s[18:19]
	s_and_saveexec_b64 s[18:19], s[28:29]
	s_cbranch_execnz .LBB16_287
.LBB16_257:                             ;   in Loop: Header=BB16_13 Depth=1
	s_or_b64 exec, exec, s[18:19]
	s_and_saveexec_b64 s[18:19], s[30:31]
	s_cbranch_execnz .LBB16_288
.LBB16_258:                             ;   in Loop: Header=BB16_13 Depth=1
	s_or_b64 exec, exec, s[18:19]
	s_and_saveexec_b64 s[18:19], s[34:35]
	s_cbranch_execnz .LBB16_289
.LBB16_259:                             ;   in Loop: Header=BB16_13 Depth=1
	s_or_b64 exec, exec, s[18:19]
	s_and_saveexec_b64 s[18:19], s[36:37]
	s_cbranch_execnz .LBB16_290
.LBB16_260:                             ;   in Loop: Header=BB16_13 Depth=1
	s_or_b64 exec, exec, s[18:19]
	s_and_saveexec_b64 s[18:19], s[38:39]
	s_cbranch_execnz .LBB16_291
.LBB16_261:                             ;   in Loop: Header=BB16_13 Depth=1
	s_or_b64 exec, exec, s[18:19]
	s_and_saveexec_b64 s[18:19], s[40:41]
	s_cbranch_execnz .LBB16_292
.LBB16_262:                             ;   in Loop: Header=BB16_13 Depth=1
	s_or_b64 exec, exec, s[18:19]
	s_and_saveexec_b64 s[18:19], s[42:43]
	s_cbranch_execnz .LBB16_293
.LBB16_263:                             ;   in Loop: Header=BB16_13 Depth=1
	s_or_b64 exec, exec, s[18:19]
	s_and_saveexec_b64 s[18:19], s[44:45]
	s_cbranch_execnz .LBB16_294
.LBB16_264:                             ;   in Loop: Header=BB16_13 Depth=1
	s_or_b64 exec, exec, s[18:19]
	s_and_saveexec_b64 s[18:19], s[46:47]
	s_cbranch_execnz .LBB16_295
.LBB16_265:                             ;   in Loop: Header=BB16_13 Depth=1
	s_or_b64 exec, exec, s[18:19]
	s_and_saveexec_b64 s[18:19], s[48:49]
	s_cbranch_execnz .LBB16_296
.LBB16_266:                             ;   in Loop: Header=BB16_13 Depth=1
	s_or_b64 exec, exec, s[18:19]
	s_and_saveexec_b64 s[18:19], s[50:51]
	s_cbranch_execz .LBB16_12
	s_branch .LBB16_297
.LBB16_267:                             ;   in Loop: Header=BB16_13 Depth=1
	global_load_ushort v28, v[8:9], off offset:1664
	s_or_b64 exec, exec, s[52:53]
	s_and_saveexec_b64 s[52:53], s[48:49]
	s_cbranch_execz .LBB16_73
.LBB16_268:                             ;   in Loop: Header=BB16_13 Depth=1
	global_load_ushort v27, v[8:9], off offset:1792
	s_or_b64 exec, exec, s[52:53]
	v_mov_b32_e32 v29, 0
	s_and_saveexec_b64 s[52:53], s[50:51]
	s_cbranch_execnz .LBB16_74
	s_branch .LBB16_75
.LBB16_269:                             ;   in Loop: Header=BB16_13 Depth=1
	scratch_load_dword v18, off, off        ; 4-byte Folded Reload
	s_waitcnt vmcnt(0)
	ds_read_u16 v18, v18
	s_waitcnt lgkmcnt(0)
	global_store_short v[0:1], v18, off
	s_or_b64 exec, exec, s[52:53]
	s_and_saveexec_b64 s[52:53], s[20:21]
	s_cbranch_execz .LBB16_202
.LBB16_270:                             ;   in Loop: Header=BB16_13 Depth=1
	s_waitcnt lgkmcnt(14)
	global_store_short v[0:1], v16, off offset:128
	s_or_b64 exec, exec, s[52:53]
	s_and_saveexec_b64 s[52:53], s[22:23]
	s_cbranch_execz .LBB16_203
.LBB16_271:                             ;   in Loop: Header=BB16_13 Depth=1
	s_waitcnt lgkmcnt(13)
	global_store_short v[0:1], v15, off offset:256
	s_or_b64 exec, exec, s[52:53]
	s_and_saveexec_b64 s[52:53], s[24:25]
	s_cbranch_execz .LBB16_204
.LBB16_272:                             ;   in Loop: Header=BB16_13 Depth=1
	s_waitcnt lgkmcnt(12)
	global_store_short v[0:1], v14, off offset:384
	s_or_b64 exec, exec, s[52:53]
	s_and_saveexec_b64 s[52:53], s[26:27]
	s_cbranch_execz .LBB16_205
.LBB16_273:                             ;   in Loop: Header=BB16_13 Depth=1
	s_waitcnt lgkmcnt(11)
	global_store_short v[0:1], v13, off offset:512
	s_or_b64 exec, exec, s[52:53]
	s_and_saveexec_b64 s[52:53], s[28:29]
	s_cbranch_execz .LBB16_206
.LBB16_274:                             ;   in Loop: Header=BB16_13 Depth=1
	s_waitcnt lgkmcnt(10)
	global_store_short v[0:1], v12, off offset:640
	s_or_b64 exec, exec, s[52:53]
	s_and_saveexec_b64 s[52:53], s[30:31]
	s_cbranch_execz .LBB16_207
.LBB16_275:                             ;   in Loop: Header=BB16_13 Depth=1
	s_waitcnt lgkmcnt(9)
	global_store_short v[0:1], v11, off offset:768
	s_or_b64 exec, exec, s[52:53]
	s_and_saveexec_b64 s[52:53], s[34:35]
	s_cbranch_execz .LBB16_208
.LBB16_276:                             ;   in Loop: Header=BB16_13 Depth=1
	s_waitcnt lgkmcnt(8)
	global_store_short v[0:1], v10, off offset:896
	s_or_b64 exec, exec, s[52:53]
	s_and_saveexec_b64 s[52:53], s[36:37]
	s_cbranch_execz .LBB16_209
.LBB16_277:                             ;   in Loop: Header=BB16_13 Depth=1
	s_waitcnt lgkmcnt(7)
	global_store_short v[0:1], v9, off offset:1024
	s_or_b64 exec, exec, s[52:53]
	s_and_saveexec_b64 s[52:53], s[38:39]
	s_cbranch_execz .LBB16_210
.LBB16_278:                             ;   in Loop: Header=BB16_13 Depth=1
	s_waitcnt lgkmcnt(6)
	global_store_short v[0:1], v8, off offset:1152
	s_or_b64 exec, exec, s[52:53]
	s_and_saveexec_b64 s[52:53], s[40:41]
	s_cbranch_execz .LBB16_211
.LBB16_279:                             ;   in Loop: Header=BB16_13 Depth=1
	s_waitcnt lgkmcnt(5)
	global_store_short v[0:1], v7, off offset:1280
	s_or_b64 exec, exec, s[52:53]
	s_and_saveexec_b64 s[52:53], s[42:43]
	s_cbranch_execz .LBB16_212
.LBB16_280:                             ;   in Loop: Header=BB16_13 Depth=1
	s_waitcnt lgkmcnt(4)
	global_store_short v[0:1], v6, off offset:1408
	s_or_b64 exec, exec, s[52:53]
	s_and_saveexec_b64 s[52:53], s[44:45]
	s_cbranch_execz .LBB16_213
.LBB16_281:                             ;   in Loop: Header=BB16_13 Depth=1
	s_waitcnt lgkmcnt(3)
	global_store_short v[0:1], v5, off offset:1536
	s_or_b64 exec, exec, s[52:53]
	s_and_saveexec_b64 s[52:53], s[46:47]
	s_cbranch_execz .LBB16_214
.LBB16_282:                             ;   in Loop: Header=BB16_13 Depth=1
	s_waitcnt lgkmcnt(2)
	global_store_short v[0:1], v4, off offset:1664
	s_or_b64 exec, exec, s[52:53]
	s_and_saveexec_b64 s[52:53], s[48:49]
	s_cbranch_execz .LBB16_215
.LBB16_283:                             ;   in Loop: Header=BB16_13 Depth=1
	s_waitcnt lgkmcnt(1)
	global_store_short v[0:1], v3, off offset:1792
	s_or_b64 exec, exec, s[52:53]
	s_and_saveexec_b64 s[52:53], s[50:51]
	s_cbranch_execnz .LBB16_216
	s_branch .LBB16_217
.LBB16_284:                             ;   in Loop: Header=BB16_13 Depth=1
	s_waitcnt lgkmcnt(13)
	global_store_short v[0:1], v15, off offset:256
	s_or_b64 exec, exec, s[18:19]
	s_and_saveexec_b64 s[18:19], s[24:25]
	s_cbranch_execz .LBB16_255
.LBB16_285:                             ;   in Loop: Header=BB16_13 Depth=1
	s_waitcnt lgkmcnt(12)
	global_store_short v[0:1], v14, off offset:384
	s_or_b64 exec, exec, s[18:19]
	s_and_saveexec_b64 s[18:19], s[26:27]
	s_cbranch_execz .LBB16_256
.LBB16_286:                             ;   in Loop: Header=BB16_13 Depth=1
	s_waitcnt lgkmcnt(11)
	global_store_short v[0:1], v13, off offset:512
	s_or_b64 exec, exec, s[18:19]
	s_and_saveexec_b64 s[18:19], s[28:29]
	s_cbranch_execz .LBB16_257
.LBB16_287:                             ;   in Loop: Header=BB16_13 Depth=1
	s_waitcnt lgkmcnt(10)
	global_store_short v[0:1], v12, off offset:640
	s_or_b64 exec, exec, s[18:19]
	s_and_saveexec_b64 s[18:19], s[30:31]
	s_cbranch_execz .LBB16_258
.LBB16_288:                             ;   in Loop: Header=BB16_13 Depth=1
	s_waitcnt lgkmcnt(9)
	global_store_short v[0:1], v11, off offset:768
	s_or_b64 exec, exec, s[18:19]
	s_and_saveexec_b64 s[18:19], s[34:35]
	s_cbranch_execz .LBB16_259
.LBB16_289:                             ;   in Loop: Header=BB16_13 Depth=1
	s_waitcnt lgkmcnt(8)
	global_store_short v[0:1], v10, off offset:896
	s_or_b64 exec, exec, s[18:19]
	s_and_saveexec_b64 s[18:19], s[36:37]
	s_cbranch_execz .LBB16_260
.LBB16_290:                             ;   in Loop: Header=BB16_13 Depth=1
	s_waitcnt lgkmcnt(7)
	global_store_short v[0:1], v9, off offset:1024
	s_or_b64 exec, exec, s[18:19]
	s_and_saveexec_b64 s[18:19], s[38:39]
	s_cbranch_execz .LBB16_261
.LBB16_291:                             ;   in Loop: Header=BB16_13 Depth=1
	s_waitcnt lgkmcnt(6)
	global_store_short v[0:1], v8, off offset:1152
	s_or_b64 exec, exec, s[18:19]
	s_and_saveexec_b64 s[18:19], s[40:41]
	s_cbranch_execz .LBB16_262
.LBB16_292:                             ;   in Loop: Header=BB16_13 Depth=1
	s_waitcnt lgkmcnt(5)
	global_store_short v[0:1], v7, off offset:1280
	s_or_b64 exec, exec, s[18:19]
	s_and_saveexec_b64 s[18:19], s[42:43]
	s_cbranch_execz .LBB16_263
.LBB16_293:                             ;   in Loop: Header=BB16_13 Depth=1
	s_waitcnt lgkmcnt(4)
	global_store_short v[0:1], v6, off offset:1408
	s_or_b64 exec, exec, s[18:19]
	s_and_saveexec_b64 s[18:19], s[44:45]
	s_cbranch_execz .LBB16_264
.LBB16_294:                             ;   in Loop: Header=BB16_13 Depth=1
	s_waitcnt lgkmcnt(3)
	global_store_short v[0:1], v5, off offset:1536
	s_or_b64 exec, exec, s[18:19]
	s_and_saveexec_b64 s[18:19], s[46:47]
	s_cbranch_execz .LBB16_265
.LBB16_295:                             ;   in Loop: Header=BB16_13 Depth=1
	s_waitcnt lgkmcnt(2)
	global_store_short v[0:1], v4, off offset:1664
	s_or_b64 exec, exec, s[18:19]
	s_and_saveexec_b64 s[18:19], s[48:49]
	s_cbranch_execz .LBB16_266
.LBB16_296:                             ;   in Loop: Header=BB16_13 Depth=1
	s_waitcnt lgkmcnt(1)
	global_store_short v[0:1], v3, off offset:1792
	s_or_b64 exec, exec, s[18:19]
	s_and_saveexec_b64 s[18:19], s[50:51]
	s_cbranch_execz .LBB16_12
.LBB16_297:                             ;   in Loop: Header=BB16_13 Depth=1
	s_waitcnt lgkmcnt(0)
	global_store_short v[0:1], v2, off offset:1920
	s_branch .LBB16_12
.LBB16_298:
	s_endpgm
	.section	.rodata,"a",@progbits
	.p2align	6, 0x0
	.amdhsa_kernel _Z25selective_scan_fwd_kernelI32Selective_Scan_fwd_kernel_traitsILi64ELi16ELi1ELb1ELb1ELb1ELb1ELb1EN3c108BFloat16EfS2_EEv13SSMParamsBase
		.amdhsa_group_segment_fixed_size 0
		.amdhsa_private_segment_fixed_size 336
		.amdhsa_kernarg_size 248
		.amdhsa_user_sgpr_count 2
		.amdhsa_user_sgpr_dispatch_ptr 0
		.amdhsa_user_sgpr_queue_ptr 0
		.amdhsa_user_sgpr_kernarg_segment_ptr 1
		.amdhsa_user_sgpr_dispatch_id 0
		.amdhsa_user_sgpr_kernarg_preload_length 0
		.amdhsa_user_sgpr_kernarg_preload_offset 0
		.amdhsa_user_sgpr_private_segment_size 0
		.amdhsa_uses_dynamic_stack 0
		.amdhsa_enable_private_segment 1
		.amdhsa_system_sgpr_workgroup_id_x 1
		.amdhsa_system_sgpr_workgroup_id_y 1
		.amdhsa_system_sgpr_workgroup_id_z 0
		.amdhsa_system_sgpr_workgroup_info 0
		.amdhsa_system_vgpr_workitem_id 0
		.amdhsa_next_free_vgpr 96
		.amdhsa_next_free_sgpr 100
		.amdhsa_accum_offset 96
		.amdhsa_reserve_vcc 1
		.amdhsa_float_round_mode_32 0
		.amdhsa_float_round_mode_16_64 0
		.amdhsa_float_denorm_mode_32 3
		.amdhsa_float_denorm_mode_16_64 3
		.amdhsa_dx10_clamp 1
		.amdhsa_ieee_mode 1
		.amdhsa_fp16_overflow 0
		.amdhsa_tg_split 0
		.amdhsa_exception_fp_ieee_invalid_op 0
		.amdhsa_exception_fp_denorm_src 0
		.amdhsa_exception_fp_ieee_div_zero 0
		.amdhsa_exception_fp_ieee_overflow 0
		.amdhsa_exception_fp_ieee_underflow 0
		.amdhsa_exception_fp_ieee_inexact 0
		.amdhsa_exception_int_div_zero 0
	.end_amdhsa_kernel
	.section	.text._Z25selective_scan_fwd_kernelI32Selective_Scan_fwd_kernel_traitsILi64ELi16ELi1ELb1ELb1ELb1ELb1ELb1EN3c108BFloat16EfS2_EEv13SSMParamsBase,"axG",@progbits,_Z25selective_scan_fwd_kernelI32Selective_Scan_fwd_kernel_traitsILi64ELi16ELi1ELb1ELb1ELb1ELb1ELb1EN3c108BFloat16EfS2_EEv13SSMParamsBase,comdat
.Lfunc_end16:
	.size	_Z25selective_scan_fwd_kernelI32Selective_Scan_fwd_kernel_traitsILi64ELi16ELi1ELb1ELb1ELb1ELb1ELb1EN3c108BFloat16EfS2_EEv13SSMParamsBase, .Lfunc_end16-_Z25selective_scan_fwd_kernelI32Selective_Scan_fwd_kernel_traitsILi64ELi16ELi1ELb1ELb1ELb1ELb1ELb1EN3c108BFloat16EfS2_EEv13SSMParamsBase
                                        ; -- End function
	.section	.AMDGPU.csdata,"",@progbits
; Kernel info:
; codeLenInByte = 27544
; NumSgprs: 106
; NumVgprs: 96
; NumAgprs: 0
; TotalNumVgprs: 96
; ScratchSize: 336
; MemoryBound: 0
; FloatMode: 240
; IeeeMode: 1
; LDSByteSize: 0 bytes/workgroup (compile time only)
; SGPRBlocks: 13
; VGPRBlocks: 11
; NumSGPRsForWavesPerEU: 106
; NumVGPRsForWavesPerEU: 96
; AccumOffset: 96
; Occupancy: 5
; WaveLimiterHint : 1
; COMPUTE_PGM_RSRC2:SCRATCH_EN: 1
; COMPUTE_PGM_RSRC2:USER_SGPR: 2
; COMPUTE_PGM_RSRC2:TRAP_HANDLER: 0
; COMPUTE_PGM_RSRC2:TGID_X_EN: 1
; COMPUTE_PGM_RSRC2:TGID_Y_EN: 1
; COMPUTE_PGM_RSRC2:TGID_Z_EN: 0
; COMPUTE_PGM_RSRC2:TIDIG_COMP_CNT: 0
; COMPUTE_PGM_RSRC3_GFX90A:ACCUM_OFFSET: 23
; COMPUTE_PGM_RSRC3_GFX90A:TG_SPLIT: 0
	.section	.text._Z25selective_scan_fwd_kernelI32Selective_Scan_fwd_kernel_traitsILi64ELi16ELi1ELb1ELb1ELb1ELb1ELb0EN3c108BFloat16EfS2_EEv13SSMParamsBase,"axG",@progbits,_Z25selective_scan_fwd_kernelI32Selective_Scan_fwd_kernel_traitsILi64ELi16ELi1ELb1ELb1ELb1ELb1ELb0EN3c108BFloat16EfS2_EEv13SSMParamsBase,comdat
	.protected	_Z25selective_scan_fwd_kernelI32Selective_Scan_fwd_kernel_traitsILi64ELi16ELi1ELb1ELb1ELb1ELb1ELb0EN3c108BFloat16EfS2_EEv13SSMParamsBase ; -- Begin function _Z25selective_scan_fwd_kernelI32Selective_Scan_fwd_kernel_traitsILi64ELi16ELi1ELb1ELb1ELb1ELb1ELb0EN3c108BFloat16EfS2_EEv13SSMParamsBase
	.globl	_Z25selective_scan_fwd_kernelI32Selective_Scan_fwd_kernel_traitsILi64ELi16ELi1ELb1ELb1ELb1ELb1ELb0EN3c108BFloat16EfS2_EEv13SSMParamsBase
	.p2align	8
	.type	_Z25selective_scan_fwd_kernelI32Selective_Scan_fwd_kernel_traitsILi64ELi16ELi1ELb1ELb1ELb1ELb1ELb0EN3c108BFloat16EfS2_EEv13SSMParamsBase,@function
_Z25selective_scan_fwd_kernelI32Selective_Scan_fwd_kernel_traitsILi64ELi16ELi1ELb1ELb1ELb1ELb1ELb0EN3c108BFloat16EfS2_EEv13SSMParamsBase: ; @_Z25selective_scan_fwd_kernelI32Selective_Scan_fwd_kernel_traitsILi64ELi16ELi1ELb1ELb1ELb1ELb1ELb0EN3c108BFloat16EfS2_EEv13SSMParamsBase
; %bb.0:
	s_load_dword s37, s[0:1], 0x18
	s_load_dwordx4 s[4:7], s[0:1], 0xe8
	s_mov_b32 s28, s3
	s_waitcnt lgkmcnt(0)
	s_abs_i32 s36, s37
	v_cvt_f32_u32_e32 v1, s36
	s_cmp_eq_u64 s[6:7], 0
	v_rcp_iflag_f32_e32 v1, v1
	s_nop 0
	v_mul_f32_e32 v1, 0x4f7ffffe, v1
	v_cvt_u32_f32_e32 v1, v1
	s_nop 0
	v_readfirstlane_b32 s24, v1
	s_cbranch_scc1 .LBB17_3
; %bb.1:
	s_ashr_i32 s3, s2, 31
	s_add_u32 s6, s6, s2
	s_addc_u32 s7, s7, s3
	v_mov_b32_e32 v1, 0
	global_load_ubyte v1, v1, s[6:7]
	s_waitcnt vmcnt(0)
	v_and_b32_e32 v1, 1, v1
	v_cmp_eq_u32_e64 s[58:59], 1, v1
	s_load_dwordx2 s[6:7], s[0:1], 0x20
	s_cmp_eq_u64 s[4:5], 0
	s_cbranch_scc1 .LBB17_4
.LBB17_2:
	s_ashr_i32 s3, s2, 31
	s_lshl_b64 s[8:9], s[2:3], 2
	s_add_u32 s4, s4, s8
	s_addc_u32 s5, s5, s9
	s_load_dword s34, s[4:5], 0x0
	s_waitcnt lgkmcnt(0)
	s_ashr_i32 s35, s34, 31
	s_cmp_eq_u64 s[6:7], s[34:35]
	s_cbranch_scc0 .LBB17_5
	s_branch .LBB17_85
.LBB17_3:
	s_mov_b64 s[58:59], 0
	s_load_dwordx2 s[6:7], s[0:1], 0x20
	s_cmp_eq_u64 s[4:5], 0
	s_cbranch_scc0 .LBB17_2
.LBB17_4:
	s_mov_b32 s34, s2
	s_ashr_i32 s35, s34, 31
	s_waitcnt lgkmcnt(0)
	s_cmp_eq_u64 s[6:7], s[34:35]
	s_cbranch_scc1 .LBB17_85
.LBB17_5:
	s_load_dwordx16 s[4:19], s[0:1], 0x88
	s_load_dwordx2 s[38:39], s[0:1], 0x8
	s_mov_b32 s33, 0
	s_mov_b32 s98, 0
	s_waitcnt lgkmcnt(0)
	s_cmp_eq_u64 s[10:11], 0
	s_cbranch_scc1 .LBB17_7
; %bb.6:
	s_ashr_i32 s29, s28, 31
	s_lshl_b64 s[20:21], s[28:29], 2
	s_add_u32 s10, s10, s20
	s_addc_u32 s11, s11, s21
	s_load_dword s98, s[10:11], 0x0
.LBB17_7:
	s_cmp_eq_u64 s[16:17], 0
	s_cbranch_scc1 .LBB17_9
; %bb.8:
	s_ashr_i32 s29, s28, 31
	s_lshl_b64 s[10:11], s[28:29], 2
	s_add_u32 s10, s16, s10
	s_addc_u32 s11, s17, s11
	s_load_dword s33, s[10:11], 0x0
.LBB17_9:
	s_cmp_lt_i32 s38, 1
	s_cbranch_scc1 .LBB17_85
; %bb.10:
	s_sub_i32 s3, 0, s36
	s_mul_i32 s3, s3, s24
	s_mul_hi_u32 s3, s24, s3
	s_abs_i32 s16, s28
	s_add_i32 s3, s24, s3
	s_load_dwordx8 s[60:67], s[0:1], 0x2c
	s_load_dwordx2 s[10:11], s[0:1], 0x7c
	s_load_dwordx4 s[20:23], s[0:1], 0x6c
	s_load_dwordx8 s[68:75], s[0:1], 0x4c
	s_load_dwordx2 s[30:31], s[0:1], 0xd8
	s_load_dwordx4 s[24:27], s[0:1], 0xc8
	s_load_dword s99, s[0:1], 0x84
	s_mul_hi_u32 s3, s16, s3
	s_load_dword s17, s[0:1], 0x28
	s_ashr_i32 s0, s28, 31
	s_ashr_i32 s1, s37, 31
	s_xor_b32 s0, s0, s1
	s_mul_i32 s1, s3, s36
	s_sub_i32 s1, s16, s1
	s_add_i32 s16, s3, 1
	s_sub_i32 s29, s1, s36
	s_cmp_ge_u32 s1, s36
	s_cselect_b32 s3, s16, s3
	s_cselect_b32 s1, s29, s1
	s_add_i32 s16, s3, 1
	s_cmp_ge_u32 s1, s36
	s_cselect_b32 s1, s16, s3
	s_xor_b32 s1, s1, s0
	s_waitcnt lgkmcnt(0)
	s_mul_i32 s78, s70, s2
	s_mov_b32 s79, 0
	s_sub_i32 s3, s1, s0
	s_lshl_b64 s[0:1], s[78:79], 1
	s_add_u32 s12, s12, s0
	s_mul_i32 s78, s71, s28
	s_addc_u32 s13, s13, s1
	s_lshl_b64 s[0:1], s[78:79], 1
	s_add_u32 s70, s12, s0
	s_mul_i32 s78, s72, s2
	s_addc_u32 s71, s13, s1
	;; [unrolled: 4-line block ×10, first 2 shown]
	s_lshl_b64 s[0:1], s[78:79], 1
	s_add_u32 s65, s3, s0
	s_addc_u32 s69, s4, s1
	s_add_i32 s0, s38, 0x7ff
	s_lshr_b32 s1, s0, 11
	s_bitcmp1_b32 s17, 0
	s_cselect_b64 s[80:81], -1, 0
	s_cmp_gt_i32 s39, 0
	s_cselect_b64 s[4:5], -1, 0
                                        ; implicit-def: $vgpr95 : SGPR spill to VGPR lane
	s_mul_i32 s78, s20, s2
	v_writelane_b32 v95, s4, 0
	v_mbcnt_lo_u32_b32 v1, -1, 0
	v_mbcnt_hi_u32_b32 v2, -1, v1
	v_writelane_b32 v95, s5, 1
	s_add_i32 s4, 0, 0x840
	v_writelane_b32 v95, s38, 2
	s_and_b32 s0, s38, 0x3ff
	s_cmp_eq_u32 s0, 0
	v_writelane_b32 v95, s39, 3
	s_cselect_b64 s[84:85], -1, 0
	v_writelane_b32 v95, s1, 4
	s_add_i32 s0, s1, -1
	v_writelane_b32 v95, s0, 5
	s_lshl_b64 s[0:1], s[78:79], 1
	s_movk_i32 s3, 0x80
	s_add_u32 s16, s18, s0
	s_addc_u32 s17, s19, s1
	v_cmp_gt_u32_e64 s[0:1], s3, v2
	v_add_u32_e32 v1, 64, v2
	v_lshrrev_b32_e32 v3, 5, v2
	v_writelane_b32 v95, s0, 6
	v_add_u32_e32 v3, v3, v2
	v_lshl_add_u32 v3, v3, 4, 0
	v_writelane_b32 v95, s1, 7
	v_cmp_gt_u32_e64 s[0:1], s3, v1
	v_lshrrev_b32_e32 v1, 5, v1
	v_add_lshl_u32 v1, v1, v2, 4
	scratch_store_dword off, v3, off        ; 4-byte Folded Spill
	v_add_u32_e32 v3, 0, v1
	scratch_store_dword off, v3, off offset:4 ; 4-byte Folded Spill
	v_lshlrev_b32_e32 v3, 1, v2
	v_bfe_u32 v4, v2, 4, 27
	v_add_lshl_u32 v3, v4, v3, 4
	v_add_u32_e32 v1, s4, v1
	scratch_store_dword off, v1, off offset:48 ; 4-byte Folded Spill
	v_add_u32_e32 v1, s4, v3
	scratch_store_dword off, v1, off offset:52 ; 4-byte Folded Spill
	v_and_b32_e32 v1, 15, v2
	v_cmp_ne_u32_e64 s[4:5], 0, v1
	v_cmp_lt_u32_e64 s[6:7], 1, v1
	v_cmp_lt_u32_e64 s[8:9], 3, v1
	;; [unrolled: 1-line block ×3, first 2 shown]
	v_and_b32_e32 v1, 16, v2
	v_add_u32_e32 v4, 0, v3
	v_cmp_ne_u32_e64 s[12:13], 0, v1
	v_add_u32_e32 v1, -1, v2
	v_and_b32_e32 v3, 64, v2
	v_cmp_lt_i32_e32 vcc, v1, v3
	scratch_store_dword off, v4, off offset:8 ; 4-byte Folded Spill
	v_lshlrev_b32_e32 v4, 4, v0
	v_cndmask_b32_e32 v1, v1, v2, vcc
	v_lshlrev_b32_e32 v1, 2, v1
	scratch_store_dword off, v1, off offset:56 ; 4-byte Folded Spill
	v_or_b32_e32 v1, 1, v4
	v_writelane_b32 v95, s0, 8
	s_mul_i32 s78, s21, s28
	scratch_store_dword off, v1, off offset:192 ; 4-byte Folded Spill
	v_or_b32_e32 v1, 2, v4
	v_writelane_b32 v95, s1, 9
	s_lshl_b64 s[0:1], s[78:79], 1
	scratch_store_dword off, v1, off offset:196 ; 4-byte Folded Spill
	v_or_b32_e32 v1, 3, v4
	s_add_u32 s0, s16, s0
	s_mul_i32 s78, s74, s2
	scratch_store_dword off, v1, off offset:200 ; 4-byte Folded Spill
	v_or_b32_e32 v1, 4, v4
	s_addc_u32 s1, s17, s1
	s_lshl_b64 s[16:17], s[78:79], 1
	scratch_store_dword off, v1, off offset:204 ; 4-byte Folded Spill
	v_or_b32_e32 v1, 5, v4
	v_mov_b32_e32 v43, 0
	s_add_u32 s3, s26, s16
	v_lshlrev_b32_e32 v42, 4, v2
	s_mul_i32 s78, s75, s28
	scratch_store_dword off, v1, off offset:208 ; 4-byte Folded Spill
	v_or_b32_e32 v1, 6, v4
	s_addc_u32 s20, s27, s17
	v_lshl_add_u64 v[6:7], s[0:1], 0, v[42:43]
	s_lshl_b64 s[0:1], s[78:79], 1
	scratch_store_dword off, v1, off offset:212 ; 4-byte Folded Spill
	v_or_b32_e32 v1, 7, v4
	s_add_u32 s0, s3, s0
	s_mul_i32 s78, s22, s2
	scratch_store_dword off, v1, off offset:216 ; 4-byte Folded Spill
	v_or_b32_e32 v1, 8, v4
	s_addc_u32 s1, s20, s1
	s_lshl_b64 s[2:3], s[78:79], 1
	scratch_store_dword off, v1, off offset:220 ; 4-byte Folded Spill
	v_or_b32_e32 v1, 9, v4
	s_add_u32 s20, s30, s2
	s_mul_i32 s78, s23, s28
	scratch_store_dword off, v1, off offset:224 ; 4-byte Folded Spill
	v_or_b32_e32 v1, 10, v4
	s_addc_u32 s21, s31, s3
	s_lshl_b64 s[2:3], s[78:79], 1
	scratch_store_dword off, v1, off offset:228 ; 4-byte Folded Spill
	v_or_b32_e32 v1, 11, v4
	s_add_u32 s2, s20, s2
	scratch_store_dword off, v1, off offset:232 ; 4-byte Folded Spill
	v_or_b32_e32 v1, 12, v4
	scratch_store_dwordx2 off, v[6:7], off offset:164 ; 8-byte Folded Spill
	s_addc_u32 s3, s21, s3
	v_lshl_add_u64 v[6:7], s[0:1], 0, v[42:43]
	scratch_store_dword off, v1, off offset:236 ; 4-byte Folded Spill
	v_or_b32_e32 v1, 13, v4
	scratch_store_dwordx2 off, v[6:7], off offset:172 ; 8-byte Folded Spill
	v_lshl_add_u64 v[6:7], s[2:3], 0, v[42:43]
	scratch_store_dword off, v1, off offset:240 ; 4-byte Folded Spill
	v_or_b32_e32 v1, 14, v4
	s_add_i32 s0, 0, 0x1088
	v_cmp_lt_u32_e64 s[14:15], 31, v2
	v_cmp_eq_u32_e64 s[16:17], 63, v0
	v_cmp_gt_u32_e64 s[18:19], 64, v0
	scratch_store_dwordx2 off, v[6:7], off offset:180 ; 8-byte Folded Spill
	scratch_store_dword off, v1, off offset:244 ; 4-byte Folded Spill
	scratch_store_dword off, v4, off offset:188 ; 4-byte Folded Spill
	v_or_b32_e32 v1, 15, v4
	s_mov_b32 s26, 0x3fb8aa3b
	s_mov_b32 s27, 0xc2ce8ed0
	;; [unrolled: 1-line block ×5, first 2 shown]
	v_mov_b32_e32 v25, 0x3ecc95a3
	s_mov_b32 s31, 0x3f317218
	s_mov_b32 s34, 0x33800000
	v_writelane_b32 v95, s0, 10
	s_mov_b32 s77, 0xc2fc0000
	s_movk_i32 s0, 0x7fff
	s_mov_b32 s56, 0xbfb8aa3b
	s_mov_b32 s57, 0x42ce8ed0
	;; [unrolled: 1-line block ×3, first 2 shown]
	v_lshlrev_b32_e32 v42, 4, v2
	v_mov_b32_e32 v22, 0x7f800000
	v_mov_b32_e32 v28, 0x3f317218
	v_mov_b32_e32 v92, 0x42800000
	v_mov_b32_e32 v93, 0x1f800000
                                        ; implicit-def: $vgpr2_vgpr3
	s_mov_b32 s82, 0
	v_cmp_eq_u32_e64 s[20:21], 0, v0
	scratch_store_dword off, v1, off offset:248 ; 4-byte Folded Spill
                                        ; implicit-def: $vgpr1
	scratch_store_dwordx4 off, v[2:5], off offset:124 ; 16-byte Folded Spill
                                        ; implicit-def: $vgpr2_vgpr3
	scratch_store_dwordx4 off, v[2:5], off offset:108 ; 16-byte Folded Spill
                                        ; implicit-def: $vgpr2_vgpr3
	scratch_store_dwordx4 off, v[2:5], off offset:60 ; 16-byte Folded Spill
                                        ; implicit-def: $vgpr34_vgpr35
                                        ; implicit-def: $vgpr2_vgpr3
	scratch_store_dwordx4 off, v[2:5], off offset:92 ; 16-byte Folded Spill
                                        ; implicit-def: $vgpr2_vgpr3
	scratch_store_dwordx4 off, v[2:5], off offset:76 ; 16-byte Folded Spill
	s_branch .LBB17_12
.LBB17_11:                              ;   in Loop: Header=BB17_12 Depth=1
	s_or_b64 exec, exec, s[22:23]
	scratch_load_dword v19, off, off        ; 4-byte Folded Reload
	scratch_load_dword v20, off, off offset:4 ; 4-byte Folded Reload
	v_mov_b32_e32 v23, 0x7f800000
	v_mov_b32_e32 v24, 0x7fc0
	s_add_u32 s72, s72, 0x800
	s_addc_u32 s73, s73, 0
	s_add_u32 s70, s70, 0x800
	s_addc_u32 s71, s71, 0
	;; [unrolled: 2-line block ×4, first 2 shown]
	s_add_i32 s82, s82, 1
	v_mov_b32_e32 v22, 0x7f800000
	s_waitcnt vmcnt(1)
	ds_write_b128 v19, v[6:9]
	s_waitcnt vmcnt(0)
	ds_write_b128 v20, v[2:5] offset:1024
	; wave barrier
	scratch_load_dword v21, off, off offset:8 ; 4-byte Folded Reload
	s_waitcnt vmcnt(0)
	ds_read_b128 v[38:41], v21
	ds_read_b128 v[30:33], v21 offset:16
	s_waitcnt lgkmcnt(0)
	; wave barrier
	s_waitcnt lgkmcnt(0)
	v_and_b32_e32 v6, 0xffff0000, v39
	v_mul_f32_e32 v2, 0xbfb8aa3b, v6
	v_fma_f32 v3, v6, s56, -v2
	v_rndne_f32_e32 v4, v2
	v_fmac_f32_e32 v3, 0xb2a5705f, v6
	v_sub_f32_e32 v2, v2, v4
	v_add_f32_e32 v2, v2, v3
	v_exp_f32_e32 v2, v2
	v_cvt_i32_f32_e32 v3, v4
	v_and_b32_e32 v7, 0xffff0000, v38
	v_cmp_nlt_f32_e32 vcc, s57, v6
	v_lshlrev_b32_e32 v9, 16, v39
	v_ldexp_f32 v2, v2, v3
	v_mul_f32_e32 v3, 0xbfb8aa3b, v7
	v_fma_f32 v4, v7, s56, -v3
	v_rndne_f32_e32 v5, v3
	v_fmac_f32_e32 v4, 0xb2a5705f, v7
	v_sub_f32_e32 v3, v3, v5
	v_add_f32_e32 v3, v3, v4
	v_exp_f32_e32 v4, v3
	v_cvt_i32_f32_e32 v5, v5
	v_cndmask_b32_e32 v2, 0, v2, vcc
	v_cmp_ngt_f32_e32 vcc, s83, v6
	v_lshlrev_b32_e32 v8, 16, v38
	scratch_store_dwordx4 off, v[38:41], off offset:124 ; 16-byte Folded Spill
	v_cndmask_b32_e32 v3, v23, v2, vcc
	v_ldexp_f32 v2, v4, v5
	v_mul_f32_e32 v4, 0xbfb8aa3b, v9
	v_rndne_f32_e32 v5, v4
	v_sub_f32_e32 v10, v4, v5
	v_fma_f32 v4, v9, s56, -v4
	v_fmac_f32_e32 v4, 0xb2a5705f, v9
	v_add_f32_e32 v4, v10, v4
	v_exp_f32_e32 v4, v4
	v_cvt_i32_f32_e32 v10, v5
	v_cmp_nlt_f32_e32 vcc, s57, v7
	scratch_store_dwordx4 off, v[30:33], off offset:108 ; 16-byte Folded Spill
	s_nop 0
	v_cndmask_b32_e32 v2, 0, v2, vcc
	v_cmp_ngt_f32_e32 vcc, s83, v7
	s_nop 1
	v_cndmask_b32_e32 v5, v23, v2, vcc
	v_ldexp_f32 v2, v4, v10
	v_mul_f32_e32 v4, 0xbfb8aa3b, v8
	v_rndne_f32_e32 v10, v4
	v_sub_f32_e32 v11, v4, v10
	v_fma_f32 v4, v8, s56, -v4
	v_fmac_f32_e32 v4, 0xb2a5705f, v8
	v_add_f32_e32 v4, v11, v4
	v_exp_f32_e32 v4, v4
	v_cvt_i32_f32_e32 v10, v10
	v_cmp_nlt_f32_e32 vcc, s57, v9
	v_ldexp_f32 v4, v4, v10
	s_nop 0
	v_cndmask_b32_e32 v2, 0, v2, vcc
	v_cmp_ngt_f32_e32 vcc, s83, v9
	s_nop 1
	v_cndmask_b32_e32 v2, v23, v2, vcc
	v_pk_add_f32 v[2:3], v[2:3], 1.0 op_sel_hi:[1,0]
	v_cmp_nlt_f32_e32 vcc, s57, v8
	v_div_scale_f32 v10, s[22:23], v3, v3, v6
	v_rcp_f32_e32 v11, v10
	v_cndmask_b32_e32 v4, 0, v4, vcc
	v_cmp_ngt_f32_e32 vcc, s83, v8
	v_fma_f32 v12, -v10, v11, 1.0
	s_nop 0
	v_cndmask_b32_e32 v4, v23, v4, vcc
	v_fmac_f32_e32 v11, v12, v11
	v_div_scale_f32 v12, vcc, v6, v3, v6
	v_mul_f32_e32 v13, v12, v11
	v_fma_f32 v14, -v10, v13, v12
	v_fmac_f32_e32 v13, v14, v11
	v_fma_f32 v10, -v10, v13, v12
	v_div_scale_f32 v12, s[22:23], v2, v2, v9
	v_rcp_f32_e32 v14, v12
	v_div_fmas_f32 v10, v10, v11, v13
	v_div_fixup_f32 v3, v10, v3, v6
	v_pk_add_f32 v[4:5], v[4:5], 1.0 op_sel_hi:[1,0]
	v_fma_f32 v6, -v12, v14, 1.0
	v_fmac_f32_e32 v14, v6, v14
	v_div_scale_f32 v6, vcc, v9, v2, v9
	v_mul_f32_e32 v10, v6, v14
	v_fma_f32 v11, -v12, v10, v6
	v_fmac_f32_e32 v10, v11, v14
	v_div_scale_f32 v11, s[22:23], v5, v5, v7
	v_fma_f32 v6, -v12, v10, v6
	v_rcp_f32_e32 v12, v11
	v_div_fmas_f32 v6, v6, v14, v10
	v_div_fixup_f32 v2, v6, v2, v9
	v_pk_mul_f32 v[2:3], v[62:63], v[2:3]
	v_fma_f32 v6, -v11, v12, 1.0
	v_fmac_f32_e32 v12, v6, v12
	v_div_scale_f32 v6, vcc, v7, v5, v7
	v_mul_f32_e32 v9, v6, v12
	v_fma_f32 v10, -v11, v9, v6
	v_fmac_f32_e32 v9, v10, v12
	v_div_scale_f32 v10, s[22:23], v4, v4, v8
	v_fma_f32 v6, -v11, v9, v6
	v_rcp_f32_e32 v11, v10
	v_div_fmas_f32 v6, v6, v12, v9
	v_div_fixup_f32 v5, v6, v5, v7
	v_lshlrev_b32_e32 v13, 16, v41
	v_fma_f32 v6, -v10, v11, 1.0
	v_fmac_f32_e32 v11, v6, v11
	v_div_scale_f32 v6, vcc, v8, v4, v8
	v_mul_f32_e32 v7, v6, v11
	v_fma_f32 v9, -v10, v7, v6
	v_fmac_f32_e32 v7, v9, v11
	v_fma_f32 v6, -v10, v7, v6
	v_div_fmas_f32 v6, v6, v11, v7
	v_div_fixup_f32 v4, v6, v4, v8
	v_pk_mul_f32 v[4:5], v[64:65], v[4:5]
	v_bfe_u32 v8, v2, 16, 1
	v_bfe_u32 v6, v4, 16, 1
	;; [unrolled: 1-line block ×3, first 2 shown]
	v_add3_u32 v6, v4, v6, s0
	v_add3_u32 v7, v5, v7, s0
	v_lshrrev_b32_e32 v6, 16, v6
	v_cmp_o_f32_e32 vcc, v4, v4
	v_add3_u32 v8, v2, v8, s0
	v_lshrrev_b32_e32 v7, 16, v7
	v_cndmask_b32_e32 v6, v24, v6, vcc
	v_cmp_o_f32_e32 vcc, v5, v5
	v_and_b32_e32 v10, 0xffff0000, v41
	v_bfe_u32 v9, v3, 16, 1
	v_lshrrev_b32_e32 v8, 16, v8
	v_cndmask_b32_e32 v7, v24, v7, vcc
	v_cmp_o_f32_e32 vcc, v2, v2
	v_mul_f32_e32 v2, 0xbfb8aa3b, v10
	v_add3_u32 v9, v3, v9, s0
	v_cndmask_b32_e32 v8, v24, v8, vcc
	v_cmp_o_f32_e32 vcc, v3, v3
	v_fma_f32 v3, v10, s56, -v2
	v_rndne_f32_e32 v4, v2
	v_fmac_f32_e32 v3, 0xb2a5705f, v10
	v_sub_f32_e32 v2, v2, v4
	v_add_f32_e32 v2, v2, v3
	v_exp_f32_e32 v2, v2
	v_cvt_i32_f32_e32 v3, v4
	v_and_b32_e32 v11, 0xffff0000, v40
	v_lshrrev_b32_e32 v9, 16, v9
	v_cndmask_b32_e32 v9, v24, v9, vcc
	v_ldexp_f32 v2, v2, v3
	v_mul_f32_e32 v3, 0xbfb8aa3b, v11
	v_fma_f32 v4, v11, s56, -v3
	v_rndne_f32_e32 v5, v3
	v_fmac_f32_e32 v4, 0xb2a5705f, v11
	v_sub_f32_e32 v3, v3, v5
	v_add_f32_e32 v3, v3, v4
	v_exp_f32_e32 v4, v3
	v_cvt_i32_f32_e32 v5, v5
	v_cmp_nlt_f32_e32 vcc, s57, v10
	v_lshlrev_b32_e32 v12, 16, v40
	s_nop 0
	v_cndmask_b32_e32 v2, 0, v2, vcc
	v_cmp_ngt_f32_e32 vcc, s83, v10
	s_nop 1
	v_cndmask_b32_e32 v3, v23, v2, vcc
	v_ldexp_f32 v2, v4, v5
	v_mul_f32_e32 v4, 0xbfb8aa3b, v13
	v_rndne_f32_e32 v5, v4
	v_sub_f32_e32 v14, v4, v5
	v_fma_f32 v4, v13, s56, -v4
	v_fmac_f32_e32 v4, 0xb2a5705f, v13
	v_add_f32_e32 v4, v14, v4
	v_exp_f32_e32 v4, v4
	v_cvt_i32_f32_e32 v14, v5
	v_cmp_nlt_f32_e32 vcc, s57, v11
	s_nop 1
	v_cndmask_b32_e32 v2, 0, v2, vcc
	v_cmp_ngt_f32_e32 vcc, s83, v11
	s_nop 1
	v_cndmask_b32_e32 v5, v23, v2, vcc
	v_ldexp_f32 v2, v4, v14
	v_mul_f32_e32 v4, 0xbfb8aa3b, v12
	v_rndne_f32_e32 v14, v4
	v_sub_f32_e32 v15, v4, v14
	v_fma_f32 v4, v12, s56, -v4
	v_fmac_f32_e32 v4, 0xb2a5705f, v12
	v_add_f32_e32 v4, v15, v4
	v_exp_f32_e32 v4, v4
	v_cvt_i32_f32_e32 v14, v14
	v_cmp_nlt_f32_e32 vcc, s57, v13
	v_ldexp_f32 v4, v4, v14
	s_nop 0
	v_cndmask_b32_e32 v2, 0, v2, vcc
	v_cmp_ngt_f32_e32 vcc, s83, v13
	s_nop 1
	v_cndmask_b32_e32 v2, v23, v2, vcc
	v_pk_add_f32 v[2:3], v[2:3], 1.0 op_sel_hi:[1,0]
	v_cmp_nlt_f32_e32 vcc, s57, v12
	v_div_scale_f32 v14, s[22:23], v3, v3, v10
	v_rcp_f32_e32 v15, v14
	v_cndmask_b32_e32 v4, 0, v4, vcc
	v_cmp_ngt_f32_e32 vcc, s83, v12
	v_fma_f32 v16, -v14, v15, 1.0
	s_nop 0
	v_cndmask_b32_e32 v4, v23, v4, vcc
	v_fmac_f32_e32 v15, v16, v15
	v_div_scale_f32 v16, vcc, v10, v3, v10
	v_mul_f32_e32 v17, v16, v15
	v_fma_f32 v18, -v14, v17, v16
	v_fmac_f32_e32 v17, v18, v15
	v_fma_f32 v14, -v14, v17, v16
	v_div_scale_f32 v16, s[22:23], v2, v2, v13
	v_rcp_f32_e32 v18, v16
	v_div_fmas_f32 v14, v14, v15, v17
	v_div_fixup_f32 v3, v14, v3, v10
	v_pk_add_f32 v[4:5], v[4:5], 1.0 op_sel_hi:[1,0]
	v_fma_f32 v10, -v16, v18, 1.0
	v_fmac_f32_e32 v18, v10, v18
	v_div_scale_f32 v10, vcc, v13, v2, v13
	v_mul_f32_e32 v14, v10, v18
	v_fma_f32 v15, -v16, v14, v10
	v_fmac_f32_e32 v14, v15, v18
	v_div_scale_f32 v15, s[22:23], v5, v5, v11
	v_fma_f32 v10, -v16, v14, v10
	v_rcp_f32_e32 v16, v15
	v_div_fmas_f32 v10, v10, v18, v14
	v_div_fixup_f32 v2, v10, v2, v13
	v_pk_mul_f32 v[2:3], v[58:59], v[2:3]
	v_fma_f32 v10, -v15, v16, 1.0
	v_fmac_f32_e32 v16, v10, v16
	v_div_scale_f32 v10, vcc, v11, v5, v11
	v_mul_f32_e32 v13, v10, v16
	v_fma_f32 v14, -v15, v13, v10
	v_fmac_f32_e32 v13, v14, v16
	v_div_scale_f32 v14, s[22:23], v4, v4, v12
	v_fma_f32 v10, -v15, v13, v10
	v_rcp_f32_e32 v15, v14
	v_div_fmas_f32 v10, v10, v16, v13
	v_div_fixup_f32 v5, v10, v5, v11
	v_fma_f32 v10, -v14, v15, 1.0
	v_fmac_f32_e32 v15, v10, v15
	v_div_scale_f32 v10, vcc, v12, v4, v12
	v_mul_f32_e32 v11, v10, v15
	v_fma_f32 v13, -v14, v11, v10
	v_fmac_f32_e32 v11, v13, v15
	v_fma_f32 v10, -v14, v11, v10
	v_div_fmas_f32 v10, v10, v15, v11
	v_div_fixup_f32 v4, v10, v4, v12
	v_pk_mul_f32 v[4:5], v[60:61], v[4:5]
	v_bfe_u32 v12, v2, 16, 1
	v_bfe_u32 v10, v4, 16, 1
	;; [unrolled: 1-line block ×3, first 2 shown]
	v_add3_u32 v10, v4, v10, s0
	v_add3_u32 v11, v5, v11, s0
	v_lshrrev_b32_e32 v10, 16, v10
	v_cmp_o_f32_e32 vcc, v4, v4
	v_bfe_u32 v13, v3, 16, 1
	v_add3_u32 v12, v2, v12, s0
	v_lshrrev_b32_e32 v11, 16, v11
	v_cndmask_b32_e32 v4, v24, v10, vcc
	v_cmp_o_f32_e32 vcc, v5, v5
	v_add3_u32 v13, v3, v13, s0
	v_lshrrev_b32_e32 v12, 16, v12
	v_cndmask_b32_e32 v10, v24, v11, vcc
	v_cmp_o_f32_e32 vcc, v2, v2
	v_lshrrev_b32_e32 v13, 16, v13
	v_perm_b32 v4, v10, v4, s1
	v_cndmask_b32_e32 v2, v24, v12, vcc
	v_cmp_o_f32_e32 vcc, v3, v3
	s_nop 1
	v_cndmask_b32_e32 v3, v24, v13, vcc
	v_perm_b32 v5, v3, v2, s1
	v_perm_b32 v3, v9, v8, s1
	;; [unrolled: 1-line block ×3, first 2 shown]
	v_and_b32_e32 v6, 0xffff0000, v31
	ds_write_b128 v21, v[2:5]
	v_mul_f32_e32 v2, 0xbfb8aa3b, v6
	v_fma_f32 v3, v6, s56, -v2
	v_rndne_f32_e32 v4, v2
	v_fmac_f32_e32 v3, 0xb2a5705f, v6
	v_sub_f32_e32 v2, v2, v4
	v_add_f32_e32 v2, v2, v3
	v_exp_f32_e32 v2, v2
	v_cvt_i32_f32_e32 v3, v4
	v_and_b32_e32 v7, 0xffff0000, v30
	v_cmp_nlt_f32_e32 vcc, s57, v6
	v_lshlrev_b32_e32 v9, 16, v31
	v_ldexp_f32 v2, v2, v3
	v_mul_f32_e32 v3, 0xbfb8aa3b, v7
	v_fma_f32 v4, v7, s56, -v3
	v_rndne_f32_e32 v5, v3
	v_fmac_f32_e32 v4, 0xb2a5705f, v7
	v_sub_f32_e32 v3, v3, v5
	v_add_f32_e32 v3, v3, v4
	v_exp_f32_e32 v4, v3
	v_cvt_i32_f32_e32 v5, v5
	v_cndmask_b32_e32 v2, 0, v2, vcc
	v_cmp_ngt_f32_e32 vcc, s83, v6
	v_lshlrev_b32_e32 v8, 16, v30
	s_nop 0
	v_cndmask_b32_e32 v3, v23, v2, vcc
	v_ldexp_f32 v2, v4, v5
	v_mul_f32_e32 v4, 0xbfb8aa3b, v9
	v_rndne_f32_e32 v5, v4
	v_sub_f32_e32 v10, v4, v5
	v_fma_f32 v4, v9, s56, -v4
	v_fmac_f32_e32 v4, 0xb2a5705f, v9
	v_add_f32_e32 v4, v10, v4
	v_exp_f32_e32 v4, v4
	v_cvt_i32_f32_e32 v10, v5
	v_cmp_nlt_f32_e32 vcc, s57, v7
	s_nop 1
	v_cndmask_b32_e32 v2, 0, v2, vcc
	v_cmp_ngt_f32_e32 vcc, s83, v7
	s_nop 1
	v_cndmask_b32_e32 v5, v23, v2, vcc
	v_ldexp_f32 v2, v4, v10
	v_mul_f32_e32 v4, 0xbfb8aa3b, v8
	v_rndne_f32_e32 v10, v4
	v_sub_f32_e32 v11, v4, v10
	v_fma_f32 v4, v8, s56, -v4
	v_fmac_f32_e32 v4, 0xb2a5705f, v8
	v_add_f32_e32 v4, v11, v4
	v_exp_f32_e32 v4, v4
	v_cvt_i32_f32_e32 v10, v10
	v_cmp_nlt_f32_e32 vcc, s57, v9
	v_ldexp_f32 v4, v4, v10
	s_nop 0
	v_cndmask_b32_e32 v2, 0, v2, vcc
	v_cmp_ngt_f32_e32 vcc, s83, v9
	s_nop 1
	v_cndmask_b32_e32 v2, v23, v2, vcc
	v_pk_add_f32 v[2:3], v[2:3], 1.0 op_sel_hi:[1,0]
	v_cmp_nlt_f32_e32 vcc, s57, v8
	v_div_scale_f32 v10, s[22:23], v3, v3, v6
	v_rcp_f32_e32 v11, v10
	v_cndmask_b32_e32 v4, 0, v4, vcc
	v_cmp_ngt_f32_e32 vcc, s83, v8
	v_fma_f32 v12, -v10, v11, 1.0
	s_nop 0
	v_cndmask_b32_e32 v4, v23, v4, vcc
	v_fmac_f32_e32 v11, v12, v11
	v_div_scale_f32 v12, vcc, v6, v3, v6
	v_mul_f32_e32 v13, v12, v11
	v_fma_f32 v14, -v10, v13, v12
	v_fmac_f32_e32 v13, v14, v11
	v_fma_f32 v10, -v10, v13, v12
	v_div_scale_f32 v12, s[22:23], v2, v2, v9
	v_rcp_f32_e32 v14, v12
	v_div_fmas_f32 v10, v10, v11, v13
	v_div_fixup_f32 v3, v10, v3, v6
	v_pk_add_f32 v[4:5], v[4:5], 1.0 op_sel_hi:[1,0]
	v_fma_f32 v6, -v12, v14, 1.0
	v_fmac_f32_e32 v14, v6, v14
	v_div_scale_f32 v6, vcc, v9, v2, v9
	v_mul_f32_e32 v10, v6, v14
	v_fma_f32 v11, -v12, v10, v6
	v_fmac_f32_e32 v10, v11, v14
	v_div_scale_f32 v11, s[22:23], v5, v5, v7
	v_fma_f32 v6, -v12, v10, v6
	v_rcp_f32_e32 v12, v11
	v_div_fmas_f32 v6, v6, v14, v10
	v_div_fixup_f32 v2, v6, v2, v9
	v_pk_mul_f32 v[2:3], v[54:55], v[2:3]
	v_fma_f32 v6, -v11, v12, 1.0
	v_fmac_f32_e32 v12, v6, v12
	v_div_scale_f32 v6, vcc, v7, v5, v7
	v_mul_f32_e32 v9, v6, v12
	v_fma_f32 v10, -v11, v9, v6
	v_fmac_f32_e32 v9, v10, v12
	v_div_scale_f32 v10, s[22:23], v4, v4, v8
	v_fma_f32 v6, -v11, v9, v6
	v_rcp_f32_e32 v11, v10
	v_div_fmas_f32 v6, v6, v12, v9
	v_div_fixup_f32 v5, v6, v5, v7
	v_lshlrev_b32_e32 v13, 16, v33
	v_fma_f32 v6, -v10, v11, 1.0
	v_fmac_f32_e32 v11, v6, v11
	v_div_scale_f32 v6, vcc, v8, v4, v8
	v_mul_f32_e32 v7, v6, v11
	v_fma_f32 v9, -v10, v7, v6
	v_fmac_f32_e32 v7, v9, v11
	v_fma_f32 v6, -v10, v7, v6
	v_div_fmas_f32 v6, v6, v11, v7
	v_div_fixup_f32 v4, v6, v4, v8
	v_pk_mul_f32 v[4:5], v[56:57], v[4:5]
	v_bfe_u32 v8, v2, 16, 1
	v_bfe_u32 v6, v4, 16, 1
	;; [unrolled: 1-line block ×3, first 2 shown]
	v_add3_u32 v6, v4, v6, s0
	v_add3_u32 v7, v5, v7, s0
	v_lshrrev_b32_e32 v6, 16, v6
	v_cmp_o_f32_e32 vcc, v4, v4
	v_add3_u32 v8, v2, v8, s0
	v_lshrrev_b32_e32 v7, 16, v7
	v_cndmask_b32_e32 v6, v24, v6, vcc
	v_cmp_o_f32_e32 vcc, v5, v5
	v_and_b32_e32 v10, 0xffff0000, v33
	v_bfe_u32 v9, v3, 16, 1
	v_lshrrev_b32_e32 v8, 16, v8
	v_cndmask_b32_e32 v7, v24, v7, vcc
	v_cmp_o_f32_e32 vcc, v2, v2
	v_mul_f32_e32 v2, 0xbfb8aa3b, v10
	v_add3_u32 v9, v3, v9, s0
	v_cndmask_b32_e32 v8, v24, v8, vcc
	v_cmp_o_f32_e32 vcc, v3, v3
	v_fma_f32 v3, v10, s56, -v2
	v_rndne_f32_e32 v4, v2
	v_fmac_f32_e32 v3, 0xb2a5705f, v10
	v_sub_f32_e32 v2, v2, v4
	v_add_f32_e32 v2, v2, v3
	v_exp_f32_e32 v2, v2
	v_cvt_i32_f32_e32 v3, v4
	v_and_b32_e32 v11, 0xffff0000, v32
	v_lshrrev_b32_e32 v9, 16, v9
	v_cndmask_b32_e32 v9, v24, v9, vcc
	v_ldexp_f32 v2, v2, v3
	v_mul_f32_e32 v3, 0xbfb8aa3b, v11
	v_fma_f32 v4, v11, s56, -v3
	v_rndne_f32_e32 v5, v3
	v_fmac_f32_e32 v4, 0xb2a5705f, v11
	v_sub_f32_e32 v3, v3, v5
	v_add_f32_e32 v3, v3, v4
	v_exp_f32_e32 v4, v3
	v_cvt_i32_f32_e32 v5, v5
	v_cmp_nlt_f32_e32 vcc, s57, v10
	v_lshlrev_b32_e32 v12, 16, v32
	s_nop 0
	v_cndmask_b32_e32 v2, 0, v2, vcc
	v_cmp_ngt_f32_e32 vcc, s83, v10
	s_nop 1
	v_cndmask_b32_e32 v3, v23, v2, vcc
	v_ldexp_f32 v2, v4, v5
	v_mul_f32_e32 v4, 0xbfb8aa3b, v13
	v_rndne_f32_e32 v5, v4
	v_sub_f32_e32 v14, v4, v5
	v_fma_f32 v4, v13, s56, -v4
	v_fmac_f32_e32 v4, 0xb2a5705f, v13
	v_add_f32_e32 v4, v14, v4
	v_exp_f32_e32 v4, v4
	v_cvt_i32_f32_e32 v14, v5
	v_cmp_nlt_f32_e32 vcc, s57, v11
	s_nop 1
	v_cndmask_b32_e32 v2, 0, v2, vcc
	v_cmp_ngt_f32_e32 vcc, s83, v11
	s_nop 1
	v_cndmask_b32_e32 v5, v23, v2, vcc
	v_ldexp_f32 v2, v4, v14
	v_mul_f32_e32 v4, 0xbfb8aa3b, v12
	v_rndne_f32_e32 v14, v4
	v_sub_f32_e32 v15, v4, v14
	v_fma_f32 v4, v12, s56, -v4
	v_fmac_f32_e32 v4, 0xb2a5705f, v12
	v_add_f32_e32 v4, v15, v4
	v_exp_f32_e32 v4, v4
	v_cvt_i32_f32_e32 v14, v14
	v_cmp_nlt_f32_e32 vcc, s57, v13
	v_ldexp_f32 v4, v4, v14
	s_nop 0
	v_cndmask_b32_e32 v2, 0, v2, vcc
	v_cmp_ngt_f32_e32 vcc, s83, v13
	s_nop 1
	v_cndmask_b32_e32 v2, v23, v2, vcc
	v_pk_add_f32 v[2:3], v[2:3], 1.0 op_sel_hi:[1,0]
	v_cmp_nlt_f32_e32 vcc, s57, v12
	v_div_scale_f32 v14, s[22:23], v3, v3, v10
	v_rcp_f32_e32 v15, v14
	v_cndmask_b32_e32 v4, 0, v4, vcc
	v_cmp_ngt_f32_e32 vcc, s83, v12
	v_fma_f32 v16, -v14, v15, 1.0
	s_nop 0
	v_cndmask_b32_e32 v4, v23, v4, vcc
	v_fmac_f32_e32 v15, v16, v15
	v_div_scale_f32 v16, vcc, v10, v3, v10
	v_mul_f32_e32 v17, v16, v15
	v_fma_f32 v18, -v14, v17, v16
	v_fmac_f32_e32 v17, v18, v15
	v_fma_f32 v14, -v14, v17, v16
	v_div_scale_f32 v16, s[22:23], v2, v2, v13
	v_rcp_f32_e32 v18, v16
	v_div_fmas_f32 v14, v14, v15, v17
	v_div_fixup_f32 v3, v14, v3, v10
	v_pk_add_f32 v[4:5], v[4:5], 1.0 op_sel_hi:[1,0]
	v_fma_f32 v10, -v16, v18, 1.0
	v_fmac_f32_e32 v18, v10, v18
	v_div_scale_f32 v10, vcc, v13, v2, v13
	v_mul_f32_e32 v14, v10, v18
	v_fma_f32 v15, -v16, v14, v10
	v_fmac_f32_e32 v14, v15, v18
	v_div_scale_f32 v15, s[22:23], v5, v5, v11
	v_fma_f32 v10, -v16, v14, v10
	v_rcp_f32_e32 v16, v15
	v_div_fmas_f32 v10, v10, v18, v14
	v_div_fixup_f32 v2, v10, v2, v13
	v_pk_mul_f32 v[0:1], v[0:1], v[2:3]
	v_fma_f32 v10, -v15, v16, 1.0
	v_fmac_f32_e32 v16, v10, v16
	v_div_scale_f32 v10, vcc, v11, v5, v11
	v_mul_f32_e32 v13, v10, v16
	v_fma_f32 v14, -v15, v13, v10
	v_fmac_f32_e32 v13, v14, v16
	v_div_scale_f32 v14, s[22:23], v4, v4, v12
	v_fma_f32 v10, -v15, v13, v10
	v_rcp_f32_e32 v15, v14
	v_div_fmas_f32 v10, v10, v16, v13
	v_div_fixup_f32 v5, v10, v5, v11
	v_fma_f32 v10, -v14, v15, 1.0
	v_fmac_f32_e32 v15, v10, v15
	v_div_scale_f32 v10, vcc, v12, v4, v12
	v_mul_f32_e32 v11, v10, v15
	v_fma_f32 v13, -v14, v11, v10
	v_fmac_f32_e32 v11, v13, v15
	v_fma_f32 v10, -v14, v11, v10
	v_div_fmas_f32 v10, v10, v15, v11
	v_div_fixup_f32 v4, v10, v4, v12
	v_pk_mul_f32 v[4:5], v[52:53], v[4:5]
	v_bfe_u32 v10, v0, 16, 1
	v_bfe_u32 v2, v4, 16, 1
	;; [unrolled: 1-line block ×3, first 2 shown]
	v_add3_u32 v2, v4, v2, s0
	v_add3_u32 v3, v5, v3, s0
	v_lshrrev_b32_e32 v2, 16, v2
	v_cmp_o_f32_e32 vcc, v4, v4
	v_bfe_u32 v11, v1, 16, 1
	v_add3_u32 v10, v0, v10, s0
	v_lshrrev_b32_e32 v3, 16, v3
	v_cndmask_b32_e32 v2, v24, v2, vcc
	v_cmp_o_f32_e32 vcc, v5, v5
	v_add3_u32 v11, v1, v11, s0
	v_lshrrev_b32_e32 v10, 16, v10
	v_cndmask_b32_e32 v4, v24, v3, vcc
	v_cmp_o_f32_e32 vcc, v0, v0
	v_lshrrev_b32_e32 v11, 16, v11
	v_perm_b32 v2, v4, v2, s1
	v_cndmask_b32_e32 v0, v24, v10, vcc
	v_cmp_o_f32_e32 vcc, v1, v1
	s_nop 1
	v_cndmask_b32_e32 v1, v24, v11, vcc
	v_perm_b32 v3, v1, v0, s1
	v_perm_b32 v1, v9, v8, s1
	;; [unrolled: 1-line block ×3, first 2 shown]
	ds_write_b128 v21, v[0:3] offset:16
	; wave barrier
	scratch_load_dwordx2 v[4:5], off, off offset:180 ; 8-byte Folded Reload
	ds_read_b128 v[0:3], v19
	v_readlane_b32 s1, v95, 4
	s_cmp_eq_u32 s82, s1
	s_waitcnt vmcnt(0)
	v_lshl_add_u64 v[8:9], s[2:3], 1, v[4:5]
	ds_read_b128 v[4:7], v20 offset:1024
	s_waitcnt lgkmcnt(1)
	global_store_short v[8:9], v0, off
	v_alignbit_b32 v11, v2, v1, 16
	v_alignbit_b32 v10, v1, v0, 16
	;; [unrolled: 1-line block ×3, first 2 shown]
	global_store_short_d16_hi v[8:9], v3, off offset:14
	global_store_dword v[8:9], v0, off offset:10
	global_store_dwordx2 v[8:9], v[10:11], off offset:2
	s_waitcnt lgkmcnt(0)
	global_store_dwordx4 v[8:9], v[4:7], off offset:1024
	s_cbranch_scc1 .LBB17_85
.LBB17_12:                              ; =>This Loop Header: Depth=1
                                        ;     Child Loop BB17_55 Depth 2
	v_lshl_add_u64 v[0:1], s[70:71], 0, v[42:43]
	s_waitcnt lgkmcnt(0)
	; wave barrier
	s_mov_b64 s[2:3], exec
	v_readlane_b32 s22, v95, 6
	v_readlane_b32 s23, v95, 7
	s_and_b64 s[22:23], s[2:3], s[22:23]
	s_mov_b64 exec, s[22:23]
	s_cbranch_execz .LBB17_14
; %bb.13:                               ;   in Loop: Header=BB17_12 Depth=1
	global_load_dwordx4 v[2:5], v[0:1], off
	s_waitcnt vmcnt(0)
	scratch_store_dwordx4 off, v[2:5], off offset:92 ; 16-byte Folded Spill
.LBB17_14:                              ;   in Loop: Header=BB17_12 Depth=1
	s_or_b64 exec, exec, s[2:3]
	s_mov_b64 s[2:3], exec
	v_readlane_b32 s22, v95, 8
	v_readlane_b32 s23, v95, 9
	s_and_b64 s[22:23], s[2:3], s[22:23]
	s_mov_b64 exec, s[22:23]
	s_cbranch_execz .LBB17_16
; %bb.15:                               ;   in Loop: Header=BB17_12 Depth=1
	global_load_dwordx4 v[0:3], v[0:1], off offset:1024
	s_waitcnt vmcnt(0)
	scratch_store_dwordx4 off, v[0:3], off offset:76 ; 16-byte Folded Spill
.LBB17_16:                              ;   in Loop: Header=BB17_12 Depth=1
	s_or_b64 exec, exec, s[2:3]
	scratch_load_dword v0, off, off         ; 4-byte Folded Reload
	scratch_load_dwordx4 v[2:5], off, off offset:92 ; 16-byte Folded Reload
	s_waitcnt vmcnt(0)
	ds_write_b128 v0, v[2:5]
	scratch_load_dword v0, off, off offset:4 ; 4-byte Folded Reload
	scratch_load_dwordx4 v[2:5], off, off offset:76 ; 16-byte Folded Reload
	s_waitcnt vmcnt(0)
	ds_write_b128 v0, v[2:5] offset:1024
	; wave barrier
	scratch_load_dword v0, off, off offset:8 ; 4-byte Folded Reload
	s_waitcnt vmcnt(0)
	ds_read_b128 v[2:5], v0
	s_waitcnt lgkmcnt(0)
	scratch_store_dwordx4 off, v[2:5], off offset:92 ; 16-byte Folded Spill
	ds_read_b128 v[0:3], v0 offset:16
	s_waitcnt lgkmcnt(0)
	scratch_store_dwordx4 off, v[0:3], off offset:76 ; 16-byte Folded Spill
	s_nop 1
	v_lshl_add_u64 v[0:1], s[72:73], 0, v[42:43]
	s_waitcnt lgkmcnt(0)
	; wave barrier
	s_mov_b64 s[2:3], exec
	v_readlane_b32 s22, v95, 6
	v_readlane_b32 s23, v95, 7
	s_and_b64 s[22:23], s[2:3], s[22:23]
	s_mov_b64 exec, s[22:23]
	s_cbranch_execz .LBB17_18
; %bb.17:                               ;   in Loop: Header=BB17_12 Depth=1
	global_load_dwordx4 v[2:5], v[0:1], off
	s_waitcnt vmcnt(0)
	scratch_store_dwordx4 off, v[2:5], off offset:60 ; 16-byte Folded Spill
.LBB17_18:                              ;   in Loop: Header=BB17_12 Depth=1
	s_or_b64 exec, exec, s[2:3]
	s_mov_b64 s[2:3], exec
	v_readlane_b32 s22, v95, 8
	v_readlane_b32 s23, v95, 9
	s_and_b64 s[22:23], s[2:3], s[22:23]
	s_mov_b64 exec, s[22:23]
	s_cbranch_execz .LBB17_20
; %bb.19:                               ;   in Loop: Header=BB17_12 Depth=1
	global_load_dwordx4 v[34:37], v[0:1], off offset:1024
.LBB17_20:                              ;   in Loop: Header=BB17_12 Depth=1
	s_or_b64 exec, exec, s[2:3]
	scratch_load_dword v0, off, off         ; 4-byte Folded Reload
	scratch_load_dwordx4 v[2:5], off, off offset:60 ; 16-byte Folded Reload
	s_mov_b32 s1, 0x41a00000
	s_waitcnt vmcnt(0)
	ds_write_b128 v0, v[2:5]
	scratch_load_dword v0, off, off offset:4 ; 4-byte Folded Reload
	s_waitcnt vmcnt(0)
	ds_write_b128 v0, v[34:37] offset:1024
	; wave barrier
	scratch_load_dword v0, off, off offset:8 ; 4-byte Folded Reload
	s_waitcnt vmcnt(0)
	ds_read_b128 v[2:5], v0
	ds_read_b128 v[34:37], v0 offset:16
	s_waitcnt lgkmcnt(1)
	v_lshlrev_b32_e32 v0, 16, v2
	v_add_f32_e32 v44, s33, v0
	v_cmp_ge_f32_e32 vcc, s1, v44
	s_and_b64 s[2:3], s[80:81], vcc
	scratch_store_dwordx4 off, v[2:5], off offset:60 ; 16-byte Folded Spill
	s_and_saveexec_b64 s[22:23], s[2:3]
	s_cbranch_execz .LBB17_22
; %bb.21:                               ;   in Loop: Header=BB17_12 Depth=1
	v_mul_f32_e32 v0, 0x3fb8aa3b, v44
	v_rndne_f32_e32 v1, v0
	v_sub_f32_e32 v2, v0, v1
	v_fma_f32 v0, v44, s26, -v0
	v_fmac_f32_e32 v0, 0x32a5705f, v44
	v_add_f32_e32 v0, v2, v0
	v_cvt_i32_f32_e32 v1, v1
	v_exp_f32_e32 v0, v0
	v_cmp_ngt_f32_e32 vcc, s27, v44
	v_ldexp_f32 v0, v0, v1
	s_nop 0
	v_cndmask_b32_e32 v0, 0, v0, vcc
	v_cmp_nlt_f32_e32 vcc, s28, v44
	s_nop 1
	v_cndmask_b32_e32 v16, v22, v0, vcc
	v_add_f32_e32 v2, 1.0, v16
	v_add_f32_e32 v0, -1.0, v2
	v_sub_f32_e32 v1, v0, v2
	v_add_f32_e32 v1, 1.0, v1
	v_sub_f32_e32 v0, v16, v0
	v_add_f32_e32 v3, v0, v1
	v_frexp_mant_f32_e32 v4, v2
	v_cvt_f64_f32_e32 v[0:1], v2
	v_frexp_exp_i32_f64_e32 v0, v[0:1]
	v_cmp_gt_f32_e32 vcc, s30, v4
	v_cmp_gt_f32_e64 s[2:3], s34, v16
	s_nop 0
	v_subbrev_co_u32_e32 v8, vcc, 0, v0, vcc
	v_sub_u32_e32 v0, 0, v8
	v_ldexp_f32 v1, v2, v0
	v_add_f32_e32 v2, -1.0, v1
	v_add_f32_e32 v4, 1.0, v1
	v_ldexp_f32 v0, v3, v0
	v_add_f32_e32 v3, 1.0, v2
	v_add_f32_e32 v5, -1.0, v4
	v_sub_f32_e32 v3, v1, v3
	v_sub_f32_e32 v1, v1, v5
	v_add_f32_e32 v3, v0, v3
	v_add_f32_e32 v0, v0, v1
	;; [unrolled: 1-line block ×3, first 2 shown]
	v_rcp_f32_e32 v11, v9
	v_sub_f32_e32 v1, v4, v9
	v_add_f32_e32 v10, v0, v1
	v_add_f32_e32 v1, v2, v3
	v_mul_f32_e32 v13, v1, v11
	v_sub_f32_e32 v0, v2, v1
	v_mul_f32_e32 v2, v9, v13
	v_fma_f32 v4, v13, v9, -v2
	v_fmac_f32_e32 v4, v13, v10
	v_add_f32_e32 v12, v3, v0
	v_add_f32_e32 v0, v2, v4
	v_sub_f32_e32 v3, v1, v0
	v_pk_add_f32 v[6:7], v[0:1], v[2:3] neg_lo:[0,1] neg_hi:[0,1]
	v_mov_b32_e32 v5, v0
	v_pk_add_f32 v[0:1], v[6:7], v[4:5] neg_lo:[0,1] neg_hi:[0,1]
	v_cmp_eq_f32_e32 vcc, s29, v16
	v_add_f32_e32 v1, v12, v1
	v_add_f32_e32 v0, v0, v1
	;; [unrolled: 1-line block ×3, first 2 shown]
	v_mul_f32_e32 v12, v11, v1
	v_mul_f32_e32 v2, v9, v12
	v_fma_f32 v4, v12, v9, -v2
	v_fmac_f32_e32 v4, v12, v10
	v_sub_f32_e32 v3, v3, v1
	v_add_f32_e32 v9, v0, v3
	v_add_f32_e32 v0, v2, v4
	v_sub_f32_e32 v3, v1, v0
	v_pk_add_f32 v[6:7], v[0:1], v[2:3] neg_lo:[0,1] neg_hi:[0,1]
	v_mov_b32_e32 v5, v0
	v_pk_add_f32 v[0:1], v[6:7], v[4:5] neg_lo:[0,1] neg_hi:[0,1]
	s_or_b64 vcc, s[2:3], vcc
	v_add_f32_e32 v1, v9, v1
	v_add_f32_e32 v0, v0, v1
	v_add_f32_e32 v1, v13, v12
	v_add_f32_e32 v0, v3, v0
	v_sub_f32_e32 v2, v1, v13
	v_mul_f32_e32 v0, v11, v0
	v_sub_f32_e32 v2, v12, v2
	v_add_f32_e32 v2, v2, v0
	v_add_f32_e32 v4, v1, v2
	v_mul_f32_e32 v5, v4, v4
	v_fmamk_f32 v0, v5, 0x3e9b6dac, v25
	v_fmaak_f32 v29, v5, v0, 0x3f2aaada
	v_cvt_f32_i32_e32 v0, v8
	v_sub_f32_e32 v1, v4, v1
	v_sub_f32_e32 v1, v2, v1
	v_ldexp_f32 v6, v1, 1
	v_mul_f32_e32 v1, v4, v5
	v_ldexp_f32 v3, v4, 1
	v_pk_mul_f32 v[4:5], v[0:1], v[28:29]
	s_nop 0
	v_fma_f32 v2, v0, s31, -v4
	v_fmac_f32_e32 v2, 0xb102e308, v0
	v_pk_add_f32 v[0:1], v[4:5], v[2:3]
	s_nop 0
	v_sub_f32_e32 v3, v1, v3
	v_sub_f32_e32 v3, v5, v3
	v_add_f32_e32 v7, v6, v3
	v_mov_b32_e32 v6, v4
	v_pk_add_f32 v[4:5], v[0:1], v[4:5] neg_lo:[0,1] neg_hi:[0,1]
	v_pk_add_f32 v[8:9], v[0:1], v[6:7]
	v_mov_b32_e32 v3, v0
	v_mov_b32_e32 v5, v9
	v_pk_add_f32 v[10:11], v[2:3], v[4:5] neg_lo:[0,1] neg_hi:[0,1]
	v_pk_add_f32 v[2:3], v[2:3], v[4:5]
	v_mov_b32_e32 v6, v7
	v_mov_b32_e32 v4, v3
	v_pk_add_f32 v[12:13], v[4:5], v[0:1] neg_lo:[0,1] neg_hi:[0,1]
	v_mov_b32_e32 v2, v9
	v_mov_b32_e32 v5, v12
	v_pk_add_f32 v[14:15], v[8:9], v[4:5] neg_lo:[0,1] neg_hi:[0,1]
	v_mov_b32_e32 v8, v1
	v_mov_b32_e32 v9, v12
	;; [unrolled: 1-line block ×3, first 2 shown]
	v_pk_add_f32 v[2:3], v[2:3], v[8:9] neg_lo:[0,1] neg_hi:[0,1]
	v_mov_b32_e32 v7, v0
	v_pk_add_f32 v[0:1], v[6:7], v[2:3] neg_lo:[0,1] neg_hi:[0,1]
	v_mov_b32_e32 v14, v10
	v_pk_add_f32 v[2:3], v[14:15], v[0:1]
	s_nop 0
	v_mov_b32_e32 v6, v3
	v_pk_add_f32 v[6:7], v[2:3], v[6:7]
	s_nop 0
	v_pk_add_f32 v[4:5], v[4:5], v[6:7]
	v_mov_b32_e32 v1, v6
	v_mov_b32_e32 v3, v4
	v_pk_add_f32 v[8:9], v[2:3], v[10:11] neg_lo:[0,1] neg_hi:[0,1]
	s_nop 0
	v_sub_f32_e32 v2, v2, v8
	v_pk_add_f32 v[0:1], v[0:1], v[8:9] neg_lo:[0,1] neg_hi:[0,1]
	v_sub_f32_e32 v2, v10, v2
	v_add_f32_e32 v0, v0, v2
	v_add_f32_e32 v0, v0, v1
	;; [unrolled: 1-line block ×3, first 2 shown]
	v_cndmask_b32_e32 v44, v0, v16, vcc
.LBB17_22:                              ;   in Loop: Header=BB17_12 Depth=1
	s_or_b64 exec, exec, s[22:23]
	scratch_load_dwordx4 v[0:3], off, off offset:60 ; 16-byte Folded Reload
	s_waitcnt vmcnt(0)
	v_and_b32_e32 v0, 0xffff0000, v0
	v_add_f32_e32 v45, s33, v0
	v_cmp_ge_f32_e32 vcc, s1, v45
	s_and_b64 s[2:3], s[80:81], vcc
	s_and_saveexec_b64 s[22:23], s[2:3]
	s_cbranch_execz .LBB17_24
; %bb.23:                               ;   in Loop: Header=BB17_12 Depth=1
	v_mul_f32_e32 v0, 0x3fb8aa3b, v45
	v_rndne_f32_e32 v1, v0
	v_sub_f32_e32 v2, v0, v1
	v_fma_f32 v0, v45, s26, -v0
	v_fmac_f32_e32 v0, 0x32a5705f, v45
	v_add_f32_e32 v0, v2, v0
	v_cvt_i32_f32_e32 v1, v1
	v_exp_f32_e32 v0, v0
	v_cmp_ngt_f32_e32 vcc, s27, v45
	v_ldexp_f32 v0, v0, v1
	s_nop 0
	v_cndmask_b32_e32 v0, 0, v0, vcc
	v_cmp_nlt_f32_e32 vcc, s28, v45
	s_nop 1
	v_cndmask_b32_e32 v16, v22, v0, vcc
	v_add_f32_e32 v2, 1.0, v16
	v_add_f32_e32 v0, -1.0, v2
	v_sub_f32_e32 v1, v0, v2
	v_add_f32_e32 v1, 1.0, v1
	v_sub_f32_e32 v0, v16, v0
	v_add_f32_e32 v3, v0, v1
	v_frexp_mant_f32_e32 v4, v2
	v_cvt_f64_f32_e32 v[0:1], v2
	v_frexp_exp_i32_f64_e32 v0, v[0:1]
	v_cmp_gt_f32_e32 vcc, s30, v4
	v_cmp_gt_f32_e64 s[2:3], s34, v16
	s_nop 0
	v_subbrev_co_u32_e32 v8, vcc, 0, v0, vcc
	v_sub_u32_e32 v0, 0, v8
	v_ldexp_f32 v1, v2, v0
	v_add_f32_e32 v2, -1.0, v1
	v_add_f32_e32 v4, 1.0, v1
	v_ldexp_f32 v0, v3, v0
	v_add_f32_e32 v3, 1.0, v2
	v_add_f32_e32 v5, -1.0, v4
	v_sub_f32_e32 v3, v1, v3
	v_sub_f32_e32 v1, v1, v5
	v_add_f32_e32 v3, v0, v3
	v_add_f32_e32 v0, v0, v1
	;; [unrolled: 1-line block ×3, first 2 shown]
	v_rcp_f32_e32 v11, v9
	v_sub_f32_e32 v1, v4, v9
	v_add_f32_e32 v10, v0, v1
	v_add_f32_e32 v1, v2, v3
	v_mul_f32_e32 v13, v1, v11
	v_sub_f32_e32 v0, v2, v1
	v_mul_f32_e32 v2, v9, v13
	v_fma_f32 v4, v13, v9, -v2
	v_fmac_f32_e32 v4, v13, v10
	v_add_f32_e32 v12, v3, v0
	v_add_f32_e32 v0, v2, v4
	v_sub_f32_e32 v3, v1, v0
	v_pk_add_f32 v[6:7], v[0:1], v[2:3] neg_lo:[0,1] neg_hi:[0,1]
	v_mov_b32_e32 v5, v0
	v_pk_add_f32 v[0:1], v[6:7], v[4:5] neg_lo:[0,1] neg_hi:[0,1]
	v_cmp_eq_f32_e32 vcc, s29, v16
	v_add_f32_e32 v1, v12, v1
	v_add_f32_e32 v0, v0, v1
	;; [unrolled: 1-line block ×3, first 2 shown]
	v_mul_f32_e32 v12, v11, v1
	v_mul_f32_e32 v2, v9, v12
	v_fma_f32 v4, v12, v9, -v2
	v_fmac_f32_e32 v4, v12, v10
	v_sub_f32_e32 v3, v3, v1
	v_add_f32_e32 v9, v0, v3
	v_add_f32_e32 v0, v2, v4
	v_sub_f32_e32 v3, v1, v0
	v_pk_add_f32 v[6:7], v[0:1], v[2:3] neg_lo:[0,1] neg_hi:[0,1]
	v_mov_b32_e32 v5, v0
	v_pk_add_f32 v[0:1], v[6:7], v[4:5] neg_lo:[0,1] neg_hi:[0,1]
	s_or_b64 vcc, s[2:3], vcc
	v_add_f32_e32 v1, v9, v1
	v_add_f32_e32 v0, v0, v1
	;; [unrolled: 1-line block ×4, first 2 shown]
	v_sub_f32_e32 v2, v1, v13
	v_mul_f32_e32 v0, v11, v0
	v_sub_f32_e32 v2, v12, v2
	v_add_f32_e32 v2, v2, v0
	v_add_f32_e32 v4, v1, v2
	v_mul_f32_e32 v5, v4, v4
	v_fmamk_f32 v0, v5, 0x3e9b6dac, v25
	v_fmaak_f32 v29, v5, v0, 0x3f2aaada
	v_cvt_f32_i32_e32 v0, v8
	v_sub_f32_e32 v1, v4, v1
	v_sub_f32_e32 v1, v2, v1
	v_ldexp_f32 v6, v1, 1
	v_mul_f32_e32 v1, v4, v5
	v_ldexp_f32 v3, v4, 1
	v_pk_mul_f32 v[4:5], v[0:1], v[28:29]
	s_nop 0
	v_fma_f32 v2, v0, s31, -v4
	v_fmac_f32_e32 v2, 0xb102e308, v0
	v_pk_add_f32 v[0:1], v[4:5], v[2:3]
	s_nop 0
	v_sub_f32_e32 v3, v1, v3
	v_sub_f32_e32 v3, v5, v3
	v_add_f32_e32 v7, v6, v3
	v_mov_b32_e32 v6, v4
	v_pk_add_f32 v[4:5], v[0:1], v[4:5] neg_lo:[0,1] neg_hi:[0,1]
	v_pk_add_f32 v[8:9], v[0:1], v[6:7]
	v_mov_b32_e32 v3, v0
	v_mov_b32_e32 v5, v9
	v_pk_add_f32 v[10:11], v[2:3], v[4:5] neg_lo:[0,1] neg_hi:[0,1]
	v_pk_add_f32 v[2:3], v[2:3], v[4:5]
	v_mov_b32_e32 v6, v7
	v_mov_b32_e32 v4, v3
	v_pk_add_f32 v[12:13], v[4:5], v[0:1] neg_lo:[0,1] neg_hi:[0,1]
	v_mov_b32_e32 v2, v9
	v_mov_b32_e32 v5, v12
	v_pk_add_f32 v[14:15], v[8:9], v[4:5] neg_lo:[0,1] neg_hi:[0,1]
	v_mov_b32_e32 v8, v1
	v_mov_b32_e32 v9, v12
	;; [unrolled: 1-line block ×3, first 2 shown]
	v_pk_add_f32 v[2:3], v[2:3], v[8:9] neg_lo:[0,1] neg_hi:[0,1]
	v_mov_b32_e32 v7, v0
	v_pk_add_f32 v[0:1], v[6:7], v[2:3] neg_lo:[0,1] neg_hi:[0,1]
	v_mov_b32_e32 v14, v10
	v_pk_add_f32 v[2:3], v[14:15], v[0:1]
	s_nop 0
	v_mov_b32_e32 v6, v3
	v_pk_add_f32 v[6:7], v[2:3], v[6:7]
	s_nop 0
	v_pk_add_f32 v[4:5], v[4:5], v[6:7]
	v_mov_b32_e32 v1, v6
	v_mov_b32_e32 v3, v4
	v_pk_add_f32 v[8:9], v[2:3], v[10:11] neg_lo:[0,1] neg_hi:[0,1]
	s_nop 0
	v_sub_f32_e32 v2, v2, v8
	v_pk_add_f32 v[0:1], v[0:1], v[8:9] neg_lo:[0,1] neg_hi:[0,1]
	v_sub_f32_e32 v2, v10, v2
	v_add_f32_e32 v0, v0, v2
	v_add_f32_e32 v0, v0, v1
	;; [unrolled: 1-line block ×3, first 2 shown]
	v_cndmask_b32_e32 v45, v0, v16, vcc
.LBB17_24:                              ;   in Loop: Header=BB17_12 Depth=1
	s_or_b64 exec, exec, s[22:23]
	scratch_load_dwordx4 v[0:3], off, off offset:60 ; 16-byte Folded Reload
	s_waitcnt vmcnt(0)
	v_lshlrev_b32_e32 v0, 16, v1
	v_add_f32_e32 v46, s33, v0
	v_cmp_ge_f32_e32 vcc, s1, v46
	s_and_b64 s[2:3], s[80:81], vcc
	s_and_saveexec_b64 s[22:23], s[2:3]
	s_cbranch_execz .LBB17_26
; %bb.25:                               ;   in Loop: Header=BB17_12 Depth=1
	v_mul_f32_e32 v0, 0x3fb8aa3b, v46
	v_rndne_f32_e32 v1, v0
	v_sub_f32_e32 v2, v0, v1
	v_fma_f32 v0, v46, s26, -v0
	v_fmac_f32_e32 v0, 0x32a5705f, v46
	v_add_f32_e32 v0, v2, v0
	v_cvt_i32_f32_e32 v1, v1
	v_exp_f32_e32 v0, v0
	v_cmp_ngt_f32_e32 vcc, s27, v46
	v_ldexp_f32 v0, v0, v1
	s_nop 0
	v_cndmask_b32_e32 v0, 0, v0, vcc
	v_cmp_nlt_f32_e32 vcc, s28, v46
	s_nop 1
	v_cndmask_b32_e32 v16, v22, v0, vcc
	v_add_f32_e32 v2, 1.0, v16
	v_add_f32_e32 v0, -1.0, v2
	v_sub_f32_e32 v1, v0, v2
	v_add_f32_e32 v1, 1.0, v1
	v_sub_f32_e32 v0, v16, v0
	v_add_f32_e32 v3, v0, v1
	v_frexp_mant_f32_e32 v4, v2
	v_cvt_f64_f32_e32 v[0:1], v2
	v_frexp_exp_i32_f64_e32 v0, v[0:1]
	v_cmp_gt_f32_e32 vcc, s30, v4
	v_cmp_gt_f32_e64 s[2:3], s34, v16
	s_nop 0
	v_subbrev_co_u32_e32 v8, vcc, 0, v0, vcc
	v_sub_u32_e32 v0, 0, v8
	v_ldexp_f32 v1, v2, v0
	v_add_f32_e32 v2, -1.0, v1
	v_add_f32_e32 v4, 1.0, v1
	v_ldexp_f32 v0, v3, v0
	v_add_f32_e32 v3, 1.0, v2
	v_add_f32_e32 v5, -1.0, v4
	v_sub_f32_e32 v3, v1, v3
	v_sub_f32_e32 v1, v1, v5
	v_add_f32_e32 v3, v0, v3
	v_add_f32_e32 v0, v0, v1
	;; [unrolled: 1-line block ×3, first 2 shown]
	v_rcp_f32_e32 v11, v9
	v_sub_f32_e32 v1, v4, v9
	v_add_f32_e32 v10, v0, v1
	v_add_f32_e32 v1, v2, v3
	v_mul_f32_e32 v13, v1, v11
	v_sub_f32_e32 v0, v2, v1
	v_mul_f32_e32 v2, v9, v13
	v_fma_f32 v4, v13, v9, -v2
	v_fmac_f32_e32 v4, v13, v10
	v_add_f32_e32 v12, v3, v0
	v_add_f32_e32 v0, v2, v4
	v_sub_f32_e32 v3, v1, v0
	v_pk_add_f32 v[6:7], v[0:1], v[2:3] neg_lo:[0,1] neg_hi:[0,1]
	v_mov_b32_e32 v5, v0
	v_pk_add_f32 v[0:1], v[6:7], v[4:5] neg_lo:[0,1] neg_hi:[0,1]
	v_cmp_eq_f32_e32 vcc, s29, v16
	v_add_f32_e32 v1, v12, v1
	v_add_f32_e32 v0, v0, v1
	;; [unrolled: 1-line block ×3, first 2 shown]
	v_mul_f32_e32 v12, v11, v1
	v_mul_f32_e32 v2, v9, v12
	v_fma_f32 v4, v12, v9, -v2
	v_fmac_f32_e32 v4, v12, v10
	v_sub_f32_e32 v3, v3, v1
	v_add_f32_e32 v9, v0, v3
	v_add_f32_e32 v0, v2, v4
	v_sub_f32_e32 v3, v1, v0
	v_pk_add_f32 v[6:7], v[0:1], v[2:3] neg_lo:[0,1] neg_hi:[0,1]
	v_mov_b32_e32 v5, v0
	v_pk_add_f32 v[0:1], v[6:7], v[4:5] neg_lo:[0,1] neg_hi:[0,1]
	s_or_b64 vcc, s[2:3], vcc
	v_add_f32_e32 v1, v9, v1
	v_add_f32_e32 v0, v0, v1
	;; [unrolled: 1-line block ×4, first 2 shown]
	v_sub_f32_e32 v2, v1, v13
	v_mul_f32_e32 v0, v11, v0
	v_sub_f32_e32 v2, v12, v2
	v_add_f32_e32 v2, v2, v0
	v_add_f32_e32 v4, v1, v2
	v_mul_f32_e32 v5, v4, v4
	v_fmamk_f32 v0, v5, 0x3e9b6dac, v25
	v_fmaak_f32 v29, v5, v0, 0x3f2aaada
	v_cvt_f32_i32_e32 v0, v8
	v_sub_f32_e32 v1, v4, v1
	v_sub_f32_e32 v1, v2, v1
	v_ldexp_f32 v6, v1, 1
	v_mul_f32_e32 v1, v4, v5
	v_ldexp_f32 v3, v4, 1
	v_pk_mul_f32 v[4:5], v[0:1], v[28:29]
	s_nop 0
	v_fma_f32 v2, v0, s31, -v4
	v_fmac_f32_e32 v2, 0xb102e308, v0
	v_pk_add_f32 v[0:1], v[4:5], v[2:3]
	s_nop 0
	v_sub_f32_e32 v3, v1, v3
	v_sub_f32_e32 v3, v5, v3
	v_add_f32_e32 v7, v6, v3
	v_mov_b32_e32 v6, v4
	v_pk_add_f32 v[4:5], v[0:1], v[4:5] neg_lo:[0,1] neg_hi:[0,1]
	v_pk_add_f32 v[8:9], v[0:1], v[6:7]
	v_mov_b32_e32 v3, v0
	v_mov_b32_e32 v5, v9
	v_pk_add_f32 v[10:11], v[2:3], v[4:5] neg_lo:[0,1] neg_hi:[0,1]
	v_pk_add_f32 v[2:3], v[2:3], v[4:5]
	v_mov_b32_e32 v6, v7
	v_mov_b32_e32 v4, v3
	v_pk_add_f32 v[12:13], v[4:5], v[0:1] neg_lo:[0,1] neg_hi:[0,1]
	v_mov_b32_e32 v2, v9
	v_mov_b32_e32 v5, v12
	v_pk_add_f32 v[14:15], v[8:9], v[4:5] neg_lo:[0,1] neg_hi:[0,1]
	v_mov_b32_e32 v8, v1
	v_mov_b32_e32 v9, v12
	;; [unrolled: 1-line block ×3, first 2 shown]
	v_pk_add_f32 v[2:3], v[2:3], v[8:9] neg_lo:[0,1] neg_hi:[0,1]
	v_mov_b32_e32 v7, v0
	v_pk_add_f32 v[0:1], v[6:7], v[2:3] neg_lo:[0,1] neg_hi:[0,1]
	v_mov_b32_e32 v14, v10
	v_pk_add_f32 v[2:3], v[14:15], v[0:1]
	s_nop 0
	v_mov_b32_e32 v6, v3
	v_pk_add_f32 v[6:7], v[2:3], v[6:7]
	s_nop 0
	v_pk_add_f32 v[4:5], v[4:5], v[6:7]
	v_mov_b32_e32 v1, v6
	v_mov_b32_e32 v3, v4
	v_pk_add_f32 v[8:9], v[2:3], v[10:11] neg_lo:[0,1] neg_hi:[0,1]
	s_nop 0
	v_sub_f32_e32 v2, v2, v8
	v_pk_add_f32 v[0:1], v[0:1], v[8:9] neg_lo:[0,1] neg_hi:[0,1]
	v_sub_f32_e32 v2, v10, v2
	v_add_f32_e32 v0, v0, v2
	v_add_f32_e32 v0, v0, v1
	;; [unrolled: 1-line block ×3, first 2 shown]
	v_cndmask_b32_e32 v46, v0, v16, vcc
.LBB17_26:                              ;   in Loop: Header=BB17_12 Depth=1
	s_or_b64 exec, exec, s[22:23]
	scratch_load_dwordx4 v[0:3], off, off offset:60 ; 16-byte Folded Reload
	s_waitcnt vmcnt(0)
	v_and_b32_e32 v0, 0xffff0000, v1
	v_add_f32_e32 v47, s33, v0
	v_cmp_ge_f32_e32 vcc, s1, v47
	s_and_b64 s[2:3], s[80:81], vcc
	s_and_saveexec_b64 s[22:23], s[2:3]
	s_cbranch_execz .LBB17_28
; %bb.27:                               ;   in Loop: Header=BB17_12 Depth=1
	v_mul_f32_e32 v0, 0x3fb8aa3b, v47
	v_rndne_f32_e32 v1, v0
	v_sub_f32_e32 v2, v0, v1
	v_fma_f32 v0, v47, s26, -v0
	v_fmac_f32_e32 v0, 0x32a5705f, v47
	v_add_f32_e32 v0, v2, v0
	v_cvt_i32_f32_e32 v1, v1
	v_exp_f32_e32 v0, v0
	v_cmp_ngt_f32_e32 vcc, s27, v47
	v_ldexp_f32 v0, v0, v1
	s_nop 0
	v_cndmask_b32_e32 v0, 0, v0, vcc
	v_cmp_nlt_f32_e32 vcc, s28, v47
	s_nop 1
	v_cndmask_b32_e32 v16, v22, v0, vcc
	v_add_f32_e32 v2, 1.0, v16
	v_add_f32_e32 v0, -1.0, v2
	v_sub_f32_e32 v1, v0, v2
	v_add_f32_e32 v1, 1.0, v1
	v_sub_f32_e32 v0, v16, v0
	v_add_f32_e32 v3, v0, v1
	v_frexp_mant_f32_e32 v4, v2
	v_cvt_f64_f32_e32 v[0:1], v2
	v_frexp_exp_i32_f64_e32 v0, v[0:1]
	v_cmp_gt_f32_e32 vcc, s30, v4
	v_cmp_gt_f32_e64 s[2:3], s34, v16
	s_nop 0
	v_subbrev_co_u32_e32 v8, vcc, 0, v0, vcc
	v_sub_u32_e32 v0, 0, v8
	v_ldexp_f32 v1, v2, v0
	v_add_f32_e32 v2, -1.0, v1
	v_add_f32_e32 v4, 1.0, v1
	v_ldexp_f32 v0, v3, v0
	v_add_f32_e32 v3, 1.0, v2
	v_add_f32_e32 v5, -1.0, v4
	v_sub_f32_e32 v3, v1, v3
	v_sub_f32_e32 v1, v1, v5
	v_add_f32_e32 v3, v0, v3
	v_add_f32_e32 v0, v0, v1
	;; [unrolled: 1-line block ×3, first 2 shown]
	v_rcp_f32_e32 v11, v9
	v_sub_f32_e32 v1, v4, v9
	v_add_f32_e32 v10, v0, v1
	v_add_f32_e32 v1, v2, v3
	v_mul_f32_e32 v13, v1, v11
	v_sub_f32_e32 v0, v2, v1
	v_mul_f32_e32 v2, v9, v13
	v_fma_f32 v4, v13, v9, -v2
	v_fmac_f32_e32 v4, v13, v10
	v_add_f32_e32 v12, v3, v0
	v_add_f32_e32 v0, v2, v4
	v_sub_f32_e32 v3, v1, v0
	v_pk_add_f32 v[6:7], v[0:1], v[2:3] neg_lo:[0,1] neg_hi:[0,1]
	v_mov_b32_e32 v5, v0
	v_pk_add_f32 v[0:1], v[6:7], v[4:5] neg_lo:[0,1] neg_hi:[0,1]
	v_cmp_eq_f32_e32 vcc, s29, v16
	v_add_f32_e32 v1, v12, v1
	v_add_f32_e32 v0, v0, v1
	;; [unrolled: 1-line block ×3, first 2 shown]
	v_mul_f32_e32 v12, v11, v1
	v_mul_f32_e32 v2, v9, v12
	v_fma_f32 v4, v12, v9, -v2
	v_fmac_f32_e32 v4, v12, v10
	v_sub_f32_e32 v3, v3, v1
	v_add_f32_e32 v9, v0, v3
	v_add_f32_e32 v0, v2, v4
	v_sub_f32_e32 v3, v1, v0
	v_pk_add_f32 v[6:7], v[0:1], v[2:3] neg_lo:[0,1] neg_hi:[0,1]
	v_mov_b32_e32 v5, v0
	v_pk_add_f32 v[0:1], v[6:7], v[4:5] neg_lo:[0,1] neg_hi:[0,1]
	s_or_b64 vcc, s[2:3], vcc
	v_add_f32_e32 v1, v9, v1
	v_add_f32_e32 v0, v0, v1
	;; [unrolled: 1-line block ×4, first 2 shown]
	v_sub_f32_e32 v2, v1, v13
	v_mul_f32_e32 v0, v11, v0
	v_sub_f32_e32 v2, v12, v2
	v_add_f32_e32 v2, v2, v0
	v_add_f32_e32 v4, v1, v2
	v_mul_f32_e32 v5, v4, v4
	v_fmamk_f32 v0, v5, 0x3e9b6dac, v25
	v_fmaak_f32 v29, v5, v0, 0x3f2aaada
	v_cvt_f32_i32_e32 v0, v8
	v_sub_f32_e32 v1, v4, v1
	v_sub_f32_e32 v1, v2, v1
	v_ldexp_f32 v6, v1, 1
	v_mul_f32_e32 v1, v4, v5
	v_ldexp_f32 v3, v4, 1
	v_pk_mul_f32 v[4:5], v[0:1], v[28:29]
	s_nop 0
	v_fma_f32 v2, v0, s31, -v4
	v_fmac_f32_e32 v2, 0xb102e308, v0
	v_pk_add_f32 v[0:1], v[4:5], v[2:3]
	s_nop 0
	v_sub_f32_e32 v3, v1, v3
	v_sub_f32_e32 v3, v5, v3
	v_add_f32_e32 v7, v6, v3
	v_mov_b32_e32 v6, v4
	v_pk_add_f32 v[4:5], v[0:1], v[4:5] neg_lo:[0,1] neg_hi:[0,1]
	v_pk_add_f32 v[8:9], v[0:1], v[6:7]
	v_mov_b32_e32 v3, v0
	v_mov_b32_e32 v5, v9
	v_pk_add_f32 v[10:11], v[2:3], v[4:5] neg_lo:[0,1] neg_hi:[0,1]
	v_pk_add_f32 v[2:3], v[2:3], v[4:5]
	v_mov_b32_e32 v6, v7
	v_mov_b32_e32 v4, v3
	v_pk_add_f32 v[12:13], v[4:5], v[0:1] neg_lo:[0,1] neg_hi:[0,1]
	v_mov_b32_e32 v2, v9
	v_mov_b32_e32 v5, v12
	v_pk_add_f32 v[14:15], v[8:9], v[4:5] neg_lo:[0,1] neg_hi:[0,1]
	v_mov_b32_e32 v8, v1
	v_mov_b32_e32 v9, v12
	;; [unrolled: 1-line block ×3, first 2 shown]
	v_pk_add_f32 v[2:3], v[2:3], v[8:9] neg_lo:[0,1] neg_hi:[0,1]
	v_mov_b32_e32 v7, v0
	v_pk_add_f32 v[0:1], v[6:7], v[2:3] neg_lo:[0,1] neg_hi:[0,1]
	v_mov_b32_e32 v14, v10
	v_pk_add_f32 v[2:3], v[14:15], v[0:1]
	s_nop 0
	v_mov_b32_e32 v6, v3
	v_pk_add_f32 v[6:7], v[2:3], v[6:7]
	s_nop 0
	v_pk_add_f32 v[4:5], v[4:5], v[6:7]
	v_mov_b32_e32 v1, v6
	v_mov_b32_e32 v3, v4
	v_pk_add_f32 v[8:9], v[2:3], v[10:11] neg_lo:[0,1] neg_hi:[0,1]
	s_nop 0
	v_sub_f32_e32 v2, v2, v8
	v_pk_add_f32 v[0:1], v[0:1], v[8:9] neg_lo:[0,1] neg_hi:[0,1]
	v_sub_f32_e32 v2, v10, v2
	v_add_f32_e32 v0, v0, v2
	v_add_f32_e32 v0, v0, v1
	;; [unrolled: 1-line block ×3, first 2 shown]
	v_cndmask_b32_e32 v47, v0, v16, vcc
.LBB17_28:                              ;   in Loop: Header=BB17_12 Depth=1
	s_or_b64 exec, exec, s[22:23]
	scratch_load_dwordx4 v[0:3], off, off offset:60 ; 16-byte Folded Reload
	s_waitcnt vmcnt(0)
	v_lshlrev_b32_e32 v0, 16, v2
	v_add_f32_e32 v48, s33, v0
	v_cmp_ge_f32_e32 vcc, s1, v48
	s_and_b64 s[2:3], s[80:81], vcc
	s_and_saveexec_b64 s[22:23], s[2:3]
	s_cbranch_execz .LBB17_30
; %bb.29:                               ;   in Loop: Header=BB17_12 Depth=1
	v_mul_f32_e32 v0, 0x3fb8aa3b, v48
	v_rndne_f32_e32 v1, v0
	v_sub_f32_e32 v2, v0, v1
	v_fma_f32 v0, v48, s26, -v0
	v_fmac_f32_e32 v0, 0x32a5705f, v48
	v_add_f32_e32 v0, v2, v0
	v_cvt_i32_f32_e32 v1, v1
	v_exp_f32_e32 v0, v0
	v_cmp_ngt_f32_e32 vcc, s27, v48
	v_ldexp_f32 v0, v0, v1
	s_nop 0
	v_cndmask_b32_e32 v0, 0, v0, vcc
	v_cmp_nlt_f32_e32 vcc, s28, v48
	s_nop 1
	v_cndmask_b32_e32 v16, v22, v0, vcc
	v_add_f32_e32 v2, 1.0, v16
	v_add_f32_e32 v0, -1.0, v2
	v_sub_f32_e32 v1, v0, v2
	v_add_f32_e32 v1, 1.0, v1
	v_sub_f32_e32 v0, v16, v0
	v_add_f32_e32 v3, v0, v1
	v_frexp_mant_f32_e32 v4, v2
	v_cvt_f64_f32_e32 v[0:1], v2
	v_frexp_exp_i32_f64_e32 v0, v[0:1]
	v_cmp_gt_f32_e32 vcc, s30, v4
	v_cmp_gt_f32_e64 s[2:3], s34, v16
	s_nop 0
	v_subbrev_co_u32_e32 v8, vcc, 0, v0, vcc
	v_sub_u32_e32 v0, 0, v8
	v_ldexp_f32 v1, v2, v0
	v_add_f32_e32 v2, -1.0, v1
	v_add_f32_e32 v4, 1.0, v1
	v_ldexp_f32 v0, v3, v0
	v_add_f32_e32 v3, 1.0, v2
	v_add_f32_e32 v5, -1.0, v4
	v_sub_f32_e32 v3, v1, v3
	v_sub_f32_e32 v1, v1, v5
	v_add_f32_e32 v3, v0, v3
	v_add_f32_e32 v0, v0, v1
	;; [unrolled: 1-line block ×3, first 2 shown]
	v_rcp_f32_e32 v11, v9
	v_sub_f32_e32 v1, v4, v9
	v_add_f32_e32 v10, v0, v1
	v_add_f32_e32 v1, v2, v3
	v_mul_f32_e32 v13, v1, v11
	v_sub_f32_e32 v0, v2, v1
	v_mul_f32_e32 v2, v9, v13
	v_fma_f32 v4, v13, v9, -v2
	v_fmac_f32_e32 v4, v13, v10
	v_add_f32_e32 v12, v3, v0
	v_add_f32_e32 v0, v2, v4
	v_sub_f32_e32 v3, v1, v0
	v_pk_add_f32 v[6:7], v[0:1], v[2:3] neg_lo:[0,1] neg_hi:[0,1]
	v_mov_b32_e32 v5, v0
	v_pk_add_f32 v[0:1], v[6:7], v[4:5] neg_lo:[0,1] neg_hi:[0,1]
	v_cmp_eq_f32_e32 vcc, s29, v16
	v_add_f32_e32 v1, v12, v1
	v_add_f32_e32 v0, v0, v1
	;; [unrolled: 1-line block ×3, first 2 shown]
	v_mul_f32_e32 v12, v11, v1
	v_mul_f32_e32 v2, v9, v12
	v_fma_f32 v4, v12, v9, -v2
	v_fmac_f32_e32 v4, v12, v10
	v_sub_f32_e32 v3, v3, v1
	v_add_f32_e32 v9, v0, v3
	v_add_f32_e32 v0, v2, v4
	v_sub_f32_e32 v3, v1, v0
	v_pk_add_f32 v[6:7], v[0:1], v[2:3] neg_lo:[0,1] neg_hi:[0,1]
	v_mov_b32_e32 v5, v0
	v_pk_add_f32 v[0:1], v[6:7], v[4:5] neg_lo:[0,1] neg_hi:[0,1]
	s_or_b64 vcc, s[2:3], vcc
	v_add_f32_e32 v1, v9, v1
	v_add_f32_e32 v0, v0, v1
	;; [unrolled: 1-line block ×4, first 2 shown]
	v_sub_f32_e32 v2, v1, v13
	v_mul_f32_e32 v0, v11, v0
	v_sub_f32_e32 v2, v12, v2
	v_add_f32_e32 v2, v2, v0
	v_add_f32_e32 v4, v1, v2
	v_mul_f32_e32 v5, v4, v4
	v_fmamk_f32 v0, v5, 0x3e9b6dac, v25
	v_fmaak_f32 v29, v5, v0, 0x3f2aaada
	v_cvt_f32_i32_e32 v0, v8
	v_sub_f32_e32 v1, v4, v1
	v_sub_f32_e32 v1, v2, v1
	v_ldexp_f32 v6, v1, 1
	v_mul_f32_e32 v1, v4, v5
	v_ldexp_f32 v3, v4, 1
	v_pk_mul_f32 v[4:5], v[0:1], v[28:29]
	s_nop 0
	v_fma_f32 v2, v0, s31, -v4
	v_fmac_f32_e32 v2, 0xb102e308, v0
	v_pk_add_f32 v[0:1], v[4:5], v[2:3]
	s_nop 0
	v_sub_f32_e32 v3, v1, v3
	v_sub_f32_e32 v3, v5, v3
	v_add_f32_e32 v7, v6, v3
	v_mov_b32_e32 v6, v4
	v_pk_add_f32 v[4:5], v[0:1], v[4:5] neg_lo:[0,1] neg_hi:[0,1]
	v_pk_add_f32 v[8:9], v[0:1], v[6:7]
	v_mov_b32_e32 v3, v0
	v_mov_b32_e32 v5, v9
	v_pk_add_f32 v[10:11], v[2:3], v[4:5] neg_lo:[0,1] neg_hi:[0,1]
	v_pk_add_f32 v[2:3], v[2:3], v[4:5]
	v_mov_b32_e32 v6, v7
	v_mov_b32_e32 v4, v3
	v_pk_add_f32 v[12:13], v[4:5], v[0:1] neg_lo:[0,1] neg_hi:[0,1]
	v_mov_b32_e32 v2, v9
	v_mov_b32_e32 v5, v12
	v_pk_add_f32 v[14:15], v[8:9], v[4:5] neg_lo:[0,1] neg_hi:[0,1]
	v_mov_b32_e32 v8, v1
	v_mov_b32_e32 v9, v12
	;; [unrolled: 1-line block ×3, first 2 shown]
	v_pk_add_f32 v[2:3], v[2:3], v[8:9] neg_lo:[0,1] neg_hi:[0,1]
	v_mov_b32_e32 v7, v0
	v_pk_add_f32 v[0:1], v[6:7], v[2:3] neg_lo:[0,1] neg_hi:[0,1]
	v_mov_b32_e32 v14, v10
	v_pk_add_f32 v[2:3], v[14:15], v[0:1]
	s_nop 0
	v_mov_b32_e32 v6, v3
	v_pk_add_f32 v[6:7], v[2:3], v[6:7]
	s_nop 0
	v_pk_add_f32 v[4:5], v[4:5], v[6:7]
	v_mov_b32_e32 v1, v6
	v_mov_b32_e32 v3, v4
	v_pk_add_f32 v[8:9], v[2:3], v[10:11] neg_lo:[0,1] neg_hi:[0,1]
	s_nop 0
	v_sub_f32_e32 v2, v2, v8
	v_pk_add_f32 v[0:1], v[0:1], v[8:9] neg_lo:[0,1] neg_hi:[0,1]
	v_sub_f32_e32 v2, v10, v2
	v_add_f32_e32 v0, v0, v2
	v_add_f32_e32 v0, v0, v1
	;; [unrolled: 1-line block ×3, first 2 shown]
	v_cndmask_b32_e32 v48, v0, v16, vcc
.LBB17_30:                              ;   in Loop: Header=BB17_12 Depth=1
	s_or_b64 exec, exec, s[22:23]
	scratch_load_dwordx4 v[0:3], off, off offset:60 ; 16-byte Folded Reload
	s_waitcnt vmcnt(0)
	v_and_b32_e32 v0, 0xffff0000, v2
	v_add_f32_e32 v49, s33, v0
	v_cmp_ge_f32_e32 vcc, s1, v49
	s_and_b64 s[2:3], s[80:81], vcc
	s_and_saveexec_b64 s[22:23], s[2:3]
	s_cbranch_execz .LBB17_32
; %bb.31:                               ;   in Loop: Header=BB17_12 Depth=1
	v_mul_f32_e32 v0, 0x3fb8aa3b, v49
	v_rndne_f32_e32 v1, v0
	v_sub_f32_e32 v2, v0, v1
	v_fma_f32 v0, v49, s26, -v0
	v_fmac_f32_e32 v0, 0x32a5705f, v49
	v_add_f32_e32 v0, v2, v0
	v_cvt_i32_f32_e32 v1, v1
	v_exp_f32_e32 v0, v0
	v_cmp_ngt_f32_e32 vcc, s27, v49
	v_ldexp_f32 v0, v0, v1
	s_nop 0
	v_cndmask_b32_e32 v0, 0, v0, vcc
	v_cmp_nlt_f32_e32 vcc, s28, v49
	s_nop 1
	v_cndmask_b32_e32 v16, v22, v0, vcc
	v_add_f32_e32 v2, 1.0, v16
	v_add_f32_e32 v0, -1.0, v2
	v_sub_f32_e32 v1, v0, v2
	v_add_f32_e32 v1, 1.0, v1
	v_sub_f32_e32 v0, v16, v0
	v_add_f32_e32 v3, v0, v1
	v_frexp_mant_f32_e32 v4, v2
	v_cvt_f64_f32_e32 v[0:1], v2
	v_frexp_exp_i32_f64_e32 v0, v[0:1]
	v_cmp_gt_f32_e32 vcc, s30, v4
	v_cmp_gt_f32_e64 s[2:3], s34, v16
	s_nop 0
	v_subbrev_co_u32_e32 v8, vcc, 0, v0, vcc
	v_sub_u32_e32 v0, 0, v8
	v_ldexp_f32 v1, v2, v0
	v_add_f32_e32 v2, -1.0, v1
	v_add_f32_e32 v4, 1.0, v1
	v_ldexp_f32 v0, v3, v0
	v_add_f32_e32 v3, 1.0, v2
	v_add_f32_e32 v5, -1.0, v4
	v_sub_f32_e32 v3, v1, v3
	v_sub_f32_e32 v1, v1, v5
	v_add_f32_e32 v3, v0, v3
	v_add_f32_e32 v0, v0, v1
	;; [unrolled: 1-line block ×3, first 2 shown]
	v_rcp_f32_e32 v11, v9
	v_sub_f32_e32 v1, v4, v9
	v_add_f32_e32 v10, v0, v1
	v_add_f32_e32 v1, v2, v3
	v_mul_f32_e32 v13, v1, v11
	v_sub_f32_e32 v0, v2, v1
	v_mul_f32_e32 v2, v9, v13
	v_fma_f32 v4, v13, v9, -v2
	v_fmac_f32_e32 v4, v13, v10
	v_add_f32_e32 v12, v3, v0
	v_add_f32_e32 v0, v2, v4
	v_sub_f32_e32 v3, v1, v0
	v_pk_add_f32 v[6:7], v[0:1], v[2:3] neg_lo:[0,1] neg_hi:[0,1]
	v_mov_b32_e32 v5, v0
	v_pk_add_f32 v[0:1], v[6:7], v[4:5] neg_lo:[0,1] neg_hi:[0,1]
	v_cmp_eq_f32_e32 vcc, s29, v16
	v_add_f32_e32 v1, v12, v1
	v_add_f32_e32 v0, v0, v1
	;; [unrolled: 1-line block ×3, first 2 shown]
	v_mul_f32_e32 v12, v11, v1
	v_mul_f32_e32 v2, v9, v12
	v_fma_f32 v4, v12, v9, -v2
	v_fmac_f32_e32 v4, v12, v10
	v_sub_f32_e32 v3, v3, v1
	v_add_f32_e32 v9, v0, v3
	v_add_f32_e32 v0, v2, v4
	v_sub_f32_e32 v3, v1, v0
	v_pk_add_f32 v[6:7], v[0:1], v[2:3] neg_lo:[0,1] neg_hi:[0,1]
	v_mov_b32_e32 v5, v0
	v_pk_add_f32 v[0:1], v[6:7], v[4:5] neg_lo:[0,1] neg_hi:[0,1]
	s_or_b64 vcc, s[2:3], vcc
	v_add_f32_e32 v1, v9, v1
	v_add_f32_e32 v0, v0, v1
	;; [unrolled: 1-line block ×4, first 2 shown]
	v_sub_f32_e32 v2, v1, v13
	v_mul_f32_e32 v0, v11, v0
	v_sub_f32_e32 v2, v12, v2
	v_add_f32_e32 v2, v2, v0
	v_add_f32_e32 v4, v1, v2
	v_mul_f32_e32 v5, v4, v4
	v_fmamk_f32 v0, v5, 0x3e9b6dac, v25
	v_fmaak_f32 v29, v5, v0, 0x3f2aaada
	v_cvt_f32_i32_e32 v0, v8
	v_sub_f32_e32 v1, v4, v1
	v_sub_f32_e32 v1, v2, v1
	v_ldexp_f32 v6, v1, 1
	v_mul_f32_e32 v1, v4, v5
	v_ldexp_f32 v3, v4, 1
	v_pk_mul_f32 v[4:5], v[0:1], v[28:29]
	s_nop 0
	v_fma_f32 v2, v0, s31, -v4
	v_fmac_f32_e32 v2, 0xb102e308, v0
	v_pk_add_f32 v[0:1], v[4:5], v[2:3]
	s_nop 0
	v_sub_f32_e32 v3, v1, v3
	v_sub_f32_e32 v3, v5, v3
	v_add_f32_e32 v7, v6, v3
	v_mov_b32_e32 v6, v4
	v_pk_add_f32 v[4:5], v[0:1], v[4:5] neg_lo:[0,1] neg_hi:[0,1]
	v_pk_add_f32 v[8:9], v[0:1], v[6:7]
	v_mov_b32_e32 v3, v0
	v_mov_b32_e32 v5, v9
	v_pk_add_f32 v[10:11], v[2:3], v[4:5] neg_lo:[0,1] neg_hi:[0,1]
	v_pk_add_f32 v[2:3], v[2:3], v[4:5]
	v_mov_b32_e32 v6, v7
	v_mov_b32_e32 v4, v3
	v_pk_add_f32 v[12:13], v[4:5], v[0:1] neg_lo:[0,1] neg_hi:[0,1]
	v_mov_b32_e32 v2, v9
	v_mov_b32_e32 v5, v12
	v_pk_add_f32 v[14:15], v[8:9], v[4:5] neg_lo:[0,1] neg_hi:[0,1]
	v_mov_b32_e32 v8, v1
	v_mov_b32_e32 v9, v12
	;; [unrolled: 1-line block ×3, first 2 shown]
	v_pk_add_f32 v[2:3], v[2:3], v[8:9] neg_lo:[0,1] neg_hi:[0,1]
	v_mov_b32_e32 v7, v0
	v_pk_add_f32 v[0:1], v[6:7], v[2:3] neg_lo:[0,1] neg_hi:[0,1]
	v_mov_b32_e32 v14, v10
	v_pk_add_f32 v[2:3], v[14:15], v[0:1]
	s_nop 0
	v_mov_b32_e32 v6, v3
	v_pk_add_f32 v[6:7], v[2:3], v[6:7]
	s_nop 0
	v_pk_add_f32 v[4:5], v[4:5], v[6:7]
	v_mov_b32_e32 v1, v6
	v_mov_b32_e32 v3, v4
	v_pk_add_f32 v[8:9], v[2:3], v[10:11] neg_lo:[0,1] neg_hi:[0,1]
	s_nop 0
	v_sub_f32_e32 v2, v2, v8
	v_pk_add_f32 v[0:1], v[0:1], v[8:9] neg_lo:[0,1] neg_hi:[0,1]
	v_sub_f32_e32 v2, v10, v2
	v_add_f32_e32 v0, v0, v2
	v_add_f32_e32 v0, v0, v1
	;; [unrolled: 1-line block ×3, first 2 shown]
	v_cndmask_b32_e32 v49, v0, v16, vcc
.LBB17_32:                              ;   in Loop: Header=BB17_12 Depth=1
	s_or_b64 exec, exec, s[22:23]
	scratch_load_dwordx4 v[0:3], off, off offset:60 ; 16-byte Folded Reload
	s_waitcnt vmcnt(0)
	v_lshlrev_b32_e32 v0, 16, v3
	v_add_f32_e32 v94, s33, v0
	v_cmp_ge_f32_e32 vcc, s1, v94
	s_and_b64 s[2:3], s[80:81], vcc
	s_and_saveexec_b64 s[22:23], s[2:3]
	s_cbranch_execz .LBB17_34
; %bb.33:                               ;   in Loop: Header=BB17_12 Depth=1
	v_mul_f32_e32 v0, 0x3fb8aa3b, v94
	v_rndne_f32_e32 v1, v0
	v_sub_f32_e32 v2, v0, v1
	v_fma_f32 v0, v94, s26, -v0
	v_fmac_f32_e32 v0, 0x32a5705f, v94
	v_add_f32_e32 v0, v2, v0
	v_cvt_i32_f32_e32 v1, v1
	v_exp_f32_e32 v0, v0
	v_cmp_ngt_f32_e32 vcc, s27, v94
	v_ldexp_f32 v0, v0, v1
	s_nop 0
	v_cndmask_b32_e32 v0, 0, v0, vcc
	v_cmp_nlt_f32_e32 vcc, s28, v94
	s_nop 1
	v_cndmask_b32_e32 v16, v22, v0, vcc
	v_add_f32_e32 v2, 1.0, v16
	v_add_f32_e32 v0, -1.0, v2
	v_sub_f32_e32 v1, v0, v2
	v_add_f32_e32 v1, 1.0, v1
	v_sub_f32_e32 v0, v16, v0
	v_add_f32_e32 v3, v0, v1
	v_frexp_mant_f32_e32 v4, v2
	v_cvt_f64_f32_e32 v[0:1], v2
	v_frexp_exp_i32_f64_e32 v0, v[0:1]
	v_cmp_gt_f32_e32 vcc, s30, v4
	v_cmp_gt_f32_e64 s[2:3], s34, v16
	s_nop 0
	v_subbrev_co_u32_e32 v8, vcc, 0, v0, vcc
	v_sub_u32_e32 v0, 0, v8
	v_ldexp_f32 v1, v2, v0
	v_add_f32_e32 v2, -1.0, v1
	v_add_f32_e32 v4, 1.0, v1
	v_ldexp_f32 v0, v3, v0
	v_add_f32_e32 v3, 1.0, v2
	v_add_f32_e32 v5, -1.0, v4
	v_sub_f32_e32 v3, v1, v3
	v_sub_f32_e32 v1, v1, v5
	v_add_f32_e32 v3, v0, v3
	v_add_f32_e32 v0, v0, v1
	;; [unrolled: 1-line block ×3, first 2 shown]
	v_rcp_f32_e32 v11, v9
	v_sub_f32_e32 v1, v4, v9
	v_add_f32_e32 v10, v0, v1
	v_add_f32_e32 v1, v2, v3
	v_mul_f32_e32 v13, v1, v11
	v_sub_f32_e32 v0, v2, v1
	v_mul_f32_e32 v2, v9, v13
	v_fma_f32 v4, v13, v9, -v2
	v_fmac_f32_e32 v4, v13, v10
	v_add_f32_e32 v12, v3, v0
	v_add_f32_e32 v0, v2, v4
	v_sub_f32_e32 v3, v1, v0
	v_pk_add_f32 v[6:7], v[0:1], v[2:3] neg_lo:[0,1] neg_hi:[0,1]
	v_mov_b32_e32 v5, v0
	v_pk_add_f32 v[0:1], v[6:7], v[4:5] neg_lo:[0,1] neg_hi:[0,1]
	v_cmp_eq_f32_e32 vcc, s29, v16
	v_add_f32_e32 v1, v12, v1
	v_add_f32_e32 v0, v0, v1
	;; [unrolled: 1-line block ×3, first 2 shown]
	v_mul_f32_e32 v12, v11, v1
	v_mul_f32_e32 v2, v9, v12
	v_fma_f32 v4, v12, v9, -v2
	v_fmac_f32_e32 v4, v12, v10
	v_sub_f32_e32 v3, v3, v1
	v_add_f32_e32 v9, v0, v3
	v_add_f32_e32 v0, v2, v4
	v_sub_f32_e32 v3, v1, v0
	v_pk_add_f32 v[6:7], v[0:1], v[2:3] neg_lo:[0,1] neg_hi:[0,1]
	v_mov_b32_e32 v5, v0
	v_pk_add_f32 v[0:1], v[6:7], v[4:5] neg_lo:[0,1] neg_hi:[0,1]
	s_or_b64 vcc, s[2:3], vcc
	v_add_f32_e32 v1, v9, v1
	v_add_f32_e32 v0, v0, v1
	;; [unrolled: 1-line block ×4, first 2 shown]
	v_sub_f32_e32 v2, v1, v13
	v_mul_f32_e32 v0, v11, v0
	v_sub_f32_e32 v2, v12, v2
	v_add_f32_e32 v2, v2, v0
	v_add_f32_e32 v4, v1, v2
	v_mul_f32_e32 v5, v4, v4
	v_fmamk_f32 v0, v5, 0x3e9b6dac, v25
	v_fmaak_f32 v29, v5, v0, 0x3f2aaada
	v_cvt_f32_i32_e32 v0, v8
	v_sub_f32_e32 v1, v4, v1
	v_sub_f32_e32 v1, v2, v1
	v_ldexp_f32 v6, v1, 1
	v_mul_f32_e32 v1, v4, v5
	v_ldexp_f32 v3, v4, 1
	v_pk_mul_f32 v[4:5], v[0:1], v[28:29]
	s_nop 0
	v_fma_f32 v2, v0, s31, -v4
	v_fmac_f32_e32 v2, 0xb102e308, v0
	v_pk_add_f32 v[0:1], v[4:5], v[2:3]
	s_nop 0
	v_sub_f32_e32 v3, v1, v3
	v_sub_f32_e32 v3, v5, v3
	v_add_f32_e32 v7, v6, v3
	v_mov_b32_e32 v6, v4
	v_pk_add_f32 v[4:5], v[0:1], v[4:5] neg_lo:[0,1] neg_hi:[0,1]
	v_pk_add_f32 v[8:9], v[0:1], v[6:7]
	v_mov_b32_e32 v3, v0
	v_mov_b32_e32 v5, v9
	v_pk_add_f32 v[10:11], v[2:3], v[4:5] neg_lo:[0,1] neg_hi:[0,1]
	v_pk_add_f32 v[2:3], v[2:3], v[4:5]
	v_mov_b32_e32 v6, v7
	v_mov_b32_e32 v4, v3
	v_pk_add_f32 v[12:13], v[4:5], v[0:1] neg_lo:[0,1] neg_hi:[0,1]
	v_mov_b32_e32 v2, v9
	v_mov_b32_e32 v5, v12
	v_pk_add_f32 v[14:15], v[8:9], v[4:5] neg_lo:[0,1] neg_hi:[0,1]
	v_mov_b32_e32 v8, v1
	v_mov_b32_e32 v9, v12
	;; [unrolled: 1-line block ×3, first 2 shown]
	v_pk_add_f32 v[2:3], v[2:3], v[8:9] neg_lo:[0,1] neg_hi:[0,1]
	v_mov_b32_e32 v7, v0
	v_pk_add_f32 v[0:1], v[6:7], v[2:3] neg_lo:[0,1] neg_hi:[0,1]
	v_mov_b32_e32 v14, v10
	v_pk_add_f32 v[2:3], v[14:15], v[0:1]
	s_nop 0
	v_mov_b32_e32 v6, v3
	v_pk_add_f32 v[6:7], v[2:3], v[6:7]
	s_nop 0
	v_pk_add_f32 v[4:5], v[4:5], v[6:7]
	v_mov_b32_e32 v1, v6
	v_mov_b32_e32 v3, v4
	v_pk_add_f32 v[8:9], v[2:3], v[10:11] neg_lo:[0,1] neg_hi:[0,1]
	s_nop 0
	v_sub_f32_e32 v2, v2, v8
	v_pk_add_f32 v[0:1], v[0:1], v[8:9] neg_lo:[0,1] neg_hi:[0,1]
	v_sub_f32_e32 v2, v10, v2
	v_add_f32_e32 v0, v0, v2
	v_add_f32_e32 v0, v0, v1
	;; [unrolled: 1-line block ×3, first 2 shown]
	v_cndmask_b32_e32 v94, v0, v16, vcc
.LBB17_34:                              ;   in Loop: Header=BB17_12 Depth=1
	s_or_b64 exec, exec, s[22:23]
	scratch_load_dwordx4 v[0:3], off, off offset:60 ; 16-byte Folded Reload
	s_waitcnt vmcnt(0)
	v_and_b32_e32 v0, 0xffff0000, v3
	v_add_f32_e32 v87, s33, v0
	v_cmp_ge_f32_e32 vcc, s1, v87
	s_and_b64 s[2:3], s[80:81], vcc
	s_and_saveexec_b64 s[22:23], s[2:3]
	s_cbranch_execz .LBB17_36
; %bb.35:                               ;   in Loop: Header=BB17_12 Depth=1
	v_mul_f32_e32 v0, 0x3fb8aa3b, v87
	v_rndne_f32_e32 v1, v0
	v_sub_f32_e32 v2, v0, v1
	v_fma_f32 v0, v87, s26, -v0
	v_fmac_f32_e32 v0, 0x32a5705f, v87
	v_add_f32_e32 v0, v2, v0
	v_cvt_i32_f32_e32 v1, v1
	v_exp_f32_e32 v0, v0
	v_cmp_ngt_f32_e32 vcc, s27, v87
	v_ldexp_f32 v0, v0, v1
	s_nop 0
	v_cndmask_b32_e32 v0, 0, v0, vcc
	v_cmp_nlt_f32_e32 vcc, s28, v87
	s_nop 1
	v_cndmask_b32_e32 v16, v22, v0, vcc
	v_add_f32_e32 v2, 1.0, v16
	v_add_f32_e32 v0, -1.0, v2
	v_sub_f32_e32 v1, v0, v2
	v_add_f32_e32 v1, 1.0, v1
	v_sub_f32_e32 v0, v16, v0
	v_add_f32_e32 v3, v0, v1
	v_frexp_mant_f32_e32 v4, v2
	v_cvt_f64_f32_e32 v[0:1], v2
	v_frexp_exp_i32_f64_e32 v0, v[0:1]
	v_cmp_gt_f32_e32 vcc, s30, v4
	v_cmp_gt_f32_e64 s[2:3], s34, v16
	s_nop 0
	v_subbrev_co_u32_e32 v8, vcc, 0, v0, vcc
	v_sub_u32_e32 v0, 0, v8
	v_ldexp_f32 v1, v2, v0
	v_add_f32_e32 v2, -1.0, v1
	v_add_f32_e32 v4, 1.0, v1
	v_ldexp_f32 v0, v3, v0
	v_add_f32_e32 v3, 1.0, v2
	v_add_f32_e32 v5, -1.0, v4
	v_sub_f32_e32 v3, v1, v3
	v_sub_f32_e32 v1, v1, v5
	v_add_f32_e32 v3, v0, v3
	v_add_f32_e32 v0, v0, v1
	;; [unrolled: 1-line block ×3, first 2 shown]
	v_rcp_f32_e32 v11, v9
	v_sub_f32_e32 v1, v4, v9
	v_add_f32_e32 v10, v0, v1
	v_add_f32_e32 v1, v2, v3
	v_mul_f32_e32 v13, v1, v11
	v_sub_f32_e32 v0, v2, v1
	v_mul_f32_e32 v2, v9, v13
	v_fma_f32 v4, v13, v9, -v2
	v_fmac_f32_e32 v4, v13, v10
	v_add_f32_e32 v12, v3, v0
	v_add_f32_e32 v0, v2, v4
	v_sub_f32_e32 v3, v1, v0
	v_pk_add_f32 v[6:7], v[0:1], v[2:3] neg_lo:[0,1] neg_hi:[0,1]
	v_mov_b32_e32 v5, v0
	v_pk_add_f32 v[0:1], v[6:7], v[4:5] neg_lo:[0,1] neg_hi:[0,1]
	v_cmp_eq_f32_e32 vcc, s29, v16
	v_add_f32_e32 v1, v12, v1
	v_add_f32_e32 v0, v0, v1
	;; [unrolled: 1-line block ×3, first 2 shown]
	v_mul_f32_e32 v12, v11, v1
	v_mul_f32_e32 v2, v9, v12
	v_fma_f32 v4, v12, v9, -v2
	v_fmac_f32_e32 v4, v12, v10
	v_sub_f32_e32 v3, v3, v1
	v_add_f32_e32 v9, v0, v3
	v_add_f32_e32 v0, v2, v4
	v_sub_f32_e32 v3, v1, v0
	v_pk_add_f32 v[6:7], v[0:1], v[2:3] neg_lo:[0,1] neg_hi:[0,1]
	v_mov_b32_e32 v5, v0
	v_pk_add_f32 v[0:1], v[6:7], v[4:5] neg_lo:[0,1] neg_hi:[0,1]
	s_or_b64 vcc, s[2:3], vcc
	v_add_f32_e32 v1, v9, v1
	v_add_f32_e32 v0, v0, v1
	v_add_f32_e32 v1, v13, v12
	v_add_f32_e32 v0, v3, v0
	v_sub_f32_e32 v2, v1, v13
	v_mul_f32_e32 v0, v11, v0
	v_sub_f32_e32 v2, v12, v2
	v_add_f32_e32 v2, v2, v0
	v_add_f32_e32 v4, v1, v2
	v_mul_f32_e32 v5, v4, v4
	v_fmamk_f32 v0, v5, 0x3e9b6dac, v25
	v_fmaak_f32 v29, v5, v0, 0x3f2aaada
	v_cvt_f32_i32_e32 v0, v8
	v_sub_f32_e32 v1, v4, v1
	v_sub_f32_e32 v1, v2, v1
	v_ldexp_f32 v6, v1, 1
	v_mul_f32_e32 v1, v4, v5
	v_ldexp_f32 v3, v4, 1
	v_pk_mul_f32 v[4:5], v[0:1], v[28:29]
	s_nop 0
	v_fma_f32 v2, v0, s31, -v4
	v_fmac_f32_e32 v2, 0xb102e308, v0
	v_pk_add_f32 v[0:1], v[4:5], v[2:3]
	s_nop 0
	v_sub_f32_e32 v3, v1, v3
	v_sub_f32_e32 v3, v5, v3
	v_add_f32_e32 v7, v6, v3
	v_mov_b32_e32 v6, v4
	v_pk_add_f32 v[4:5], v[0:1], v[4:5] neg_lo:[0,1] neg_hi:[0,1]
	v_pk_add_f32 v[8:9], v[0:1], v[6:7]
	v_mov_b32_e32 v3, v0
	v_mov_b32_e32 v5, v9
	v_pk_add_f32 v[10:11], v[2:3], v[4:5] neg_lo:[0,1] neg_hi:[0,1]
	v_pk_add_f32 v[2:3], v[2:3], v[4:5]
	v_mov_b32_e32 v6, v7
	v_mov_b32_e32 v4, v3
	v_pk_add_f32 v[12:13], v[4:5], v[0:1] neg_lo:[0,1] neg_hi:[0,1]
	v_mov_b32_e32 v2, v9
	v_mov_b32_e32 v5, v12
	v_pk_add_f32 v[14:15], v[8:9], v[4:5] neg_lo:[0,1] neg_hi:[0,1]
	v_mov_b32_e32 v8, v1
	v_mov_b32_e32 v9, v12
	;; [unrolled: 1-line block ×3, first 2 shown]
	v_pk_add_f32 v[2:3], v[2:3], v[8:9] neg_lo:[0,1] neg_hi:[0,1]
	v_mov_b32_e32 v7, v0
	v_pk_add_f32 v[0:1], v[6:7], v[2:3] neg_lo:[0,1] neg_hi:[0,1]
	v_mov_b32_e32 v14, v10
	v_pk_add_f32 v[2:3], v[14:15], v[0:1]
	s_nop 0
	v_mov_b32_e32 v6, v3
	v_pk_add_f32 v[6:7], v[2:3], v[6:7]
	s_nop 0
	v_pk_add_f32 v[4:5], v[4:5], v[6:7]
	v_mov_b32_e32 v1, v6
	v_mov_b32_e32 v3, v4
	v_pk_add_f32 v[8:9], v[2:3], v[10:11] neg_lo:[0,1] neg_hi:[0,1]
	s_nop 0
	v_sub_f32_e32 v2, v2, v8
	v_pk_add_f32 v[0:1], v[0:1], v[8:9] neg_lo:[0,1] neg_hi:[0,1]
	v_sub_f32_e32 v2, v10, v2
	v_add_f32_e32 v0, v0, v2
	v_add_f32_e32 v0, v0, v1
	;; [unrolled: 1-line block ×3, first 2 shown]
	v_cndmask_b32_e32 v87, v0, v16, vcc
.LBB17_36:                              ;   in Loop: Header=BB17_12 Depth=1
	s_or_b64 exec, exec, s[22:23]
	s_waitcnt lgkmcnt(0)
	v_lshlrev_b32_e32 v0, 16, v34
	v_add_f32_e32 v88, s33, v0
	v_cmp_ge_f32_e32 vcc, s1, v88
	s_and_b64 s[2:3], s[80:81], vcc
	s_and_saveexec_b64 s[22:23], s[2:3]
	s_cbranch_execz .LBB17_38
; %bb.37:                               ;   in Loop: Header=BB17_12 Depth=1
	v_mul_f32_e32 v0, 0x3fb8aa3b, v88
	v_rndne_f32_e32 v1, v0
	v_sub_f32_e32 v2, v0, v1
	v_fma_f32 v0, v88, s26, -v0
	v_fmac_f32_e32 v0, 0x32a5705f, v88
	v_add_f32_e32 v0, v2, v0
	v_cvt_i32_f32_e32 v1, v1
	v_exp_f32_e32 v0, v0
	v_cmp_ngt_f32_e32 vcc, s27, v88
	v_ldexp_f32 v0, v0, v1
	s_nop 0
	v_cndmask_b32_e32 v0, 0, v0, vcc
	v_cmp_nlt_f32_e32 vcc, s28, v88
	s_nop 1
	v_cndmask_b32_e32 v16, v22, v0, vcc
	v_add_f32_e32 v2, 1.0, v16
	v_add_f32_e32 v0, -1.0, v2
	v_sub_f32_e32 v1, v0, v2
	v_add_f32_e32 v1, 1.0, v1
	v_sub_f32_e32 v0, v16, v0
	v_add_f32_e32 v3, v0, v1
	v_frexp_mant_f32_e32 v4, v2
	v_cvt_f64_f32_e32 v[0:1], v2
	v_frexp_exp_i32_f64_e32 v0, v[0:1]
	v_cmp_gt_f32_e32 vcc, s30, v4
	v_cmp_gt_f32_e64 s[2:3], s34, v16
	s_nop 0
	v_subbrev_co_u32_e32 v8, vcc, 0, v0, vcc
	v_sub_u32_e32 v0, 0, v8
	v_ldexp_f32 v1, v2, v0
	v_add_f32_e32 v2, -1.0, v1
	v_add_f32_e32 v4, 1.0, v1
	v_ldexp_f32 v0, v3, v0
	v_add_f32_e32 v3, 1.0, v2
	v_add_f32_e32 v5, -1.0, v4
	v_sub_f32_e32 v3, v1, v3
	v_sub_f32_e32 v1, v1, v5
	v_add_f32_e32 v3, v0, v3
	v_add_f32_e32 v0, v0, v1
	;; [unrolled: 1-line block ×3, first 2 shown]
	v_rcp_f32_e32 v11, v9
	v_sub_f32_e32 v1, v4, v9
	v_add_f32_e32 v10, v0, v1
	v_add_f32_e32 v1, v2, v3
	v_mul_f32_e32 v13, v1, v11
	v_sub_f32_e32 v0, v2, v1
	v_mul_f32_e32 v2, v9, v13
	v_fma_f32 v4, v13, v9, -v2
	v_fmac_f32_e32 v4, v13, v10
	v_add_f32_e32 v12, v3, v0
	v_add_f32_e32 v0, v2, v4
	v_sub_f32_e32 v3, v1, v0
	v_pk_add_f32 v[6:7], v[0:1], v[2:3] neg_lo:[0,1] neg_hi:[0,1]
	v_mov_b32_e32 v5, v0
	v_pk_add_f32 v[0:1], v[6:7], v[4:5] neg_lo:[0,1] neg_hi:[0,1]
	v_cmp_eq_f32_e32 vcc, s29, v16
	v_add_f32_e32 v1, v12, v1
	v_add_f32_e32 v0, v0, v1
	;; [unrolled: 1-line block ×3, first 2 shown]
	v_mul_f32_e32 v12, v11, v1
	v_mul_f32_e32 v2, v9, v12
	v_fma_f32 v4, v12, v9, -v2
	v_fmac_f32_e32 v4, v12, v10
	v_sub_f32_e32 v3, v3, v1
	v_add_f32_e32 v9, v0, v3
	v_add_f32_e32 v0, v2, v4
	v_sub_f32_e32 v3, v1, v0
	v_pk_add_f32 v[6:7], v[0:1], v[2:3] neg_lo:[0,1] neg_hi:[0,1]
	v_mov_b32_e32 v5, v0
	v_pk_add_f32 v[0:1], v[6:7], v[4:5] neg_lo:[0,1] neg_hi:[0,1]
	s_or_b64 vcc, s[2:3], vcc
	v_add_f32_e32 v1, v9, v1
	v_add_f32_e32 v0, v0, v1
	v_add_f32_e32 v1, v13, v12
	v_add_f32_e32 v0, v3, v0
	v_sub_f32_e32 v2, v1, v13
	v_mul_f32_e32 v0, v11, v0
	v_sub_f32_e32 v2, v12, v2
	v_add_f32_e32 v2, v2, v0
	v_add_f32_e32 v4, v1, v2
	v_mul_f32_e32 v5, v4, v4
	v_fmamk_f32 v0, v5, 0x3e9b6dac, v25
	v_fmaak_f32 v29, v5, v0, 0x3f2aaada
	v_cvt_f32_i32_e32 v0, v8
	v_sub_f32_e32 v1, v4, v1
	v_sub_f32_e32 v1, v2, v1
	v_ldexp_f32 v6, v1, 1
	v_mul_f32_e32 v1, v4, v5
	v_ldexp_f32 v3, v4, 1
	v_pk_mul_f32 v[4:5], v[0:1], v[28:29]
	s_nop 0
	v_fma_f32 v2, v0, s31, -v4
	v_fmac_f32_e32 v2, 0xb102e308, v0
	v_pk_add_f32 v[0:1], v[4:5], v[2:3]
	s_nop 0
	v_sub_f32_e32 v3, v1, v3
	v_sub_f32_e32 v3, v5, v3
	v_add_f32_e32 v7, v6, v3
	v_mov_b32_e32 v6, v4
	v_pk_add_f32 v[4:5], v[0:1], v[4:5] neg_lo:[0,1] neg_hi:[0,1]
	v_pk_add_f32 v[8:9], v[0:1], v[6:7]
	v_mov_b32_e32 v3, v0
	v_mov_b32_e32 v5, v9
	v_pk_add_f32 v[10:11], v[2:3], v[4:5] neg_lo:[0,1] neg_hi:[0,1]
	v_pk_add_f32 v[2:3], v[2:3], v[4:5]
	v_mov_b32_e32 v6, v7
	v_mov_b32_e32 v4, v3
	v_pk_add_f32 v[12:13], v[4:5], v[0:1] neg_lo:[0,1] neg_hi:[0,1]
	v_mov_b32_e32 v2, v9
	v_mov_b32_e32 v5, v12
	v_pk_add_f32 v[14:15], v[8:9], v[4:5] neg_lo:[0,1] neg_hi:[0,1]
	v_mov_b32_e32 v8, v1
	v_mov_b32_e32 v9, v12
	;; [unrolled: 1-line block ×3, first 2 shown]
	v_pk_add_f32 v[2:3], v[2:3], v[8:9] neg_lo:[0,1] neg_hi:[0,1]
	v_mov_b32_e32 v7, v0
	v_pk_add_f32 v[0:1], v[6:7], v[2:3] neg_lo:[0,1] neg_hi:[0,1]
	v_mov_b32_e32 v14, v10
	v_pk_add_f32 v[2:3], v[14:15], v[0:1]
	s_nop 0
	v_mov_b32_e32 v6, v3
	v_pk_add_f32 v[6:7], v[2:3], v[6:7]
	s_nop 0
	v_pk_add_f32 v[4:5], v[4:5], v[6:7]
	v_mov_b32_e32 v1, v6
	v_mov_b32_e32 v3, v4
	v_pk_add_f32 v[8:9], v[2:3], v[10:11] neg_lo:[0,1] neg_hi:[0,1]
	s_nop 0
	v_sub_f32_e32 v2, v2, v8
	v_pk_add_f32 v[0:1], v[0:1], v[8:9] neg_lo:[0,1] neg_hi:[0,1]
	v_sub_f32_e32 v2, v10, v2
	v_add_f32_e32 v0, v0, v2
	v_add_f32_e32 v0, v0, v1
	;; [unrolled: 1-line block ×3, first 2 shown]
	v_cndmask_b32_e32 v88, v0, v16, vcc
.LBB17_38:                              ;   in Loop: Header=BB17_12 Depth=1
	s_or_b64 exec, exec, s[22:23]
	v_and_b32_e32 v0, 0xffff0000, v34
	v_add_f32_e32 v6, s33, v0
	v_cmp_ge_f32_e32 vcc, s1, v6
	s_and_b64 s[2:3], s[80:81], vcc
	s_and_saveexec_b64 s[22:23], s[2:3]
	s_cbranch_execz .LBB17_40
; %bb.39:                               ;   in Loop: Header=BB17_12 Depth=1
	v_mul_f32_e32 v0, 0x3fb8aa3b, v6
	v_rndne_f32_e32 v1, v0
	v_sub_f32_e32 v2, v0, v1
	v_fma_f32 v0, v6, s26, -v0
	v_fmac_f32_e32 v0, 0x32a5705f, v6
	v_add_f32_e32 v0, v2, v0
	v_cvt_i32_f32_e32 v1, v1
	v_exp_f32_e32 v0, v0
	v_cmp_ngt_f32_e32 vcc, s27, v6
	v_ldexp_f32 v0, v0, v1
	s_nop 0
	v_cndmask_b32_e32 v0, 0, v0, vcc
	v_cmp_nlt_f32_e32 vcc, s28, v6
	s_nop 1
	v_cndmask_b32_e32 v16, v22, v0, vcc
	v_add_f32_e32 v2, 1.0, v16
	v_add_f32_e32 v0, -1.0, v2
	v_sub_f32_e32 v1, v0, v2
	v_add_f32_e32 v1, 1.0, v1
	v_sub_f32_e32 v0, v16, v0
	v_add_f32_e32 v3, v0, v1
	v_frexp_mant_f32_e32 v4, v2
	v_cvt_f64_f32_e32 v[0:1], v2
	v_frexp_exp_i32_f64_e32 v0, v[0:1]
	v_cmp_gt_f32_e32 vcc, s30, v4
	v_cmp_gt_f32_e64 s[2:3], s34, v16
	s_nop 0
	v_subbrev_co_u32_e32 v8, vcc, 0, v0, vcc
	v_sub_u32_e32 v0, 0, v8
	v_ldexp_f32 v1, v2, v0
	v_add_f32_e32 v2, -1.0, v1
	v_add_f32_e32 v4, 1.0, v1
	v_ldexp_f32 v0, v3, v0
	v_add_f32_e32 v3, 1.0, v2
	v_add_f32_e32 v5, -1.0, v4
	v_sub_f32_e32 v3, v1, v3
	v_sub_f32_e32 v1, v1, v5
	v_add_f32_e32 v3, v0, v3
	v_add_f32_e32 v0, v0, v1
	;; [unrolled: 1-line block ×3, first 2 shown]
	v_rcp_f32_e32 v11, v9
	v_sub_f32_e32 v1, v4, v9
	v_add_f32_e32 v10, v0, v1
	v_add_f32_e32 v1, v2, v3
	v_mul_f32_e32 v13, v1, v11
	v_sub_f32_e32 v0, v2, v1
	v_mul_f32_e32 v2, v9, v13
	v_fma_f32 v4, v13, v9, -v2
	v_fmac_f32_e32 v4, v13, v10
	v_add_f32_e32 v12, v3, v0
	v_add_f32_e32 v0, v2, v4
	v_sub_f32_e32 v3, v1, v0
	v_pk_add_f32 v[6:7], v[0:1], v[2:3] neg_lo:[0,1] neg_hi:[0,1]
	v_mov_b32_e32 v5, v0
	v_pk_add_f32 v[0:1], v[6:7], v[4:5] neg_lo:[0,1] neg_hi:[0,1]
	v_cmp_eq_f32_e32 vcc, s29, v16
	v_add_f32_e32 v1, v12, v1
	v_add_f32_e32 v0, v0, v1
	;; [unrolled: 1-line block ×3, first 2 shown]
	v_mul_f32_e32 v12, v11, v1
	v_mul_f32_e32 v2, v9, v12
	v_fma_f32 v4, v12, v9, -v2
	v_fmac_f32_e32 v4, v12, v10
	v_sub_f32_e32 v3, v3, v1
	v_add_f32_e32 v9, v0, v3
	v_add_f32_e32 v0, v2, v4
	v_sub_f32_e32 v3, v1, v0
	v_pk_add_f32 v[6:7], v[0:1], v[2:3] neg_lo:[0,1] neg_hi:[0,1]
	v_mov_b32_e32 v5, v0
	v_pk_add_f32 v[0:1], v[6:7], v[4:5] neg_lo:[0,1] neg_hi:[0,1]
	s_or_b64 vcc, s[2:3], vcc
	v_add_f32_e32 v1, v9, v1
	v_add_f32_e32 v0, v0, v1
	;; [unrolled: 1-line block ×4, first 2 shown]
	v_sub_f32_e32 v2, v1, v13
	v_mul_f32_e32 v0, v11, v0
	v_sub_f32_e32 v2, v12, v2
	v_add_f32_e32 v2, v2, v0
	v_add_f32_e32 v4, v1, v2
	v_mul_f32_e32 v5, v4, v4
	v_fmamk_f32 v0, v5, 0x3e9b6dac, v25
	v_fmaak_f32 v29, v5, v0, 0x3f2aaada
	v_cvt_f32_i32_e32 v0, v8
	v_sub_f32_e32 v1, v4, v1
	v_sub_f32_e32 v1, v2, v1
	v_ldexp_f32 v6, v1, 1
	v_mul_f32_e32 v1, v4, v5
	v_ldexp_f32 v3, v4, 1
	v_pk_mul_f32 v[4:5], v[0:1], v[28:29]
	s_nop 0
	v_fma_f32 v2, v0, s31, -v4
	v_fmac_f32_e32 v2, 0xb102e308, v0
	v_pk_add_f32 v[0:1], v[4:5], v[2:3]
	s_nop 0
	v_sub_f32_e32 v3, v1, v3
	v_sub_f32_e32 v3, v5, v3
	v_add_f32_e32 v7, v6, v3
	v_mov_b32_e32 v6, v4
	v_pk_add_f32 v[4:5], v[0:1], v[4:5] neg_lo:[0,1] neg_hi:[0,1]
	v_pk_add_f32 v[8:9], v[0:1], v[6:7]
	v_mov_b32_e32 v3, v0
	v_mov_b32_e32 v5, v9
	v_pk_add_f32 v[10:11], v[2:3], v[4:5] neg_lo:[0,1] neg_hi:[0,1]
	v_pk_add_f32 v[2:3], v[2:3], v[4:5]
	v_mov_b32_e32 v6, v7
	v_mov_b32_e32 v4, v3
	v_pk_add_f32 v[12:13], v[4:5], v[0:1] neg_lo:[0,1] neg_hi:[0,1]
	v_mov_b32_e32 v2, v9
	v_mov_b32_e32 v5, v12
	v_pk_add_f32 v[14:15], v[8:9], v[4:5] neg_lo:[0,1] neg_hi:[0,1]
	v_mov_b32_e32 v8, v1
	v_mov_b32_e32 v9, v12
	;; [unrolled: 1-line block ×3, first 2 shown]
	v_pk_add_f32 v[2:3], v[2:3], v[8:9] neg_lo:[0,1] neg_hi:[0,1]
	v_mov_b32_e32 v7, v0
	v_pk_add_f32 v[0:1], v[6:7], v[2:3] neg_lo:[0,1] neg_hi:[0,1]
	v_mov_b32_e32 v14, v10
	v_pk_add_f32 v[2:3], v[14:15], v[0:1]
	s_nop 0
	v_mov_b32_e32 v6, v3
	v_pk_add_f32 v[6:7], v[2:3], v[6:7]
	s_nop 0
	v_pk_add_f32 v[4:5], v[4:5], v[6:7]
	v_mov_b32_e32 v1, v6
	v_mov_b32_e32 v3, v4
	v_pk_add_f32 v[8:9], v[2:3], v[10:11] neg_lo:[0,1] neg_hi:[0,1]
	s_nop 0
	v_sub_f32_e32 v2, v2, v8
	v_pk_add_f32 v[0:1], v[0:1], v[8:9] neg_lo:[0,1] neg_hi:[0,1]
	v_sub_f32_e32 v2, v10, v2
	v_add_f32_e32 v0, v0, v2
	v_add_f32_e32 v0, v0, v1
	;; [unrolled: 1-line block ×3, first 2 shown]
	v_cndmask_b32_e32 v6, v0, v16, vcc
.LBB17_40:                              ;   in Loop: Header=BB17_12 Depth=1
	s_or_b64 exec, exec, s[22:23]
	v_lshlrev_b32_e32 v0, 16, v35
	v_add_f32_e32 v7, s33, v0
	v_cmp_ge_f32_e32 vcc, s1, v7
	s_and_b64 s[2:3], s[80:81], vcc
	s_and_saveexec_b64 s[22:23], s[2:3]
	s_cbranch_execz .LBB17_42
; %bb.41:                               ;   in Loop: Header=BB17_12 Depth=1
	v_mul_f32_e32 v0, 0x3fb8aa3b, v7
	v_rndne_f32_e32 v1, v0
	v_sub_f32_e32 v2, v0, v1
	v_fma_f32 v0, v7, s26, -v0
	v_fmac_f32_e32 v0, 0x32a5705f, v7
	v_add_f32_e32 v0, v2, v0
	v_cvt_i32_f32_e32 v1, v1
	v_exp_f32_e32 v0, v0
	v_cmp_ngt_f32_e32 vcc, s27, v7
	v_ldexp_f32 v0, v0, v1
	s_nop 0
	v_cndmask_b32_e32 v0, 0, v0, vcc
	v_cmp_nlt_f32_e32 vcc, s28, v7
	s_nop 1
	v_cndmask_b32_e32 v7, v22, v0, vcc
	v_add_f32_e32 v2, 1.0, v7
	v_add_f32_e32 v0, -1.0, v2
	v_sub_f32_e32 v1, v0, v2
	v_add_f32_e32 v1, 1.0, v1
	v_sub_f32_e32 v0, v7, v0
	v_add_f32_e32 v3, v0, v1
	v_frexp_mant_f32_e32 v4, v2
	v_cvt_f64_f32_e32 v[0:1], v2
	v_frexp_exp_i32_f64_e32 v0, v[0:1]
	v_cmp_gt_f32_e32 vcc, s30, v4
	v_cmp_gt_f32_e64 s[2:3], s34, v7
	s_nop 0
	v_subbrev_co_u32_e32 v10, vcc, 0, v0, vcc
	v_sub_u32_e32 v0, 0, v10
	v_ldexp_f32 v1, v2, v0
	v_add_f32_e32 v2, -1.0, v1
	v_add_f32_e32 v4, 1.0, v1
	v_ldexp_f32 v0, v3, v0
	v_add_f32_e32 v3, 1.0, v2
	v_add_f32_e32 v5, -1.0, v4
	v_sub_f32_e32 v3, v1, v3
	v_sub_f32_e32 v1, v1, v5
	v_add_f32_e32 v3, v0, v3
	v_add_f32_e32 v0, v0, v1
	v_add_f32_e32 v11, v4, v0
	v_rcp_f32_e32 v13, v11
	v_sub_f32_e32 v1, v4, v11
	v_add_f32_e32 v12, v0, v1
	v_add_f32_e32 v1, v2, v3
	v_mul_f32_e32 v15, v1, v13
	v_sub_f32_e32 v0, v2, v1
	v_mul_f32_e32 v2, v11, v15
	v_fma_f32 v4, v15, v11, -v2
	v_fmac_f32_e32 v4, v15, v12
	v_add_f32_e32 v14, v3, v0
	v_add_f32_e32 v0, v2, v4
	v_sub_f32_e32 v3, v1, v0
	v_pk_add_f32 v[8:9], v[0:1], v[2:3] neg_lo:[0,1] neg_hi:[0,1]
	v_mov_b32_e32 v5, v0
	v_pk_add_f32 v[0:1], v[8:9], v[4:5] neg_lo:[0,1] neg_hi:[0,1]
	v_cmp_eq_f32_e32 vcc, s29, v7
	v_add_f32_e32 v1, v14, v1
	v_add_f32_e32 v0, v0, v1
	;; [unrolled: 1-line block ×3, first 2 shown]
	v_mul_f32_e32 v14, v13, v1
	v_mul_f32_e32 v2, v11, v14
	v_fma_f32 v4, v14, v11, -v2
	v_fmac_f32_e32 v4, v14, v12
	v_sub_f32_e32 v3, v3, v1
	v_add_f32_e32 v11, v0, v3
	v_add_f32_e32 v0, v2, v4
	v_sub_f32_e32 v3, v1, v0
	v_pk_add_f32 v[8:9], v[0:1], v[2:3] neg_lo:[0,1] neg_hi:[0,1]
	v_mov_b32_e32 v5, v0
	v_pk_add_f32 v[0:1], v[8:9], v[4:5] neg_lo:[0,1] neg_hi:[0,1]
	s_or_b64 vcc, s[2:3], vcc
	v_add_f32_e32 v1, v11, v1
	v_add_f32_e32 v0, v0, v1
	;; [unrolled: 1-line block ×4, first 2 shown]
	v_sub_f32_e32 v2, v1, v15
	v_mul_f32_e32 v0, v13, v0
	v_sub_f32_e32 v2, v14, v2
	v_add_f32_e32 v2, v2, v0
	v_add_f32_e32 v4, v1, v2
	v_mul_f32_e32 v5, v4, v4
	v_fmamk_f32 v0, v5, 0x3e9b6dac, v25
	v_fmaak_f32 v29, v5, v0, 0x3f2aaada
	v_cvt_f32_i32_e32 v0, v10
	v_sub_f32_e32 v1, v4, v1
	v_sub_f32_e32 v1, v2, v1
	v_ldexp_f32 v8, v1, 1
	v_mul_f32_e32 v1, v4, v5
	v_ldexp_f32 v3, v4, 1
	v_pk_mul_f32 v[4:5], v[0:1], v[28:29]
	s_nop 0
	v_fma_f32 v2, v0, s31, -v4
	v_fmac_f32_e32 v2, 0xb102e308, v0
	v_pk_add_f32 v[0:1], v[4:5], v[2:3]
	s_nop 0
	v_sub_f32_e32 v3, v1, v3
	v_sub_f32_e32 v3, v5, v3
	v_add_f32_e32 v9, v8, v3
	v_mov_b32_e32 v8, v4
	v_pk_add_f32 v[4:5], v[0:1], v[4:5] neg_lo:[0,1] neg_hi:[0,1]
	v_pk_add_f32 v[10:11], v[0:1], v[8:9]
	v_mov_b32_e32 v3, v0
	v_mov_b32_e32 v5, v11
	v_pk_add_f32 v[12:13], v[2:3], v[4:5] neg_lo:[0,1] neg_hi:[0,1]
	v_pk_add_f32 v[2:3], v[2:3], v[4:5]
	v_mov_b32_e32 v8, v9
	v_mov_b32_e32 v4, v3
	v_pk_add_f32 v[14:15], v[4:5], v[0:1] neg_lo:[0,1] neg_hi:[0,1]
	v_mov_b32_e32 v2, v11
	v_mov_b32_e32 v5, v14
	v_pk_add_f32 v[16:17], v[10:11], v[4:5] neg_lo:[0,1] neg_hi:[0,1]
	v_mov_b32_e32 v10, v1
	v_mov_b32_e32 v11, v14
	;; [unrolled: 1-line block ×3, first 2 shown]
	v_pk_add_f32 v[2:3], v[2:3], v[10:11] neg_lo:[0,1] neg_hi:[0,1]
	v_mov_b32_e32 v9, v0
	v_pk_add_f32 v[0:1], v[8:9], v[2:3] neg_lo:[0,1] neg_hi:[0,1]
	v_mov_b32_e32 v16, v12
	v_pk_add_f32 v[2:3], v[16:17], v[0:1]
	s_nop 0
	v_mov_b32_e32 v8, v3
	v_pk_add_f32 v[8:9], v[2:3], v[8:9]
	s_nop 0
	v_pk_add_f32 v[4:5], v[4:5], v[8:9]
	v_mov_b32_e32 v1, v8
	v_mov_b32_e32 v3, v4
	v_pk_add_f32 v[10:11], v[2:3], v[12:13] neg_lo:[0,1] neg_hi:[0,1]
	s_nop 0
	v_sub_f32_e32 v2, v2, v10
	v_pk_add_f32 v[0:1], v[0:1], v[10:11] neg_lo:[0,1] neg_hi:[0,1]
	v_sub_f32_e32 v2, v12, v2
	v_add_f32_e32 v0, v0, v2
	v_add_f32_e32 v0, v0, v1
	;; [unrolled: 1-line block ×3, first 2 shown]
	v_cndmask_b32_e32 v7, v0, v7, vcc
.LBB17_42:                              ;   in Loop: Header=BB17_12 Depth=1
	s_or_b64 exec, exec, s[22:23]
	v_and_b32_e32 v0, 0xffff0000, v35
	v_add_f32_e32 v8, s33, v0
	v_cmp_ge_f32_e32 vcc, s1, v8
	s_and_b64 s[2:3], s[80:81], vcc
	s_and_saveexec_b64 s[22:23], s[2:3]
	s_cbranch_execz .LBB17_44
; %bb.43:                               ;   in Loop: Header=BB17_12 Depth=1
	v_mul_f32_e32 v0, 0x3fb8aa3b, v8
	v_rndne_f32_e32 v1, v0
	v_sub_f32_e32 v2, v0, v1
	v_fma_f32 v0, v8, s26, -v0
	v_fmac_f32_e32 v0, 0x32a5705f, v8
	v_add_f32_e32 v0, v2, v0
	v_cvt_i32_f32_e32 v1, v1
	v_exp_f32_e32 v0, v0
	v_cmp_ngt_f32_e32 vcc, s27, v8
	v_ldexp_f32 v0, v0, v1
	s_nop 0
	v_cndmask_b32_e32 v0, 0, v0, vcc
	v_cmp_nlt_f32_e32 vcc, s28, v8
	s_nop 1
	v_cndmask_b32_e32 v18, v22, v0, vcc
	v_add_f32_e32 v2, 1.0, v18
	v_add_f32_e32 v0, -1.0, v2
	v_sub_f32_e32 v1, v0, v2
	v_add_f32_e32 v1, 1.0, v1
	v_sub_f32_e32 v0, v18, v0
	v_add_f32_e32 v3, v0, v1
	v_frexp_mant_f32_e32 v4, v2
	v_cvt_f64_f32_e32 v[0:1], v2
	v_frexp_exp_i32_f64_e32 v0, v[0:1]
	v_cmp_gt_f32_e32 vcc, s30, v4
	v_cmp_gt_f32_e64 s[2:3], s34, v18
	s_nop 0
	v_subbrev_co_u32_e32 v10, vcc, 0, v0, vcc
	v_sub_u32_e32 v0, 0, v10
	v_ldexp_f32 v1, v2, v0
	v_add_f32_e32 v2, -1.0, v1
	v_add_f32_e32 v4, 1.0, v1
	v_ldexp_f32 v0, v3, v0
	v_add_f32_e32 v3, 1.0, v2
	v_add_f32_e32 v5, -1.0, v4
	v_sub_f32_e32 v3, v1, v3
	v_sub_f32_e32 v1, v1, v5
	v_add_f32_e32 v3, v0, v3
	v_add_f32_e32 v0, v0, v1
	;; [unrolled: 1-line block ×3, first 2 shown]
	v_rcp_f32_e32 v13, v11
	v_sub_f32_e32 v1, v4, v11
	v_add_f32_e32 v12, v0, v1
	v_add_f32_e32 v1, v2, v3
	v_mul_f32_e32 v15, v1, v13
	v_sub_f32_e32 v0, v2, v1
	v_mul_f32_e32 v2, v11, v15
	v_fma_f32 v4, v15, v11, -v2
	v_fmac_f32_e32 v4, v15, v12
	v_add_f32_e32 v14, v3, v0
	v_add_f32_e32 v0, v2, v4
	v_sub_f32_e32 v3, v1, v0
	v_pk_add_f32 v[8:9], v[0:1], v[2:3] neg_lo:[0,1] neg_hi:[0,1]
	v_mov_b32_e32 v5, v0
	v_pk_add_f32 v[0:1], v[8:9], v[4:5] neg_lo:[0,1] neg_hi:[0,1]
	v_cmp_eq_f32_e32 vcc, s29, v18
	v_add_f32_e32 v1, v14, v1
	v_add_f32_e32 v0, v0, v1
	;; [unrolled: 1-line block ×3, first 2 shown]
	v_mul_f32_e32 v14, v13, v1
	v_mul_f32_e32 v2, v11, v14
	v_fma_f32 v4, v14, v11, -v2
	v_fmac_f32_e32 v4, v14, v12
	v_sub_f32_e32 v3, v3, v1
	v_add_f32_e32 v11, v0, v3
	v_add_f32_e32 v0, v2, v4
	v_sub_f32_e32 v3, v1, v0
	v_pk_add_f32 v[8:9], v[0:1], v[2:3] neg_lo:[0,1] neg_hi:[0,1]
	v_mov_b32_e32 v5, v0
	v_pk_add_f32 v[0:1], v[8:9], v[4:5] neg_lo:[0,1] neg_hi:[0,1]
	s_or_b64 vcc, s[2:3], vcc
	v_add_f32_e32 v1, v11, v1
	v_add_f32_e32 v0, v0, v1
	v_add_f32_e32 v1, v15, v14
	v_add_f32_e32 v0, v3, v0
	v_sub_f32_e32 v2, v1, v15
	v_mul_f32_e32 v0, v13, v0
	v_sub_f32_e32 v2, v14, v2
	v_add_f32_e32 v2, v2, v0
	v_add_f32_e32 v4, v1, v2
	v_mul_f32_e32 v5, v4, v4
	v_fmamk_f32 v0, v5, 0x3e9b6dac, v25
	v_fmaak_f32 v29, v5, v0, 0x3f2aaada
	v_cvt_f32_i32_e32 v0, v10
	v_sub_f32_e32 v1, v4, v1
	v_sub_f32_e32 v1, v2, v1
	v_ldexp_f32 v8, v1, 1
	v_mul_f32_e32 v1, v4, v5
	v_ldexp_f32 v3, v4, 1
	v_pk_mul_f32 v[4:5], v[0:1], v[28:29]
	s_nop 0
	v_fma_f32 v2, v0, s31, -v4
	v_fmac_f32_e32 v2, 0xb102e308, v0
	v_pk_add_f32 v[0:1], v[4:5], v[2:3]
	s_nop 0
	v_sub_f32_e32 v3, v1, v3
	v_sub_f32_e32 v3, v5, v3
	v_add_f32_e32 v9, v8, v3
	v_mov_b32_e32 v8, v4
	v_pk_add_f32 v[4:5], v[0:1], v[4:5] neg_lo:[0,1] neg_hi:[0,1]
	v_pk_add_f32 v[10:11], v[0:1], v[8:9]
	v_mov_b32_e32 v3, v0
	v_mov_b32_e32 v5, v11
	v_pk_add_f32 v[12:13], v[2:3], v[4:5] neg_lo:[0,1] neg_hi:[0,1]
	v_pk_add_f32 v[2:3], v[2:3], v[4:5]
	v_mov_b32_e32 v8, v9
	v_mov_b32_e32 v4, v3
	v_pk_add_f32 v[14:15], v[4:5], v[0:1] neg_lo:[0,1] neg_hi:[0,1]
	v_mov_b32_e32 v2, v11
	v_mov_b32_e32 v5, v14
	v_pk_add_f32 v[16:17], v[10:11], v[4:5] neg_lo:[0,1] neg_hi:[0,1]
	v_mov_b32_e32 v10, v1
	v_mov_b32_e32 v11, v14
	;; [unrolled: 1-line block ×3, first 2 shown]
	v_pk_add_f32 v[2:3], v[2:3], v[10:11] neg_lo:[0,1] neg_hi:[0,1]
	v_mov_b32_e32 v9, v0
	v_pk_add_f32 v[0:1], v[8:9], v[2:3] neg_lo:[0,1] neg_hi:[0,1]
	v_mov_b32_e32 v16, v12
	v_pk_add_f32 v[2:3], v[16:17], v[0:1]
	s_nop 0
	v_mov_b32_e32 v8, v3
	v_pk_add_f32 v[8:9], v[2:3], v[8:9]
	s_nop 0
	v_pk_add_f32 v[4:5], v[4:5], v[8:9]
	v_mov_b32_e32 v1, v8
	v_mov_b32_e32 v3, v4
	v_pk_add_f32 v[10:11], v[2:3], v[12:13] neg_lo:[0,1] neg_hi:[0,1]
	s_nop 0
	v_sub_f32_e32 v2, v2, v10
	v_pk_add_f32 v[0:1], v[0:1], v[10:11] neg_lo:[0,1] neg_hi:[0,1]
	v_sub_f32_e32 v2, v12, v2
	v_add_f32_e32 v0, v0, v2
	v_add_f32_e32 v0, v0, v1
	;; [unrolled: 1-line block ×3, first 2 shown]
	v_cndmask_b32_e32 v8, v0, v18, vcc
.LBB17_44:                              ;   in Loop: Header=BB17_12 Depth=1
	s_or_b64 exec, exec, s[22:23]
	v_lshlrev_b32_e32 v0, 16, v36
	v_add_f32_e32 v9, s33, v0
	v_cmp_ge_f32_e32 vcc, s1, v9
	s_and_b64 s[2:3], s[80:81], vcc
	s_and_saveexec_b64 s[22:23], s[2:3]
	s_cbranch_execz .LBB17_46
; %bb.45:                               ;   in Loop: Header=BB17_12 Depth=1
	v_mul_f32_e32 v0, 0x3fb8aa3b, v9
	v_rndne_f32_e32 v1, v0
	v_sub_f32_e32 v2, v0, v1
	v_fma_f32 v0, v9, s26, -v0
	v_fmac_f32_e32 v0, 0x32a5705f, v9
	v_add_f32_e32 v0, v2, v0
	v_cvt_i32_f32_e32 v1, v1
	v_exp_f32_e32 v0, v0
	v_cmp_ngt_f32_e32 vcc, s27, v9
	v_ldexp_f32 v0, v0, v1
	s_nop 0
	v_cndmask_b32_e32 v0, 0, v0, vcc
	v_cmp_nlt_f32_e32 vcc, s28, v9
	s_nop 1
	v_cndmask_b32_e32 v9, v22, v0, vcc
	v_add_f32_e32 v2, 1.0, v9
	v_add_f32_e32 v0, -1.0, v2
	v_sub_f32_e32 v1, v0, v2
	v_add_f32_e32 v1, 1.0, v1
	v_sub_f32_e32 v0, v9, v0
	v_add_f32_e32 v3, v0, v1
	v_frexp_mant_f32_e32 v4, v2
	v_cvt_f64_f32_e32 v[0:1], v2
	v_frexp_exp_i32_f64_e32 v0, v[0:1]
	v_cmp_gt_f32_e32 vcc, s30, v4
	v_cmp_gt_f32_e64 s[2:3], s34, v9
	s_nop 0
	v_subbrev_co_u32_e32 v12, vcc, 0, v0, vcc
	v_sub_u32_e32 v0, 0, v12
	v_ldexp_f32 v1, v2, v0
	v_add_f32_e32 v2, -1.0, v1
	v_add_f32_e32 v4, 1.0, v1
	v_ldexp_f32 v0, v3, v0
	v_add_f32_e32 v3, 1.0, v2
	v_add_f32_e32 v5, -1.0, v4
	v_sub_f32_e32 v3, v1, v3
	v_sub_f32_e32 v1, v1, v5
	v_add_f32_e32 v3, v0, v3
	v_add_f32_e32 v0, v0, v1
	;; [unrolled: 1-line block ×3, first 2 shown]
	v_rcp_f32_e32 v15, v13
	v_sub_f32_e32 v1, v4, v13
	v_add_f32_e32 v14, v0, v1
	v_add_f32_e32 v1, v2, v3
	v_mul_f32_e32 v17, v1, v15
	v_sub_f32_e32 v0, v2, v1
	v_mul_f32_e32 v2, v13, v17
	v_fma_f32 v4, v17, v13, -v2
	v_fmac_f32_e32 v4, v17, v14
	v_add_f32_e32 v16, v3, v0
	v_add_f32_e32 v0, v2, v4
	v_sub_f32_e32 v3, v1, v0
	v_pk_add_f32 v[10:11], v[0:1], v[2:3] neg_lo:[0,1] neg_hi:[0,1]
	v_mov_b32_e32 v5, v0
	v_pk_add_f32 v[0:1], v[10:11], v[4:5] neg_lo:[0,1] neg_hi:[0,1]
	v_cmp_eq_f32_e32 vcc, s29, v9
	v_add_f32_e32 v1, v16, v1
	v_add_f32_e32 v0, v0, v1
	;; [unrolled: 1-line block ×3, first 2 shown]
	v_mul_f32_e32 v16, v15, v1
	v_mul_f32_e32 v2, v13, v16
	v_fma_f32 v4, v16, v13, -v2
	v_fmac_f32_e32 v4, v16, v14
	v_sub_f32_e32 v3, v3, v1
	v_add_f32_e32 v13, v0, v3
	v_add_f32_e32 v0, v2, v4
	v_sub_f32_e32 v3, v1, v0
	v_pk_add_f32 v[10:11], v[0:1], v[2:3] neg_lo:[0,1] neg_hi:[0,1]
	v_mov_b32_e32 v5, v0
	v_pk_add_f32 v[0:1], v[10:11], v[4:5] neg_lo:[0,1] neg_hi:[0,1]
	s_or_b64 vcc, s[2:3], vcc
	v_add_f32_e32 v1, v13, v1
	v_add_f32_e32 v0, v0, v1
	;; [unrolled: 1-line block ×4, first 2 shown]
	v_sub_f32_e32 v2, v1, v17
	v_mul_f32_e32 v0, v15, v0
	v_sub_f32_e32 v2, v16, v2
	v_add_f32_e32 v2, v2, v0
	v_add_f32_e32 v4, v1, v2
	v_mul_f32_e32 v5, v4, v4
	v_fmamk_f32 v0, v5, 0x3e9b6dac, v25
	v_fmaak_f32 v29, v5, v0, 0x3f2aaada
	v_cvt_f32_i32_e32 v0, v12
	v_sub_f32_e32 v1, v4, v1
	v_sub_f32_e32 v1, v2, v1
	v_ldexp_f32 v10, v1, 1
	v_mul_f32_e32 v1, v4, v5
	v_ldexp_f32 v3, v4, 1
	v_pk_mul_f32 v[4:5], v[0:1], v[28:29]
	s_nop 0
	v_fma_f32 v2, v0, s31, -v4
	v_fmac_f32_e32 v2, 0xb102e308, v0
	v_pk_add_f32 v[0:1], v[4:5], v[2:3]
	s_nop 0
	v_sub_f32_e32 v3, v1, v3
	v_sub_f32_e32 v3, v5, v3
	v_add_f32_e32 v11, v10, v3
	v_mov_b32_e32 v10, v4
	v_pk_add_f32 v[4:5], v[0:1], v[4:5] neg_lo:[0,1] neg_hi:[0,1]
	v_pk_add_f32 v[12:13], v[0:1], v[10:11]
	v_mov_b32_e32 v3, v0
	v_mov_b32_e32 v5, v13
	v_pk_add_f32 v[14:15], v[2:3], v[4:5] neg_lo:[0,1] neg_hi:[0,1]
	v_pk_add_f32 v[2:3], v[2:3], v[4:5]
	v_mov_b32_e32 v10, v11
	v_mov_b32_e32 v4, v3
	v_pk_add_f32 v[16:17], v[4:5], v[0:1] neg_lo:[0,1] neg_hi:[0,1]
	v_mov_b32_e32 v2, v13
	v_mov_b32_e32 v5, v16
	v_pk_add_f32 v[18:19], v[12:13], v[4:5] neg_lo:[0,1] neg_hi:[0,1]
	v_mov_b32_e32 v12, v1
	v_mov_b32_e32 v13, v16
	;; [unrolled: 1-line block ×3, first 2 shown]
	v_pk_add_f32 v[2:3], v[2:3], v[12:13] neg_lo:[0,1] neg_hi:[0,1]
	v_mov_b32_e32 v11, v0
	v_pk_add_f32 v[0:1], v[10:11], v[2:3] neg_lo:[0,1] neg_hi:[0,1]
	v_mov_b32_e32 v18, v14
	v_pk_add_f32 v[2:3], v[18:19], v[0:1]
	s_nop 0
	v_mov_b32_e32 v10, v3
	v_pk_add_f32 v[10:11], v[2:3], v[10:11]
	s_nop 0
	v_pk_add_f32 v[4:5], v[4:5], v[10:11]
	v_mov_b32_e32 v1, v10
	v_mov_b32_e32 v3, v4
	v_pk_add_f32 v[12:13], v[2:3], v[14:15] neg_lo:[0,1] neg_hi:[0,1]
	s_nop 0
	v_sub_f32_e32 v2, v2, v12
	v_pk_add_f32 v[0:1], v[0:1], v[12:13] neg_lo:[0,1] neg_hi:[0,1]
	v_sub_f32_e32 v2, v14, v2
	v_add_f32_e32 v0, v0, v2
	v_add_f32_e32 v0, v0, v1
	;; [unrolled: 1-line block ×3, first 2 shown]
	v_cndmask_b32_e32 v9, v0, v9, vcc
.LBB17_46:                              ;   in Loop: Header=BB17_12 Depth=1
	s_or_b64 exec, exec, s[22:23]
	v_and_b32_e32 v0, 0xffff0000, v36
	v_add_f32_e32 v14, s33, v0
	v_cmp_ge_f32_e32 vcc, s1, v14
	s_and_b64 s[2:3], s[80:81], vcc
	s_and_saveexec_b64 s[22:23], s[2:3]
	s_cbranch_execz .LBB17_48
; %bb.47:                               ;   in Loop: Header=BB17_12 Depth=1
	v_mul_f32_e32 v0, 0x3fb8aa3b, v14
	v_rndne_f32_e32 v1, v0
	v_sub_f32_e32 v2, v0, v1
	v_fma_f32 v0, v14, s26, -v0
	v_fmac_f32_e32 v0, 0x32a5705f, v14
	v_add_f32_e32 v0, v2, v0
	v_cvt_i32_f32_e32 v1, v1
	v_exp_f32_e32 v0, v0
	v_cmp_ngt_f32_e32 vcc, s27, v14
	v_ldexp_f32 v0, v0, v1
	s_nop 0
	v_cndmask_b32_e32 v0, 0, v0, vcc
	v_cmp_nlt_f32_e32 vcc, s28, v14
	s_nop 1
	v_cndmask_b32_e32 v20, v22, v0, vcc
	v_add_f32_e32 v2, 1.0, v20
	v_add_f32_e32 v0, -1.0, v2
	v_sub_f32_e32 v1, v0, v2
	v_add_f32_e32 v1, 1.0, v1
	v_sub_f32_e32 v0, v20, v0
	v_add_f32_e32 v3, v0, v1
	v_frexp_mant_f32_e32 v4, v2
	v_cvt_f64_f32_e32 v[0:1], v2
	v_frexp_exp_i32_f64_e32 v0, v[0:1]
	v_cmp_gt_f32_e32 vcc, s30, v4
	v_cmp_gt_f32_e64 s[2:3], s34, v20
	s_nop 0
	v_subbrev_co_u32_e32 v12, vcc, 0, v0, vcc
	v_sub_u32_e32 v0, 0, v12
	v_ldexp_f32 v1, v2, v0
	v_add_f32_e32 v2, -1.0, v1
	v_add_f32_e32 v4, 1.0, v1
	v_ldexp_f32 v0, v3, v0
	v_add_f32_e32 v3, 1.0, v2
	v_add_f32_e32 v5, -1.0, v4
	v_sub_f32_e32 v3, v1, v3
	v_sub_f32_e32 v1, v1, v5
	v_add_f32_e32 v3, v0, v3
	v_add_f32_e32 v0, v0, v1
	;; [unrolled: 1-line block ×3, first 2 shown]
	v_rcp_f32_e32 v15, v13
	v_sub_f32_e32 v1, v4, v13
	v_add_f32_e32 v14, v0, v1
	v_add_f32_e32 v1, v2, v3
	v_mul_f32_e32 v17, v1, v15
	v_sub_f32_e32 v0, v2, v1
	v_mul_f32_e32 v2, v13, v17
	v_fma_f32 v4, v17, v13, -v2
	v_fmac_f32_e32 v4, v17, v14
	v_add_f32_e32 v16, v3, v0
	v_add_f32_e32 v0, v2, v4
	v_sub_f32_e32 v3, v1, v0
	v_pk_add_f32 v[10:11], v[0:1], v[2:3] neg_lo:[0,1] neg_hi:[0,1]
	v_mov_b32_e32 v5, v0
	v_pk_add_f32 v[0:1], v[10:11], v[4:5] neg_lo:[0,1] neg_hi:[0,1]
	v_cmp_eq_f32_e32 vcc, s29, v20
	v_add_f32_e32 v1, v16, v1
	v_add_f32_e32 v0, v0, v1
	;; [unrolled: 1-line block ×3, first 2 shown]
	v_mul_f32_e32 v16, v15, v1
	v_mul_f32_e32 v2, v13, v16
	v_fma_f32 v4, v16, v13, -v2
	v_fmac_f32_e32 v4, v16, v14
	v_sub_f32_e32 v3, v3, v1
	v_add_f32_e32 v13, v0, v3
	v_add_f32_e32 v0, v2, v4
	v_sub_f32_e32 v3, v1, v0
	v_pk_add_f32 v[10:11], v[0:1], v[2:3] neg_lo:[0,1] neg_hi:[0,1]
	v_mov_b32_e32 v5, v0
	v_pk_add_f32 v[0:1], v[10:11], v[4:5] neg_lo:[0,1] neg_hi:[0,1]
	s_or_b64 vcc, s[2:3], vcc
	v_add_f32_e32 v1, v13, v1
	v_add_f32_e32 v0, v0, v1
	;; [unrolled: 1-line block ×4, first 2 shown]
	v_sub_f32_e32 v2, v1, v17
	v_mul_f32_e32 v0, v15, v0
	v_sub_f32_e32 v2, v16, v2
	v_add_f32_e32 v2, v2, v0
	v_add_f32_e32 v4, v1, v2
	v_mul_f32_e32 v5, v4, v4
	v_fmamk_f32 v0, v5, 0x3e9b6dac, v25
	v_fmaak_f32 v29, v5, v0, 0x3f2aaada
	v_cvt_f32_i32_e32 v0, v12
	v_sub_f32_e32 v1, v4, v1
	v_sub_f32_e32 v1, v2, v1
	v_ldexp_f32 v10, v1, 1
	v_mul_f32_e32 v1, v4, v5
	v_ldexp_f32 v3, v4, 1
	v_pk_mul_f32 v[4:5], v[0:1], v[28:29]
	s_nop 0
	v_fma_f32 v2, v0, s31, -v4
	v_fmac_f32_e32 v2, 0xb102e308, v0
	v_pk_add_f32 v[0:1], v[4:5], v[2:3]
	s_nop 0
	v_sub_f32_e32 v3, v1, v3
	v_sub_f32_e32 v3, v5, v3
	v_add_f32_e32 v11, v10, v3
	v_mov_b32_e32 v10, v4
	v_pk_add_f32 v[4:5], v[0:1], v[4:5] neg_lo:[0,1] neg_hi:[0,1]
	v_pk_add_f32 v[12:13], v[0:1], v[10:11]
	v_mov_b32_e32 v3, v0
	v_mov_b32_e32 v5, v13
	v_pk_add_f32 v[14:15], v[2:3], v[4:5] neg_lo:[0,1] neg_hi:[0,1]
	v_pk_add_f32 v[2:3], v[2:3], v[4:5]
	v_mov_b32_e32 v10, v11
	v_mov_b32_e32 v4, v3
	v_pk_add_f32 v[16:17], v[4:5], v[0:1] neg_lo:[0,1] neg_hi:[0,1]
	v_mov_b32_e32 v2, v13
	v_mov_b32_e32 v5, v16
	v_pk_add_f32 v[18:19], v[12:13], v[4:5] neg_lo:[0,1] neg_hi:[0,1]
	v_mov_b32_e32 v12, v1
	v_mov_b32_e32 v13, v16
	;; [unrolled: 1-line block ×3, first 2 shown]
	v_pk_add_f32 v[2:3], v[2:3], v[12:13] neg_lo:[0,1] neg_hi:[0,1]
	v_mov_b32_e32 v11, v0
	v_pk_add_f32 v[0:1], v[10:11], v[2:3] neg_lo:[0,1] neg_hi:[0,1]
	v_mov_b32_e32 v18, v14
	v_pk_add_f32 v[2:3], v[18:19], v[0:1]
	s_nop 0
	v_mov_b32_e32 v10, v3
	v_pk_add_f32 v[10:11], v[2:3], v[10:11]
	s_nop 0
	v_pk_add_f32 v[4:5], v[4:5], v[10:11]
	v_mov_b32_e32 v1, v10
	v_mov_b32_e32 v3, v4
	v_pk_add_f32 v[12:13], v[2:3], v[14:15] neg_lo:[0,1] neg_hi:[0,1]
	s_nop 0
	v_sub_f32_e32 v2, v2, v12
	v_pk_add_f32 v[0:1], v[0:1], v[12:13] neg_lo:[0,1] neg_hi:[0,1]
	v_sub_f32_e32 v2, v14, v2
	v_add_f32_e32 v0, v0, v2
	v_add_f32_e32 v0, v0, v1
	;; [unrolled: 1-line block ×3, first 2 shown]
	v_cndmask_b32_e32 v14, v0, v20, vcc
.LBB17_48:                              ;   in Loop: Header=BB17_12 Depth=1
	s_or_b64 exec, exec, s[22:23]
	v_lshlrev_b32_e32 v0, 16, v37
	v_add_f32_e32 v15, s33, v0
	v_cmp_ge_f32_e32 vcc, s1, v15
	s_and_b64 s[2:3], s[80:81], vcc
	s_and_saveexec_b64 s[22:23], s[2:3]
	s_cbranch_execz .LBB17_50
; %bb.49:                               ;   in Loop: Header=BB17_12 Depth=1
	v_mul_f32_e32 v0, 0x3fb8aa3b, v15
	v_rndne_f32_e32 v1, v0
	v_sub_f32_e32 v2, v0, v1
	v_fma_f32 v0, v15, s26, -v0
	v_fmac_f32_e32 v0, 0x32a5705f, v15
	v_add_f32_e32 v0, v2, v0
	v_cvt_i32_f32_e32 v1, v1
	v_exp_f32_e32 v0, v0
	v_cmp_ngt_f32_e32 vcc, s27, v15
	v_ldexp_f32 v0, v0, v1
	s_nop 0
	v_cndmask_b32_e32 v0, 0, v0, vcc
	v_cmp_nlt_f32_e32 vcc, s28, v15
	s_nop 1
	v_cndmask_b32_e32 v15, v22, v0, vcc
	v_add_f32_e32 v2, 1.0, v15
	v_add_f32_e32 v0, -1.0, v2
	v_sub_f32_e32 v1, v0, v2
	v_add_f32_e32 v1, 1.0, v1
	v_sub_f32_e32 v0, v15, v0
	v_add_f32_e32 v3, v0, v1
	v_frexp_mant_f32_e32 v4, v2
	v_cvt_f64_f32_e32 v[0:1], v2
	v_frexp_exp_i32_f64_e32 v0, v[0:1]
	v_cmp_gt_f32_e32 vcc, s30, v4
	v_cmp_gt_f32_e64 s[2:3], s34, v15
	s_nop 0
	v_subbrev_co_u32_e32 v12, vcc, 0, v0, vcc
	v_sub_u32_e32 v0, 0, v12
	v_ldexp_f32 v1, v2, v0
	v_add_f32_e32 v2, -1.0, v1
	v_add_f32_e32 v4, 1.0, v1
	v_ldexp_f32 v0, v3, v0
	v_add_f32_e32 v3, 1.0, v2
	v_add_f32_e32 v5, -1.0, v4
	v_sub_f32_e32 v3, v1, v3
	v_sub_f32_e32 v1, v1, v5
	v_add_f32_e32 v3, v0, v3
	v_add_f32_e32 v0, v0, v1
	;; [unrolled: 1-line block ×3, first 2 shown]
	v_rcp_f32_e32 v17, v13
	v_sub_f32_e32 v1, v4, v13
	v_add_f32_e32 v16, v0, v1
	v_add_f32_e32 v1, v2, v3
	v_mul_f32_e32 v19, v1, v17
	v_sub_f32_e32 v0, v2, v1
	v_mul_f32_e32 v2, v13, v19
	v_fma_f32 v4, v19, v13, -v2
	v_fmac_f32_e32 v4, v19, v16
	v_add_f32_e32 v18, v3, v0
	v_add_f32_e32 v0, v2, v4
	v_sub_f32_e32 v3, v1, v0
	v_pk_add_f32 v[10:11], v[0:1], v[2:3] neg_lo:[0,1] neg_hi:[0,1]
	v_mov_b32_e32 v5, v0
	v_pk_add_f32 v[0:1], v[10:11], v[4:5] neg_lo:[0,1] neg_hi:[0,1]
	v_cmp_eq_f32_e32 vcc, s29, v15
	v_add_f32_e32 v1, v18, v1
	v_add_f32_e32 v0, v0, v1
	;; [unrolled: 1-line block ×3, first 2 shown]
	v_mul_f32_e32 v18, v17, v1
	v_mul_f32_e32 v2, v13, v18
	v_fma_f32 v4, v18, v13, -v2
	v_fmac_f32_e32 v4, v18, v16
	v_sub_f32_e32 v3, v3, v1
	v_add_f32_e32 v13, v0, v3
	v_add_f32_e32 v0, v2, v4
	v_sub_f32_e32 v3, v1, v0
	v_pk_add_f32 v[10:11], v[0:1], v[2:3] neg_lo:[0,1] neg_hi:[0,1]
	v_mov_b32_e32 v5, v0
	v_pk_add_f32 v[0:1], v[10:11], v[4:5] neg_lo:[0,1] neg_hi:[0,1]
	s_or_b64 vcc, s[2:3], vcc
	v_add_f32_e32 v1, v13, v1
	v_add_f32_e32 v0, v0, v1
	;; [unrolled: 1-line block ×4, first 2 shown]
	v_sub_f32_e32 v2, v1, v19
	v_mul_f32_e32 v0, v17, v0
	v_sub_f32_e32 v2, v18, v2
	v_add_f32_e32 v2, v2, v0
	v_add_f32_e32 v4, v1, v2
	v_mul_f32_e32 v5, v4, v4
	v_fmamk_f32 v0, v5, 0x3e9b6dac, v25
	v_fmaak_f32 v29, v5, v0, 0x3f2aaada
	v_cvt_f32_i32_e32 v0, v12
	v_sub_f32_e32 v1, v4, v1
	v_sub_f32_e32 v1, v2, v1
	v_ldexp_f32 v10, v1, 1
	v_mul_f32_e32 v1, v4, v5
	v_ldexp_f32 v3, v4, 1
	v_pk_mul_f32 v[4:5], v[0:1], v[28:29]
	s_nop 0
	v_fma_f32 v2, v0, s31, -v4
	v_fmac_f32_e32 v2, 0xb102e308, v0
	v_pk_add_f32 v[0:1], v[4:5], v[2:3]
	s_nop 0
	v_sub_f32_e32 v3, v1, v3
	v_sub_f32_e32 v3, v5, v3
	v_add_f32_e32 v11, v10, v3
	v_mov_b32_e32 v10, v4
	v_pk_add_f32 v[4:5], v[0:1], v[4:5] neg_lo:[0,1] neg_hi:[0,1]
	v_pk_add_f32 v[12:13], v[0:1], v[10:11]
	v_mov_b32_e32 v3, v0
	v_mov_b32_e32 v5, v13
	v_pk_add_f32 v[16:17], v[2:3], v[4:5] neg_lo:[0,1] neg_hi:[0,1]
	v_pk_add_f32 v[2:3], v[2:3], v[4:5]
	v_mov_b32_e32 v10, v11
	v_mov_b32_e32 v4, v3
	v_pk_add_f32 v[18:19], v[4:5], v[0:1] neg_lo:[0,1] neg_hi:[0,1]
	v_mov_b32_e32 v2, v13
	v_mov_b32_e32 v5, v18
	v_pk_add_f32 v[20:21], v[12:13], v[4:5] neg_lo:[0,1] neg_hi:[0,1]
	v_mov_b32_e32 v12, v1
	v_mov_b32_e32 v13, v18
	;; [unrolled: 1-line block ×3, first 2 shown]
	v_pk_add_f32 v[2:3], v[2:3], v[12:13] neg_lo:[0,1] neg_hi:[0,1]
	v_mov_b32_e32 v11, v0
	v_pk_add_f32 v[0:1], v[10:11], v[2:3] neg_lo:[0,1] neg_hi:[0,1]
	v_mov_b32_e32 v20, v16
	v_pk_add_f32 v[2:3], v[20:21], v[0:1]
	s_nop 0
	v_mov_b32_e32 v10, v3
	v_pk_add_f32 v[10:11], v[2:3], v[10:11]
	s_nop 0
	v_pk_add_f32 v[4:5], v[4:5], v[10:11]
	v_mov_b32_e32 v1, v10
	v_mov_b32_e32 v3, v4
	v_pk_add_f32 v[12:13], v[2:3], v[16:17] neg_lo:[0,1] neg_hi:[0,1]
	s_nop 0
	v_sub_f32_e32 v2, v2, v12
	v_pk_add_f32 v[0:1], v[0:1], v[12:13] neg_lo:[0,1] neg_hi:[0,1]
	v_sub_f32_e32 v2, v16, v2
	v_add_f32_e32 v0, v0, v2
	v_add_f32_e32 v0, v0, v1
	;; [unrolled: 1-line block ×3, first 2 shown]
	v_cndmask_b32_e32 v15, v0, v15, vcc
.LBB17_50:                              ;   in Loop: Header=BB17_12 Depth=1
	s_or_b64 exec, exec, s[22:23]
	v_and_b32_e32 v0, 0xffff0000, v37
	v_add_f32_e32 v16, s33, v0
	v_cmp_ge_f32_e32 vcc, s1, v16
	s_and_b64 s[2:3], s[80:81], vcc
	s_and_saveexec_b64 s[22:23], s[2:3]
	s_cbranch_execz .LBB17_52
; %bb.51:                               ;   in Loop: Header=BB17_12 Depth=1
	v_mul_f32_e32 v0, 0x3fb8aa3b, v16
	v_rndne_f32_e32 v1, v0
	v_sub_f32_e32 v2, v0, v1
	v_fma_f32 v0, v16, s26, -v0
	v_fmac_f32_e32 v0, 0x32a5705f, v16
	v_add_f32_e32 v0, v2, v0
	v_cvt_i32_f32_e32 v1, v1
	v_exp_f32_e32 v0, v0
	v_cmp_ngt_f32_e32 vcc, s27, v16
	v_ldexp_f32 v0, v0, v1
	s_nop 0
	v_cndmask_b32_e32 v0, 0, v0, vcc
	v_cmp_nlt_f32_e32 vcc, s28, v16
	s_nop 1
	v_cndmask_b32_e32 v22, v22, v0, vcc
	v_add_f32_e32 v2, 1.0, v22
	v_add_f32_e32 v0, -1.0, v2
	v_sub_f32_e32 v1, v0, v2
	v_add_f32_e32 v1, 1.0, v1
	v_sub_f32_e32 v0, v22, v0
	v_add_f32_e32 v3, v0, v1
	v_frexp_mant_f32_e32 v4, v2
	v_cvt_f64_f32_e32 v[0:1], v2
	v_frexp_exp_i32_f64_e32 v0, v[0:1]
	v_cmp_gt_f32_e32 vcc, s30, v4
	v_cmp_gt_f32_e64 s[2:3], s34, v22
	s_nop 0
	v_subbrev_co_u32_e32 v12, vcc, 0, v0, vcc
	v_sub_u32_e32 v0, 0, v12
	v_ldexp_f32 v1, v2, v0
	v_add_f32_e32 v2, -1.0, v1
	v_add_f32_e32 v4, 1.0, v1
	v_ldexp_f32 v0, v3, v0
	v_add_f32_e32 v3, 1.0, v2
	v_add_f32_e32 v5, -1.0, v4
	v_sub_f32_e32 v3, v1, v3
	v_sub_f32_e32 v1, v1, v5
	v_add_f32_e32 v3, v0, v3
	v_add_f32_e32 v0, v0, v1
	;; [unrolled: 1-line block ×3, first 2 shown]
	v_rcp_f32_e32 v17, v13
	v_sub_f32_e32 v1, v4, v13
	v_add_f32_e32 v16, v0, v1
	v_add_f32_e32 v1, v2, v3
	v_mul_f32_e32 v19, v1, v17
	v_sub_f32_e32 v0, v2, v1
	v_mul_f32_e32 v2, v13, v19
	v_fma_f32 v4, v19, v13, -v2
	v_fmac_f32_e32 v4, v19, v16
	v_add_f32_e32 v18, v3, v0
	v_add_f32_e32 v0, v2, v4
	v_sub_f32_e32 v3, v1, v0
	v_pk_add_f32 v[10:11], v[0:1], v[2:3] neg_lo:[0,1] neg_hi:[0,1]
	v_mov_b32_e32 v5, v0
	v_pk_add_f32 v[0:1], v[10:11], v[4:5] neg_lo:[0,1] neg_hi:[0,1]
	v_cmp_eq_f32_e32 vcc, s29, v22
	v_add_f32_e32 v1, v18, v1
	v_add_f32_e32 v0, v0, v1
	v_add_f32_e32 v1, v3, v0
	v_mul_f32_e32 v18, v17, v1
	v_mul_f32_e32 v2, v13, v18
	v_fma_f32 v4, v18, v13, -v2
	v_fmac_f32_e32 v4, v18, v16
	v_sub_f32_e32 v3, v3, v1
	v_add_f32_e32 v13, v0, v3
	v_add_f32_e32 v0, v2, v4
	v_sub_f32_e32 v3, v1, v0
	v_pk_add_f32 v[10:11], v[0:1], v[2:3] neg_lo:[0,1] neg_hi:[0,1]
	v_mov_b32_e32 v5, v0
	v_pk_add_f32 v[0:1], v[10:11], v[4:5] neg_lo:[0,1] neg_hi:[0,1]
	s_or_b64 vcc, s[2:3], vcc
	v_add_f32_e32 v1, v13, v1
	v_add_f32_e32 v0, v0, v1
	;; [unrolled: 1-line block ×4, first 2 shown]
	v_sub_f32_e32 v2, v1, v19
	v_mul_f32_e32 v0, v17, v0
	v_sub_f32_e32 v2, v18, v2
	v_add_f32_e32 v2, v2, v0
	v_add_f32_e32 v4, v1, v2
	v_mul_f32_e32 v5, v4, v4
	v_fmamk_f32 v0, v5, 0x3e9b6dac, v25
	v_fmaak_f32 v29, v5, v0, 0x3f2aaada
	v_cvt_f32_i32_e32 v0, v12
	v_sub_f32_e32 v1, v4, v1
	v_sub_f32_e32 v1, v2, v1
	v_ldexp_f32 v10, v1, 1
	v_mul_f32_e32 v1, v4, v5
	v_ldexp_f32 v3, v4, 1
	v_pk_mul_f32 v[4:5], v[0:1], v[28:29]
	s_nop 0
	v_fma_f32 v2, v0, s31, -v4
	v_fmac_f32_e32 v2, 0xb102e308, v0
	v_pk_add_f32 v[0:1], v[4:5], v[2:3]
	s_nop 0
	v_sub_f32_e32 v3, v1, v3
	v_sub_f32_e32 v3, v5, v3
	v_add_f32_e32 v11, v10, v3
	v_mov_b32_e32 v10, v4
	v_pk_add_f32 v[4:5], v[0:1], v[4:5] neg_lo:[0,1] neg_hi:[0,1]
	v_pk_add_f32 v[12:13], v[0:1], v[10:11]
	v_mov_b32_e32 v3, v0
	v_mov_b32_e32 v5, v13
	v_pk_add_f32 v[16:17], v[2:3], v[4:5] neg_lo:[0,1] neg_hi:[0,1]
	v_pk_add_f32 v[2:3], v[2:3], v[4:5]
	v_mov_b32_e32 v10, v11
	v_mov_b32_e32 v4, v3
	v_pk_add_f32 v[18:19], v[4:5], v[0:1] neg_lo:[0,1] neg_hi:[0,1]
	v_mov_b32_e32 v2, v13
	v_mov_b32_e32 v5, v18
	v_pk_add_f32 v[20:21], v[12:13], v[4:5] neg_lo:[0,1] neg_hi:[0,1]
	v_mov_b32_e32 v12, v1
	v_mov_b32_e32 v13, v18
	;; [unrolled: 1-line block ×3, first 2 shown]
	v_pk_add_f32 v[2:3], v[2:3], v[12:13] neg_lo:[0,1] neg_hi:[0,1]
	v_mov_b32_e32 v11, v0
	v_pk_add_f32 v[0:1], v[10:11], v[2:3] neg_lo:[0,1] neg_hi:[0,1]
	v_mov_b32_e32 v20, v16
	v_pk_add_f32 v[2:3], v[20:21], v[0:1]
	s_nop 0
	v_mov_b32_e32 v10, v3
	v_pk_add_f32 v[10:11], v[2:3], v[10:11]
	s_nop 0
	v_pk_add_f32 v[4:5], v[4:5], v[10:11]
	v_mov_b32_e32 v1, v10
	v_mov_b32_e32 v3, v4
	v_pk_add_f32 v[12:13], v[2:3], v[16:17] neg_lo:[0,1] neg_hi:[0,1]
	s_nop 0
	v_sub_f32_e32 v2, v2, v12
	v_pk_add_f32 v[0:1], v[0:1], v[12:13] neg_lo:[0,1] neg_hi:[0,1]
	v_sub_f32_e32 v2, v16, v2
	v_add_f32_e32 v0, v0, v2
	v_add_f32_e32 v0, v0, v1
	;; [unrolled: 1-line block ×3, first 2 shown]
	v_cndmask_b32_e32 v16, v0, v22, vcc
.LBB17_52:                              ;   in Loop: Header=BB17_12 Depth=1
	s_or_b64 exec, exec, s[22:23]
	scratch_load_dwordx4 v[18:21], off, off offset:76 ; 16-byte Folded Reload
	scratch_load_dwordx4 v[30:33], off, off offset:92 ; 16-byte Folded Reload
	v_readlane_b32 s22, v95, 0
	v_readlane_b32 s23, v95, 1
	s_lshl_b32 s2, s82, 10
	s_and_b64 vcc, exec, s[22:23]
	s_waitcnt lgkmcnt(0)
	; wave barrier
	s_waitcnt vmcnt(1)
	v_lshlrev_b32_e32 v2, 16, v21
	v_and_b32_e32 v12, 0xffff0000, v21
	v_and_b32_e32 v3, 0xffff0000, v20
	v_lshlrev_b32_e32 v4, 16, v20
	v_and_b32_e32 v5, 0xffff0000, v19
	v_lshlrev_b32_e32 v10, 16, v19
	;; [unrolled: 2-line block ×3, first 2 shown]
	s_waitcnt vmcnt(0)
	v_and_b32_e32 v17, 0xffff0000, v33
	v_lshlrev_b32_e32 v18, 16, v33
	v_and_b32_e32 v19, 0xffff0000, v32
	v_lshlrev_b32_e32 v20, 16, v32
	;; [unrolled: 2-line block ×4, first 2 shown]
	v_mul_f32_e32 v0, s98, v2
	v_mul_f32_e32 v53, s98, v3
	;; [unrolled: 1-line block ×16, first 2 shown]
	s_cbranch_vccz .LBB17_81
; %bb.53:                               ;   in Loop: Header=BB17_12 Depth=1
	v_mul_f32_e32 v2, v15, v2
	scratch_store_dwordx4 off, v[34:37], off offset:148 ; 16-byte Folded Spill
	scratch_store_dwordx2 off, v[28:29], off offset:140 ; 8-byte Folded Spill
	scratch_store_dword off, v2, off offset:16 ; 4-byte Folded Spill
	v_mul_f32_e32 v2, v14, v3
	scratch_store_dword off, v2, off offset:20 ; 4-byte Folded Spill
	v_mul_f32_e32 v2, v9, v4
	;; [unrolled: 2-line block ×4, first 2 shown]
	scratch_load_dword v10, off, off offset:188 ; 4-byte Folded Reload
	v_readlane_b32 s88, v95, 2
	s_sub_i32 s1, s88, s2
	s_cmp_lg_u32 s82, 0
	v_readlane_b32 s3, v95, 5
	s_cselect_b64 s[74:75], -1, 0
	s_cmp_eq_u32 s82, s3
	s_cselect_b64 s[86:87], -1, 0
	scratch_store_dword off, v2, off offset:32 ; 4-byte Folded Spill
	v_mul_f32_e32 v2, v6, v11
	scratch_store_dword off, v2, off offset:36 ; 4-byte Folded Spill
	v_mul_f32_e32 v2, v88, v13
	;; [unrolled: 2-line block ×3, first 2 shown]
	v_readlane_b32 s89, v95, 3
	s_mov_b32 s78, 0
	v_mul_f32_e32 v12, v16, v12
	v_lshl_add_u64 v[66:67], s[62:63], 0, v[42:43]
	v_lshl_add_u64 v[68:69], s[66:67], 0, v[42:43]
	scratch_store_dword off, v2, off offset:44 ; 4-byte Folded Spill
	v_mul_f32_e32 v25, v94, v18
	v_mul_f32_e32 v91, v49, v19
	;; [unrolled: 1-line block ×7, first 2 shown]
	s_mov_b32 s88, s78
	s_mov_b32 s90, s78
	;; [unrolled: 1-line block ×4, first 2 shown]
	scratch_store_dword off, v12, off offset:12 ; 4-byte Folded Spill
	s_waitcnt vmcnt(5)
	v_cmp_gt_u32_e32 vcc, s1, v10
	scratch_load_dword v10, off, off offset:192 ; 4-byte Folded Reload
	s_or_b64 s[22:23], s[84:85], vcc
	s_waitcnt vmcnt(0)
	v_cmp_gt_u32_e32 vcc, s1, v10
	scratch_load_dword v10, off, off offset:196 ; 4-byte Folded Reload
	s_or_b64 s[24:25], s[84:85], vcc
	;; [unrolled: 4-line block ×15, first 2 shown]
	s_waitcnt vmcnt(0)
	v_cmp_gt_u32_e32 vcc, s1, v10
	s_or_b64 s[54:55], s[84:85], vcc
	v_readlane_b32 s1, v95, 10
	s_branch .LBB17_55
.LBB17_54:                              ;   in Loop: Header=BB17_55 Depth=2
	s_or_b64 exec, exec, s[94:95]
	v_mul_f32_e32 v23, v10, v23
	v_fma_f32 v24, v10, v24, v34
	v_cndmask_b32_e64 v34, v24, v34, s[20:21]
	v_cndmask_b32_e64 v10, v23, v10, s[20:21]
	s_waitcnt lgkmcnt(0)
	v_fmac_f32_e32 v34, v70, v10
	v_fmac_f32_e32 v35, v34, v11
	;; [unrolled: 1-line block ×16, first 2 shown]
	v_and_b32_e32 v11, 0xffff0000, v30
	v_and_b32_e32 v13, 0xffff0000, v31
	v_lshlrev_b32_e32 v10, 16, v30
	v_lshlrev_b32_e32 v12, 16, v31
	v_and_b32_e32 v19, 0xffff0000, v32
	v_and_b32_e32 v21, 0xffff0000, v33
	v_lshlrev_b32_e32 v18, 16, v32
	v_lshlrev_b32_e32 v20, 16, v33
	;; [unrolled: 4-line block ×4, first 2 shown]
	s_add_i32 s1, s1, 8
	s_add_i32 s3, s3, -1
	s_add_i32 s92, s92, s99
	s_add_i32 s90, s90, s68
	;; [unrolled: 1-line block ×4, first 2 shown]
	v_pk_fma_f32 v[62:63], v[36:37], v[12:13], v[62:63]
	v_pk_fma_f32 v[64:65], v[34:35], v[10:11], v[64:65]
	;; [unrolled: 1-line block ×7, first 2 shown]
	s_cmp_eq_u32 s3, 0
	v_pk_fma_f32 v[52:53], v[76:77], v[26:27], v[52:53]
	s_cbranch_scc1 .LBB17_80
.LBB17_55:                              ;   Parent Loop BB17_12 Depth=1
                                        ; =>  This Inner Loop Header: Depth=2
	s_lshl_b64 s[94:95], s[78:79], 2
	s_add_u32 s94, s60, s94
	s_mov_b32 s89, s79
	s_addc_u32 s95, s76, s95
	v_lshl_add_u64 v[12:13], s[88:89], 1, v[66:67]
	global_load_dword v10, v43, s[94:95]
	global_load_dwordx4 v[18:21], v[12:13], off
	scratch_load_dword v11, off, off        ; 4-byte Folded Reload
	s_mov_b32 s91, s79
	s_andn2_b64 vcc, exec, s[74:75]
	s_waitcnt vmcnt(0)
	ds_write_b128 v11, v[18:21]
	global_load_dwordx4 v[18:21], v[12:13], off offset:1024
	s_nop 0
	scratch_load_dword v12, off, off offset:4 ; 4-byte Folded Reload
	s_waitcnt vmcnt(0)
	ds_write_b128 v12, v[18:21] offset:1024
	; wave barrier
	scratch_load_dword v17, off, off offset:8 ; 4-byte Folded Reload
	v_lshl_add_u64 v[12:13], s[90:91], 1, v[68:69]
	s_waitcnt vmcnt(0)
	ds_read_b128 v[38:41], v17
	ds_read_b128 v[34:37], v17 offset:16
	global_load_dwordx4 v[18:21], v[12:13], off
	s_waitcnt vmcnt(0)
	ds_write_b128 v11, v[18:21] offset:2112
	global_load_dwordx4 v[18:21], v[12:13], off offset:1024
	scratch_load_dword v11, off, off offset:48 ; 4-byte Folded Reload
	s_waitcnt vmcnt(0)
	ds_write_b128 v11, v[18:21] offset:1024
	; wave barrier
	scratch_load_dword v11, off, off offset:52 ; 4-byte Folded Reload
	ds_read_b128 v[30:33], v17 offset:2112
	s_waitcnt vmcnt(0)
	ds_read_b128 v[26:29], v11 offset:16
	s_cbranch_vccnz .LBB17_57
; %bb.56:                               ;   in Loop: Header=BB17_55 Depth=2
	v_mov_b32_e32 v11, s1
	ds_read_b64 v[72:73], v11
	s_waitcnt lgkmcnt(0)
	v_mov_b32_e32 v71, v73
	s_cbranch_execz .LBB17_58
	s_branch .LBB17_61
.LBB17_57:                              ;   in Loop: Header=BB17_55 Depth=2
                                        ; implicit-def: $vgpr72
                                        ; implicit-def: $vgpr71
.LBB17_58:                              ;   in Loop: Header=BB17_55 Depth=2
	s_andn2_b64 vcc, exec, s[58:59]
	v_mov_b32_e32 v71, 0
	s_cbranch_vccnz .LBB17_60
; %bb.59:                               ;   in Loop: Header=BB17_55 Depth=2
	s_mov_b32 s93, s79
	s_lshl_b64 s[94:95], s[92:93], 1
	s_add_u32 s94, s65, s94
	s_addc_u32 s95, s69, s95
	global_load_ushort v11, v43, s[94:95]
	s_waitcnt vmcnt(0)
	v_lshlrev_b32_e32 v71, 16, v11
.LBB17_60:                              ;   in Loop: Header=BB17_55 Depth=2
	v_mov_b32_e32 v72, 1.0
.LBB17_61:                              ;   in Loop: Header=BB17_55 Depth=2
	v_mul_f32_e32 v21, 0x3fb8aa3b, v10
	v_mul_f32_e32 v22, v21, v44
	v_cmp_gt_f32_e32 vcc, s77, v22
	s_waitcnt lgkmcnt(4)
	v_lshlrev_b32_e32 v23, 16, v34
	v_and_b32_e32 v24, 0xffff0000, v34
	v_cndmask_b32_e32 v22, 0, v92, vcc
	v_fmac_f32_e32 v22, v21, v44
	v_exp_f32_e32 v34, v22
	v_lshlrev_b32_e32 v51, 16, v35
	v_and_b32_e32 v70, 0xffff0000, v35
	v_cndmask_b32_e32 v35, 1.0, v93, vcc
	v_mul_f32_e32 v35, v34, v35
	v_mul_f32_e32 v34, v21, v45
	v_cmp_gt_f32_e32 vcc, s77, v34
	v_lshlrev_b32_e32 v73, 16, v36
	v_and_b32_e32 v77, 0xffff0000, v36
	v_cndmask_b32_e32 v34, 0, v92, vcc
	v_fmac_f32_e32 v34, v21, v45
	v_exp_f32_e32 v36, v34
	v_lshlrev_b32_e32 v10, 16, v38
	v_mul_f32_e32 v10, v5, v10
	v_cndmask_b32_e64 v34, 0, v10, s[22:23]
	v_cndmask_b32_e64 v10, 1.0, v35, s[22:23]
	v_cndmask_b32_e32 v35, 1.0, v93, vcc
	v_mul_f32_e32 v36, v36, v35
	v_mul_f32_e32 v35, v21, v46
	v_cmp_gt_f32_e32 vcc, s77, v35
	v_lshlrev_b32_e32 v80, 16, v37
	v_and_b32_e32 v22, 0xffff0000, v37
	v_cndmask_b32_e32 v35, 0, v92, vcc
	v_fmac_f32_e32 v35, v21, v46
	v_exp_f32_e32 v37, v35
	v_and_b32_e32 v11, 0xffff0000, v38
	v_mul_f32_e32 v11, v4, v11
	v_cndmask_b32_e64 v35, 0, v11, s[24:25]
	v_cndmask_b32_e64 v11, 1.0, v36, s[24:25]
	v_cndmask_b32_e32 v36, 1.0, v93, vcc
	v_mul_f32_e32 v37, v37, v36
	v_mul_f32_e32 v36, v21, v47
	v_cmp_gt_f32_e32 vcc, s77, v36
	v_lshlrev_b32_e32 v12, 16, v39
	v_mul_f32_e32 v12, v3, v12
	v_cndmask_b32_e32 v36, 0, v92, vcc
	v_fmac_f32_e32 v36, v21, v47
	v_exp_f32_e32 v38, v36
	v_cndmask_b32_e64 v36, 0, v12, s[26:27]
	v_cndmask_b32_e64 v12, 1.0, v37, s[26:27]
	v_cndmask_b32_e32 v37, 1.0, v93, vcc
	v_mul_f32_e32 v38, v38, v37
	v_mul_f32_e32 v37, v21, v48
	v_cmp_gt_f32_e32 vcc, s77, v37
	v_and_b32_e32 v13, 0xffff0000, v39
	v_mul_f32_e32 v13, v2, v13
	v_cndmask_b32_e32 v37, 0, v92, vcc
	v_fmac_f32_e32 v37, v21, v48
	v_exp_f32_e32 v39, v37
	v_cndmask_b32_e64 v37, 0, v13, s[28:29]
	v_cndmask_b32_e64 v13, 1.0, v38, s[28:29]
	v_cndmask_b32_e32 v38, 1.0, v93, vcc
	v_mul_f32_e32 v39, v39, v38
	v_mul_f32_e32 v38, v21, v49
	v_cmp_gt_f32_e32 vcc, s77, v38
	v_lshlrev_b32_e32 v17, 16, v40
	v_and_b32_e32 v18, 0xffff0000, v40
	v_cndmask_b32_e32 v38, 0, v92, vcc
	v_fmac_f32_e32 v38, v21, v49
	v_mul_f32_e32 v17, v85, v17
	v_exp_f32_e32 v40, v38
	v_cndmask_b32_e64 v89, 1.0, v39, s[30:31]
	v_mul_f32_e32 v39, v21, v94
	v_cndmask_b32_e64 v38, 0, v17, s[30:31]
	v_cndmask_b32_e32 v17, 1.0, v93, vcc
	v_cmp_gt_f32_e32 vcc, s77, v39
	v_mul_f32_e32 v17, v40, v17
	v_lshlrev_b32_e32 v19, 16, v41
	v_cndmask_b32_e32 v39, 0, v92, vcc
	v_fmac_f32_e32 v39, v21, v94
	v_exp_f32_e32 v40, v39
	v_mul_f32_e32 v18, v91, v18
	v_cndmask_b32_e64 v39, 0, v18, s[34:35]
	v_cndmask_b32_e64 v90, 1.0, v17, s[34:35]
	v_cndmask_b32_e32 v17, 1.0, v93, vcc
	v_mul_f32_e32 v18, v25, v19
	v_mul_f32_e32 v17, v40, v17
	v_cndmask_b32_e64 v40, 0, v18, s[36:37]
	scratch_load_dword v18, off, off offset:44 ; 4-byte Folded Reload
	v_and_b32_e32 v20, 0xffff0000, v41
	v_mul_f32_e32 v19, v21, v87
	v_cmp_gt_f32_e32 vcc, s77, v19
	v_cndmask_b32_e64 v84, 1.0, v17, s[36:37]
	s_waitcnt vmcnt(0)
	v_mul_f32_e32 v18, v18, v20
	v_cndmask_b32_e64 v41, 0, v18, s[38:39]
	scratch_load_dword v18, off, off offset:40 ; 4-byte Folded Reload
	v_cndmask_b32_e32 v19, 0, v92, vcc
	v_fmac_f32_e32 v19, v21, v87
	v_exp_f32_e32 v19, v19
	v_cndmask_b32_e32 v17, 1.0, v93, vcc
	v_mul_f32_e32 v20, v21, v8
	v_mul_f32_e32 v17, v19, v17
	;; [unrolled: 1-line block ×3, first 2 shown]
	v_cmp_gt_f32_e32 vcc, s77, v19
	v_cndmask_b32_e64 v50, 1.0, v17, s[38:39]
	s_waitcnt vmcnt(0)
	v_mul_f32_e32 v18, v18, v23
	v_cndmask_b32_e64 v74, 0, v18, s[40:41]
	scratch_load_dword v18, off, off offset:36 ; 4-byte Folded Reload
	v_cndmask_b32_e32 v19, 0, v92, vcc
	v_fmac_f32_e32 v19, v21, v88
	v_exp_f32_e32 v19, v19
	v_cndmask_b32_e32 v17, 1.0, v93, vcc
	v_mul_f32_e32 v23, v21, v14
	v_mul_f32_e32 v17, v19, v17
	;; [unrolled: 1-line block ×3, first 2 shown]
	v_cmp_gt_f32_e32 vcc, s77, v19
	v_cndmask_b32_e64 v86, 1.0, v17, s[40:41]
	s_waitcnt vmcnt(0)
	v_mul_f32_e32 v18, v18, v24
	v_cndmask_b32_e32 v19, 0, v92, vcc
	v_fmac_f32_e32 v19, v21, v6
	v_exp_f32_e32 v19, v19
	v_cndmask_b32_e32 v17, 1.0, v93, vcc
	v_cndmask_b32_e64 v75, 0, v18, s[42:43]
	v_mul_f32_e32 v24, v21, v15
	v_mul_f32_e32 v17, v19, v17
	;; [unrolled: 1-line block ×3, first 2 shown]
	v_cmp_gt_f32_e32 vcc, s77, v19
	v_cndmask_b32_e64 v17, 1.0, v17, s[42:43]
	s_nop 0
	v_cndmask_b32_e32 v19, 0, v92, vcc
	v_fmac_f32_e32 v19, v21, v7
	v_exp_f32_e32 v19, v19
	v_cndmask_b32_e32 v18, 1.0, v93, vcc
	v_cmp_gt_f32_e32 vcc, s77, v20
	v_mul_f32_e32 v18, v19, v18
	scratch_load_dword v19, off, off offset:32 ; 4-byte Folded Reload
	v_cndmask_b32_e32 v20, 0, v92, vcc
	v_fmac_f32_e32 v20, v21, v8
	v_exp_f32_e32 v20, v20
	s_waitcnt vmcnt(0)
	v_mul_f32_e32 v19, v19, v51
	v_cndmask_b32_e64 v78, 0, v19, s[44:45]
	scratch_load_dword v19, off, off offset:28 ; 4-byte Folded Reload
	v_cndmask_b32_e64 v51, 1.0, v18, s[44:45]
	v_cndmask_b32_e32 v18, 1.0, v93, vcc
	v_mul_f32_e32 v18, v20, v18
	v_mul_f32_e32 v20, v21, v9
	v_cmp_gt_f32_e32 vcc, s77, v20
	v_cndmask_b32_e64 v18, 1.0, v18, s[46:47]
	s_waitcnt vmcnt(0)
	v_mul_f32_e32 v19, v19, v70
	v_cndmask_b32_e32 v20, 0, v92, vcc
	v_fmac_f32_e32 v20, v21, v9
	v_exp_f32_e32 v20, v20
	v_cndmask_b32_e64 v79, 0, v19, s[46:47]
	v_cndmask_b32_e32 v19, 1.0, v93, vcc
	v_cmp_gt_f32_e32 vcc, s77, v23
	v_mul_f32_e32 v19, v20, v19
	scratch_load_dword v20, off, off offset:24 ; 4-byte Folded Reload
	v_cndmask_b32_e32 v23, 0, v92, vcc
	v_fmac_f32_e32 v23, v21, v14
	v_exp_f32_e32 v23, v23
	v_mul_f32_e32 v70, v21, v16
	v_cndmask_b32_e64 v19, 1.0, v19, s[48:49]
	s_waitcnt vmcnt(0)
	v_mul_f32_e32 v20, v20, v73
	v_cndmask_b32_e64 v76, 0, v20, s[48:49]
	v_cndmask_b32_e32 v20, 1.0, v93, vcc
	v_mul_f32_e32 v20, v23, v20
	scratch_load_dword v23, off, off offset:20 ; 4-byte Folded Reload
	v_cmp_gt_f32_e32 vcc, s77, v24
	v_cndmask_b32_e64 v20, 1.0, v20, s[50:51]
	s_waitcnt vmcnt(0)
	v_mul_f32_e32 v23, v23, v77
	v_cndmask_b32_e32 v24, 0, v92, vcc
	v_fmac_f32_e32 v24, v21, v15
	v_exp_f32_e32 v24, v24
	v_cndmask_b32_e64 v77, 0, v23, s[50:51]
	v_cndmask_b32_e32 v23, 1.0, v93, vcc
	v_cmp_gt_f32_e32 vcc, s77, v70
	v_mul_f32_e32 v23, v24, v23
	scratch_load_dword v24, off, off offset:16 ; 4-byte Folded Reload
	v_cndmask_b32_e32 v70, 0, v92, vcc
	v_fmac_f32_e32 v70, v21, v16
	v_exp_f32_e32 v70, v70
	v_cndmask_b32_e64 v21, 1.0, v23, s[52:53]
	v_cndmask_b32_e32 v23, 1.0, v93, vcc
	v_mul_f32_e32 v23, v70, v23
	s_waitcnt vmcnt(0)
	v_mul_f32_e32 v24, v24, v80
	v_cndmask_b32_e64 v80, 0, v24, s[52:53]
	scratch_load_dword v24, off, off offset:12 ; 4-byte Folded Reload
	s_waitcnt vmcnt(0)
	v_mul_f32_e32 v22, v24, v22
	v_cndmask_b32_e64 v81, 0, v22, s[54:55]
	v_cndmask_b32_e64 v22, 1.0, v23, s[54:55]
	v_mul_f32_e32 v23, v11, v10
	v_fma_f32 v24, v11, v34, v35
	v_mul_f32_e32 v23, v23, v12
	v_fma_f32 v24, v24, v12, v36
	;; [unrolled: 2-line block ×15, first 2 shown]
	s_nop 0
	v_mov_b32_dpp v24, v73 row_shr:1 row_mask:0xf bank_mask:0xf
	v_mov_b32_dpp v23, v70 row_shr:1 row_mask:0xf bank_mask:0xf
	s_and_saveexec_b64 s[94:95], s[4:5]
; %bb.62:                               ;   in Loop: Header=BB17_55 Depth=2
	v_mul_f32_e32 v24, v73, v24
	v_fmac_f32_e32 v70, v73, v23
	v_mov_b32_e32 v73, v24
; %bb.63:                               ;   in Loop: Header=BB17_55 Depth=2
	s_or_b64 exec, exec, s[94:95]
	s_nop 0
	v_mov_b32_dpp v23, v73 row_shr:2 row_mask:0xf bank_mask:0xf
	v_mov_b32_dpp v24, v70 row_shr:2 row_mask:0xf bank_mask:0xf
	s_and_saveexec_b64 s[94:95], s[6:7]
; %bb.64:                               ;   in Loop: Header=BB17_55 Depth=2
	v_fmac_f32_e32 v70, v73, v24
	v_mul_f32_e32 v73, v73, v23
; %bb.65:                               ;   in Loop: Header=BB17_55 Depth=2
	s_or_b64 exec, exec, s[94:95]
	s_nop 0
	v_mov_b32_dpp v23, v73 row_shr:4 row_mask:0xf bank_mask:0xf
	v_mov_b32_dpp v24, v70 row_shr:4 row_mask:0xf bank_mask:0xf
	s_and_saveexec_b64 s[94:95], s[8:9]
; %bb.66:                               ;   in Loop: Header=BB17_55 Depth=2
	v_fmac_f32_e32 v70, v73, v24
	v_mul_f32_e32 v73, v73, v23
	;; [unrolled: 9-line block ×3, first 2 shown]
; %bb.69:                               ;   in Loop: Header=BB17_55 Depth=2
	s_or_b64 exec, exec, s[94:95]
	s_nop 0
	v_mov_b32_dpp v23, v73 row_bcast:15 row_mask:0xf bank_mask:0xf
	v_mov_b32_dpp v24, v70 row_bcast:15 row_mask:0xf bank_mask:0xf
	s_and_saveexec_b64 s[94:95], s[12:13]
; %bb.70:                               ;   in Loop: Header=BB17_55 Depth=2
	v_fmac_f32_e32 v70, v73, v24
	v_mul_f32_e32 v73, v73, v23
; %bb.71:                               ;   in Loop: Header=BB17_55 Depth=2
	s_or_b64 exec, exec, s[94:95]
	s_nop 0
	v_mov_b32_dpp v23, v73 row_bcast:31 row_mask:0xf bank_mask:0xf
	v_mov_b32_dpp v24, v70 row_bcast:31 row_mask:0xf bank_mask:0xf
	v_mov_b32_e32 v83, v70
	v_mul_f32_e32 v23, v73, v23
	v_fmac_f32_e32 v83, v73, v24
	v_cndmask_b32_e64 v82, v73, v23, s[14:15]
	v_cndmask_b32_e64 v83, v70, v83, s[14:15]
	s_and_saveexec_b64 s[94:95], s[16:17]
	s_cbranch_execz .LBB17_73
; %bb.72:                               ;   in Loop: Header=BB17_55 Depth=2
	ds_write_b64 v43, v[82:83] offset:4224
.LBB17_73:                              ;   in Loop: Header=BB17_55 Depth=2
	s_or_b64 exec, exec, s[94:95]
	scratch_load_dword v24, off, off offset:56 ; 4-byte Folded Reload
	s_waitcnt lgkmcnt(0)
	; wave barrier
	s_waitcnt vmcnt(0) lgkmcnt(0)
	ds_bpermute_b32 v23, v24, v82
	ds_bpermute_b32 v24, v24, v83
	s_and_saveexec_b64 s[94:95], s[18:19]
	s_cbranch_execz .LBB17_77
; %bb.74:                               ;   in Loop: Header=BB17_55 Depth=2
	ds_read_b64 v[82:83], v43 offset:4224
	s_and_saveexec_b64 s[96:97], s[20:21]
	s_cbranch_execz .LBB17_76
; %bb.75:                               ;   in Loop: Header=BB17_55 Depth=2
	v_mov_b32_e32 v73, v71
	ds_write_b64 v43, v[72:73] offset:4224
.LBB17_76:                              ;   in Loop: Header=BB17_55 Depth=2
	s_or_b64 exec, exec, s[96:97]
	s_waitcnt lgkmcnt(0)
	v_mul_f32_e32 v73, v82, v71
	v_pk_add_f32 v[70:71], v[72:73], v[82:83]
	v_mul_f32_e32 v72, v72, v82
.LBB17_77:                              ;   in Loop: Header=BB17_55 Depth=2
	s_or_b64 exec, exec, s[94:95]
	s_waitcnt lgkmcnt(0)
	; wave barrier
	s_waitcnt lgkmcnt(0)
	ds_read_b32 v70, v43 offset:4228
	s_and_saveexec_b64 s[94:95], s[20:21]
	s_cbranch_execz .LBB17_54
; %bb.78:                               ;   in Loop: Header=BB17_55 Depth=2
	v_mov_b32_e32 v73, v71
	v_mov_b32_e32 v82, s1
	s_andn2_b64 vcc, exec, s[86:87]
	ds_write_b64 v82, v[72:73]
	s_cbranch_vccnz .LBB17_54
; %bb.79:                               ;   in Loop: Header=BB17_55 Depth=2
	v_bfe_u32 v72, v71, 16, 1
	s_mov_b32 s93, s79
	v_add3_u32 v72, v71, v72, s0
	s_lshl_b64 s[96:97], s[92:93], 1
	v_lshrrev_b32_e32 v72, 16, v72
	v_cmp_o_f32_e32 vcc, v71, v71
	v_mov_b32_e32 v71, 0x7fc0
	s_add_u32 s96, s65, s96
	v_cndmask_b32_e32 v71, v71, v72, vcc
	s_addc_u32 s97, s69, s97
	global_store_short v43, v71, s[96:97]
	s_branch .LBB17_54
.LBB17_80:                              ;   in Loop: Header=BB17_12 Depth=1
	scratch_load_dwordx2 v[28:29], off, off offset:140 ; 8-byte Folded Reload
	scratch_load_dwordx4 v[34:37], off, off offset:148 ; 16-byte Folded Reload
	s_mov_b32 s26, 0x3fb8aa3b
	s_mov_b32 s27, 0xc2ce8ed0
	;; [unrolled: 1-line block ×7, first 2 shown]
	v_mov_b32_e32 v25, 0x3ecc95a3
.LBB17_81:                              ;   in Loop: Header=BB17_12 Depth=1
	s_waitcnt lgkmcnt(0)
	; wave barrier
	scratch_load_dword v11, off, off offset:8 ; 4-byte Folded Reload
	v_bfe_u32 v2, v64, 16, 1
	v_bfe_u32 v3, v65, 16, 1
	v_add3_u32 v2, v64, v2, s0
	v_bfe_u32 v4, v62, 16, 1
	v_add3_u32 v3, v65, v3, s0
	v_lshrrev_b32_e32 v2, 16, v2
	v_cmp_o_f32_e32 vcc, v64, v64
	v_mov_b32_e32 v12, 0x7fc0
	v_bfe_u32 v5, v63, 16, 1
	v_add3_u32 v4, v62, v4, s0
	v_lshrrev_b32_e32 v3, 16, v3
	v_cndmask_b32_e32 v2, v12, v2, vcc
	v_cmp_o_f32_e32 vcc, v65, v65
	v_add3_u32 v5, v63, v5, s0
	v_lshrrev_b32_e32 v4, 16, v4
	v_cndmask_b32_e32 v6, v12, v3, vcc
	v_cmp_o_f32_e32 vcc, v62, v62
	v_lshrrev_b32_e32 v5, 16, v5
	v_bfe_u32 v8, v58, 16, 1
	v_cndmask_b32_e32 v3, v12, v4, vcc
	v_cmp_o_f32_e32 vcc, v63, v63
	v_bfe_u32 v4, v60, 16, 1
	v_add3_u32 v4, v60, v4, s0
	v_cndmask_b32_e32 v7, v12, v5, vcc
	v_bfe_u32 v5, v61, 16, 1
	v_add3_u32 v5, v61, v5, s0
	v_lshrrev_b32_e32 v4, 16, v4
	v_cmp_o_f32_e32 vcc, v60, v60
	v_bfe_u32 v9, v59, 16, 1
	v_add3_u32 v8, v58, v8, s0
	v_lshrrev_b32_e32 v5, 16, v5
	v_cndmask_b32_e32 v4, v12, v4, vcc
	v_cmp_o_f32_e32 vcc, v61, v61
	v_add3_u32 v9, v59, v9, s0
	v_lshrrev_b32_e32 v8, 16, v8
	v_cndmask_b32_e32 v10, v12, v5, vcc
	v_cmp_o_f32_e32 vcc, v58, v58
	v_lshrrev_b32_e32 v9, 16, v9
	s_mov_b32 s1, 0x5040100
	v_cndmask_b32_e32 v5, v12, v8, vcc
	v_cmp_o_f32_e32 vcc, v59, v59
	v_perm_b32 v4, v10, v4, s1
	v_perm_b32 v3, v7, v3, s1
	v_cndmask_b32_e32 v8, v12, v9, vcc
	v_perm_b32 v5, v8, v5, s1
	v_perm_b32 v2, v6, v2, s1
	v_cmp_o_f32_e32 vcc, v56, v56
	v_bfe_u32 v8, v0, 16, 1
	v_bfe_u32 v9, v1, 16, 1
	v_add3_u32 v8, v0, v8, s0
	v_add3_u32 v9, v1, v9, s0
	v_lshrrev_b32_e32 v8, 16, v8
	v_lshrrev_b32_e32 v9, 16, v9
	s_mov_b32 s3, s79
	s_lshl_b64 s[22:23], s[2:3], 1
	s_waitcnt vmcnt(0)
	ds_write_b128 v11, v[2:5]
	v_bfe_u32 v2, v56, 16, 1
	v_bfe_u32 v3, v57, 16, 1
	v_add3_u32 v2, v56, v2, s0
	v_bfe_u32 v4, v54, 16, 1
	v_add3_u32 v3, v57, v3, s0
	v_lshrrev_b32_e32 v2, 16, v2
	v_bfe_u32 v5, v55, 16, 1
	v_add3_u32 v4, v54, v4, s0
	v_lshrrev_b32_e32 v3, 16, v3
	v_cndmask_b32_e32 v2, v12, v2, vcc
	v_cmp_o_f32_e32 vcc, v57, v57
	v_add3_u32 v5, v55, v5, s0
	v_lshrrev_b32_e32 v4, 16, v4
	v_cndmask_b32_e32 v6, v12, v3, vcc
	v_cmp_o_f32_e32 vcc, v54, v54
	v_lshrrev_b32_e32 v5, 16, v5
	v_perm_b32 v2, v6, v2, s1
	v_cndmask_b32_e32 v3, v12, v4, vcc
	v_cmp_o_f32_e32 vcc, v55, v55
	v_bfe_u32 v4, v52, 16, 1
	v_add3_u32 v4, v52, v4, s0
	v_cndmask_b32_e32 v7, v12, v5, vcc
	v_bfe_u32 v5, v53, 16, 1
	v_add3_u32 v5, v53, v5, s0
	v_lshrrev_b32_e32 v4, 16, v4
	v_cmp_o_f32_e32 vcc, v52, v52
	v_lshrrev_b32_e32 v5, 16, v5
	v_perm_b32 v3, v7, v3, s1
	v_cndmask_b32_e32 v4, v12, v4, vcc
	v_cmp_o_f32_e32 vcc, v53, v53
	s_nop 1
	v_cndmask_b32_e32 v10, v12, v5, vcc
	v_cmp_o_f32_e32 vcc, v0, v0
	v_perm_b32 v4, v10, v4, s1
	s_nop 0
	v_cndmask_b32_e32 v5, v12, v8, vcc
	v_cmp_o_f32_e32 vcc, v1, v1
	s_nop 1
	v_cndmask_b32_e32 v8, v12, v9, vcc
	v_perm_b32 v5, v8, v5, s1
	ds_write_b128 v11, v[2:5] offset:16
	; wave barrier
	scratch_load_dwordx2 v[6:7], off, off offset:164 ; 8-byte Folded Reload
	scratch_load_dword v2, off, off         ; 4-byte Folded Reload
	s_waitcnt vmcnt(1)
	v_lshl_add_u64 v[10:11], v[6:7], 0, s[22:23]
	scratch_load_dword v6, off, off offset:4 ; 4-byte Folded Reload
	s_waitcnt vmcnt(1)
	ds_read_b128 v[2:5], v2
	s_waitcnt vmcnt(0)
	ds_read_b128 v[6:9], v6 offset:1024
	s_waitcnt lgkmcnt(1)
	global_store_short v[10:11], v2, off
	v_alignbit_b32 v12, v3, v2, 16
	v_alignbit_b32 v2, v5, v4, 16
	;; [unrolled: 1-line block ×3, first 2 shown]
	global_store_short_d16_hi v[10:11], v5, off offset:14
	global_store_dword v[10:11], v2, off offset:10
	global_store_dwordx2 v[10:11], v[12:13], off offset:2
	s_waitcnt lgkmcnt(0)
	global_store_dwordx4 v[10:11], v[6:9], off offset:1024
	s_waitcnt lgkmcnt(0)
	; wave barrier
	scratch_load_dwordx2 v[2:3], off, off offset:172 ; 8-byte Folded Reload
	s_waitcnt vmcnt(0)
	v_lshl_add_u64 v[26:27], v[2:3], 0, s[22:23]
	s_mov_b64 s[22:23], exec
	scratch_load_dwordx4 v[6:9], off, off offset:124 ; 16-byte Folded Reload
	v_readlane_b32 s24, v95, 6
	v_readlane_b32 s25, v95, 7
	s_and_b64 s[24:25], s[22:23], s[24:25]
	s_mov_b64 exec, s[24:25]
	s_cbranch_execz .LBB17_83
; %bb.82:                               ;   in Loop: Header=BB17_12 Depth=1
	global_load_dwordx4 v[6:9], v[26:27], off
.LBB17_83:                              ;   in Loop: Header=BB17_12 Depth=1
	s_or_b64 exec, exec, s[22:23]
	s_mov_b64 s[22:23], exec
	scratch_load_dwordx4 v[2:5], off, off offset:108 ; 16-byte Folded Reload
	v_readlane_b32 s24, v95, 8
	v_readlane_b32 s25, v95, 9
	s_and_b64 s[24:25], s[22:23], s[24:25]
	s_mov_b64 exec, s[24:25]
	s_cbranch_execz .LBB17_11
; %bb.84:                               ;   in Loop: Header=BB17_12 Depth=1
	global_load_dwordx4 v[2:5], v[26:27], off offset:1024
	s_branch .LBB17_11
.LBB17_85:
	s_endpgm
	.section	.rodata,"a",@progbits
	.p2align	6, 0x0
	.amdhsa_kernel _Z25selective_scan_fwd_kernelI32Selective_Scan_fwd_kernel_traitsILi64ELi16ELi1ELb1ELb1ELb1ELb1ELb0EN3c108BFloat16EfS2_EEv13SSMParamsBase
		.amdhsa_group_segment_fixed_size 0
		.amdhsa_private_segment_fixed_size 256
		.amdhsa_kernarg_size 248
		.amdhsa_user_sgpr_count 2
		.amdhsa_user_sgpr_dispatch_ptr 0
		.amdhsa_user_sgpr_queue_ptr 0
		.amdhsa_user_sgpr_kernarg_segment_ptr 1
		.amdhsa_user_sgpr_dispatch_id 0
		.amdhsa_user_sgpr_kernarg_preload_length 0
		.amdhsa_user_sgpr_kernarg_preload_offset 0
		.amdhsa_user_sgpr_private_segment_size 0
		.amdhsa_uses_dynamic_stack 0
		.amdhsa_enable_private_segment 1
		.amdhsa_system_sgpr_workgroup_id_x 1
		.amdhsa_system_sgpr_workgroup_id_y 1
		.amdhsa_system_sgpr_workgroup_id_z 0
		.amdhsa_system_sgpr_workgroup_info 0
		.amdhsa_system_vgpr_workitem_id 0
		.amdhsa_next_free_vgpr 96
		.amdhsa_next_free_sgpr 100
		.amdhsa_accum_offset 96
		.amdhsa_reserve_vcc 1
		.amdhsa_float_round_mode_32 0
		.amdhsa_float_round_mode_16_64 0
		.amdhsa_float_denorm_mode_32 3
		.amdhsa_float_denorm_mode_16_64 3
		.amdhsa_dx10_clamp 1
		.amdhsa_ieee_mode 1
		.amdhsa_fp16_overflow 0
		.amdhsa_tg_split 0
		.amdhsa_exception_fp_ieee_invalid_op 0
		.amdhsa_exception_fp_denorm_src 0
		.amdhsa_exception_fp_ieee_div_zero 0
		.amdhsa_exception_fp_ieee_overflow 0
		.amdhsa_exception_fp_ieee_underflow 0
		.amdhsa_exception_fp_ieee_inexact 0
		.amdhsa_exception_int_div_zero 0
	.end_amdhsa_kernel
	.section	.text._Z25selective_scan_fwd_kernelI32Selective_Scan_fwd_kernel_traitsILi64ELi16ELi1ELb1ELb1ELb1ELb1ELb0EN3c108BFloat16EfS2_EEv13SSMParamsBase,"axG",@progbits,_Z25selective_scan_fwd_kernelI32Selective_Scan_fwd_kernel_traitsILi64ELi16ELi1ELb1ELb1ELb1ELb1ELb0EN3c108BFloat16EfS2_EEv13SSMParamsBase,comdat
.Lfunc_end17:
	.size	_Z25selective_scan_fwd_kernelI32Selective_Scan_fwd_kernel_traitsILi64ELi16ELi1ELb1ELb1ELb1ELb1ELb0EN3c108BFloat16EfS2_EEv13SSMParamsBase, .Lfunc_end17-_Z25selective_scan_fwd_kernelI32Selective_Scan_fwd_kernel_traitsILi64ELi16ELi1ELb1ELb1ELb1ELb1ELb0EN3c108BFloat16EfS2_EEv13SSMParamsBase
                                        ; -- End function
	.section	.AMDGPU.csdata,"",@progbits
; Kernel info:
; codeLenInByte = 20712
; NumSgprs: 106
; NumVgprs: 96
; NumAgprs: 0
; TotalNumVgprs: 96
; ScratchSize: 256
; MemoryBound: 1
; FloatMode: 240
; IeeeMode: 1
; LDSByteSize: 0 bytes/workgroup (compile time only)
; SGPRBlocks: 13
; VGPRBlocks: 11
; NumSGPRsForWavesPerEU: 106
; NumVGPRsForWavesPerEU: 96
; AccumOffset: 96
; Occupancy: 5
; WaveLimiterHint : 1
; COMPUTE_PGM_RSRC2:SCRATCH_EN: 1
; COMPUTE_PGM_RSRC2:USER_SGPR: 2
; COMPUTE_PGM_RSRC2:TRAP_HANDLER: 0
; COMPUTE_PGM_RSRC2:TGID_X_EN: 1
; COMPUTE_PGM_RSRC2:TGID_Y_EN: 1
; COMPUTE_PGM_RSRC2:TGID_Z_EN: 0
; COMPUTE_PGM_RSRC2:TIDIG_COMP_CNT: 0
; COMPUTE_PGM_RSRC3_GFX90A:ACCUM_OFFSET: 23
; COMPUTE_PGM_RSRC3_GFX90A:TG_SPLIT: 0
	.section	.text._Z25selective_scan_fwd_kernelI32Selective_Scan_fwd_kernel_traitsILi64ELi16ELi1ELb1ELb1ELb1ELb0ELb1EN3c108BFloat16EfS2_EEv13SSMParamsBase,"axG",@progbits,_Z25selective_scan_fwd_kernelI32Selective_Scan_fwd_kernel_traitsILi64ELi16ELi1ELb1ELb1ELb1ELb0ELb1EN3c108BFloat16EfS2_EEv13SSMParamsBase,comdat
	.protected	_Z25selective_scan_fwd_kernelI32Selective_Scan_fwd_kernel_traitsILi64ELi16ELi1ELb1ELb1ELb1ELb0ELb1EN3c108BFloat16EfS2_EEv13SSMParamsBase ; -- Begin function _Z25selective_scan_fwd_kernelI32Selective_Scan_fwd_kernel_traitsILi64ELi16ELi1ELb1ELb1ELb1ELb0ELb1EN3c108BFloat16EfS2_EEv13SSMParamsBase
	.globl	_Z25selective_scan_fwd_kernelI32Selective_Scan_fwd_kernel_traitsILi64ELi16ELi1ELb1ELb1ELb1ELb0ELb1EN3c108BFloat16EfS2_EEv13SSMParamsBase
	.p2align	8
	.type	_Z25selective_scan_fwd_kernelI32Selective_Scan_fwd_kernel_traitsILi64ELi16ELi1ELb1ELb1ELb1ELb0ELb1EN3c108BFloat16EfS2_EEv13SSMParamsBase,@function
_Z25selective_scan_fwd_kernelI32Selective_Scan_fwd_kernel_traitsILi64ELi16ELi1ELb1ELb1ELb1ELb0ELb1EN3c108BFloat16EfS2_EEv13SSMParamsBase: ; @_Z25selective_scan_fwd_kernelI32Selective_Scan_fwd_kernel_traitsILi64ELi16ELi1ELb1ELb1ELb1ELb0ELb1EN3c108BFloat16EfS2_EEv13SSMParamsBase
; %bb.0:
	s_load_dword s27, s[0:1], 0x18
	s_load_dwordx4 s[4:7], s[0:1], 0xe0
	s_load_dwordx2 s[10:11], s[0:1], 0xf0
	s_mov_b32 s20, s3
	s_ashr_i32 s3, s2, 31
	s_waitcnt lgkmcnt(0)
	s_abs_i32 s26, s27
	v_cvt_f32_u32_e32 v1, s26
	s_lshl_b64 s[8:9], s[2:3], 2
	s_add_u32 s24, s4, s8
	s_addc_u32 s25, s5, s9
	v_rcp_iflag_f32_e32 v1, v1
	s_cmp_eq_u64 s[10:11], 0
                                        ; implicit-def: $vgpr95 : SGPR spill to VGPR lane
	v_mul_f32_e32 v1, 0x4f7ffffe, v1
	v_cvt_u32_f32_e32 v1, v1
	s_nop 0
	v_readfirstlane_b32 s28, v1
	s_cbranch_scc1 .LBB18_2
; %bb.1:
	s_add_u32 s4, s10, s2
	s_addc_u32 s5, s11, s3
	v_mov_b32_e32 v1, 0
	global_load_ubyte v1, v1, s[4:5]
	s_waitcnt vmcnt(0)
	v_and_b32_e32 v1, 1, v1
	v_cmp_eq_u32_e64 s[4:5], 1, v1
	s_branch .LBB18_3
.LBB18_2:
	s_mov_b64 s[4:5], 0
.LBB18_3:
	s_nop 0
	v_writelane_b32 v95, s4, 0
	s_cmp_eq_u64 s[6:7], 0
	s_nop 0
	v_writelane_b32 v95, s5, 1
	s_load_dwordx2 s[4:5], s[0:1], 0x20
	s_cbranch_scc1 .LBB18_5
; %bb.4:
	s_add_u32 s2, s6, s8
	s_addc_u32 s3, s7, s9
	s_load_dword s2, s[2:3], 0x0
	s_waitcnt lgkmcnt(0)
	s_ashr_i32 s3, s2, 31
.LBB18_5:
	s_waitcnt lgkmcnt(0)
	s_cmp_eq_u64 s[4:5], s[2:3]
	s_cbranch_scc1 .LBB18_234
; %bb.6:
	s_load_dwordx16 s[4:19], s[0:1], 0x88
	s_load_dwordx2 s[22:23], s[24:25], 0x0
	s_mov_b32 s3, 0
	v_writelane_b32 v95, s3, 2
	v_writelane_b32 v95, s3, 3
	s_waitcnt lgkmcnt(0)
	s_cmp_eq_u64 s[10:11], 0
	s_cbranch_scc1 .LBB18_8
; %bb.7:
	s_ashr_i32 s21, s20, 31
	s_lshl_b64 s[24:25], s[20:21], 2
	s_add_u32 s10, s10, s24
	s_addc_u32 s11, s11, s25
	s_load_dword s3, s[10:11], 0x0
	s_waitcnt lgkmcnt(0)
	v_writelane_b32 v95, s3, 3
.LBB18_8:
	s_cmp_eq_u64 s[16:17], 0
	s_cbranch_scc1 .LBB18_10
; %bb.9:
	s_ashr_i32 s21, s20, 31
	s_lshl_b64 s[10:11], s[20:21], 2
	s_add_u32 s10, s16, s10
	s_addc_u32 s11, s17, s11
	s_load_dword s3, s[10:11], 0x0
	s_waitcnt lgkmcnt(0)
	v_writelane_b32 v95, s3, 2
.LBB18_10:
	s_sub_i32 s29, s23, s22
	s_cmp_lt_i32 s29, 1
	s_cbranch_scc1 .LBB18_234
; %bb.11:
	v_mbcnt_lo_u32_b32 v1, -1, 0
	v_mbcnt_hi_u32_b32 v20, -1, v1
	s_sub_i32 s3, 0, s26
	v_lshrrev_b32_e32 v1, 5, v20
	s_mul_i32 s3, s3, s28
	v_and_b32_e32 v1, 2, v1
	s_mul_hi_u32 s3, s28, s3
	v_add_u32_e32 v1, v1, v20
	s_abs_i32 s21, s20
	s_add_i32 s28, s28, s3
	v_add_u32_e32 v2, 64, v20
	v_lshl_add_u32 v1, v1, 1, 0
	s_load_dwordx8 s[36:43], s[0:1], 0x2c
	s_load_dwordx2 s[10:11], s[0:1], 0x5c
	s_load_dwordx4 s[44:47], s[0:1], 0x4c
	s_load_dwordx4 s[48:51], s[0:1], 0x7c
	s_load_dwordx2 s[24:25], s[0:1], 0x6c
	s_load_dwordx2 s[16:17], s[0:1], 0xc8
	s_mul_hi_u32 s3, s21, s28
	s_load_dword s28, s[0:1], 0xc
	s_load_dword s23, s[0:1], 0x28
	scratch_store_dword off, v1, off offset:4 ; 4-byte Folded Spill
	scratch_store_dword off, v2, off offset:184 ; 4-byte Folded Spill
	v_lshrrev_b32_e32 v1, 5, v2
	s_ashr_i32 s0, s20, 31
	s_ashr_i32 s1, s27, 31
	v_and_b32_e32 v1, 6, v1
	s_xor_b32 s0, s0, s1
	s_mul_i32 s1, s3, s26
	v_add_lshl_u32 v1, v1, v20, 1
	s_sub_i32 s1, s21, s1
	v_or_b32_e32 v3, 0x80, v20
	v_add_u32_e32 v2, 0, v1
	s_add_i32 s21, s3, 1
	s_sub_i32 s27, s1, s26
	scratch_store_dword off, v2, off offset:8 ; 4-byte Folded Spill
	scratch_store_dword off, v3, off offset:188 ; 4-byte Folded Spill
	v_lshrrev_b32_e32 v2, 5, v3
	s_cmp_ge_u32 s1, s26
	v_and_b32_e32 v2, 6, v2
	s_cselect_b32 s3, s21, s3
	v_add_lshl_u32 v2, v2, v20, 1
	s_cselect_b32 s1, s27, s1
	s_add_i32 s21, s3, 1
	v_add_u32_e32 v4, 0xc0, v20
	v_add_u32_e32 v3, 0, v2
	s_cmp_ge_u32 s1, s26
	scratch_store_dword off, v3, off offset:12 ; 4-byte Folded Spill
	scratch_store_dword off, v4, off offset:192 ; 4-byte Folded Spill
	v_lshrrev_b32_e32 v3, 5, v4
	s_cselect_b32 s1, s21, s3
	v_and_b32_e32 v3, 14, v3
	s_xor_b32 s1, s1, s0
	s_waitcnt lgkmcnt(0)
	s_mul_i32 s92, s22, s46
	s_mov_b32 s93, 0
	v_add_lshl_u32 v3, v3, v20, 1
	s_sub_i32 s3, s1, s0
	s_lshl_b64 s[0:1], s[92:93], 1
	v_or_b32_e32 v5, 0x100, v20
	v_add_u32_e32 v4, 0, v3
	s_add_u32 s12, s12, s0
	s_mul_i32 s92, s47, s20
	scratch_store_dword off, v4, off offset:16 ; 4-byte Folded Spill
	scratch_store_dword off, v5, off offset:196 ; 4-byte Folded Spill
	v_lshrrev_b32_e32 v4, 5, v5
	s_addc_u32 s13, s13, s1
	s_lshl_b64 s[0:1], s[92:93], 1
	v_and_b32_e32 v4, 10, v4
	s_add_u32 s26, s12, s0
	s_mul_i32 s92, s22, s10
	v_add_lshl_u32 v4, v4, v20, 1
	s_addc_u32 s27, s13, s1
	s_lshl_b64 s[0:1], s[92:93], 1
	v_add_u32_e32 v6, 0x140, v20
	v_add_u32_e32 v5, 0, v4
	s_add_u32 s10, s14, s0
	s_mul_i32 s92, s11, s20
	scratch_store_dword off, v5, off offset:20 ; 4-byte Folded Spill
	scratch_store_dword off, v6, off offset:200 ; 4-byte Folded Spill
	v_lshrrev_b32_e32 v5, 5, v6
	s_addc_u32 s12, s15, s1
	s_lshl_b64 s[0:1], s[92:93], 1
	v_and_b32_e32 v5, 14, v5
	s_add_u32 s0, s10, s0
	v_add_lshl_u32 v5, v5, v20, 1
	s_addc_u32 s1, s12, s1
	v_or_b32_e32 v7, 0x180, v20
	v_add_u32_e32 v6, 0, v5
	v_writelane_b32 v95, s0, 4
	s_mul_i32 s92, s36, s20
	scratch_store_dword off, v6, off offset:24 ; 4-byte Folded Spill
	scratch_store_dword off, v7, off offset:204 ; 4-byte Folded Spill
	v_lshrrev_b32_e32 v6, 5, v7
	v_writelane_b32 v95, s1, 5
	s_lshl_b64 s[0:1], s[92:93], 2
	v_and_b32_e32 v6, 14, v6
	s_add_u32 s99, s4, s0
	v_add_lshl_u32 v6, v6, v20, 1
	s_addc_u32 s0, s5, s1
	s_mul_i32 s92, s22, s38
	v_add_u32_e32 v8, 0x1c0, v20
	v_add_u32_e32 v7, 0, v6
	v_writelane_b32 v95, s0, 6
	s_lshl_b64 s[0:1], s[92:93], 1
	scratch_store_dword off, v7, off offset:28 ; 4-byte Folded Spill
	scratch_store_dword off, v8, off offset:208 ; 4-byte Folded Spill
	v_lshrrev_b32_e32 v7, 5, v8
	s_add_u32 s4, s6, s0
	s_mul_i32 s92, s3, s41
	v_and_b32_e32 v7, 30, v7
	s_addc_u32 s5, s7, s1
	s_lshl_b64 s[0:1], s[92:93], 1
	v_add_lshl_u32 v7, v7, v20, 1
	s_add_u32 s0, s4, s0
	v_or_b32_e32 v9, 0x200, v20
	v_add_u32_e32 v8, 0, v7
	s_addc_u32 s1, s5, s1
	scratch_store_dword off, v8, off offset:32 ; 4-byte Folded Spill
	scratch_store_dword off, v9, off offset:212 ; 4-byte Folded Spill
	v_lshrrev_b32_e32 v8, 5, v9
	v_writelane_b32 v95, s0, 7
	v_and_b32_e32 v8, 18, v8
	v_add_lshl_u32 v8, v8, v20, 1
	v_writelane_b32 v95, s1, 8
	v_writelane_b32 v95, s36, 9
	v_add_u32_e32 v10, 0x240, v20
	v_add_u32_e32 v9, 0, v8
	v_writelane_b32 v95, s37, 10
	scratch_store_dword off, v9, off offset:36 ; 4-byte Folded Spill
	scratch_store_dword off, v10, off offset:216 ; 4-byte Folded Spill
	v_lshrrev_b32_e32 v9, 5, v10
	v_writelane_b32 v95, s38, 11
	v_and_b32_e32 v9, 22, v9
	v_writelane_b32 v95, s39, 12
	v_add_lshl_u32 v9, v9, v20, 1
	v_writelane_b32 v95, s40, 13
	v_or_b32_e32 v11, 0x280, v20
	v_add_u32_e32 v10, 0, v9
	v_writelane_b32 v95, s41, 14
	scratch_store_dword off, v10, off offset:40 ; 4-byte Folded Spill
	scratch_store_dword off, v11, off offset:220 ; 4-byte Folded Spill
	v_lshrrev_b32_e32 v10, 5, v11
	v_writelane_b32 v95, s42, 15
	s_mul_i32 s92, s22, s42
	v_and_b32_e32 v10, 22, v10
	v_writelane_b32 v95, s43, 16
	s_lshl_b64 s[0:1], s[92:93], 1
	v_add_lshl_u32 v10, v10, v20, 1
	s_add_u32 s4, s8, s0
	v_writelane_b32 v95, s44, 17
	s_mul_i32 s92, s3, s45
	v_add_u32_e32 v12, 0x2c0, v20
	v_add_u32_e32 v11, 0, v10
	s_addc_u32 s5, s9, s1
	v_writelane_b32 v95, s45, 18
	s_lshl_b64 s[0:1], s[92:93], 1
	scratch_store_dword off, v11, off offset:44 ; 4-byte Folded Spill
	scratch_store_dword off, v12, off offset:224 ; 4-byte Folded Spill
	v_lshrrev_b32_e32 v11, 5, v12
	v_writelane_b32 v95, s46, 19
	s_add_u32 s0, s4, s0
	v_and_b32_e32 v11, 30, v11
	v_writelane_b32 v95, s47, 20
	s_addc_u32 s1, s5, s1
	v_add_lshl_u32 v11, v11, v20, 1
	v_writelane_b32 v95, s0, 21
	v_or_b32_e32 v13, 0x300, v20
	v_add_u32_e32 v12, 0, v11
	v_writelane_b32 v95, s1, 22
	s_mul_i32 s92, s2, s48
	scratch_store_dword off, v12, off offset:48 ; 4-byte Folded Spill
	scratch_store_dword off, v13, off offset:228 ; 4-byte Folded Spill
	v_lshrrev_b32_e32 v12, 5, v13
	s_lshl_b64 s[0:1], s[92:93], 1
	v_writelane_b32 v95, s48, 23
	v_and_b32_e32 v12, 26, v12
	s_add_u32 s2, s16, s0
	v_writelane_b32 v95, s49, 24
	s_mul_i32 s92, s49, s20
	v_add_lshl_u32 v12, v12, v20, 1
	s_addc_u32 s3, s17, s1
	v_writelane_b32 v95, s50, 25
	s_lshl_b64 s[0:1], s[92:93], 1
	v_add_u32_e32 v14, 0x340, v20
	v_add_u32_e32 v13, 0, v12
	v_writelane_b32 v95, s51, 26
	s_add_u32 s0, s2, s0
	scratch_store_dword off, v13, off offset:52 ; 4-byte Folded Spill
	scratch_store_dword off, v14, off offset:232 ; 4-byte Folded Spill
	v_lshrrev_b32_e32 v13, 5, v14
	v_writelane_b32 v95, s0, 27
	s_addc_u32 s0, s3, s1
	v_and_b32_e32 v13, 30, v13
	v_writelane_b32 v95, s0, 28
	s_add_i32 s0, s29, 0x7ff
	v_add_lshl_u32 v13, v13, v20, 1
	s_lshr_b32 s1, s0, 11
	v_or_b32_e32 v15, 0x380, v20
	v_add_u32_e32 v14, 0, v13
	scratch_store_dword off, v14, off offset:56 ; 4-byte Folded Spill
	scratch_store_dword off, v15, off offset:236 ; 4-byte Folded Spill
	v_lshrrev_b32_e32 v14, 5, v15
	s_bitcmp1_b32 s23, 0
	v_and_b32_e32 v14, 30, v14
	s_cselect_b64 s[4:5], -1, 0
	s_cmp_gt_i32 s28, 0
	v_add_lshl_u32 v14, v14, v20, 1
	s_cselect_b64 s[2:3], -1, 0
	s_add_i32 s0, 0, 0x840
	v_add_u32_e32 v15, 0, v14
	v_add_u32_e32 v1, s0, v1
	;; [unrolled: 1-line block ×3, first 2 shown]
	scratch_store_dword off, v15, off offset:60 ; 4-byte Folded Spill
	scratch_store_dword off, v16, off offset:240 ; 4-byte Folded Spill
	;; [unrolled: 1-line block ×3, first 2 shown]
	v_add_u32_e32 v1, s0, v2
	scratch_store_dword off, v1, off offset:104 ; 4-byte Folded Spill
	v_add_u32_e32 v1, s0, v3
	scratch_store_dword off, v1, off offset:108 ; 4-byte Folded Spill
	v_add_u32_e32 v1, s0, v4
	scratch_store_dword off, v1, off offset:112 ; 4-byte Folded Spill
	v_add_u32_e32 v1, s0, v5
	scratch_store_dword off, v1, off offset:116 ; 4-byte Folded Spill
	v_add_u32_e32 v1, s0, v6
	scratch_store_dword off, v1, off offset:120 ; 4-byte Folded Spill
	v_add_u32_e32 v1, s0, v7
	scratch_store_dword off, v1, off offset:124 ; 4-byte Folded Spill
	v_add_u32_e32 v1, s0, v8
	scratch_store_dword off, v1, off offset:128 ; 4-byte Folded Spill
	v_add_u32_e32 v1, s0, v9
	v_lshrrev_b32_e32 v15, 5, v16
	scratch_store_dword off, v1, off offset:132 ; 4-byte Folded Spill
	v_add_u32_e32 v1, s0, v10
	v_and_b32_e32 v15, 62, v15
	scratch_store_dword off, v1, off offset:136 ; 4-byte Folded Spill
	v_add_u32_e32 v1, s0, v11
	v_add_lshl_u32 v15, v15, v20, 1
	scratch_store_dword off, v1, off offset:140 ; 4-byte Folded Spill
	v_add_u32_e32 v1, s0, v12
	v_add_u32_e32 v16, 0, v15
	v_lshrrev_b32_e32 v18, 1, v20
	scratch_store_dword off, v1, off offset:144 ; 4-byte Folded Spill
	v_add_u32_e32 v1, s0, v13
	scratch_store_dword off, v16, off offset:64 ; 4-byte Folded Spill
	v_lshlrev_b32_e32 v16, 4, v20
	v_and_b32_e32 v18, 62, v18
	scratch_store_dword off, v1, off offset:148 ; 4-byte Folded Spill
	v_add_u32_e32 v1, s0, v14
	v_add_lshl_u32 v16, v18, v16, 1
	v_writelane_b32 v95, s28, 29
	scratch_store_dword off, v1, off offset:152 ; 4-byte Folded Spill
	v_add_u32_e32 v1, s0, v15
	v_writelane_b32 v95, s2, 30
	scratch_store_dword off, v1, off offset:156 ; 4-byte Folded Spill
	v_add_u32_e32 v1, s0, v16
	s_and_b32 s0, s29, 0x3ff
	v_writelane_b32 v95, s3, 31
	s_cmp_eq_u32 s0, 0
	v_writelane_b32 v95, s29, 32
	s_cselect_b64 s[2:3], -1, 0
	scratch_store_dword off, v1, off offset:160 ; 4-byte Folded Spill
	v_writelane_b32 v95, s2, 33
	v_and_b32_e32 v1, 15, v20
	v_cmp_lt_u32_e64 s[6:7], 7, v1
	v_writelane_b32 v95, s3, 34
	v_cmp_ne_u32_e64 s[2:3], 0, v1
	s_add_i32 s0, s1, -1
	s_mul_i32 s92, s22, s24
	v_writelane_b32 v95, s2, 35
	v_and_b32_e32 v2, 64, v20
	v_lshlrev_b32_e32 v19, 4, v0
	v_writelane_b32 v95, s3, 36
	v_cmp_lt_u32_e64 s[2:3], 1, v1
	v_cmp_gt_u32_e64 s[14:15], 64, v0
	v_cmp_eq_u32_e64 s[16:17], 0, v0
	v_writelane_b32 v95, s2, 37
	v_add_u32_e32 v18, 0, v16
	v_mov_b32_e32 v17, 0
	v_writelane_b32 v95, s3, 38
	v_cmp_lt_u32_e64 s[2:3], 3, v1
	v_writelane_b32 v95, s6, 39
	v_and_b32_e32 v1, 16, v20
	scratch_store_dword off, v18, off       ; 4-byte Folded Spill
	v_writelane_b32 v95, s7, 40
	v_cmp_ne_u32_e64 s[6:7], 0, v1
	v_add_u32_e32 v1, -1, v20
	v_cmp_lt_i32_e32 vcc, v1, v2
	v_writelane_b32 v95, s6, 41
	v_lshlrev_b32_e32 v16, 1, v20
	v_cndmask_b32_e32 v1, v1, v20, vcc
	v_writelane_b32 v95, s7, 42
	v_writelane_b32 v95, s1, 43
	;; [unrolled: 1-line block ×3, first 2 shown]
	s_lshl_b64 s[0:1], s[92:93], 1
	s_add_u32 s18, s18, s0
	s_addc_u32 s19, s19, s1
	v_cmp_eq_u32_e64 s[0:1], 63, v0
	v_lshlrev_b32_e32 v1, 2, v1
	v_mov_b32_e32 v0, v20
	scratch_store_dwordx2 off, v[0:1], off offset:176 ; 8-byte Folded Spill
	v_or_b32_e32 v0, 1, v19
	scratch_store_dword off, v0, off offset:256 ; 4-byte Folded Spill
	v_or_b32_e32 v0, 2, v19
	scratch_store_dword off, v0, off offset:260 ; 4-byte Folded Spill
	;; [unrolled: 2-line block ×6, first 2 shown]
                                        ; implicit-def: $vgpr0
	v_writelane_b32 v95, s0, 45
	v_or_b32_e32 v0, 7, v19
	scratch_store_dword off, v0, off offset:280 ; 4-byte Folded Spill
	v_or_b32_e32 v0, 8, v19
	s_mul_i32 s92, s25, s20
	scratch_store_dword off, v0, off offset:284 ; 4-byte Folded Spill
	v_or_b32_e32 v0, 9, v19
	v_writelane_b32 v95, s1, 46
	s_lshl_b64 s[0:1], s[92:93], 1
	scratch_store_dword off, v0, off offset:288 ; 4-byte Folded Spill
	v_or_b32_e32 v0, 10, v19
	s_add_u32 s0, s18, s0
	scratch_store_dword off, v0, off offset:292 ; 4-byte Folded Spill
	v_or_b32_e32 v0, 11, v19
	s_addc_u32 s1, s19, s1
	s_add_i32 s18, 0, 0x1088
	scratch_store_dword off, v0, off offset:296 ; 4-byte Folded Spill
	v_or_b32_e32 v0, 12, v19
	v_writelane_b32 v95, s18, 47
	scratch_store_dword off, v0, off offset:300 ; 4-byte Folded Spill
	v_or_b32_e32 v0, 13, v19
	scratch_store_dword off, v0, off offset:304 ; 4-byte Folded Spill
	v_or_b32_e32 v0, 14, v19
	v_writelane_b32 v95, s99, 48
	scratch_store_dword off, v1, off offset:164 ; 4-byte Folded Spill
	scratch_store_dword off, v0, off offset:308 ; 4-byte Folded Spill
	;; [unrolled: 1-line block ×3, first 2 shown]
	v_or_b32_e32 v0, 15, v19
	v_writelane_b32 v95, s4, 49
	v_cmp_lt_u32_e64 s[12:13], 31, v20
	s_mov_b32 s6, 0x41a00000
	s_mov_b32 s7, 0x3fb8aa3b
	;; [unrolled: 1-line block ×10, first 2 shown]
	scratch_store_dword off, v0, off offset:312 ; 4-byte Folded Spill
	v_mov_b32_e32 v40, 0x3ecc95a3
	v_mov_b32_e32 v41, 0x7f800000
	;; [unrolled: 1-line block ×4, first 2 shown]
	v_lshl_add_u64 v[0:1], s[0:1], 0, v[16:17]
	v_mov_b32_e32 v42, 0x3f317218
	v_writelane_b32 v95, s5, 50
	scratch_store_dwordx2 off, v[0:1], off offset:244 ; 8-byte Folded Spill
	s_branch .LBB18_13
.LBB18_12:                              ;   in Loop: Header=BB18_13 Depth=1
	s_or_b64 exec, exec, s[18:19]
	v_readlane_b32 s0, v95, 4
	v_readlane_b32 s1, v95, 5
	s_add_u32 s0, s0, 0x800
	s_addc_u32 s1, s1, 0
	v_writelane_b32 v95, s0, 4
	s_nop 1
	v_writelane_b32 v95, s1, 5
	s_nop 0
	v_readlane_b32 s26, v95, 54
	v_readlane_b32 s27, v95, 55
	s_add_u32 s26, s26, 0x800
	s_addc_u32 s27, s27, 0
	v_readlane_b32 s0, v95, 7
	v_readlane_b32 s1, v95, 8
	s_add_u32 s0, s0, 0x800
	s_addc_u32 s1, s1, 0
	v_writelane_b32 v95, s0, 7
	s_nop 1
	v_writelane_b32 v95, s1, 8
	s_nop 0
	v_readlane_b32 s0, v95, 21
	v_readlane_b32 s1, v95, 22
	s_add_u32 s0, s0, 0x800
	s_addc_u32 s1, s1, 0
	v_writelane_b32 v95, s0, 21
	s_nop 1
	v_writelane_b32 v95, s1, 22
	s_nop 0
	v_readlane_b32 s18, v95, 51
	s_add_i32 s18, s18, 1
	v_readlane_b32 s0, v95, 43
	s_cmp_eq_u32 s18, s0
	s_cbranch_scc1 .LBB18_234
.LBB18_13:                              ; =>This Loop Header: Depth=1
                                        ;     Child Loop BB18_110 Depth 2
	s_waitcnt lgkmcnt(0)
	; wave barrier
	s_waitcnt vmcnt(63) expcnt(7) lgkmcnt(15)
	scratch_load_dwordx2 v[0:1], off, off offset:176 ; 8-byte Folded Reload
	s_lshl_b32 s20, s18, 10
	v_writelane_b32 v95, s18, 51
	s_mov_b32 s18, s20
	v_readlane_b32 s0, v95, 32
	v_writelane_b32 v95, s18, 52
	s_sub_i32 s82, s0, s20
	s_waitcnt vmcnt(0) lgkmcnt(0)
	v_mov_b32_e32 v2, v0
	v_writelane_b32 v95, s19, 53
	v_lshlrev_b32_e32 v16, 1, v2
	v_writelane_b32 v95, s26, 54
	v_cmp_gt_u32_e64 s[18:19], s82, v2
	v_mov_b32_e32 v2, 0
	v_writelane_b32 v95, s27, 55
	v_lshl_add_u64 v[0:1], s[26:27], 0, v[16:17]
	s_and_saveexec_b64 s[20:21], s[18:19]
	s_cbranch_execz .LBB18_15
; %bb.14:                               ;   in Loop: Header=BB18_13 Depth=1
	global_load_ushort v2, v[0:1], off
.LBB18_15:                              ;   in Loop: Header=BB18_13 Depth=1
	s_or_b64 exec, exec, s[20:21]
	scratch_load_dword v3, off, off offset:184 ; 4-byte Folded Reload
	v_mov_b32_e32 v4, 0
	s_waitcnt vmcnt(0)
	v_cmp_gt_u32_e64 s[20:21], s82, v3
	v_mov_b32_e32 v3, 0
	s_and_saveexec_b64 s[22:23], s[20:21]
	s_cbranch_execz .LBB18_17
; %bb.16:                               ;   in Loop: Header=BB18_13 Depth=1
	global_load_ushort v4, v[0:1], off offset:128
.LBB18_17:                              ;   in Loop: Header=BB18_13 Depth=1
	s_or_b64 exec, exec, s[22:23]
	scratch_load_dword v5, off, off offset:188 ; 4-byte Folded Reload
	s_waitcnt vmcnt(0)
	v_cmp_gt_u32_e64 s[22:23], s82, v5
	s_and_saveexec_b64 s[24:25], s[22:23]
	s_cbranch_execz .LBB18_19
; %bb.18:                               ;   in Loop: Header=BB18_13 Depth=1
	global_load_ushort v3, v[0:1], off offset:256
.LBB18_19:                              ;   in Loop: Header=BB18_13 Depth=1
	s_or_b64 exec, exec, s[24:25]
	scratch_load_dword v5, off, off offset:192 ; 4-byte Folded Reload
	v_mov_b32_e32 v6, 0
	s_waitcnt vmcnt(0)
	v_cmp_gt_u32_e64 s[24:25], s82, v5
	v_mov_b32_e32 v5, 0
	s_and_saveexec_b64 s[26:27], s[24:25]
	s_cbranch_execz .LBB18_21
; %bb.20:                               ;   in Loop: Header=BB18_13 Depth=1
	global_load_ushort v6, v[0:1], off offset:384
.LBB18_21:                              ;   in Loop: Header=BB18_13 Depth=1
	s_or_b64 exec, exec, s[26:27]
	scratch_load_dword v7, off, off offset:196 ; 4-byte Folded Reload
	s_waitcnt vmcnt(0)
	v_cmp_gt_u32_e64 s[26:27], s82, v7
	s_and_saveexec_b64 s[28:29], s[26:27]
	s_cbranch_execz .LBB18_23
; %bb.22:                               ;   in Loop: Header=BB18_13 Depth=1
	global_load_ushort v5, v[0:1], off offset:512
.LBB18_23:                              ;   in Loop: Header=BB18_13 Depth=1
	;; [unrolled: 20-line block ×4, first 2 shown]
	s_or_b64 exec, exec, s[38:39]
	scratch_load_dword v10, off, off offset:216 ; 4-byte Folded Reload
	v_mov_b32_e32 v12, 0
	v_mov_b32_e32 v13, 0
	s_waitcnt vmcnt(0)
	v_cmp_gt_u32_e64 s[38:39], s82, v10
	s_and_saveexec_b64 s[40:41], s[38:39]
	s_cbranch_execz .LBB18_33
; %bb.32:                               ;   in Loop: Header=BB18_13 Depth=1
	global_load_ushort v13, v[0:1], off offset:1152
.LBB18_33:                              ;   in Loop: Header=BB18_13 Depth=1
	s_or_b64 exec, exec, s[40:41]
	scratch_load_dword v10, off, off offset:220 ; 4-byte Folded Reload
	s_waitcnt vmcnt(0)
	v_cmp_gt_u32_e64 s[40:41], s82, v10
	s_and_saveexec_b64 s[42:43], s[40:41]
	s_cbranch_execz .LBB18_35
; %bb.34:                               ;   in Loop: Header=BB18_13 Depth=1
	global_load_ushort v12, v[0:1], off offset:1280
.LBB18_35:                              ;   in Loop: Header=BB18_13 Depth=1
	s_or_b64 exec, exec, s[42:43]
	scratch_load_dword v10, off, off offset:224 ; 4-byte Folded Reload
	v_mov_b32_e32 v14, 0
	v_mov_b32_e32 v15, 0
	s_waitcnt vmcnt(0)
	v_cmp_gt_u32_e64 s[42:43], s82, v10
	s_and_saveexec_b64 s[44:45], s[42:43]
	s_cbranch_execz .LBB18_37
; %bb.36:                               ;   in Loop: Header=BB18_13 Depth=1
	global_load_ushort v15, v[0:1], off offset:1408
.LBB18_37:                              ;   in Loop: Header=BB18_13 Depth=1
	s_or_b64 exec, exec, s[44:45]
	scratch_load_dword v10, off, off offset:228 ; 4-byte Folded Reload
	s_waitcnt vmcnt(0)
	v_cmp_gt_u32_e64 s[44:45], s82, v10
	s_and_saveexec_b64 s[46:47], s[44:45]
	s_cbranch_execz .LBB18_39
; %bb.38:                               ;   in Loop: Header=BB18_13 Depth=1
	global_load_ushort v14, v[0:1], off offset:1536
.LBB18_39:                              ;   in Loop: Header=BB18_13 Depth=1
	;; [unrolled: 20-line block ×3, first 2 shown]
	s_or_b64 exec, exec, s[50:51]
	scratch_load_dword v10, off, off offset:240 ; 4-byte Folded Reload
	v_mov_b32_e32 v21, 0
	s_waitcnt vmcnt(0)
	v_cmp_gt_u32_e64 s[50:51], s82, v10
	v_mov_b32_e32 v10, 0
	s_and_saveexec_b64 s[52:53], s[50:51]
	s_cbranch_execz .LBB18_45
; %bb.44:                               ;   in Loop: Header=BB18_13 Depth=1
	global_load_ushort v21, v[0:1], off offset:1920
.LBB18_45:                              ;   in Loop: Header=BB18_13 Depth=1
	s_or_b64 exec, exec, s[52:53]
	scratch_load_dword v0, off, off offset:4 ; 4-byte Folded Reload
	v_readlane_b32 s0, v95, 4
	v_readlane_b32 s1, v95, 5
	s_waitcnt vmcnt(0)
	ds_write_b16 v0, v2
	scratch_load_dword v0, off, off offset:8 ; 4-byte Folded Reload
	s_waitcnt vmcnt(0)
	ds_write_b16 v0, v4 offset:128
	scratch_load_dword v0, off, off offset:12 ; 4-byte Folded Reload
	s_waitcnt vmcnt(0)
	ds_write_b16 v0, v3 offset:256
	scratch_load_dword v0, off, off offset:16 ; 4-byte Folded Reload
	s_waitcnt vmcnt(0)
	ds_write_b16 v0, v6 offset:384
	scratch_load_dword v0, off, off offset:20 ; 4-byte Folded Reload
	s_waitcnt vmcnt(0)
	ds_write_b16 v0, v5 offset:512
	scratch_load_dword v0, off, off offset:24 ; 4-byte Folded Reload
	s_waitcnt vmcnt(0)
	ds_write_b16 v0, v8 offset:640
	scratch_load_dword v0, off, off offset:28 ; 4-byte Folded Reload
	s_waitcnt vmcnt(0)
	ds_write_b16 v0, v7 offset:768
	scratch_load_dword v0, off, off offset:32 ; 4-byte Folded Reload
	s_waitcnt vmcnt(0)
	ds_write_b16 v0, v11 offset:896
	scratch_load_dword v0, off, off offset:36 ; 4-byte Folded Reload
	s_waitcnt vmcnt(0)
	ds_write_b16 v0, v9 offset:1024
	scratch_load_dword v0, off, off offset:40 ; 4-byte Folded Reload
	v_lshl_add_u64 v[8:9], s[0:1], 0, v[16:17]
	s_waitcnt vmcnt(0)
	ds_write_b16 v0, v13 offset:1152
	scratch_load_dword v0, off, off offset:44 ; 4-byte Folded Reload
	s_waitcnt vmcnt(0)
	ds_write_b16 v0, v12 offset:1280
	scratch_load_dword v0, off, off offset:48 ; 4-byte Folded Reload
	s_waitcnt vmcnt(0)
	ds_write_b16 v0, v15 offset:1408
	scratch_load_dword v0, off, off offset:52 ; 4-byte Folded Reload
	s_waitcnt vmcnt(0)
	ds_write_b16 v0, v14 offset:1536
	scratch_load_dword v0, off, off offset:56 ; 4-byte Folded Reload
	s_waitcnt vmcnt(0)
	ds_write_b16 v0, v20 offset:1664
	scratch_load_dword v0, off, off offset:60 ; 4-byte Folded Reload
	s_waitcnt vmcnt(0)
	ds_write_b16 v0, v18 offset:1792
	scratch_load_dword v0, off, off offset:64 ; 4-byte Folded Reload
	s_waitcnt vmcnt(0)
	ds_write_b16 v0, v21 offset:1920
	; wave barrier
	scratch_load_dword v4, off, off         ; 4-byte Folded Reload
	s_waitcnt vmcnt(0)
	ds_read_b128 v[0:3], v4
	ds_read_b128 v[4:7], v4 offset:16
	s_waitcnt lgkmcnt(0)
	; wave barrier
	s_waitcnt lgkmcnt(0)
	s_and_saveexec_b64 s[52:53], s[18:19]
	s_cbranch_execz .LBB18_47
; %bb.46:                               ;   in Loop: Header=BB18_13 Depth=1
	global_load_ushort v10, v[8:9], off
.LBB18_47:                              ;   in Loop: Header=BB18_13 Depth=1
	s_or_b64 exec, exec, s[52:53]
	v_mov_b32_e32 v11, 0
	v_mov_b32_e32 v12, 0
	s_and_saveexec_b64 s[52:53], s[20:21]
	s_cbranch_execz .LBB18_49
; %bb.48:                               ;   in Loop: Header=BB18_13 Depth=1
	global_load_ushort v12, v[8:9], off offset:128
.LBB18_49:                              ;   in Loop: Header=BB18_13 Depth=1
	s_or_b64 exec, exec, s[52:53]
	s_and_saveexec_b64 s[52:53], s[22:23]
	s_cbranch_execz .LBB18_51
; %bb.50:                               ;   in Loop: Header=BB18_13 Depth=1
	global_load_ushort v11, v[8:9], off offset:256
.LBB18_51:                              ;   in Loop: Header=BB18_13 Depth=1
	s_or_b64 exec, exec, s[52:53]
	v_mov_b32_e32 v13, 0
	v_mov_b32_e32 v14, 0
	s_and_saveexec_b64 s[52:53], s[24:25]
	s_cbranch_execz .LBB18_53
; %bb.52:                               ;   in Loop: Header=BB18_13 Depth=1
	global_load_ushort v14, v[8:9], off offset:384
.LBB18_53:                              ;   in Loop: Header=BB18_13 Depth=1
	s_or_b64 exec, exec, s[52:53]
	s_and_saveexec_b64 s[52:53], s[26:27]
	s_cbranch_execz .LBB18_55
; %bb.54:                               ;   in Loop: Header=BB18_13 Depth=1
	global_load_ushort v13, v[8:9], off offset:512
.LBB18_55:                              ;   in Loop: Header=BB18_13 Depth=1
	;; [unrolled: 14-line block ×6, first 2 shown]
	s_or_b64 exec, exec, s[52:53]
	v_mov_b32_e32 v26, 0
	v_mov_b32_e32 v27, 0
	s_and_saveexec_b64 s[52:53], s[46:47]
	s_cbranch_execnz .LBB18_216
; %bb.72:                               ;   in Loop: Header=BB18_13 Depth=1
	s_or_b64 exec, exec, s[52:53]
	s_and_saveexec_b64 s[52:53], s[48:49]
	s_cbranch_execnz .LBB18_217
.LBB18_73:                              ;   in Loop: Header=BB18_13 Depth=1
	s_or_b64 exec, exec, s[52:53]
	v_mov_b32_e32 v28, 0
	s_and_saveexec_b64 s[52:53], s[50:51]
	s_cbranch_execz .LBB18_75
.LBB18_74:                              ;   in Loop: Header=BB18_13 Depth=1
	global_load_ushort v28, v[8:9], off offset:1920
.LBB18_75:                              ;   in Loop: Header=BB18_13 Depth=1
	s_or_b64 exec, exec, s[52:53]
	scratch_load_dword v8, off, off offset:4 ; 4-byte Folded Reload
	v_readlane_b32 s0, v95, 2
	s_waitcnt vmcnt(0)
	ds_write_b16 v8, v10
	scratch_load_dword v8, off, off offset:8 ; 4-byte Folded Reload
	s_waitcnt vmcnt(0)
	ds_write_b16 v8, v12 offset:128
	scratch_load_dword v8, off, off offset:12 ; 4-byte Folded Reload
	s_waitcnt vmcnt(0)
	ds_write_b16 v8, v11 offset:256
	;; [unrolled: 3-line block ×15, first 2 shown]
	; wave barrier
	scratch_load_dword v8, off, off         ; 4-byte Folded Reload
	s_waitcnt vmcnt(0)
	ds_read_b128 v[12:15], v8
	ds_read_b128 v[8:11], v8 offset:16
	s_waitcnt lgkmcnt(1)
	v_lshlrev_b32_e32 v18, 16, v12
	v_add_f32_e32 v21, s0, v18
	v_cmp_ge_f32_e32 vcc, s6, v21
	s_and_b64 s[0:1], s[4:5], vcc
	s_and_saveexec_b64 s[54:55], s[0:1]
	s_cbranch_execz .LBB18_77
; %bb.76:                               ;   in Loop: Header=BB18_13 Depth=1
	v_mul_f32_e32 v18, 0x3fb8aa3b, v21
	v_rndne_f32_e32 v20, v18
	v_sub_f32_e32 v22, v18, v20
	v_fma_f32 v18, v21, s7, -v18
	v_fmac_f32_e32 v18, 0x32a5705f, v21
	v_add_f32_e32 v18, v22, v18
	v_cvt_i32_f32_e32 v20, v20
	v_exp_f32_e32 v18, v18
	v_cmp_ngt_f32_e32 vcc, s8, v21
	v_ldexp_f32 v18, v18, v20
	s_nop 0
	v_cndmask_b32_e32 v18, 0, v18, vcc
	v_cmp_nlt_f32_e32 vcc, s9, v21
	s_nop 1
	v_cndmask_b32_e32 v34, v41, v18, vcc
	v_add_f32_e32 v18, 1.0, v34
	v_add_f32_e32 v20, -1.0, v18
	v_sub_f32_e32 v21, v20, v18
	v_add_f32_e32 v21, 1.0, v21
	v_sub_f32_e32 v20, v34, v20
	v_add_f32_e32 v22, v20, v21
	v_frexp_mant_f32_e32 v23, v18
	v_cvt_f64_f32_e32 v[20:21], v18
	v_frexp_exp_i32_f64_e32 v20, v[20:21]
	v_cmp_gt_f32_e32 vcc, s11, v23
	v_cmp_gt_f32_e64 s[52:53], s57, v34
	s_nop 0
	v_subbrev_co_u32_e32 v28, vcc, 0, v20, vcc
	v_sub_u32_e32 v20, 0, v28
	v_ldexp_f32 v18, v18, v20
	v_ldexp_f32 v20, v22, v20
	v_add_f32_e32 v22, -1.0, v18
	v_add_f32_e32 v21, 1.0, v22
	v_sub_f32_e32 v21, v18, v21
	v_add_f32_e32 v23, v20, v21
	v_add_f32_e32 v21, 1.0, v18
	v_add_f32_e32 v24, -1.0, v21
	v_sub_f32_e32 v18, v18, v24
	v_add_f32_e32 v18, v20, v18
	v_add_f32_e32 v29, v21, v18
	v_rcp_f32_e32 v30, v29
	v_sub_f32_e32 v20, v21, v29
	v_add_f32_e32 v21, v22, v23
	v_add_f32_e32 v18, v18, v20
	v_mul_f32_e32 v32, v21, v30
	v_sub_f32_e32 v20, v22, v21
	v_mul_f32_e32 v22, v29, v32
	v_fma_f32 v24, v32, v29, -v22
	v_fmac_f32_e32 v24, v32, v18
	v_add_f32_e32 v31, v23, v20
	v_add_f32_e32 v20, v22, v24
	v_sub_f32_e32 v23, v21, v20
	v_pk_add_f32 v[26:27], v[20:21], v[22:23] neg_lo:[0,1] neg_hi:[0,1]
	v_mov_b32_e32 v25, v20
	v_pk_add_f32 v[20:21], v[26:27], v[24:25] neg_lo:[0,1] neg_hi:[0,1]
	v_cmp_eq_f32_e32 vcc, s10, v34
	v_add_f32_e32 v21, v31, v21
	v_add_f32_e32 v20, v20, v21
	;; [unrolled: 1-line block ×3, first 2 shown]
	v_mul_f32_e32 v31, v30, v21
	v_mul_f32_e32 v22, v29, v31
	v_fma_f32 v24, v31, v29, -v22
	v_fmac_f32_e32 v24, v31, v18
	v_sub_f32_e32 v18, v23, v21
	v_add_f32_e32 v18, v20, v18
	v_add_f32_e32 v20, v22, v24
	v_sub_f32_e32 v23, v21, v20
	v_pk_add_f32 v[26:27], v[20:21], v[22:23] neg_lo:[0,1] neg_hi:[0,1]
	v_mov_b32_e32 v25, v20
	v_pk_add_f32 v[20:21], v[26:27], v[24:25] neg_lo:[0,1] neg_hi:[0,1]
	s_or_b64 vcc, s[52:53], vcc
	v_add_f32_e32 v18, v18, v21
	v_add_f32_e32 v18, v20, v18
	;; [unrolled: 1-line block ×4, first 2 shown]
	v_sub_f32_e32 v20, v21, v32
	v_mul_f32_e32 v18, v30, v18
	v_sub_f32_e32 v20, v31, v20
	v_add_f32_e32 v18, v20, v18
	v_add_f32_e32 v22, v21, v18
	v_mul_f32_e32 v24, v22, v22
	v_fmamk_f32 v20, v24, 0x3e9b6dac, v40
	v_fmaak_f32 v43, v24, v20, 0x3f2aaada
	v_cvt_f32_i32_e32 v20, v28
	v_sub_f32_e32 v21, v22, v21
	v_sub_f32_e32 v18, v18, v21
	v_mul_f32_e32 v21, v22, v24
	v_pk_mul_f32 v[24:25], v[20:21], v[42:43]
	v_ldexp_f32 v23, v22, 1
	v_fma_f32 v22, v20, s56, -v24
	v_fmac_f32_e32 v22, 0xb102e308, v20
	v_pk_add_f32 v[20:21], v[24:25], v[22:23]
	v_ldexp_f32 v18, v18, 1
	v_sub_f32_e32 v23, v21, v23
	v_sub_f32_e32 v23, v25, v23
	v_add_f32_e32 v27, v18, v23
	v_mov_b32_e32 v26, v24
	v_pk_add_f32 v[24:25], v[20:21], v[24:25] neg_lo:[0,1] neg_hi:[0,1]
	v_pk_add_f32 v[28:29], v[20:21], v[26:27]
	v_mov_b32_e32 v23, v20
	v_mov_b32_e32 v25, v29
	v_pk_add_f32 v[30:31], v[22:23], v[24:25] neg_lo:[0,1] neg_hi:[0,1]
	v_pk_add_f32 v[22:23], v[22:23], v[24:25]
	s_nop 0
	v_mov_b32_e32 v18, v23
	v_pk_add_f32 v[24:25], v[18:19], v[20:21] neg_lo:[0,1] neg_hi:[0,1]
	v_mov_b32_e32 v22, v29
	v_mov_b32_e32 v25, v24
	v_pk_add_f32 v[32:33], v[28:29], v[24:25] neg_lo:[0,1] neg_hi:[0,1]
	v_mov_b32_e32 v28, v21
	v_mov_b32_e32 v29, v24
	;; [unrolled: 1-line block ×3, first 2 shown]
	v_pk_add_f32 v[22:23], v[22:23], v[28:29] neg_lo:[0,1] neg_hi:[0,1]
	v_mov_b32_e32 v24, v27
	v_mov_b32_e32 v25, v20
	v_pk_add_f32 v[20:21], v[24:25], v[22:23] neg_lo:[0,1] neg_hi:[0,1]
	v_mov_b32_e32 v32, v30
	v_pk_add_f32 v[22:23], v[32:33], v[20:21]
	s_nop 0
	v_mov_b32_e32 v24, v23
	v_pk_add_f32 v[24:25], v[22:23], v[24:25]
	s_nop 0
	v_pk_add_f32 v[26:27], v[18:19], v[24:25]
	v_mov_b32_e32 v21, v24
	v_mov_b32_e32 v23, v26
	v_pk_add_f32 v[28:29], v[22:23], v[30:31] neg_lo:[0,1] neg_hi:[0,1]
	s_nop 0
	v_sub_f32_e32 v18, v22, v28
	v_pk_add_f32 v[20:21], v[20:21], v[28:29] neg_lo:[0,1] neg_hi:[0,1]
	v_sub_f32_e32 v18, v30, v18
	v_add_f32_e32 v18, v20, v18
	v_add_f32_e32 v18, v18, v21
	;; [unrolled: 1-line block ×3, first 2 shown]
	v_cndmask_b32_e32 v21, v18, v34, vcc
.LBB18_77:                              ;   in Loop: Header=BB18_13 Depth=1
	s_or_b64 exec, exec, s[54:55]
	v_and_b32_e32 v12, 0xffff0000, v12
	v_readlane_b32 s0, v95, 2
	s_nop 1
	v_add_f32_e32 v18, s0, v12
	v_cmp_ge_f32_e32 vcc, s6, v18
	s_and_b64 s[0:1], s[4:5], vcc
	s_and_saveexec_b64 s[54:55], s[0:1]
	s_cbranch_execz .LBB18_79
; %bb.78:                               ;   in Loop: Header=BB18_13 Depth=1
	v_mul_f32_e32 v12, 0x3fb8aa3b, v18
	v_rndne_f32_e32 v20, v12
	v_sub_f32_e32 v22, v12, v20
	v_fma_f32 v12, v18, s7, -v12
	v_fmac_f32_e32 v12, 0x32a5705f, v18
	v_add_f32_e32 v12, v22, v12
	v_cvt_i32_f32_e32 v20, v20
	v_exp_f32_e32 v12, v12
	v_cmp_ngt_f32_e32 vcc, s8, v18
	v_ldexp_f32 v12, v12, v20
	s_nop 0
	v_cndmask_b32_e32 v12, 0, v12, vcc
	v_cmp_nlt_f32_e32 vcc, s9, v18
	s_nop 1
	v_cndmask_b32_e32 v20, v41, v12, vcc
	v_add_f32_e32 v12, 1.0, v20
	v_add_f32_e32 v18, -1.0, v12
	v_sub_f32_e32 v22, v18, v12
	v_add_f32_e32 v22, 1.0, v22
	v_sub_f32_e32 v18, v20, v18
	v_add_f32_e32 v18, v18, v22
	v_frexp_mant_f32_e32 v24, v12
	v_cvt_f64_f32_e32 v[22:23], v12
	v_frexp_exp_i32_f64_e32 v22, v[22:23]
	v_cmp_gt_f32_e32 vcc, s11, v24
	v_cmp_gt_f32_e64 s[52:53], s57, v20
	s_nop 0
	v_subbrev_co_u32_e32 v30, vcc, 0, v22, vcc
	v_sub_u32_e32 v22, 0, v30
	v_ldexp_f32 v12, v12, v22
	v_ldexp_f32 v18, v18, v22
	v_add_f32_e32 v22, -1.0, v12
	v_add_f32_e32 v23, 1.0, v22
	v_sub_f32_e32 v23, v12, v23
	v_add_f32_e32 v24, v18, v23
	v_add_f32_e32 v23, 1.0, v12
	v_add_f32_e32 v25, -1.0, v23
	v_sub_f32_e32 v12, v12, v25
	v_add_f32_e32 v12, v18, v12
	v_add_f32_e32 v18, v23, v12
	v_rcp_f32_e32 v31, v18
	v_sub_f32_e32 v23, v23, v18
	v_add_f32_e32 v12, v12, v23
	v_add_f32_e32 v23, v22, v24
	v_sub_f32_e32 v22, v22, v23
	v_mul_f32_e32 v33, v23, v31
	v_add_f32_e32 v32, v24, v22
	v_mul_f32_e32 v24, v18, v33
	v_fma_f32 v26, v33, v18, -v24
	v_fmac_f32_e32 v26, v33, v12
	v_add_f32_e32 v22, v24, v26
	v_sub_f32_e32 v25, v23, v22
	v_pk_add_f32 v[28:29], v[22:23], v[24:25] neg_lo:[0,1] neg_hi:[0,1]
	v_mov_b32_e32 v27, v22
	v_pk_add_f32 v[22:23], v[28:29], v[26:27] neg_lo:[0,1] neg_hi:[0,1]
	v_cmp_eq_f32_e32 vcc, s10, v20
	v_add_f32_e32 v23, v32, v23
	v_add_f32_e32 v22, v22, v23
	;; [unrolled: 1-line block ×3, first 2 shown]
	v_mul_f32_e32 v32, v31, v23
	v_mul_f32_e32 v24, v18, v32
	v_fma_f32 v26, v32, v18, -v24
	v_fmac_f32_e32 v26, v32, v12
	v_sub_f32_e32 v12, v25, v23
	v_add_f32_e32 v12, v22, v12
	v_add_f32_e32 v22, v24, v26
	v_sub_f32_e32 v25, v23, v22
	v_pk_add_f32 v[28:29], v[22:23], v[24:25] neg_lo:[0,1] neg_hi:[0,1]
	v_mov_b32_e32 v27, v22
	v_pk_add_f32 v[22:23], v[28:29], v[26:27] neg_lo:[0,1] neg_hi:[0,1]
	v_add_f32_e32 v18, v33, v32
	v_add_f32_e32 v12, v12, v23
	;; [unrolled: 1-line block ×4, first 2 shown]
	v_sub_f32_e32 v22, v18, v33
	v_mul_f32_e32 v12, v31, v12
	v_sub_f32_e32 v22, v32, v22
	v_add_f32_e32 v12, v22, v12
	v_add_f32_e32 v23, v18, v12
	v_mul_f32_e32 v24, v23, v23
	v_fmamk_f32 v22, v24, 0x3e9b6dac, v40
	v_fmaak_f32 v43, v24, v22, 0x3f2aaada
	v_cvt_f32_i32_e32 v22, v30
	v_sub_f32_e32 v18, v23, v18
	v_ldexp_f32 v25, v23, 1
	v_mul_f32_e32 v23, v23, v24
	v_pk_mul_f32 v[26:27], v[22:23], v[42:43]
	v_sub_f32_e32 v12, v12, v18
	v_fma_f32 v24, v22, s56, -v26
	v_fmac_f32_e32 v24, 0xb102e308, v22
	v_pk_add_f32 v[22:23], v[26:27], v[24:25]
	v_ldexp_f32 v12, v12, 1
	v_sub_f32_e32 v18, v23, v25
	v_sub_f32_e32 v18, v27, v18
	v_add_f32_e32 v29, v12, v18
	v_mov_b32_e32 v28, v26
	v_pk_add_f32 v[26:27], v[22:23], v[26:27] neg_lo:[0,1] neg_hi:[0,1]
	v_pk_add_f32 v[30:31], v[22:23], v[28:29]
	v_mov_b32_e32 v25, v22
	v_mov_b32_e32 v27, v31
	v_pk_add_f32 v[32:33], v[24:25], v[26:27] neg_lo:[0,1] neg_hi:[0,1]
	v_pk_add_f32 v[24:25], v[24:25], v[26:27]
	s_or_b64 vcc, s[52:53], vcc
	v_mov_b32_e32 v12, v25
	v_pk_add_f32 v[26:27], v[12:13], v[22:23] neg_lo:[0,1] neg_hi:[0,1]
	v_mov_b32_e32 v24, v31
	v_mov_b32_e32 v27, v26
	v_pk_add_f32 v[34:35], v[30:31], v[26:27] neg_lo:[0,1] neg_hi:[0,1]
	v_mov_b32_e32 v30, v23
	v_mov_b32_e32 v31, v26
	;; [unrolled: 1-line block ×3, first 2 shown]
	v_pk_add_f32 v[24:25], v[24:25], v[30:31] neg_lo:[0,1] neg_hi:[0,1]
	v_mov_b32_e32 v26, v29
	v_mov_b32_e32 v27, v22
	v_pk_add_f32 v[22:23], v[26:27], v[24:25] neg_lo:[0,1] neg_hi:[0,1]
	v_mov_b32_e32 v34, v32
	v_pk_add_f32 v[24:25], v[34:35], v[22:23]
	s_nop 0
	v_mov_b32_e32 v18, v25
	v_pk_add_f32 v[26:27], v[24:25], v[18:19]
	s_nop 0
	v_pk_add_f32 v[28:29], v[12:13], v[26:27]
	v_mov_b32_e32 v23, v26
	v_mov_b32_e32 v25, v28
	v_pk_add_f32 v[30:31], v[24:25], v[32:33] neg_lo:[0,1] neg_hi:[0,1]
	s_nop 0
	v_sub_f32_e32 v12, v24, v30
	v_pk_add_f32 v[22:23], v[22:23], v[30:31] neg_lo:[0,1] neg_hi:[0,1]
	v_sub_f32_e32 v12, v32, v12
	v_add_f32_e32 v12, v22, v12
	v_add_f32_e32 v12, v12, v23
	;; [unrolled: 1-line block ×3, first 2 shown]
	v_cndmask_b32_e32 v18, v12, v20, vcc
.LBB18_79:                              ;   in Loop: Header=BB18_13 Depth=1
	s_or_b64 exec, exec, s[54:55]
	v_lshlrev_b32_e32 v12, 16, v13
	v_readlane_b32 s0, v95, 2
	s_nop 1
	v_add_f32_e32 v70, s0, v12
	v_cmp_ge_f32_e32 vcc, s6, v70
	s_and_b64 s[0:1], s[4:5], vcc
	s_and_saveexec_b64 s[54:55], s[0:1]
	s_cbranch_execz .LBB18_81
; %bb.80:                               ;   in Loop: Header=BB18_13 Depth=1
	v_mul_f32_e32 v12, 0x3fb8aa3b, v70
	v_rndne_f32_e32 v20, v12
	v_sub_f32_e32 v22, v12, v20
	v_fma_f32 v12, v70, s7, -v12
	v_fmac_f32_e32 v12, 0x32a5705f, v70
	v_add_f32_e32 v12, v22, v12
	v_cvt_i32_f32_e32 v20, v20
	v_exp_f32_e32 v12, v12
	v_cmp_ngt_f32_e32 vcc, s8, v70
	v_ldexp_f32 v12, v12, v20
	s_nop 0
	v_cndmask_b32_e32 v12, 0, v12, vcc
	v_cmp_nlt_f32_e32 vcc, s9, v70
	s_nop 1
	v_cndmask_b32_e32 v36, v41, v12, vcc
	v_add_f32_e32 v12, 1.0, v36
	v_add_f32_e32 v20, -1.0, v12
	v_sub_f32_e32 v22, v20, v12
	v_add_f32_e32 v22, 1.0, v22
	v_sub_f32_e32 v20, v36, v20
	v_add_f32_e32 v20, v20, v22
	v_frexp_mant_f32_e32 v24, v12
	v_cvt_f64_f32_e32 v[22:23], v12
	v_frexp_exp_i32_f64_e32 v22, v[22:23]
	v_cmp_gt_f32_e32 vcc, s11, v24
	v_cmp_gt_f32_e64 s[52:53], s57, v36
	s_nop 0
	v_subbrev_co_u32_e32 v30, vcc, 0, v22, vcc
	v_sub_u32_e32 v22, 0, v30
	v_ldexp_f32 v12, v12, v22
	v_ldexp_f32 v20, v20, v22
	v_add_f32_e32 v22, -1.0, v12
	v_add_f32_e32 v23, 1.0, v22
	v_sub_f32_e32 v23, v12, v23
	v_add_f32_e32 v24, v20, v23
	v_add_f32_e32 v23, 1.0, v12
	v_add_f32_e32 v25, -1.0, v23
	v_sub_f32_e32 v12, v12, v25
	v_add_f32_e32 v12, v20, v12
	v_add_f32_e32 v20, v23, v12
	v_rcp_f32_e32 v31, v20
	v_sub_f32_e32 v23, v23, v20
	v_add_f32_e32 v12, v12, v23
	v_add_f32_e32 v23, v22, v24
	v_sub_f32_e32 v22, v22, v23
	v_mul_f32_e32 v33, v23, v31
	v_add_f32_e32 v32, v24, v22
	v_mul_f32_e32 v24, v20, v33
	v_fma_f32 v26, v33, v20, -v24
	v_fmac_f32_e32 v26, v33, v12
	v_add_f32_e32 v22, v24, v26
	v_sub_f32_e32 v25, v23, v22
	v_pk_add_f32 v[28:29], v[22:23], v[24:25] neg_lo:[0,1] neg_hi:[0,1]
	v_mov_b32_e32 v27, v22
	v_pk_add_f32 v[22:23], v[28:29], v[26:27] neg_lo:[0,1] neg_hi:[0,1]
	v_cmp_eq_f32_e32 vcc, s10, v36
	v_add_f32_e32 v23, v32, v23
	v_add_f32_e32 v22, v22, v23
	;; [unrolled: 1-line block ×3, first 2 shown]
	v_mul_f32_e32 v32, v31, v23
	v_mul_f32_e32 v24, v20, v32
	v_fma_f32 v26, v32, v20, -v24
	v_fmac_f32_e32 v26, v32, v12
	v_sub_f32_e32 v12, v25, v23
	v_add_f32_e32 v12, v22, v12
	v_add_f32_e32 v22, v24, v26
	v_sub_f32_e32 v25, v23, v22
	v_pk_add_f32 v[28:29], v[22:23], v[24:25] neg_lo:[0,1] neg_hi:[0,1]
	v_mov_b32_e32 v27, v22
	v_pk_add_f32 v[22:23], v[28:29], v[26:27] neg_lo:[0,1] neg_hi:[0,1]
	v_add_f32_e32 v20, v33, v32
	v_add_f32_e32 v12, v12, v23
	;; [unrolled: 1-line block ×4, first 2 shown]
	v_sub_f32_e32 v22, v20, v33
	v_mul_f32_e32 v12, v31, v12
	v_sub_f32_e32 v22, v32, v22
	v_add_f32_e32 v12, v22, v12
	v_add_f32_e32 v23, v20, v12
	v_mul_f32_e32 v24, v23, v23
	v_fmamk_f32 v22, v24, 0x3e9b6dac, v40
	v_fmaak_f32 v43, v24, v22, 0x3f2aaada
	v_cvt_f32_i32_e32 v22, v30
	v_sub_f32_e32 v20, v23, v20
	v_ldexp_f32 v25, v23, 1
	v_mul_f32_e32 v23, v23, v24
	v_pk_mul_f32 v[26:27], v[22:23], v[42:43]
	v_sub_f32_e32 v12, v12, v20
	v_fma_f32 v24, v22, s56, -v26
	v_fmac_f32_e32 v24, 0xb102e308, v22
	v_pk_add_f32 v[22:23], v[26:27], v[24:25]
	v_ldexp_f32 v12, v12, 1
	v_sub_f32_e32 v20, v23, v25
	v_sub_f32_e32 v20, v27, v20
	v_add_f32_e32 v29, v12, v20
	v_mov_b32_e32 v28, v26
	v_pk_add_f32 v[26:27], v[22:23], v[26:27] neg_lo:[0,1] neg_hi:[0,1]
	v_pk_add_f32 v[30:31], v[22:23], v[28:29]
	v_mov_b32_e32 v25, v22
	v_mov_b32_e32 v27, v31
	v_pk_add_f32 v[32:33], v[24:25], v[26:27] neg_lo:[0,1] neg_hi:[0,1]
	v_pk_add_f32 v[24:25], v[24:25], v[26:27]
	s_or_b64 vcc, s[52:53], vcc
	v_mov_b32_e32 v12, v25
	v_pk_add_f32 v[26:27], v[12:13], v[22:23] neg_lo:[0,1] neg_hi:[0,1]
	v_mov_b32_e32 v24, v31
	v_mov_b32_e32 v27, v26
	v_pk_add_f32 v[34:35], v[30:31], v[26:27] neg_lo:[0,1] neg_hi:[0,1]
	v_mov_b32_e32 v30, v23
	v_mov_b32_e32 v31, v26
	;; [unrolled: 1-line block ×3, first 2 shown]
	v_pk_add_f32 v[24:25], v[24:25], v[30:31] neg_lo:[0,1] neg_hi:[0,1]
	v_mov_b32_e32 v26, v29
	v_mov_b32_e32 v27, v22
	v_pk_add_f32 v[22:23], v[26:27], v[24:25] neg_lo:[0,1] neg_hi:[0,1]
	v_mov_b32_e32 v34, v32
	v_pk_add_f32 v[24:25], v[34:35], v[22:23]
	s_nop 0
	v_mov_b32_e32 v20, v25
	v_pk_add_f32 v[26:27], v[24:25], v[20:21]
	s_nop 0
	v_pk_add_f32 v[28:29], v[12:13], v[26:27]
	v_mov_b32_e32 v23, v26
	v_mov_b32_e32 v25, v28
	v_pk_add_f32 v[30:31], v[24:25], v[32:33] neg_lo:[0,1] neg_hi:[0,1]
	s_nop 0
	v_sub_f32_e32 v12, v24, v30
	v_pk_add_f32 v[22:23], v[22:23], v[30:31] neg_lo:[0,1] neg_hi:[0,1]
	v_sub_f32_e32 v12, v32, v12
	v_add_f32_e32 v12, v22, v12
	v_add_f32_e32 v12, v12, v23
	;; [unrolled: 1-line block ×3, first 2 shown]
	v_cndmask_b32_e32 v70, v12, v36, vcc
.LBB18_81:                              ;   in Loop: Header=BB18_13 Depth=1
	s_or_b64 exec, exec, s[54:55]
	v_and_b32_e32 v12, 0xffff0000, v13
	v_readlane_b32 s0, v95, 2
	s_nop 1
	v_add_f32_e32 v71, s0, v12
	v_cmp_ge_f32_e32 vcc, s6, v71
	s_and_b64 s[0:1], s[4:5], vcc
	s_and_saveexec_b64 s[54:55], s[0:1]
	s_cbranch_execz .LBB18_83
; %bb.82:                               ;   in Loop: Header=BB18_13 Depth=1
	v_mul_f32_e32 v12, 0x3fb8aa3b, v71
	v_rndne_f32_e32 v13, v12
	v_sub_f32_e32 v20, v12, v13
	v_fma_f32 v12, v71, s7, -v12
	v_fmac_f32_e32 v12, 0x32a5705f, v71
	v_add_f32_e32 v12, v20, v12
	v_cvt_i32_f32_e32 v13, v13
	v_exp_f32_e32 v12, v12
	v_cmp_ngt_f32_e32 vcc, s8, v71
	v_ldexp_f32 v12, v12, v13
	s_nop 0
	v_cndmask_b32_e32 v12, 0, v12, vcc
	v_cmp_nlt_f32_e32 vcc, s9, v71
	s_nop 1
	v_cndmask_b32_e32 v34, v41, v12, vcc
	v_add_f32_e32 v20, 1.0, v34
	v_add_f32_e32 v12, -1.0, v20
	v_sub_f32_e32 v13, v12, v20
	v_add_f32_e32 v13, 1.0, v13
	v_sub_f32_e32 v12, v34, v12
	v_add_f32_e32 v22, v12, v13
	v_frexp_mant_f32_e32 v23, v20
	v_cvt_f64_f32_e32 v[12:13], v20
	v_frexp_exp_i32_f64_e32 v12, v[12:13]
	v_cmp_gt_f32_e32 vcc, s11, v23
	v_cmp_gt_f32_e64 s[52:53], s57, v34
	s_nop 0
	v_subbrev_co_u32_e32 v28, vcc, 0, v12, vcc
	v_sub_u32_e32 v12, 0, v28
	v_ldexp_f32 v13, v20, v12
	v_add_f32_e32 v20, -1.0, v13
	v_add_f32_e32 v23, 1.0, v13
	v_ldexp_f32 v12, v22, v12
	v_add_f32_e32 v22, 1.0, v20
	v_add_f32_e32 v24, -1.0, v23
	v_sub_f32_e32 v22, v13, v22
	v_sub_f32_e32 v13, v13, v24
	v_add_f32_e32 v22, v12, v22
	v_add_f32_e32 v12, v12, v13
	;; [unrolled: 1-line block ×3, first 2 shown]
	v_rcp_f32_e32 v31, v29
	v_sub_f32_e32 v13, v23, v29
	v_add_f32_e32 v30, v12, v13
	v_add_f32_e32 v13, v20, v22
	v_sub_f32_e32 v12, v20, v13
	v_mul_f32_e32 v32, v13, v31
	v_add_f32_e32 v20, v22, v12
	v_mul_f32_e32 v22, v29, v32
	v_fma_f32 v24, v32, v29, -v22
	v_fmac_f32_e32 v24, v32, v30
	v_add_f32_e32 v12, v22, v24
	v_sub_f32_e32 v23, v13, v12
	v_pk_add_f32 v[26:27], v[12:13], v[22:23] neg_lo:[0,1] neg_hi:[0,1]
	v_mov_b32_e32 v25, v12
	v_pk_add_f32 v[12:13], v[26:27], v[24:25] neg_lo:[0,1] neg_hi:[0,1]
	v_cmp_eq_f32_e32 vcc, s10, v34
	v_add_f32_e32 v13, v20, v13
	v_add_f32_e32 v12, v12, v13
	v_add_f32_e32 v13, v23, v12
	v_mul_f32_e32 v20, v31, v13
	v_mul_f32_e32 v22, v29, v20
	v_fma_f32 v24, v20, v29, -v22
	v_fmac_f32_e32 v24, v20, v30
	v_sub_f32_e32 v23, v23, v13
	v_add_f32_e32 v29, v12, v23
	v_add_f32_e32 v12, v22, v24
	v_sub_f32_e32 v23, v13, v12
	v_pk_add_f32 v[26:27], v[12:13], v[22:23] neg_lo:[0,1] neg_hi:[0,1]
	v_mov_b32_e32 v25, v12
	v_pk_add_f32 v[12:13], v[26:27], v[24:25] neg_lo:[0,1] neg_hi:[0,1]
	s_or_b64 vcc, s[52:53], vcc
	v_add_f32_e32 v13, v29, v13
	v_add_f32_e32 v12, v12, v13
	;; [unrolled: 1-line block ×4, first 2 shown]
	v_sub_f32_e32 v22, v13, v32
	v_mul_f32_e32 v12, v31, v12
	v_sub_f32_e32 v20, v20, v22
	v_add_f32_e32 v20, v20, v12
	v_add_f32_e32 v22, v13, v20
	v_mul_f32_e32 v24, v22, v22
	v_fmamk_f32 v12, v24, 0x3e9b6dac, v40
	v_fmaak_f32 v43, v24, v12, 0x3f2aaada
	v_cvt_f32_i32_e32 v12, v28
	v_sub_f32_e32 v13, v22, v13
	v_sub_f32_e32 v13, v20, v13
	v_ldexp_f32 v20, v13, 1
	v_mul_f32_e32 v13, v22, v24
	v_pk_mul_f32 v[24:25], v[12:13], v[42:43]
	v_ldexp_f32 v23, v22, 1
	v_fma_f32 v22, v12, s56, -v24
	v_fmac_f32_e32 v22, 0xb102e308, v12
	v_pk_add_f32 v[12:13], v[24:25], v[22:23]
	v_mov_b32_e32 v26, v24
	v_sub_f32_e32 v23, v13, v23
	v_sub_f32_e32 v23, v25, v23
	v_add_f32_e32 v27, v20, v23
	v_pk_add_f32 v[24:25], v[12:13], v[24:25] neg_lo:[0,1] neg_hi:[0,1]
	v_pk_add_f32 v[28:29], v[12:13], v[26:27]
	v_mov_b32_e32 v23, v12
	v_mov_b32_e32 v25, v29
	v_pk_add_f32 v[30:31], v[22:23], v[24:25] neg_lo:[0,1] neg_hi:[0,1]
	v_pk_add_f32 v[22:23], v[22:23], v[24:25]
	s_nop 0
	v_mov_b32_e32 v20, v23
	v_pk_add_f32 v[24:25], v[20:21], v[12:13] neg_lo:[0,1] neg_hi:[0,1]
	v_mov_b32_e32 v22, v29
	v_mov_b32_e32 v25, v24
	v_pk_add_f32 v[32:33], v[28:29], v[24:25] neg_lo:[0,1] neg_hi:[0,1]
	v_mov_b32_e32 v28, v13
	v_mov_b32_e32 v29, v24
	;; [unrolled: 1-line block ×3, first 2 shown]
	v_pk_add_f32 v[22:23], v[22:23], v[28:29] neg_lo:[0,1] neg_hi:[0,1]
	v_mov_b32_e32 v24, v27
	v_mov_b32_e32 v25, v12
	v_pk_add_f32 v[12:13], v[24:25], v[22:23] neg_lo:[0,1] neg_hi:[0,1]
	v_mov_b32_e32 v32, v30
	v_pk_add_f32 v[22:23], v[32:33], v[12:13]
	s_nop 0
	v_mov_b32_e32 v24, v23
	v_pk_add_f32 v[24:25], v[22:23], v[24:25]
	s_nop 0
	v_pk_add_f32 v[26:27], v[20:21], v[24:25]
	v_mov_b32_e32 v13, v24
	v_mov_b32_e32 v23, v26
	v_pk_add_f32 v[28:29], v[22:23], v[30:31] neg_lo:[0,1] neg_hi:[0,1]
	s_nop 0
	v_sub_f32_e32 v20, v22, v28
	v_pk_add_f32 v[12:13], v[12:13], v[28:29] neg_lo:[0,1] neg_hi:[0,1]
	v_sub_f32_e32 v20, v30, v20
	v_add_f32_e32 v12, v12, v20
	v_add_f32_e32 v12, v12, v13
	;; [unrolled: 1-line block ×3, first 2 shown]
	v_cndmask_b32_e32 v71, v12, v34, vcc
.LBB18_83:                              ;   in Loop: Header=BB18_13 Depth=1
	s_or_b64 exec, exec, s[54:55]
	v_lshlrev_b32_e32 v12, 16, v14
	v_readlane_b32 s0, v95, 2
	s_nop 1
	v_add_f32_e32 v90, s0, v12
	v_cmp_ge_f32_e32 vcc, s6, v90
	s_and_b64 s[0:1], s[4:5], vcc
	s_and_saveexec_b64 s[54:55], s[0:1]
	s_cbranch_execz .LBB18_85
; %bb.84:                               ;   in Loop: Header=BB18_13 Depth=1
	v_mul_f32_e32 v12, 0x3fb8aa3b, v90
	v_rndne_f32_e32 v13, v12
	v_sub_f32_e32 v20, v12, v13
	v_fma_f32 v12, v90, s7, -v12
	v_fmac_f32_e32 v12, 0x32a5705f, v90
	v_add_f32_e32 v12, v20, v12
	v_cvt_i32_f32_e32 v13, v13
	v_exp_f32_e32 v12, v12
	v_cmp_ngt_f32_e32 vcc, s8, v90
	v_ldexp_f32 v12, v12, v13
	s_nop 0
	v_cndmask_b32_e32 v12, 0, v12, vcc
	v_cmp_nlt_f32_e32 vcc, s9, v90
	s_nop 1
	v_cndmask_b32_e32 v34, v41, v12, vcc
	v_add_f32_e32 v20, 1.0, v34
	v_add_f32_e32 v12, -1.0, v20
	v_sub_f32_e32 v13, v12, v20
	v_add_f32_e32 v13, 1.0, v13
	v_sub_f32_e32 v12, v34, v12
	v_add_f32_e32 v22, v12, v13
	v_frexp_mant_f32_e32 v23, v20
	v_cvt_f64_f32_e32 v[12:13], v20
	v_frexp_exp_i32_f64_e32 v12, v[12:13]
	v_cmp_gt_f32_e32 vcc, s11, v23
	v_cmp_gt_f32_e64 s[52:53], s57, v34
	s_nop 0
	v_subbrev_co_u32_e32 v28, vcc, 0, v12, vcc
	v_sub_u32_e32 v12, 0, v28
	v_ldexp_f32 v13, v20, v12
	v_add_f32_e32 v20, -1.0, v13
	v_add_f32_e32 v23, 1.0, v13
	v_ldexp_f32 v12, v22, v12
	v_add_f32_e32 v22, 1.0, v20
	v_add_f32_e32 v24, -1.0, v23
	v_sub_f32_e32 v22, v13, v22
	v_sub_f32_e32 v13, v13, v24
	v_add_f32_e32 v22, v12, v22
	v_add_f32_e32 v12, v12, v13
	;; [unrolled: 1-line block ×3, first 2 shown]
	v_rcp_f32_e32 v31, v29
	v_sub_f32_e32 v13, v23, v29
	v_add_f32_e32 v30, v12, v13
	v_add_f32_e32 v13, v20, v22
	v_sub_f32_e32 v12, v20, v13
	v_mul_f32_e32 v32, v13, v31
	v_add_f32_e32 v20, v22, v12
	v_mul_f32_e32 v22, v29, v32
	v_fma_f32 v24, v32, v29, -v22
	v_fmac_f32_e32 v24, v32, v30
	v_add_f32_e32 v12, v22, v24
	v_sub_f32_e32 v23, v13, v12
	v_pk_add_f32 v[26:27], v[12:13], v[22:23] neg_lo:[0,1] neg_hi:[0,1]
	v_mov_b32_e32 v25, v12
	v_pk_add_f32 v[12:13], v[26:27], v[24:25] neg_lo:[0,1] neg_hi:[0,1]
	v_cmp_eq_f32_e32 vcc, s10, v34
	v_add_f32_e32 v13, v20, v13
	v_add_f32_e32 v12, v12, v13
	;; [unrolled: 1-line block ×3, first 2 shown]
	v_mul_f32_e32 v20, v31, v13
	v_mul_f32_e32 v22, v29, v20
	v_fma_f32 v24, v20, v29, -v22
	v_fmac_f32_e32 v24, v20, v30
	v_sub_f32_e32 v23, v23, v13
	v_add_f32_e32 v29, v12, v23
	v_add_f32_e32 v12, v22, v24
	v_sub_f32_e32 v23, v13, v12
	v_pk_add_f32 v[26:27], v[12:13], v[22:23] neg_lo:[0,1] neg_hi:[0,1]
	v_mov_b32_e32 v25, v12
	v_pk_add_f32 v[12:13], v[26:27], v[24:25] neg_lo:[0,1] neg_hi:[0,1]
	s_or_b64 vcc, s[52:53], vcc
	v_add_f32_e32 v13, v29, v13
	v_add_f32_e32 v12, v12, v13
	;; [unrolled: 1-line block ×4, first 2 shown]
	v_sub_f32_e32 v22, v13, v32
	v_mul_f32_e32 v12, v31, v12
	v_sub_f32_e32 v20, v20, v22
	v_add_f32_e32 v20, v20, v12
	v_add_f32_e32 v22, v13, v20
	v_mul_f32_e32 v24, v22, v22
	v_fmamk_f32 v12, v24, 0x3e9b6dac, v40
	v_fmaak_f32 v43, v24, v12, 0x3f2aaada
	v_cvt_f32_i32_e32 v12, v28
	v_sub_f32_e32 v13, v22, v13
	v_sub_f32_e32 v13, v20, v13
	v_ldexp_f32 v20, v13, 1
	v_mul_f32_e32 v13, v22, v24
	v_pk_mul_f32 v[24:25], v[12:13], v[42:43]
	v_ldexp_f32 v23, v22, 1
	v_fma_f32 v22, v12, s56, -v24
	v_fmac_f32_e32 v22, 0xb102e308, v12
	v_pk_add_f32 v[12:13], v[24:25], v[22:23]
	v_mov_b32_e32 v26, v24
	v_sub_f32_e32 v23, v13, v23
	v_sub_f32_e32 v23, v25, v23
	v_add_f32_e32 v27, v20, v23
	v_pk_add_f32 v[24:25], v[12:13], v[24:25] neg_lo:[0,1] neg_hi:[0,1]
	v_pk_add_f32 v[28:29], v[12:13], v[26:27]
	v_mov_b32_e32 v23, v12
	v_mov_b32_e32 v25, v29
	v_pk_add_f32 v[30:31], v[22:23], v[24:25] neg_lo:[0,1] neg_hi:[0,1]
	v_pk_add_f32 v[22:23], v[22:23], v[24:25]
	s_nop 0
	v_mov_b32_e32 v20, v23
	v_pk_add_f32 v[24:25], v[20:21], v[12:13] neg_lo:[0,1] neg_hi:[0,1]
	v_mov_b32_e32 v22, v29
	v_mov_b32_e32 v25, v24
	v_pk_add_f32 v[32:33], v[28:29], v[24:25] neg_lo:[0,1] neg_hi:[0,1]
	v_mov_b32_e32 v28, v13
	v_mov_b32_e32 v29, v24
	;; [unrolled: 1-line block ×3, first 2 shown]
	v_pk_add_f32 v[22:23], v[22:23], v[28:29] neg_lo:[0,1] neg_hi:[0,1]
	v_mov_b32_e32 v24, v27
	v_mov_b32_e32 v25, v12
	v_pk_add_f32 v[12:13], v[24:25], v[22:23] neg_lo:[0,1] neg_hi:[0,1]
	v_mov_b32_e32 v32, v30
	v_pk_add_f32 v[22:23], v[32:33], v[12:13]
	s_nop 0
	v_mov_b32_e32 v24, v23
	v_pk_add_f32 v[24:25], v[22:23], v[24:25]
	s_nop 0
	v_pk_add_f32 v[26:27], v[20:21], v[24:25]
	v_mov_b32_e32 v13, v24
	v_mov_b32_e32 v23, v26
	v_pk_add_f32 v[28:29], v[22:23], v[30:31] neg_lo:[0,1] neg_hi:[0,1]
	s_nop 0
	v_sub_f32_e32 v20, v22, v28
	v_pk_add_f32 v[12:13], v[12:13], v[28:29] neg_lo:[0,1] neg_hi:[0,1]
	v_sub_f32_e32 v20, v30, v20
	v_add_f32_e32 v12, v12, v20
	v_add_f32_e32 v12, v12, v13
	;; [unrolled: 1-line block ×3, first 2 shown]
	v_cndmask_b32_e32 v90, v12, v34, vcc
.LBB18_85:                              ;   in Loop: Header=BB18_13 Depth=1
	s_or_b64 exec, exec, s[54:55]
	v_and_b32_e32 v12, 0xffff0000, v14
	v_readlane_b32 s0, v95, 2
	s_nop 1
	v_add_f32_e32 v91, s0, v12
	v_cmp_ge_f32_e32 vcc, s6, v91
	s_and_b64 s[0:1], s[4:5], vcc
	s_and_saveexec_b64 s[54:55], s[0:1]
	s_cbranch_execz .LBB18_87
; %bb.86:                               ;   in Loop: Header=BB18_13 Depth=1
	v_mul_f32_e32 v12, 0x3fb8aa3b, v91
	v_rndne_f32_e32 v13, v12
	v_sub_f32_e32 v14, v12, v13
	v_fma_f32 v12, v91, s7, -v12
	v_fmac_f32_e32 v12, 0x32a5705f, v91
	v_add_f32_e32 v12, v14, v12
	v_cvt_i32_f32_e32 v13, v13
	v_exp_f32_e32 v12, v12
	v_cmp_ngt_f32_e32 vcc, s8, v91
	v_ldexp_f32 v12, v12, v13
	s_nop 0
	v_cndmask_b32_e32 v12, 0, v12, vcc
	v_cmp_nlt_f32_e32 vcc, s9, v91
	s_nop 1
	v_cndmask_b32_e32 v34, v41, v12, vcc
	v_add_f32_e32 v14, 1.0, v34
	v_add_f32_e32 v12, -1.0, v14
	v_sub_f32_e32 v13, v12, v14
	v_add_f32_e32 v13, 1.0, v13
	v_sub_f32_e32 v12, v34, v12
	v_add_f32_e32 v20, v12, v13
	v_frexp_mant_f32_e32 v22, v14
	v_cvt_f64_f32_e32 v[12:13], v14
	v_frexp_exp_i32_f64_e32 v12, v[12:13]
	v_cmp_gt_f32_e32 vcc, s11, v22
	v_cmp_gt_f32_e64 s[52:53], s57, v34
	s_nop 0
	v_subbrev_co_u32_e32 v28, vcc, 0, v12, vcc
	v_sub_u32_e32 v12, 0, v28
	v_ldexp_f32 v13, v14, v12
	v_add_f32_e32 v14, -1.0, v13
	v_add_f32_e32 v22, 1.0, v13
	v_ldexp_f32 v12, v20, v12
	v_add_f32_e32 v20, 1.0, v14
	v_add_f32_e32 v23, -1.0, v22
	v_sub_f32_e32 v20, v13, v20
	v_sub_f32_e32 v13, v13, v23
	v_add_f32_e32 v20, v12, v20
	v_add_f32_e32 v12, v12, v13
	v_add_f32_e32 v29, v22, v12
	v_rcp_f32_e32 v31, v29
	v_sub_f32_e32 v13, v22, v29
	v_add_f32_e32 v30, v12, v13
	v_add_f32_e32 v13, v14, v20
	v_sub_f32_e32 v12, v14, v13
	v_add_f32_e32 v14, v20, v12
	v_mul_f32_e32 v20, v13, v31
	v_mul_f32_e32 v22, v29, v20
	v_fma_f32 v24, v20, v29, -v22
	v_fmac_f32_e32 v24, v20, v30
	v_add_f32_e32 v12, v22, v24
	v_sub_f32_e32 v23, v13, v12
	v_pk_add_f32 v[26:27], v[12:13], v[22:23] neg_lo:[0,1] neg_hi:[0,1]
	v_mov_b32_e32 v25, v12
	v_pk_add_f32 v[12:13], v[26:27], v[24:25] neg_lo:[0,1] neg_hi:[0,1]
	v_cmp_eq_f32_e32 vcc, s10, v34
	v_add_f32_e32 v13, v14, v13
	v_add_f32_e32 v12, v12, v13
	v_add_f32_e32 v13, v23, v12
	v_mul_f32_e32 v14, v31, v13
	v_mul_f32_e32 v22, v29, v14
	v_fma_f32 v24, v14, v29, -v22
	v_fmac_f32_e32 v24, v14, v30
	v_sub_f32_e32 v23, v23, v13
	v_add_f32_e32 v29, v12, v23
	v_add_f32_e32 v12, v22, v24
	v_sub_f32_e32 v23, v13, v12
	v_pk_add_f32 v[26:27], v[12:13], v[22:23] neg_lo:[0,1] neg_hi:[0,1]
	v_mov_b32_e32 v25, v12
	v_pk_add_f32 v[12:13], v[26:27], v[24:25] neg_lo:[0,1] neg_hi:[0,1]
	s_or_b64 vcc, s[52:53], vcc
	v_add_f32_e32 v13, v29, v13
	v_add_f32_e32 v12, v12, v13
	;; [unrolled: 1-line block ×4, first 2 shown]
	v_sub_f32_e32 v20, v13, v20
	v_mul_f32_e32 v12, v31, v12
	v_sub_f32_e32 v14, v14, v20
	v_add_f32_e32 v14, v14, v12
	v_add_f32_e32 v20, v13, v14
	v_mul_f32_e32 v22, v20, v20
	v_fmamk_f32 v12, v22, 0x3e9b6dac, v40
	v_fmaak_f32 v43, v22, v12, 0x3f2aaada
	v_cvt_f32_i32_e32 v12, v28
	v_sub_f32_e32 v13, v20, v13
	v_sub_f32_e32 v13, v14, v13
	v_ldexp_f32 v14, v13, 1
	v_mul_f32_e32 v13, v20, v22
	v_pk_mul_f32 v[24:25], v[12:13], v[42:43]
	v_ldexp_f32 v23, v20, 1
	v_fma_f32 v22, v12, s56, -v24
	v_fmac_f32_e32 v22, 0xb102e308, v12
	v_pk_add_f32 v[12:13], v[24:25], v[22:23]
	v_mov_b32_e32 v26, v24
	v_sub_f32_e32 v20, v13, v23
	v_sub_f32_e32 v20, v25, v20
	v_add_f32_e32 v27, v14, v20
	v_pk_add_f32 v[24:25], v[12:13], v[24:25] neg_lo:[0,1] neg_hi:[0,1]
	v_pk_add_f32 v[28:29], v[12:13], v[26:27]
	v_mov_b32_e32 v23, v12
	v_mov_b32_e32 v25, v29
	v_pk_add_f32 v[30:31], v[22:23], v[24:25] neg_lo:[0,1] neg_hi:[0,1]
	v_pk_add_f32 v[22:23], v[22:23], v[24:25]
	s_nop 0
	v_mov_b32_e32 v14, v23
	v_pk_add_f32 v[24:25], v[14:15], v[12:13] neg_lo:[0,1] neg_hi:[0,1]
	v_mov_b32_e32 v22, v29
	v_mov_b32_e32 v25, v24
	v_pk_add_f32 v[32:33], v[28:29], v[24:25] neg_lo:[0,1] neg_hi:[0,1]
	v_mov_b32_e32 v28, v13
	v_mov_b32_e32 v29, v24
	;; [unrolled: 1-line block ×3, first 2 shown]
	v_pk_add_f32 v[22:23], v[22:23], v[28:29] neg_lo:[0,1] neg_hi:[0,1]
	v_mov_b32_e32 v24, v27
	v_mov_b32_e32 v25, v12
	v_pk_add_f32 v[12:13], v[24:25], v[22:23] neg_lo:[0,1] neg_hi:[0,1]
	v_mov_b32_e32 v32, v30
	v_pk_add_f32 v[22:23], v[32:33], v[12:13]
	s_nop 0
	v_mov_b32_e32 v20, v23
	v_pk_add_f32 v[24:25], v[22:23], v[20:21]
	s_nop 0
	v_pk_add_f32 v[26:27], v[14:15], v[24:25]
	v_mov_b32_e32 v13, v24
	v_mov_b32_e32 v23, v26
	v_pk_add_f32 v[28:29], v[22:23], v[30:31] neg_lo:[0,1] neg_hi:[0,1]
	s_nop 0
	v_sub_f32_e32 v14, v22, v28
	v_pk_add_f32 v[12:13], v[12:13], v[28:29] neg_lo:[0,1] neg_hi:[0,1]
	v_sub_f32_e32 v14, v30, v14
	v_add_f32_e32 v12, v12, v14
	v_add_f32_e32 v12, v12, v13
	;; [unrolled: 1-line block ×3, first 2 shown]
	v_cndmask_b32_e32 v91, v12, v34, vcc
.LBB18_87:                              ;   in Loop: Header=BB18_13 Depth=1
	s_or_b64 exec, exec, s[54:55]
	v_lshlrev_b32_e32 v12, 16, v15
	v_readlane_b32 s0, v95, 2
	s_nop 1
	v_add_f32_e32 v92, s0, v12
	v_cmp_ge_f32_e32 vcc, s6, v92
	s_and_b64 s[0:1], s[4:5], vcc
	s_and_saveexec_b64 s[54:55], s[0:1]
	s_cbranch_execz .LBB18_89
; %bb.88:                               ;   in Loop: Header=BB18_13 Depth=1
	v_mul_f32_e32 v12, 0x3fb8aa3b, v92
	v_rndne_f32_e32 v13, v12
	v_sub_f32_e32 v14, v12, v13
	v_fma_f32 v12, v92, s7, -v12
	v_fmac_f32_e32 v12, 0x32a5705f, v92
	v_add_f32_e32 v12, v14, v12
	v_cvt_i32_f32_e32 v13, v13
	v_exp_f32_e32 v12, v12
	v_cmp_ngt_f32_e32 vcc, s8, v92
	v_ldexp_f32 v12, v12, v13
	s_nop 0
	v_cndmask_b32_e32 v12, 0, v12, vcc
	v_cmp_nlt_f32_e32 vcc, s9, v92
	s_nop 1
	v_cndmask_b32_e32 v34, v41, v12, vcc
	v_add_f32_e32 v14, 1.0, v34
	v_add_f32_e32 v12, -1.0, v14
	v_sub_f32_e32 v13, v12, v14
	v_add_f32_e32 v13, 1.0, v13
	v_sub_f32_e32 v12, v34, v12
	v_add_f32_e32 v20, v12, v13
	v_frexp_mant_f32_e32 v22, v14
	v_cvt_f64_f32_e32 v[12:13], v14
	v_frexp_exp_i32_f64_e32 v12, v[12:13]
	v_cmp_gt_f32_e32 vcc, s11, v22
	v_cmp_gt_f32_e64 s[52:53], s57, v34
	s_nop 0
	v_subbrev_co_u32_e32 v28, vcc, 0, v12, vcc
	v_sub_u32_e32 v12, 0, v28
	v_ldexp_f32 v13, v14, v12
	v_add_f32_e32 v14, -1.0, v13
	v_add_f32_e32 v22, 1.0, v13
	v_ldexp_f32 v12, v20, v12
	v_add_f32_e32 v20, 1.0, v14
	v_add_f32_e32 v23, -1.0, v22
	v_sub_f32_e32 v20, v13, v20
	v_sub_f32_e32 v13, v13, v23
	v_add_f32_e32 v20, v12, v20
	v_add_f32_e32 v12, v12, v13
	;; [unrolled: 1-line block ×3, first 2 shown]
	v_rcp_f32_e32 v31, v29
	v_sub_f32_e32 v13, v22, v29
	v_add_f32_e32 v30, v12, v13
	v_add_f32_e32 v13, v14, v20
	v_sub_f32_e32 v12, v14, v13
	v_add_f32_e32 v14, v20, v12
	v_mul_f32_e32 v20, v13, v31
	v_mul_f32_e32 v22, v29, v20
	v_fma_f32 v24, v20, v29, -v22
	v_fmac_f32_e32 v24, v20, v30
	v_add_f32_e32 v12, v22, v24
	v_sub_f32_e32 v23, v13, v12
	v_pk_add_f32 v[26:27], v[12:13], v[22:23] neg_lo:[0,1] neg_hi:[0,1]
	v_mov_b32_e32 v25, v12
	v_pk_add_f32 v[12:13], v[26:27], v[24:25] neg_lo:[0,1] neg_hi:[0,1]
	v_cmp_eq_f32_e32 vcc, s10, v34
	v_add_f32_e32 v13, v14, v13
	v_add_f32_e32 v12, v12, v13
	;; [unrolled: 1-line block ×3, first 2 shown]
	v_mul_f32_e32 v14, v31, v13
	v_mul_f32_e32 v22, v29, v14
	v_fma_f32 v24, v14, v29, -v22
	v_fmac_f32_e32 v24, v14, v30
	v_sub_f32_e32 v23, v23, v13
	v_add_f32_e32 v29, v12, v23
	v_add_f32_e32 v12, v22, v24
	v_sub_f32_e32 v23, v13, v12
	v_pk_add_f32 v[26:27], v[12:13], v[22:23] neg_lo:[0,1] neg_hi:[0,1]
	v_mov_b32_e32 v25, v12
	v_pk_add_f32 v[12:13], v[26:27], v[24:25] neg_lo:[0,1] neg_hi:[0,1]
	s_or_b64 vcc, s[52:53], vcc
	v_add_f32_e32 v13, v29, v13
	v_add_f32_e32 v12, v12, v13
	;; [unrolled: 1-line block ×4, first 2 shown]
	v_sub_f32_e32 v20, v13, v20
	v_mul_f32_e32 v12, v31, v12
	v_sub_f32_e32 v14, v14, v20
	v_add_f32_e32 v14, v14, v12
	v_add_f32_e32 v20, v13, v14
	v_mul_f32_e32 v22, v20, v20
	v_fmamk_f32 v12, v22, 0x3e9b6dac, v40
	v_fmaak_f32 v43, v22, v12, 0x3f2aaada
	v_cvt_f32_i32_e32 v12, v28
	v_sub_f32_e32 v13, v20, v13
	v_sub_f32_e32 v13, v14, v13
	v_ldexp_f32 v14, v13, 1
	v_mul_f32_e32 v13, v20, v22
	v_pk_mul_f32 v[24:25], v[12:13], v[42:43]
	v_ldexp_f32 v23, v20, 1
	v_fma_f32 v22, v12, s56, -v24
	v_fmac_f32_e32 v22, 0xb102e308, v12
	v_pk_add_f32 v[12:13], v[24:25], v[22:23]
	v_mov_b32_e32 v26, v24
	v_sub_f32_e32 v20, v13, v23
	v_sub_f32_e32 v20, v25, v20
	v_add_f32_e32 v27, v14, v20
	v_pk_add_f32 v[24:25], v[12:13], v[24:25] neg_lo:[0,1] neg_hi:[0,1]
	v_pk_add_f32 v[28:29], v[12:13], v[26:27]
	v_mov_b32_e32 v23, v12
	v_mov_b32_e32 v25, v29
	v_pk_add_f32 v[30:31], v[22:23], v[24:25] neg_lo:[0,1] neg_hi:[0,1]
	v_pk_add_f32 v[22:23], v[22:23], v[24:25]
	s_nop 0
	v_mov_b32_e32 v14, v23
	v_pk_add_f32 v[24:25], v[14:15], v[12:13] neg_lo:[0,1] neg_hi:[0,1]
	v_mov_b32_e32 v22, v29
	v_mov_b32_e32 v25, v24
	v_pk_add_f32 v[32:33], v[28:29], v[24:25] neg_lo:[0,1] neg_hi:[0,1]
	v_mov_b32_e32 v28, v13
	v_mov_b32_e32 v29, v24
	;; [unrolled: 1-line block ×3, first 2 shown]
	v_pk_add_f32 v[22:23], v[22:23], v[28:29] neg_lo:[0,1] neg_hi:[0,1]
	v_mov_b32_e32 v24, v27
	v_mov_b32_e32 v25, v12
	v_pk_add_f32 v[12:13], v[24:25], v[22:23] neg_lo:[0,1] neg_hi:[0,1]
	v_mov_b32_e32 v32, v30
	v_pk_add_f32 v[22:23], v[32:33], v[12:13]
	s_nop 0
	v_mov_b32_e32 v20, v23
	v_pk_add_f32 v[24:25], v[22:23], v[20:21]
	s_nop 0
	v_pk_add_f32 v[26:27], v[14:15], v[24:25]
	v_mov_b32_e32 v13, v24
	v_mov_b32_e32 v23, v26
	v_pk_add_f32 v[28:29], v[22:23], v[30:31] neg_lo:[0,1] neg_hi:[0,1]
	s_nop 0
	v_sub_f32_e32 v14, v22, v28
	v_pk_add_f32 v[12:13], v[12:13], v[28:29] neg_lo:[0,1] neg_hi:[0,1]
	v_sub_f32_e32 v14, v30, v14
	v_add_f32_e32 v12, v12, v14
	v_add_f32_e32 v12, v12, v13
	;; [unrolled: 1-line block ×3, first 2 shown]
	v_cndmask_b32_e32 v92, v12, v34, vcc
.LBB18_89:                              ;   in Loop: Header=BB18_13 Depth=1
	s_or_b64 exec, exec, s[54:55]
	v_and_b32_e32 v12, 0xffff0000, v15
	v_readlane_b32 s0, v95, 2
	s_nop 1
	v_add_f32_e32 v93, s0, v12
	v_cmp_ge_f32_e32 vcc, s6, v93
	s_and_b64 s[0:1], s[4:5], vcc
	s_and_saveexec_b64 s[54:55], s[0:1]
	s_cbranch_execz .LBB18_91
; %bb.90:                               ;   in Loop: Header=BB18_13 Depth=1
	v_mul_f32_e32 v12, 0x3fb8aa3b, v93
	v_rndne_f32_e32 v13, v12
	v_sub_f32_e32 v14, v12, v13
	v_fma_f32 v12, v93, s7, -v12
	v_fmac_f32_e32 v12, 0x32a5705f, v93
	v_add_f32_e32 v12, v14, v12
	v_cvt_i32_f32_e32 v13, v13
	v_exp_f32_e32 v12, v12
	v_cmp_ngt_f32_e32 vcc, s8, v93
	v_ldexp_f32 v12, v12, v13
	s_nop 0
	v_cndmask_b32_e32 v12, 0, v12, vcc
	v_cmp_nlt_f32_e32 vcc, s9, v93
	s_nop 1
	v_cndmask_b32_e32 v32, v41, v12, vcc
	v_add_f32_e32 v14, 1.0, v32
	v_add_f32_e32 v12, -1.0, v14
	v_sub_f32_e32 v13, v12, v14
	v_add_f32_e32 v13, 1.0, v13
	v_sub_f32_e32 v12, v32, v12
	v_add_f32_e32 v15, v12, v13
	v_frexp_mant_f32_e32 v20, v14
	v_cvt_f64_f32_e32 v[12:13], v14
	v_frexp_exp_i32_f64_e32 v12, v[12:13]
	v_cmp_gt_f32_e32 vcc, s11, v20
	v_cmp_gt_f32_e64 s[52:53], s57, v32
	s_nop 0
	v_subbrev_co_u32_e32 v20, vcc, 0, v12, vcc
	v_sub_u32_e32 v12, 0, v20
	v_ldexp_f32 v13, v14, v12
	v_add_f32_e32 v14, -1.0, v13
	v_add_f32_e32 v22, 1.0, v13
	v_ldexp_f32 v12, v15, v12
	v_add_f32_e32 v15, 1.0, v14
	v_add_f32_e32 v23, -1.0, v22
	v_sub_f32_e32 v15, v13, v15
	v_sub_f32_e32 v13, v13, v23
	v_add_f32_e32 v15, v12, v15
	v_add_f32_e32 v12, v12, v13
	;; [unrolled: 1-line block ×3, first 2 shown]
	v_rcp_f32_e32 v28, v26
	v_sub_f32_e32 v13, v22, v26
	v_add_f32_e32 v27, v12, v13
	v_add_f32_e32 v13, v14, v15
	v_mul_f32_e32 v30, v13, v28
	v_sub_f32_e32 v12, v14, v13
	v_mul_f32_e32 v14, v26, v30
	v_fma_f32 v22, v30, v26, -v14
	v_fmac_f32_e32 v22, v30, v27
	v_add_f32_e32 v29, v15, v12
	v_add_f32_e32 v12, v14, v22
	v_sub_f32_e32 v15, v13, v12
	v_pk_add_f32 v[24:25], v[12:13], v[14:15] neg_lo:[0,1] neg_hi:[0,1]
	v_mov_b32_e32 v23, v12
	v_pk_add_f32 v[12:13], v[24:25], v[22:23] neg_lo:[0,1] neg_hi:[0,1]
	v_cmp_eq_f32_e32 vcc, s10, v32
	v_add_f32_e32 v13, v29, v13
	v_add_f32_e32 v12, v12, v13
	;; [unrolled: 1-line block ×3, first 2 shown]
	v_mul_f32_e32 v29, v28, v13
	v_mul_f32_e32 v14, v26, v29
	v_fma_f32 v22, v29, v26, -v14
	v_fmac_f32_e32 v22, v29, v27
	v_sub_f32_e32 v15, v15, v13
	v_add_f32_e32 v26, v12, v15
	v_add_f32_e32 v12, v14, v22
	v_sub_f32_e32 v15, v13, v12
	v_pk_add_f32 v[24:25], v[12:13], v[14:15] neg_lo:[0,1] neg_hi:[0,1]
	v_mov_b32_e32 v23, v12
	v_pk_add_f32 v[12:13], v[24:25], v[22:23] neg_lo:[0,1] neg_hi:[0,1]
	s_or_b64 vcc, s[52:53], vcc
	v_add_f32_e32 v13, v26, v13
	v_add_f32_e32 v12, v12, v13
	;; [unrolled: 1-line block ×4, first 2 shown]
	v_sub_f32_e32 v14, v13, v30
	v_mul_f32_e32 v12, v28, v12
	v_sub_f32_e32 v14, v29, v14
	v_add_f32_e32 v14, v14, v12
	v_add_f32_e32 v22, v13, v14
	v_mul_f32_e32 v23, v22, v22
	v_fmamk_f32 v12, v23, 0x3e9b6dac, v40
	v_fmaak_f32 v43, v23, v12, 0x3f2aaada
	v_cvt_f32_i32_e32 v12, v20
	v_sub_f32_e32 v13, v22, v13
	v_sub_f32_e32 v13, v14, v13
	v_ldexp_f32 v20, v13, 1
	v_mul_f32_e32 v13, v22, v23
	v_ldexp_f32 v15, v22, 1
	v_pk_mul_f32 v[22:23], v[12:13], v[42:43]
	s_nop 0
	v_fma_f32 v14, v12, s56, -v22
	v_fmac_f32_e32 v14, 0xb102e308, v12
	v_pk_add_f32 v[12:13], v[22:23], v[14:15]
	v_mov_b32_e32 v24, v22
	v_sub_f32_e32 v15, v13, v15
	v_sub_f32_e32 v15, v23, v15
	v_add_f32_e32 v25, v20, v15
	v_pk_add_f32 v[22:23], v[12:13], v[22:23] neg_lo:[0,1] neg_hi:[0,1]
	v_pk_add_f32 v[26:27], v[12:13], v[24:25]
	v_mov_b32_e32 v15, v12
	v_mov_b32_e32 v23, v27
	v_pk_add_f32 v[28:29], v[14:15], v[22:23] neg_lo:[0,1] neg_hi:[0,1]
	v_pk_add_f32 v[14:15], v[14:15], v[22:23]
	s_nop 0
	v_mov_b32_e32 v20, v15
	v_pk_add_f32 v[22:23], v[20:21], v[12:13] neg_lo:[0,1] neg_hi:[0,1]
	v_mov_b32_e32 v14, v27
	v_mov_b32_e32 v23, v22
	v_pk_add_f32 v[30:31], v[26:27], v[22:23] neg_lo:[0,1] neg_hi:[0,1]
	v_mov_b32_e32 v26, v13
	v_mov_b32_e32 v27, v22
	;; [unrolled: 1-line block ×3, first 2 shown]
	v_pk_add_f32 v[14:15], v[14:15], v[26:27] neg_lo:[0,1] neg_hi:[0,1]
	v_mov_b32_e32 v22, v25
	v_mov_b32_e32 v23, v12
	v_pk_add_f32 v[12:13], v[22:23], v[14:15] neg_lo:[0,1] neg_hi:[0,1]
	v_mov_b32_e32 v30, v28
	v_pk_add_f32 v[14:15], v[30:31], v[12:13]
	s_nop 0
	v_mov_b32_e32 v22, v15
	v_pk_add_f32 v[22:23], v[14:15], v[22:23]
	s_nop 0
	v_pk_add_f32 v[24:25], v[20:21], v[22:23]
	v_mov_b32_e32 v13, v22
	v_mov_b32_e32 v15, v24
	v_pk_add_f32 v[26:27], v[14:15], v[28:29] neg_lo:[0,1] neg_hi:[0,1]
	s_nop 0
	v_sub_f32_e32 v14, v14, v26
	v_pk_add_f32 v[12:13], v[12:13], v[26:27] neg_lo:[0,1] neg_hi:[0,1]
	v_sub_f32_e32 v14, v28, v14
	v_add_f32_e32 v12, v12, v14
	v_add_f32_e32 v12, v12, v13
	;; [unrolled: 1-line block ×3, first 2 shown]
	v_cndmask_b32_e32 v93, v12, v32, vcc
.LBB18_91:                              ;   in Loop: Header=BB18_13 Depth=1
	s_or_b64 exec, exec, s[54:55]
	s_waitcnt lgkmcnt(0)
	v_lshlrev_b32_e32 v12, 16, v8
	v_readlane_b32 s0, v95, 2
	s_nop 1
	v_add_f32_e32 v94, s0, v12
	v_cmp_ge_f32_e32 vcc, s6, v94
	s_and_b64 s[0:1], s[4:5], vcc
	s_and_saveexec_b64 s[54:55], s[0:1]
	s_cbranch_execz .LBB18_93
; %bb.92:                               ;   in Loop: Header=BB18_13 Depth=1
	v_mul_f32_e32 v12, 0x3fb8aa3b, v94
	v_rndne_f32_e32 v13, v12
	v_sub_f32_e32 v14, v12, v13
	v_fma_f32 v12, v94, s7, -v12
	v_fmac_f32_e32 v12, 0x32a5705f, v94
	v_add_f32_e32 v12, v14, v12
	v_cvt_i32_f32_e32 v13, v13
	v_exp_f32_e32 v12, v12
	v_cmp_ngt_f32_e32 vcc, s8, v94
	v_ldexp_f32 v12, v12, v13
	s_nop 0
	v_cndmask_b32_e32 v12, 0, v12, vcc
	v_cmp_nlt_f32_e32 vcc, s9, v94
	s_nop 1
	v_cndmask_b32_e32 v32, v41, v12, vcc
	v_add_f32_e32 v14, 1.0, v32
	v_add_f32_e32 v12, -1.0, v14
	v_sub_f32_e32 v13, v12, v14
	v_add_f32_e32 v13, 1.0, v13
	v_sub_f32_e32 v12, v32, v12
	v_add_f32_e32 v15, v12, v13
	v_frexp_mant_f32_e32 v20, v14
	v_cvt_f64_f32_e32 v[12:13], v14
	v_frexp_exp_i32_f64_e32 v12, v[12:13]
	v_cmp_gt_f32_e32 vcc, s11, v20
	v_cmp_gt_f32_e64 s[52:53], s57, v32
	s_nop 0
	v_subbrev_co_u32_e32 v20, vcc, 0, v12, vcc
	v_sub_u32_e32 v12, 0, v20
	v_ldexp_f32 v13, v14, v12
	v_add_f32_e32 v14, -1.0, v13
	v_add_f32_e32 v22, 1.0, v13
	v_ldexp_f32 v12, v15, v12
	v_add_f32_e32 v15, 1.0, v14
	v_add_f32_e32 v23, -1.0, v22
	v_sub_f32_e32 v15, v13, v15
	v_sub_f32_e32 v13, v13, v23
	v_add_f32_e32 v15, v12, v15
	v_add_f32_e32 v12, v12, v13
	;; [unrolled: 1-line block ×3, first 2 shown]
	v_rcp_f32_e32 v28, v26
	v_sub_f32_e32 v13, v22, v26
	v_add_f32_e32 v27, v12, v13
	v_add_f32_e32 v13, v14, v15
	v_mul_f32_e32 v30, v13, v28
	v_sub_f32_e32 v12, v14, v13
	v_mul_f32_e32 v14, v26, v30
	v_fma_f32 v22, v30, v26, -v14
	v_fmac_f32_e32 v22, v30, v27
	v_add_f32_e32 v29, v15, v12
	v_add_f32_e32 v12, v14, v22
	v_sub_f32_e32 v15, v13, v12
	v_pk_add_f32 v[24:25], v[12:13], v[14:15] neg_lo:[0,1] neg_hi:[0,1]
	v_mov_b32_e32 v23, v12
	v_pk_add_f32 v[12:13], v[24:25], v[22:23] neg_lo:[0,1] neg_hi:[0,1]
	v_cmp_eq_f32_e32 vcc, s10, v32
	v_add_f32_e32 v13, v29, v13
	v_add_f32_e32 v12, v12, v13
	;; [unrolled: 1-line block ×3, first 2 shown]
	v_mul_f32_e32 v29, v28, v13
	v_mul_f32_e32 v14, v26, v29
	v_fma_f32 v22, v29, v26, -v14
	v_fmac_f32_e32 v22, v29, v27
	v_sub_f32_e32 v15, v15, v13
	v_add_f32_e32 v26, v12, v15
	v_add_f32_e32 v12, v14, v22
	v_sub_f32_e32 v15, v13, v12
	v_pk_add_f32 v[24:25], v[12:13], v[14:15] neg_lo:[0,1] neg_hi:[0,1]
	v_mov_b32_e32 v23, v12
	v_pk_add_f32 v[12:13], v[24:25], v[22:23] neg_lo:[0,1] neg_hi:[0,1]
	s_or_b64 vcc, s[52:53], vcc
	v_add_f32_e32 v13, v26, v13
	v_add_f32_e32 v12, v12, v13
	;; [unrolled: 1-line block ×4, first 2 shown]
	v_sub_f32_e32 v14, v13, v30
	v_mul_f32_e32 v12, v28, v12
	v_sub_f32_e32 v14, v29, v14
	v_add_f32_e32 v14, v14, v12
	v_add_f32_e32 v22, v13, v14
	v_mul_f32_e32 v23, v22, v22
	v_fmamk_f32 v12, v23, 0x3e9b6dac, v40
	v_fmaak_f32 v43, v23, v12, 0x3f2aaada
	v_cvt_f32_i32_e32 v12, v20
	v_sub_f32_e32 v13, v22, v13
	v_sub_f32_e32 v13, v14, v13
	v_ldexp_f32 v20, v13, 1
	v_mul_f32_e32 v13, v22, v23
	v_ldexp_f32 v15, v22, 1
	v_pk_mul_f32 v[22:23], v[12:13], v[42:43]
	s_nop 0
	v_fma_f32 v14, v12, s56, -v22
	v_fmac_f32_e32 v14, 0xb102e308, v12
	v_pk_add_f32 v[12:13], v[22:23], v[14:15]
	v_mov_b32_e32 v24, v22
	v_sub_f32_e32 v15, v13, v15
	v_sub_f32_e32 v15, v23, v15
	v_add_f32_e32 v25, v20, v15
	v_pk_add_f32 v[22:23], v[12:13], v[22:23] neg_lo:[0,1] neg_hi:[0,1]
	v_pk_add_f32 v[26:27], v[12:13], v[24:25]
	v_mov_b32_e32 v15, v12
	v_mov_b32_e32 v23, v27
	v_pk_add_f32 v[28:29], v[14:15], v[22:23] neg_lo:[0,1] neg_hi:[0,1]
	v_pk_add_f32 v[14:15], v[14:15], v[22:23]
	s_nop 0
	v_mov_b32_e32 v20, v15
	v_pk_add_f32 v[22:23], v[20:21], v[12:13] neg_lo:[0,1] neg_hi:[0,1]
	v_mov_b32_e32 v14, v27
	v_mov_b32_e32 v23, v22
	v_pk_add_f32 v[30:31], v[26:27], v[22:23] neg_lo:[0,1] neg_hi:[0,1]
	v_mov_b32_e32 v26, v13
	v_mov_b32_e32 v27, v22
	;; [unrolled: 1-line block ×3, first 2 shown]
	v_pk_add_f32 v[14:15], v[14:15], v[26:27] neg_lo:[0,1] neg_hi:[0,1]
	v_mov_b32_e32 v22, v25
	v_mov_b32_e32 v23, v12
	v_pk_add_f32 v[12:13], v[22:23], v[14:15] neg_lo:[0,1] neg_hi:[0,1]
	v_mov_b32_e32 v30, v28
	v_pk_add_f32 v[14:15], v[30:31], v[12:13]
	s_nop 0
	v_mov_b32_e32 v22, v15
	v_pk_add_f32 v[22:23], v[14:15], v[22:23]
	s_nop 0
	v_pk_add_f32 v[24:25], v[20:21], v[22:23]
	v_mov_b32_e32 v13, v22
	v_mov_b32_e32 v15, v24
	v_pk_add_f32 v[26:27], v[14:15], v[28:29] neg_lo:[0,1] neg_hi:[0,1]
	s_nop 0
	v_sub_f32_e32 v14, v14, v26
	v_pk_add_f32 v[12:13], v[12:13], v[26:27] neg_lo:[0,1] neg_hi:[0,1]
	v_sub_f32_e32 v14, v28, v14
	v_add_f32_e32 v12, v12, v14
	v_add_f32_e32 v12, v12, v13
	v_add_f32_e32 v12, v24, v12
	v_cndmask_b32_e32 v94, v12, v32, vcc
.LBB18_93:                              ;   in Loop: Header=BB18_13 Depth=1
	s_or_b64 exec, exec, s[54:55]
	v_and_b32_e32 v8, 0xffff0000, v8
	v_readlane_b32 s0, v95, 2
	s_nop 1
	v_add_f32_e32 v58, s0, v8
	v_cmp_ge_f32_e32 vcc, s6, v58
	s_and_b64 s[0:1], s[4:5], vcc
	s_and_saveexec_b64 s[54:55], s[0:1]
	s_cbranch_execz .LBB18_95
; %bb.94:                               ;   in Loop: Header=BB18_13 Depth=1
	v_mul_f32_e32 v8, 0x3fb8aa3b, v58
	v_rndne_f32_e32 v12, v8
	v_sub_f32_e32 v13, v8, v12
	v_fma_f32 v8, v58, s7, -v8
	v_fmac_f32_e32 v8, 0x32a5705f, v58
	v_add_f32_e32 v8, v13, v8
	v_cvt_i32_f32_e32 v12, v12
	v_exp_f32_e32 v8, v8
	v_cmp_ngt_f32_e32 vcc, s8, v58
	v_ldexp_f32 v8, v8, v12
	s_nop 0
	v_cndmask_b32_e32 v8, 0, v8, vcc
	v_cmp_nlt_f32_e32 vcc, s9, v58
	s_nop 1
	v_cndmask_b32_e32 v32, v41, v8, vcc
	v_add_f32_e32 v8, 1.0, v32
	v_add_f32_e32 v12, -1.0, v8
	v_sub_f32_e32 v13, v12, v8
	v_add_f32_e32 v13, 1.0, v13
	v_sub_f32_e32 v12, v32, v12
	v_add_f32_e32 v14, v12, v13
	v_frexp_mant_f32_e32 v15, v8
	v_cvt_f64_f32_e32 v[12:13], v8
	v_frexp_exp_i32_f64_e32 v12, v[12:13]
	v_cmp_gt_f32_e32 vcc, s11, v15
	v_cmp_gt_f32_e64 s[52:53], s57, v32
	s_nop 0
	v_subbrev_co_u32_e32 v20, vcc, 0, v12, vcc
	v_sub_u32_e32 v12, 0, v20
	v_ldexp_f32 v8, v8, v12
	v_ldexp_f32 v12, v14, v12
	v_add_f32_e32 v14, -1.0, v8
	v_add_f32_e32 v13, 1.0, v14
	v_sub_f32_e32 v13, v8, v13
	v_add_f32_e32 v15, v12, v13
	v_add_f32_e32 v13, 1.0, v8
	v_add_f32_e32 v22, -1.0, v13
	v_sub_f32_e32 v8, v8, v22
	v_add_f32_e32 v8, v12, v8
	v_add_f32_e32 v26, v13, v8
	v_rcp_f32_e32 v27, v26
	v_sub_f32_e32 v12, v13, v26
	v_add_f32_e32 v13, v14, v15
	v_add_f32_e32 v8, v8, v12
	v_mul_f32_e32 v29, v13, v27
	v_sub_f32_e32 v12, v14, v13
	v_mul_f32_e32 v14, v26, v29
	v_fma_f32 v22, v29, v26, -v14
	v_fmac_f32_e32 v22, v29, v8
	v_add_f32_e32 v28, v15, v12
	v_add_f32_e32 v12, v14, v22
	v_sub_f32_e32 v15, v13, v12
	v_pk_add_f32 v[24:25], v[12:13], v[14:15] neg_lo:[0,1] neg_hi:[0,1]
	v_mov_b32_e32 v23, v12
	v_pk_add_f32 v[12:13], v[24:25], v[22:23] neg_lo:[0,1] neg_hi:[0,1]
	v_cmp_eq_f32_e32 vcc, s10, v32
	v_add_f32_e32 v13, v28, v13
	v_add_f32_e32 v12, v12, v13
	;; [unrolled: 1-line block ×3, first 2 shown]
	v_mul_f32_e32 v28, v27, v13
	v_mul_f32_e32 v14, v26, v28
	v_fma_f32 v22, v28, v26, -v14
	v_fmac_f32_e32 v22, v28, v8
	v_sub_f32_e32 v8, v15, v13
	v_add_f32_e32 v8, v12, v8
	v_add_f32_e32 v12, v14, v22
	v_sub_f32_e32 v15, v13, v12
	v_pk_add_f32 v[24:25], v[12:13], v[14:15] neg_lo:[0,1] neg_hi:[0,1]
	v_mov_b32_e32 v23, v12
	v_pk_add_f32 v[12:13], v[24:25], v[22:23] neg_lo:[0,1] neg_hi:[0,1]
	s_or_b64 vcc, s[52:53], vcc
	v_add_f32_e32 v8, v8, v13
	v_add_f32_e32 v8, v12, v8
	;; [unrolled: 1-line block ×4, first 2 shown]
	v_sub_f32_e32 v12, v13, v29
	v_mul_f32_e32 v8, v27, v8
	v_sub_f32_e32 v12, v28, v12
	v_add_f32_e32 v8, v12, v8
	v_add_f32_e32 v14, v13, v8
	v_mul_f32_e32 v22, v14, v14
	v_fmamk_f32 v12, v22, 0x3e9b6dac, v40
	v_fmaak_f32 v43, v22, v12, 0x3f2aaada
	v_cvt_f32_i32_e32 v12, v20
	v_sub_f32_e32 v13, v14, v13
	v_sub_f32_e32 v8, v8, v13
	v_mul_f32_e32 v13, v14, v22
	v_pk_mul_f32 v[22:23], v[12:13], v[42:43]
	v_ldexp_f32 v15, v14, 1
	v_fma_f32 v14, v12, s56, -v22
	v_fmac_f32_e32 v14, 0xb102e308, v12
	v_pk_add_f32 v[12:13], v[22:23], v[14:15]
	v_ldexp_f32 v8, v8, 1
	v_sub_f32_e32 v15, v13, v15
	v_sub_f32_e32 v15, v23, v15
	v_add_f32_e32 v25, v8, v15
	v_mov_b32_e32 v24, v22
	v_pk_add_f32 v[22:23], v[12:13], v[22:23] neg_lo:[0,1] neg_hi:[0,1]
	v_pk_add_f32 v[26:27], v[12:13], v[24:25]
	v_mov_b32_e32 v15, v12
	v_mov_b32_e32 v23, v27
	v_pk_add_f32 v[28:29], v[14:15], v[22:23] neg_lo:[0,1] neg_hi:[0,1]
	v_pk_add_f32 v[14:15], v[14:15], v[22:23]
	s_nop 0
	v_mov_b32_e32 v8, v15
	v_pk_add_f32 v[22:23], v[8:9], v[12:13] neg_lo:[0,1] neg_hi:[0,1]
	v_mov_b32_e32 v14, v27
	v_mov_b32_e32 v23, v22
	v_pk_add_f32 v[30:31], v[26:27], v[22:23] neg_lo:[0,1] neg_hi:[0,1]
	v_mov_b32_e32 v26, v13
	v_mov_b32_e32 v27, v22
	;; [unrolled: 1-line block ×3, first 2 shown]
	v_pk_add_f32 v[14:15], v[14:15], v[26:27] neg_lo:[0,1] neg_hi:[0,1]
	v_mov_b32_e32 v22, v25
	v_mov_b32_e32 v23, v12
	v_pk_add_f32 v[12:13], v[22:23], v[14:15] neg_lo:[0,1] neg_hi:[0,1]
	v_mov_b32_e32 v30, v28
	v_pk_add_f32 v[14:15], v[30:31], v[12:13]
	s_nop 0
	v_mov_b32_e32 v20, v15
	v_pk_add_f32 v[22:23], v[14:15], v[20:21]
	s_nop 0
	v_pk_add_f32 v[24:25], v[8:9], v[22:23]
	v_mov_b32_e32 v13, v22
	v_mov_b32_e32 v15, v24
	v_pk_add_f32 v[26:27], v[14:15], v[28:29] neg_lo:[0,1] neg_hi:[0,1]
	s_nop 0
	v_sub_f32_e32 v8, v14, v26
	v_pk_add_f32 v[12:13], v[12:13], v[26:27] neg_lo:[0,1] neg_hi:[0,1]
	v_sub_f32_e32 v8, v28, v8
	v_add_f32_e32 v8, v12, v8
	v_add_f32_e32 v8, v8, v13
	;; [unrolled: 1-line block ×3, first 2 shown]
	v_cndmask_b32_e32 v58, v8, v32, vcc
.LBB18_95:                              ;   in Loop: Header=BB18_13 Depth=1
	s_or_b64 exec, exec, s[54:55]
	v_lshlrev_b32_e32 v8, 16, v9
	v_readlane_b32 s0, v95, 2
	s_nop 1
	v_add_f32_e32 v59, s0, v8
	v_cmp_ge_f32_e32 vcc, s6, v59
	s_and_b64 s[0:1], s[4:5], vcc
	s_and_saveexec_b64 s[54:55], s[0:1]
	s_cbranch_execz .LBB18_97
; %bb.96:                               ;   in Loop: Header=BB18_13 Depth=1
	v_mul_f32_e32 v8, 0x3fb8aa3b, v59
	v_rndne_f32_e32 v12, v8
	v_sub_f32_e32 v13, v8, v12
	v_fma_f32 v8, v59, s7, -v8
	v_fmac_f32_e32 v8, 0x32a5705f, v59
	v_add_f32_e32 v8, v13, v8
	v_cvt_i32_f32_e32 v12, v12
	v_exp_f32_e32 v8, v8
	v_cmp_ngt_f32_e32 vcc, s8, v59
	v_ldexp_f32 v8, v8, v12
	s_nop 0
	v_cndmask_b32_e32 v8, 0, v8, vcc
	v_cmp_nlt_f32_e32 vcc, s9, v59
	s_nop 1
	v_cndmask_b32_e32 v32, v41, v8, vcc
	v_add_f32_e32 v8, 1.0, v32
	v_add_f32_e32 v12, -1.0, v8
	v_sub_f32_e32 v13, v12, v8
	v_add_f32_e32 v13, 1.0, v13
	v_sub_f32_e32 v12, v32, v12
	v_add_f32_e32 v14, v12, v13
	v_frexp_mant_f32_e32 v15, v8
	v_cvt_f64_f32_e32 v[12:13], v8
	v_frexp_exp_i32_f64_e32 v12, v[12:13]
	v_cmp_gt_f32_e32 vcc, s11, v15
	v_cmp_gt_f32_e64 s[52:53], s57, v32
	s_nop 0
	v_subbrev_co_u32_e32 v20, vcc, 0, v12, vcc
	v_sub_u32_e32 v12, 0, v20
	v_ldexp_f32 v8, v8, v12
	v_ldexp_f32 v12, v14, v12
	v_add_f32_e32 v14, -1.0, v8
	v_add_f32_e32 v13, 1.0, v14
	v_sub_f32_e32 v13, v8, v13
	v_add_f32_e32 v15, v12, v13
	v_add_f32_e32 v13, 1.0, v8
	v_add_f32_e32 v22, -1.0, v13
	v_sub_f32_e32 v8, v8, v22
	v_add_f32_e32 v8, v12, v8
	v_add_f32_e32 v26, v13, v8
	v_rcp_f32_e32 v27, v26
	v_sub_f32_e32 v12, v13, v26
	v_add_f32_e32 v13, v14, v15
	v_add_f32_e32 v8, v8, v12
	v_mul_f32_e32 v29, v13, v27
	v_sub_f32_e32 v12, v14, v13
	v_mul_f32_e32 v14, v26, v29
	v_fma_f32 v22, v29, v26, -v14
	v_fmac_f32_e32 v22, v29, v8
	v_add_f32_e32 v28, v15, v12
	v_add_f32_e32 v12, v14, v22
	v_sub_f32_e32 v15, v13, v12
	v_pk_add_f32 v[24:25], v[12:13], v[14:15] neg_lo:[0,1] neg_hi:[0,1]
	v_mov_b32_e32 v23, v12
	v_pk_add_f32 v[12:13], v[24:25], v[22:23] neg_lo:[0,1] neg_hi:[0,1]
	v_cmp_eq_f32_e32 vcc, s10, v32
	v_add_f32_e32 v13, v28, v13
	v_add_f32_e32 v12, v12, v13
	;; [unrolled: 1-line block ×3, first 2 shown]
	v_mul_f32_e32 v28, v27, v13
	v_mul_f32_e32 v14, v26, v28
	v_fma_f32 v22, v28, v26, -v14
	v_fmac_f32_e32 v22, v28, v8
	v_sub_f32_e32 v8, v15, v13
	v_add_f32_e32 v8, v12, v8
	v_add_f32_e32 v12, v14, v22
	v_sub_f32_e32 v15, v13, v12
	v_pk_add_f32 v[24:25], v[12:13], v[14:15] neg_lo:[0,1] neg_hi:[0,1]
	v_mov_b32_e32 v23, v12
	v_pk_add_f32 v[12:13], v[24:25], v[22:23] neg_lo:[0,1] neg_hi:[0,1]
	s_or_b64 vcc, s[52:53], vcc
	v_add_f32_e32 v8, v8, v13
	v_add_f32_e32 v8, v12, v8
	;; [unrolled: 1-line block ×4, first 2 shown]
	v_sub_f32_e32 v12, v13, v29
	v_mul_f32_e32 v8, v27, v8
	v_sub_f32_e32 v12, v28, v12
	v_add_f32_e32 v8, v12, v8
	v_add_f32_e32 v14, v13, v8
	v_mul_f32_e32 v22, v14, v14
	v_fmamk_f32 v12, v22, 0x3e9b6dac, v40
	v_fmaak_f32 v43, v22, v12, 0x3f2aaada
	v_cvt_f32_i32_e32 v12, v20
	v_sub_f32_e32 v13, v14, v13
	v_sub_f32_e32 v8, v8, v13
	v_mul_f32_e32 v13, v14, v22
	v_pk_mul_f32 v[22:23], v[12:13], v[42:43]
	v_ldexp_f32 v15, v14, 1
	v_fma_f32 v14, v12, s56, -v22
	v_fmac_f32_e32 v14, 0xb102e308, v12
	v_pk_add_f32 v[12:13], v[22:23], v[14:15]
	v_ldexp_f32 v8, v8, 1
	v_sub_f32_e32 v15, v13, v15
	v_sub_f32_e32 v15, v23, v15
	v_add_f32_e32 v25, v8, v15
	v_mov_b32_e32 v24, v22
	v_pk_add_f32 v[22:23], v[12:13], v[22:23] neg_lo:[0,1] neg_hi:[0,1]
	v_pk_add_f32 v[26:27], v[12:13], v[24:25]
	v_mov_b32_e32 v15, v12
	v_mov_b32_e32 v23, v27
	v_pk_add_f32 v[28:29], v[14:15], v[22:23] neg_lo:[0,1] neg_hi:[0,1]
	v_pk_add_f32 v[14:15], v[14:15], v[22:23]
	s_nop 0
	v_mov_b32_e32 v8, v15
	v_pk_add_f32 v[22:23], v[8:9], v[12:13] neg_lo:[0,1] neg_hi:[0,1]
	v_mov_b32_e32 v14, v27
	v_mov_b32_e32 v23, v22
	v_pk_add_f32 v[30:31], v[26:27], v[22:23] neg_lo:[0,1] neg_hi:[0,1]
	v_mov_b32_e32 v26, v13
	v_mov_b32_e32 v27, v22
	;; [unrolled: 1-line block ×3, first 2 shown]
	v_pk_add_f32 v[14:15], v[14:15], v[26:27] neg_lo:[0,1] neg_hi:[0,1]
	v_mov_b32_e32 v22, v25
	v_mov_b32_e32 v23, v12
	v_pk_add_f32 v[12:13], v[22:23], v[14:15] neg_lo:[0,1] neg_hi:[0,1]
	v_mov_b32_e32 v30, v28
	v_pk_add_f32 v[14:15], v[30:31], v[12:13]
	s_nop 0
	v_mov_b32_e32 v20, v15
	v_pk_add_f32 v[22:23], v[14:15], v[20:21]
	s_nop 0
	v_pk_add_f32 v[24:25], v[8:9], v[22:23]
	v_mov_b32_e32 v13, v22
	v_mov_b32_e32 v15, v24
	v_pk_add_f32 v[26:27], v[14:15], v[28:29] neg_lo:[0,1] neg_hi:[0,1]
	s_nop 0
	v_sub_f32_e32 v8, v14, v26
	v_pk_add_f32 v[12:13], v[12:13], v[26:27] neg_lo:[0,1] neg_hi:[0,1]
	v_sub_f32_e32 v8, v28, v8
	v_add_f32_e32 v8, v12, v8
	v_add_f32_e32 v8, v8, v13
	;; [unrolled: 1-line block ×3, first 2 shown]
	v_cndmask_b32_e32 v59, v8, v32, vcc
.LBB18_97:                              ;   in Loop: Header=BB18_13 Depth=1
	s_or_b64 exec, exec, s[54:55]
	v_and_b32_e32 v8, 0xffff0000, v9
	v_readlane_b32 s0, v95, 2
	s_nop 1
	v_add_f32_e32 v60, s0, v8
	v_cmp_ge_f32_e32 vcc, s6, v60
	s_and_b64 s[0:1], s[4:5], vcc
	s_and_saveexec_b64 s[54:55], s[0:1]
	s_cbranch_execz .LBB18_99
; %bb.98:                               ;   in Loop: Header=BB18_13 Depth=1
	v_mul_f32_e32 v8, 0x3fb8aa3b, v60
	v_rndne_f32_e32 v9, v8
	v_sub_f32_e32 v12, v8, v9
	v_fma_f32 v8, v60, s7, -v8
	v_fmac_f32_e32 v8, 0x32a5705f, v60
	v_add_f32_e32 v8, v12, v8
	v_cvt_i32_f32_e32 v9, v9
	v_exp_f32_e32 v8, v8
	v_cmp_ngt_f32_e32 vcc, s8, v60
	v_ldexp_f32 v8, v8, v9
	s_nop 0
	v_cndmask_b32_e32 v8, 0, v8, vcc
	v_cmp_nlt_f32_e32 vcc, s9, v60
	s_nop 1
	v_cndmask_b32_e32 v32, v41, v8, vcc
	v_add_f32_e32 v12, 1.0, v32
	v_add_f32_e32 v8, -1.0, v12
	v_sub_f32_e32 v9, v8, v12
	v_add_f32_e32 v9, 1.0, v9
	v_sub_f32_e32 v8, v32, v8
	v_add_f32_e32 v13, v8, v9
	v_frexp_mant_f32_e32 v14, v12
	v_cvt_f64_f32_e32 v[8:9], v12
	v_frexp_exp_i32_f64_e32 v8, v[8:9]
	v_cmp_gt_f32_e32 vcc, s11, v14
	v_cmp_gt_f32_e64 s[52:53], s57, v32
	s_nop 0
	v_subbrev_co_u32_e32 v20, vcc, 0, v8, vcc
	v_sub_u32_e32 v8, 0, v20
	v_ldexp_f32 v9, v12, v8
	v_add_f32_e32 v12, -1.0, v9
	v_add_f32_e32 v14, 1.0, v9
	v_ldexp_f32 v8, v13, v8
	v_add_f32_e32 v13, 1.0, v12
	v_add_f32_e32 v15, -1.0, v14
	v_sub_f32_e32 v13, v9, v13
	v_sub_f32_e32 v9, v9, v15
	v_add_f32_e32 v13, v8, v13
	v_add_f32_e32 v8, v8, v9
	;; [unrolled: 1-line block ×3, first 2 shown]
	v_rcp_f32_e32 v26, v24
	v_sub_f32_e32 v9, v14, v24
	v_add_f32_e32 v25, v8, v9
	v_add_f32_e32 v9, v12, v13
	v_mul_f32_e32 v28, v9, v26
	v_sub_f32_e32 v8, v12, v9
	v_mul_f32_e32 v12, v24, v28
	v_fma_f32 v14, v28, v24, -v12
	v_fmac_f32_e32 v14, v28, v25
	v_add_f32_e32 v27, v13, v8
	v_add_f32_e32 v8, v12, v14
	v_sub_f32_e32 v13, v9, v8
	v_pk_add_f32 v[22:23], v[8:9], v[12:13] neg_lo:[0,1] neg_hi:[0,1]
	v_mov_b32_e32 v15, v8
	v_pk_add_f32 v[8:9], v[22:23], v[14:15] neg_lo:[0,1] neg_hi:[0,1]
	v_cmp_eq_f32_e32 vcc, s10, v32
	v_add_f32_e32 v9, v27, v9
	v_add_f32_e32 v8, v8, v9
	;; [unrolled: 1-line block ×3, first 2 shown]
	v_mul_f32_e32 v27, v26, v9
	v_mul_f32_e32 v12, v24, v27
	v_fma_f32 v14, v27, v24, -v12
	v_fmac_f32_e32 v14, v27, v25
	v_sub_f32_e32 v13, v13, v9
	v_add_f32_e32 v24, v8, v13
	v_add_f32_e32 v8, v12, v14
	v_sub_f32_e32 v13, v9, v8
	v_pk_add_f32 v[22:23], v[8:9], v[12:13] neg_lo:[0,1] neg_hi:[0,1]
	v_mov_b32_e32 v15, v8
	v_pk_add_f32 v[8:9], v[22:23], v[14:15] neg_lo:[0,1] neg_hi:[0,1]
	s_or_b64 vcc, s[52:53], vcc
	v_add_f32_e32 v9, v24, v9
	v_add_f32_e32 v8, v8, v9
	;; [unrolled: 1-line block ×4, first 2 shown]
	v_sub_f32_e32 v12, v9, v28
	v_mul_f32_e32 v8, v26, v8
	v_sub_f32_e32 v12, v27, v12
	v_add_f32_e32 v12, v12, v8
	v_add_f32_e32 v14, v9, v12
	v_mul_f32_e32 v15, v14, v14
	v_fmamk_f32 v8, v15, 0x3e9b6dac, v40
	v_fmaak_f32 v43, v15, v8, 0x3f2aaada
	v_cvt_f32_i32_e32 v8, v20
	v_sub_f32_e32 v9, v14, v9
	v_sub_f32_e32 v9, v12, v9
	v_ldexp_f32 v20, v9, 1
	v_mul_f32_e32 v9, v14, v15
	v_ldexp_f32 v13, v14, 1
	v_pk_mul_f32 v[14:15], v[8:9], v[42:43]
	s_nop 0
	v_fma_f32 v12, v8, s56, -v14
	v_fmac_f32_e32 v12, 0xb102e308, v8
	v_pk_add_f32 v[8:9], v[14:15], v[12:13]
	v_mov_b32_e32 v22, v14
	v_sub_f32_e32 v13, v9, v13
	v_sub_f32_e32 v13, v15, v13
	v_add_f32_e32 v23, v20, v13
	v_pk_add_f32 v[14:15], v[8:9], v[14:15] neg_lo:[0,1] neg_hi:[0,1]
	v_pk_add_f32 v[24:25], v[8:9], v[22:23]
	v_mov_b32_e32 v13, v8
	v_mov_b32_e32 v15, v25
	v_pk_add_f32 v[26:27], v[12:13], v[14:15] neg_lo:[0,1] neg_hi:[0,1]
	v_pk_add_f32 v[12:13], v[12:13], v[14:15]
	v_mov_b32_e32 v22, v23
	v_mov_b32_e32 v14, v13
	v_pk_add_f32 v[28:29], v[14:15], v[8:9] neg_lo:[0,1] neg_hi:[0,1]
	v_mov_b32_e32 v12, v25
	v_mov_b32_e32 v15, v28
	v_pk_add_f32 v[30:31], v[24:25], v[14:15] neg_lo:[0,1] neg_hi:[0,1]
	v_mov_b32_e32 v24, v9
	v_mov_b32_e32 v25, v28
	;; [unrolled: 1-line block ×3, first 2 shown]
	v_pk_add_f32 v[12:13], v[12:13], v[24:25] neg_lo:[0,1] neg_hi:[0,1]
	v_mov_b32_e32 v23, v8
	v_pk_add_f32 v[8:9], v[22:23], v[12:13] neg_lo:[0,1] neg_hi:[0,1]
	v_mov_b32_e32 v30, v26
	v_pk_add_f32 v[12:13], v[30:31], v[8:9]
	s_nop 0
	v_mov_b32_e32 v20, v13
	v_pk_add_f32 v[22:23], v[12:13], v[20:21]
	s_nop 0
	v_pk_add_f32 v[14:15], v[14:15], v[22:23]
	v_mov_b32_e32 v9, v22
	v_mov_b32_e32 v13, v14
	v_pk_add_f32 v[24:25], v[12:13], v[26:27] neg_lo:[0,1] neg_hi:[0,1]
	s_nop 0
	v_sub_f32_e32 v12, v12, v24
	v_pk_add_f32 v[8:9], v[8:9], v[24:25] neg_lo:[0,1] neg_hi:[0,1]
	v_sub_f32_e32 v12, v26, v12
	v_add_f32_e32 v8, v8, v12
	v_add_f32_e32 v8, v8, v9
	;; [unrolled: 1-line block ×3, first 2 shown]
	v_cndmask_b32_e32 v60, v8, v32, vcc
.LBB18_99:                              ;   in Loop: Header=BB18_13 Depth=1
	s_or_b64 exec, exec, s[54:55]
	v_lshlrev_b32_e32 v8, 16, v10
	v_readlane_b32 s0, v95, 2
	s_nop 1
	v_add_f32_e32 v61, s0, v8
	v_cmp_ge_f32_e32 vcc, s6, v61
	s_and_b64 s[0:1], s[4:5], vcc
	s_and_saveexec_b64 s[54:55], s[0:1]
	s_cbranch_execz .LBB18_101
; %bb.100:                              ;   in Loop: Header=BB18_13 Depth=1
	v_mul_f32_e32 v8, 0x3fb8aa3b, v61
	v_rndne_f32_e32 v9, v8
	v_sub_f32_e32 v12, v8, v9
	v_fma_f32 v8, v61, s7, -v8
	v_fmac_f32_e32 v8, 0x32a5705f, v61
	v_add_f32_e32 v8, v12, v8
	v_cvt_i32_f32_e32 v9, v9
	v_exp_f32_e32 v8, v8
	v_cmp_ngt_f32_e32 vcc, s8, v61
	v_ldexp_f32 v8, v8, v9
	s_nop 0
	v_cndmask_b32_e32 v8, 0, v8, vcc
	v_cmp_nlt_f32_e32 vcc, s9, v61
	s_nop 1
	v_cndmask_b32_e32 v32, v41, v8, vcc
	v_add_f32_e32 v12, 1.0, v32
	v_add_f32_e32 v8, -1.0, v12
	v_sub_f32_e32 v9, v8, v12
	v_add_f32_e32 v9, 1.0, v9
	v_sub_f32_e32 v8, v32, v8
	v_add_f32_e32 v13, v8, v9
	v_frexp_mant_f32_e32 v14, v12
	v_cvt_f64_f32_e32 v[8:9], v12
	v_frexp_exp_i32_f64_e32 v8, v[8:9]
	v_cmp_gt_f32_e32 vcc, s11, v14
	v_cmp_gt_f32_e64 s[52:53], s57, v32
	s_nop 0
	v_subbrev_co_u32_e32 v20, vcc, 0, v8, vcc
	v_sub_u32_e32 v8, 0, v20
	v_ldexp_f32 v9, v12, v8
	v_add_f32_e32 v12, -1.0, v9
	v_add_f32_e32 v14, 1.0, v9
	v_ldexp_f32 v8, v13, v8
	v_add_f32_e32 v13, 1.0, v12
	v_add_f32_e32 v15, -1.0, v14
	v_sub_f32_e32 v13, v9, v13
	v_sub_f32_e32 v9, v9, v15
	v_add_f32_e32 v13, v8, v13
	v_add_f32_e32 v8, v8, v9
	;; [unrolled: 1-line block ×3, first 2 shown]
	v_rcp_f32_e32 v26, v24
	v_sub_f32_e32 v9, v14, v24
	v_add_f32_e32 v25, v8, v9
	v_add_f32_e32 v9, v12, v13
	v_mul_f32_e32 v28, v9, v26
	v_sub_f32_e32 v8, v12, v9
	v_mul_f32_e32 v12, v24, v28
	v_fma_f32 v14, v28, v24, -v12
	v_fmac_f32_e32 v14, v28, v25
	v_add_f32_e32 v27, v13, v8
	v_add_f32_e32 v8, v12, v14
	v_sub_f32_e32 v13, v9, v8
	v_pk_add_f32 v[22:23], v[8:9], v[12:13] neg_lo:[0,1] neg_hi:[0,1]
	v_mov_b32_e32 v15, v8
	v_pk_add_f32 v[8:9], v[22:23], v[14:15] neg_lo:[0,1] neg_hi:[0,1]
	v_cmp_eq_f32_e32 vcc, s10, v32
	v_add_f32_e32 v9, v27, v9
	v_add_f32_e32 v8, v8, v9
	;; [unrolled: 1-line block ×3, first 2 shown]
	v_mul_f32_e32 v27, v26, v9
	v_mul_f32_e32 v12, v24, v27
	v_fma_f32 v14, v27, v24, -v12
	v_fmac_f32_e32 v14, v27, v25
	v_sub_f32_e32 v13, v13, v9
	v_add_f32_e32 v24, v8, v13
	v_add_f32_e32 v8, v12, v14
	v_sub_f32_e32 v13, v9, v8
	v_pk_add_f32 v[22:23], v[8:9], v[12:13] neg_lo:[0,1] neg_hi:[0,1]
	v_mov_b32_e32 v15, v8
	v_pk_add_f32 v[8:9], v[22:23], v[14:15] neg_lo:[0,1] neg_hi:[0,1]
	s_or_b64 vcc, s[52:53], vcc
	v_add_f32_e32 v9, v24, v9
	v_add_f32_e32 v8, v8, v9
	;; [unrolled: 1-line block ×4, first 2 shown]
	v_sub_f32_e32 v12, v9, v28
	v_mul_f32_e32 v8, v26, v8
	v_sub_f32_e32 v12, v27, v12
	v_add_f32_e32 v12, v12, v8
	v_add_f32_e32 v14, v9, v12
	v_mul_f32_e32 v15, v14, v14
	v_fmamk_f32 v8, v15, 0x3e9b6dac, v40
	v_fmaak_f32 v43, v15, v8, 0x3f2aaada
	v_cvt_f32_i32_e32 v8, v20
	v_sub_f32_e32 v9, v14, v9
	v_sub_f32_e32 v9, v12, v9
	v_ldexp_f32 v20, v9, 1
	v_mul_f32_e32 v9, v14, v15
	v_ldexp_f32 v13, v14, 1
	v_pk_mul_f32 v[14:15], v[8:9], v[42:43]
	s_nop 0
	v_fma_f32 v12, v8, s56, -v14
	v_fmac_f32_e32 v12, 0xb102e308, v8
	v_pk_add_f32 v[8:9], v[14:15], v[12:13]
	v_mov_b32_e32 v22, v14
	v_sub_f32_e32 v13, v9, v13
	v_sub_f32_e32 v13, v15, v13
	v_add_f32_e32 v23, v20, v13
	v_pk_add_f32 v[14:15], v[8:9], v[14:15] neg_lo:[0,1] neg_hi:[0,1]
	v_pk_add_f32 v[24:25], v[8:9], v[22:23]
	v_mov_b32_e32 v13, v8
	v_mov_b32_e32 v15, v25
	v_pk_add_f32 v[26:27], v[12:13], v[14:15] neg_lo:[0,1] neg_hi:[0,1]
	v_pk_add_f32 v[12:13], v[12:13], v[14:15]
	v_mov_b32_e32 v22, v23
	v_mov_b32_e32 v14, v13
	v_pk_add_f32 v[28:29], v[14:15], v[8:9] neg_lo:[0,1] neg_hi:[0,1]
	v_mov_b32_e32 v12, v25
	v_mov_b32_e32 v15, v28
	v_pk_add_f32 v[30:31], v[24:25], v[14:15] neg_lo:[0,1] neg_hi:[0,1]
	v_mov_b32_e32 v24, v9
	v_mov_b32_e32 v25, v28
	;; [unrolled: 1-line block ×3, first 2 shown]
	v_pk_add_f32 v[12:13], v[12:13], v[24:25] neg_lo:[0,1] neg_hi:[0,1]
	v_mov_b32_e32 v23, v8
	v_pk_add_f32 v[8:9], v[22:23], v[12:13] neg_lo:[0,1] neg_hi:[0,1]
	v_mov_b32_e32 v30, v26
	v_pk_add_f32 v[12:13], v[30:31], v[8:9]
	s_nop 0
	v_mov_b32_e32 v20, v13
	v_pk_add_f32 v[22:23], v[12:13], v[20:21]
	s_nop 0
	v_pk_add_f32 v[14:15], v[14:15], v[22:23]
	v_mov_b32_e32 v9, v22
	v_mov_b32_e32 v13, v14
	v_pk_add_f32 v[24:25], v[12:13], v[26:27] neg_lo:[0,1] neg_hi:[0,1]
	s_nop 0
	v_sub_f32_e32 v12, v12, v24
	v_pk_add_f32 v[8:9], v[8:9], v[24:25] neg_lo:[0,1] neg_hi:[0,1]
	v_sub_f32_e32 v12, v26, v12
	v_add_f32_e32 v8, v8, v12
	v_add_f32_e32 v8, v8, v9
	v_add_f32_e32 v8, v14, v8
	v_cndmask_b32_e32 v61, v8, v32, vcc
.LBB18_101:                             ;   in Loop: Header=BB18_13 Depth=1
	s_or_b64 exec, exec, s[54:55]
	v_and_b32_e32 v8, 0xffff0000, v10
	v_readlane_b32 s0, v95, 2
	s_nop 1
	v_add_f32_e32 v62, s0, v8
	v_cmp_ge_f32_e32 vcc, s6, v62
	s_and_b64 s[0:1], s[4:5], vcc
	s_and_saveexec_b64 s[54:55], s[0:1]
	s_cbranch_execz .LBB18_103
; %bb.102:                              ;   in Loop: Header=BB18_13 Depth=1
	v_mul_f32_e32 v8, 0x3fb8aa3b, v62
	v_rndne_f32_e32 v9, v8
	v_sub_f32_e32 v10, v8, v9
	v_fma_f32 v8, v62, s7, -v8
	v_fmac_f32_e32 v8, 0x32a5705f, v62
	v_add_f32_e32 v8, v10, v8
	v_cvt_i32_f32_e32 v9, v9
	v_exp_f32_e32 v8, v8
	v_cmp_ngt_f32_e32 vcc, s8, v62
	v_ldexp_f32 v8, v8, v9
	s_nop 0
	v_cndmask_b32_e32 v8, 0, v8, vcc
	v_cmp_nlt_f32_e32 vcc, s9, v62
	s_nop 1
	v_cndmask_b32_e32 v20, v41, v8, vcc
	v_add_f32_e32 v10, 1.0, v20
	v_add_f32_e32 v8, -1.0, v10
	v_sub_f32_e32 v9, v8, v10
	v_add_f32_e32 v9, 1.0, v9
	v_sub_f32_e32 v8, v20, v8
	v_add_f32_e32 v12, v8, v9
	v_frexp_mant_f32_e32 v13, v10
	v_cvt_f64_f32_e32 v[8:9], v10
	v_frexp_exp_i32_f64_e32 v8, v[8:9]
	v_cmp_gt_f32_e32 vcc, s11, v13
	v_cmp_gt_f32_e64 s[52:53], s57, v20
	s_nop 0
	v_subbrev_co_u32_e32 v24, vcc, 0, v8, vcc
	v_sub_u32_e32 v8, 0, v24
	v_ldexp_f32 v9, v10, v8
	v_add_f32_e32 v10, -1.0, v9
	v_add_f32_e32 v13, 1.0, v9
	v_ldexp_f32 v8, v12, v8
	v_add_f32_e32 v12, 1.0, v10
	v_add_f32_e32 v14, -1.0, v13
	v_sub_f32_e32 v12, v9, v12
	v_sub_f32_e32 v9, v9, v14
	v_add_f32_e32 v12, v8, v12
	v_add_f32_e32 v8, v8, v9
	;; [unrolled: 1-line block ×3, first 2 shown]
	v_rcp_f32_e32 v27, v25
	v_sub_f32_e32 v9, v13, v25
	v_add_f32_e32 v26, v8, v9
	v_add_f32_e32 v9, v10, v12
	v_sub_f32_e32 v8, v10, v9
	v_mul_f32_e32 v28, v9, v27
	v_add_f32_e32 v10, v12, v8
	v_mul_f32_e32 v12, v25, v28
	v_fma_f32 v14, v28, v25, -v12
	v_fmac_f32_e32 v14, v28, v26
	v_add_f32_e32 v8, v12, v14
	v_sub_f32_e32 v13, v9, v8
	v_pk_add_f32 v[22:23], v[8:9], v[12:13] neg_lo:[0,1] neg_hi:[0,1]
	v_mov_b32_e32 v15, v8
	v_pk_add_f32 v[8:9], v[22:23], v[14:15] neg_lo:[0,1] neg_hi:[0,1]
	v_cmp_eq_f32_e32 vcc, s10, v20
	v_add_f32_e32 v9, v10, v9
	v_add_f32_e32 v8, v8, v9
	;; [unrolled: 1-line block ×3, first 2 shown]
	v_mul_f32_e32 v10, v27, v9
	v_mul_f32_e32 v12, v25, v10
	v_fma_f32 v14, v10, v25, -v12
	v_fmac_f32_e32 v14, v10, v26
	v_sub_f32_e32 v13, v13, v9
	v_add_f32_e32 v25, v8, v13
	v_add_f32_e32 v8, v12, v14
	v_sub_f32_e32 v13, v9, v8
	v_pk_add_f32 v[22:23], v[8:9], v[12:13] neg_lo:[0,1] neg_hi:[0,1]
	v_mov_b32_e32 v15, v8
	v_pk_add_f32 v[8:9], v[22:23], v[14:15] neg_lo:[0,1] neg_hi:[0,1]
	s_or_b64 vcc, s[52:53], vcc
	v_add_f32_e32 v9, v25, v9
	v_add_f32_e32 v8, v8, v9
	;; [unrolled: 1-line block ×4, first 2 shown]
	v_sub_f32_e32 v12, v9, v28
	v_mul_f32_e32 v8, v27, v8
	v_sub_f32_e32 v10, v10, v12
	v_add_f32_e32 v10, v10, v8
	v_add_f32_e32 v12, v9, v10
	v_mul_f32_e32 v14, v12, v12
	v_fmamk_f32 v8, v14, 0x3e9b6dac, v40
	v_fmaak_f32 v43, v14, v8, 0x3f2aaada
	v_cvt_f32_i32_e32 v8, v24
	v_sub_f32_e32 v9, v12, v9
	v_sub_f32_e32 v9, v10, v9
	v_ldexp_f32 v10, v9, 1
	v_mul_f32_e32 v9, v12, v14
	v_pk_mul_f32 v[14:15], v[8:9], v[42:43]
	v_ldexp_f32 v13, v12, 1
	v_fma_f32 v12, v8, s56, -v14
	v_fmac_f32_e32 v12, 0xb102e308, v8
	v_pk_add_f32 v[8:9], v[14:15], v[12:13]
	v_mov_b32_e32 v22, v14
	v_sub_f32_e32 v13, v9, v13
	v_sub_f32_e32 v13, v15, v13
	v_add_f32_e32 v23, v10, v13
	v_pk_add_f32 v[14:15], v[8:9], v[14:15] neg_lo:[0,1] neg_hi:[0,1]
	v_pk_add_f32 v[24:25], v[8:9], v[22:23]
	v_mov_b32_e32 v13, v8
	v_mov_b32_e32 v15, v25
	v_pk_add_f32 v[26:27], v[12:13], v[14:15] neg_lo:[0,1] neg_hi:[0,1]
	v_pk_add_f32 v[12:13], v[12:13], v[14:15]
	s_nop 0
	v_mov_b32_e32 v10, v13
	v_pk_add_f32 v[14:15], v[10:11], v[8:9] neg_lo:[0,1] neg_hi:[0,1]
	v_mov_b32_e32 v12, v25
	v_mov_b32_e32 v15, v14
	v_pk_add_f32 v[28:29], v[24:25], v[14:15] neg_lo:[0,1] neg_hi:[0,1]
	v_mov_b32_e32 v24, v9
	v_mov_b32_e32 v25, v14
	;; [unrolled: 1-line block ×3, first 2 shown]
	v_pk_add_f32 v[12:13], v[12:13], v[24:25] neg_lo:[0,1] neg_hi:[0,1]
	v_mov_b32_e32 v14, v23
	v_mov_b32_e32 v15, v8
	v_pk_add_f32 v[8:9], v[14:15], v[12:13] neg_lo:[0,1] neg_hi:[0,1]
	v_mov_b32_e32 v28, v26
	v_pk_add_f32 v[12:13], v[28:29], v[8:9]
	s_nop 0
	v_mov_b32_e32 v14, v13
	v_pk_add_f32 v[14:15], v[12:13], v[14:15]
	s_nop 0
	v_pk_add_f32 v[22:23], v[10:11], v[14:15]
	v_mov_b32_e32 v9, v14
	v_mov_b32_e32 v13, v22
	v_pk_add_f32 v[24:25], v[12:13], v[26:27] neg_lo:[0,1] neg_hi:[0,1]
	s_nop 0
	v_sub_f32_e32 v10, v12, v24
	v_pk_add_f32 v[8:9], v[8:9], v[24:25] neg_lo:[0,1] neg_hi:[0,1]
	v_sub_f32_e32 v10, v26, v10
	v_add_f32_e32 v8, v8, v10
	v_add_f32_e32 v8, v8, v9
	;; [unrolled: 1-line block ×3, first 2 shown]
	v_cndmask_b32_e32 v62, v8, v20, vcc
.LBB18_103:                             ;   in Loop: Header=BB18_13 Depth=1
	s_or_b64 exec, exec, s[54:55]
	v_lshlrev_b32_e32 v8, 16, v11
	v_readlane_b32 s0, v95, 2
	s_nop 1
	v_add_f32_e32 v63, s0, v8
	v_cmp_ge_f32_e32 vcc, s6, v63
	s_and_b64 s[0:1], s[4:5], vcc
	s_and_saveexec_b64 s[54:55], s[0:1]
	s_cbranch_execz .LBB18_105
; %bb.104:                              ;   in Loop: Header=BB18_13 Depth=1
	v_mul_f32_e32 v8, 0x3fb8aa3b, v63
	v_rndne_f32_e32 v9, v8
	v_sub_f32_e32 v10, v8, v9
	v_fma_f32 v8, v63, s7, -v8
	v_fmac_f32_e32 v8, 0x32a5705f, v63
	v_add_f32_e32 v8, v10, v8
	v_cvt_i32_f32_e32 v9, v9
	v_exp_f32_e32 v8, v8
	v_cmp_ngt_f32_e32 vcc, s8, v63
	v_ldexp_f32 v8, v8, v9
	s_nop 0
	v_cndmask_b32_e32 v8, 0, v8, vcc
	v_cmp_nlt_f32_e32 vcc, s9, v63
	s_nop 1
	v_cndmask_b32_e32 v20, v41, v8, vcc
	v_add_f32_e32 v10, 1.0, v20
	v_add_f32_e32 v8, -1.0, v10
	v_sub_f32_e32 v9, v8, v10
	v_add_f32_e32 v9, 1.0, v9
	v_sub_f32_e32 v8, v20, v8
	v_add_f32_e32 v12, v8, v9
	v_frexp_mant_f32_e32 v13, v10
	v_cvt_f64_f32_e32 v[8:9], v10
	v_frexp_exp_i32_f64_e32 v8, v[8:9]
	v_cmp_gt_f32_e32 vcc, s11, v13
	v_cmp_gt_f32_e64 s[52:53], s57, v20
	s_nop 0
	v_subbrev_co_u32_e32 v24, vcc, 0, v8, vcc
	v_sub_u32_e32 v8, 0, v24
	v_ldexp_f32 v9, v10, v8
	v_add_f32_e32 v10, -1.0, v9
	v_add_f32_e32 v13, 1.0, v9
	v_ldexp_f32 v8, v12, v8
	v_add_f32_e32 v12, 1.0, v10
	v_add_f32_e32 v14, -1.0, v13
	v_sub_f32_e32 v12, v9, v12
	v_sub_f32_e32 v9, v9, v14
	v_add_f32_e32 v12, v8, v12
	v_add_f32_e32 v8, v8, v9
	;; [unrolled: 1-line block ×3, first 2 shown]
	v_rcp_f32_e32 v27, v25
	v_sub_f32_e32 v9, v13, v25
	v_add_f32_e32 v26, v8, v9
	v_add_f32_e32 v9, v10, v12
	v_sub_f32_e32 v8, v10, v9
	v_mul_f32_e32 v28, v9, v27
	v_add_f32_e32 v10, v12, v8
	v_mul_f32_e32 v12, v25, v28
	v_fma_f32 v14, v28, v25, -v12
	v_fmac_f32_e32 v14, v28, v26
	v_add_f32_e32 v8, v12, v14
	v_sub_f32_e32 v13, v9, v8
	v_pk_add_f32 v[22:23], v[8:9], v[12:13] neg_lo:[0,1] neg_hi:[0,1]
	v_mov_b32_e32 v15, v8
	v_pk_add_f32 v[8:9], v[22:23], v[14:15] neg_lo:[0,1] neg_hi:[0,1]
	v_cmp_eq_f32_e32 vcc, s10, v20
	v_add_f32_e32 v9, v10, v9
	v_add_f32_e32 v8, v8, v9
	;; [unrolled: 1-line block ×3, first 2 shown]
	v_mul_f32_e32 v10, v27, v9
	v_mul_f32_e32 v12, v25, v10
	v_fma_f32 v14, v10, v25, -v12
	v_fmac_f32_e32 v14, v10, v26
	v_sub_f32_e32 v13, v13, v9
	v_add_f32_e32 v25, v8, v13
	v_add_f32_e32 v8, v12, v14
	v_sub_f32_e32 v13, v9, v8
	v_pk_add_f32 v[22:23], v[8:9], v[12:13] neg_lo:[0,1] neg_hi:[0,1]
	v_mov_b32_e32 v15, v8
	v_pk_add_f32 v[8:9], v[22:23], v[14:15] neg_lo:[0,1] neg_hi:[0,1]
	s_or_b64 vcc, s[52:53], vcc
	v_add_f32_e32 v9, v25, v9
	v_add_f32_e32 v8, v8, v9
	v_add_f32_e32 v9, v28, v10
	v_add_f32_e32 v8, v13, v8
	v_sub_f32_e32 v12, v9, v28
	v_mul_f32_e32 v8, v27, v8
	v_sub_f32_e32 v10, v10, v12
	v_add_f32_e32 v10, v10, v8
	v_add_f32_e32 v12, v9, v10
	v_mul_f32_e32 v14, v12, v12
	v_fmamk_f32 v8, v14, 0x3e9b6dac, v40
	v_fmaak_f32 v43, v14, v8, 0x3f2aaada
	v_cvt_f32_i32_e32 v8, v24
	v_sub_f32_e32 v9, v12, v9
	v_sub_f32_e32 v9, v10, v9
	v_ldexp_f32 v10, v9, 1
	v_mul_f32_e32 v9, v12, v14
	v_pk_mul_f32 v[14:15], v[8:9], v[42:43]
	v_ldexp_f32 v13, v12, 1
	v_fma_f32 v12, v8, s56, -v14
	v_fmac_f32_e32 v12, 0xb102e308, v8
	v_pk_add_f32 v[8:9], v[14:15], v[12:13]
	v_mov_b32_e32 v22, v14
	v_sub_f32_e32 v13, v9, v13
	v_sub_f32_e32 v13, v15, v13
	v_add_f32_e32 v23, v10, v13
	v_pk_add_f32 v[14:15], v[8:9], v[14:15] neg_lo:[0,1] neg_hi:[0,1]
	v_pk_add_f32 v[24:25], v[8:9], v[22:23]
	v_mov_b32_e32 v13, v8
	v_mov_b32_e32 v15, v25
	v_pk_add_f32 v[26:27], v[12:13], v[14:15] neg_lo:[0,1] neg_hi:[0,1]
	v_pk_add_f32 v[12:13], v[12:13], v[14:15]
	s_nop 0
	v_mov_b32_e32 v10, v13
	v_pk_add_f32 v[14:15], v[10:11], v[8:9] neg_lo:[0,1] neg_hi:[0,1]
	v_mov_b32_e32 v12, v25
	v_mov_b32_e32 v15, v14
	v_pk_add_f32 v[28:29], v[24:25], v[14:15] neg_lo:[0,1] neg_hi:[0,1]
	v_mov_b32_e32 v24, v9
	v_mov_b32_e32 v25, v14
	;; [unrolled: 1-line block ×3, first 2 shown]
	v_pk_add_f32 v[12:13], v[12:13], v[24:25] neg_lo:[0,1] neg_hi:[0,1]
	v_mov_b32_e32 v14, v23
	v_mov_b32_e32 v15, v8
	v_pk_add_f32 v[8:9], v[14:15], v[12:13] neg_lo:[0,1] neg_hi:[0,1]
	v_mov_b32_e32 v28, v26
	v_pk_add_f32 v[12:13], v[28:29], v[8:9]
	s_nop 0
	v_mov_b32_e32 v14, v13
	v_pk_add_f32 v[14:15], v[12:13], v[14:15]
	s_nop 0
	v_pk_add_f32 v[22:23], v[10:11], v[14:15]
	v_mov_b32_e32 v9, v14
	v_mov_b32_e32 v13, v22
	v_pk_add_f32 v[24:25], v[12:13], v[26:27] neg_lo:[0,1] neg_hi:[0,1]
	s_nop 0
	v_sub_f32_e32 v10, v12, v24
	v_pk_add_f32 v[8:9], v[8:9], v[24:25] neg_lo:[0,1] neg_hi:[0,1]
	v_sub_f32_e32 v10, v26, v10
	v_add_f32_e32 v8, v8, v10
	v_add_f32_e32 v8, v8, v9
	;; [unrolled: 1-line block ×3, first 2 shown]
	v_cndmask_b32_e32 v63, v8, v20, vcc
.LBB18_105:                             ;   in Loop: Header=BB18_13 Depth=1
	s_or_b64 exec, exec, s[54:55]
	v_and_b32_e32 v8, 0xffff0000, v11
	v_readlane_b32 s0, v95, 2
	s_nop 1
	v_add_f32_e32 v23, s0, v8
	v_cmp_ge_f32_e32 vcc, s6, v23
	s_and_b64 s[0:1], s[4:5], vcc
	s_and_saveexec_b64 s[54:55], s[0:1]
	s_cbranch_execz .LBB18_107
; %bb.106:                              ;   in Loop: Header=BB18_13 Depth=1
	v_mul_f32_e32 v8, 0x3fb8aa3b, v23
	v_rndne_f32_e32 v9, v8
	v_sub_f32_e32 v10, v8, v9
	v_fma_f32 v8, v23, s7, -v8
	v_fmac_f32_e32 v8, 0x32a5705f, v23
	v_add_f32_e32 v8, v10, v8
	v_cvt_i32_f32_e32 v9, v9
	v_exp_f32_e32 v8, v8
	v_cmp_ngt_f32_e32 vcc, s8, v23
	v_ldexp_f32 v8, v8, v9
	s_nop 0
	v_cndmask_b32_e32 v8, 0, v8, vcc
	v_cmp_nlt_f32_e32 vcc, s9, v23
	s_nop 1
	v_cndmask_b32_e32 v20, v41, v8, vcc
	v_add_f32_e32 v10, 1.0, v20
	v_add_f32_e32 v8, -1.0, v10
	v_sub_f32_e32 v9, v8, v10
	v_add_f32_e32 v9, 1.0, v9
	v_sub_f32_e32 v8, v20, v8
	v_add_f32_e32 v11, v8, v9
	v_frexp_mant_f32_e32 v12, v10
	v_cvt_f64_f32_e32 v[8:9], v10
	v_frexp_exp_i32_f64_e32 v8, v[8:9]
	v_cmp_gt_f32_e32 vcc, s11, v12
	v_cmp_gt_f32_e64 s[52:53], s57, v20
	s_nop 0
	v_subbrev_co_u32_e32 v22, vcc, 0, v8, vcc
	v_sub_u32_e32 v8, 0, v22
	v_ldexp_f32 v9, v10, v8
	v_add_f32_e32 v10, -1.0, v9
	v_add_f32_e32 v12, 1.0, v9
	v_ldexp_f32 v8, v11, v8
	v_add_f32_e32 v11, 1.0, v10
	v_add_f32_e32 v13, -1.0, v12
	v_sub_f32_e32 v11, v9, v11
	v_sub_f32_e32 v9, v9, v13
	v_add_f32_e32 v11, v8, v11
	v_add_f32_e32 v8, v8, v9
	v_add_f32_e32 v23, v12, v8
	v_rcp_f32_e32 v25, v23
	v_sub_f32_e32 v9, v12, v23
	v_add_f32_e32 v24, v8, v9
	v_add_f32_e32 v9, v10, v11
	v_mul_f32_e32 v27, v9, v25
	v_sub_f32_e32 v8, v10, v9
	v_mul_f32_e32 v10, v23, v27
	v_fma_f32 v12, v27, v23, -v10
	v_fmac_f32_e32 v12, v27, v24
	v_add_f32_e32 v26, v11, v8
	v_add_f32_e32 v8, v10, v12
	v_sub_f32_e32 v11, v9, v8
	v_pk_add_f32 v[14:15], v[8:9], v[10:11] neg_lo:[0,1] neg_hi:[0,1]
	v_mov_b32_e32 v13, v8
	v_pk_add_f32 v[8:9], v[14:15], v[12:13] neg_lo:[0,1] neg_hi:[0,1]
	v_cmp_eq_f32_e32 vcc, s10, v20
	v_add_f32_e32 v9, v26, v9
	v_add_f32_e32 v8, v8, v9
	;; [unrolled: 1-line block ×3, first 2 shown]
	v_mul_f32_e32 v26, v25, v9
	v_mul_f32_e32 v10, v23, v26
	v_fma_f32 v12, v26, v23, -v10
	v_fmac_f32_e32 v12, v26, v24
	v_sub_f32_e32 v11, v11, v9
	v_add_f32_e32 v23, v8, v11
	v_add_f32_e32 v8, v10, v12
	v_sub_f32_e32 v11, v9, v8
	v_pk_add_f32 v[14:15], v[8:9], v[10:11] neg_lo:[0,1] neg_hi:[0,1]
	v_mov_b32_e32 v13, v8
	v_pk_add_f32 v[8:9], v[14:15], v[12:13] neg_lo:[0,1] neg_hi:[0,1]
	s_or_b64 vcc, s[52:53], vcc
	v_add_f32_e32 v9, v23, v9
	v_add_f32_e32 v8, v8, v9
	;; [unrolled: 1-line block ×4, first 2 shown]
	v_sub_f32_e32 v10, v9, v27
	v_mul_f32_e32 v8, v25, v8
	v_sub_f32_e32 v10, v26, v10
	v_add_f32_e32 v10, v10, v8
	v_add_f32_e32 v12, v9, v10
	v_mul_f32_e32 v13, v12, v12
	v_fmamk_f32 v8, v13, 0x3e9b6dac, v40
	v_fmaak_f32 v43, v13, v8, 0x3f2aaada
	v_cvt_f32_i32_e32 v8, v22
	v_sub_f32_e32 v9, v12, v9
	v_sub_f32_e32 v9, v10, v9
	v_ldexp_f32 v14, v9, 1
	v_mul_f32_e32 v9, v12, v13
	v_ldexp_f32 v11, v12, 1
	v_pk_mul_f32 v[12:13], v[8:9], v[42:43]
	s_nop 0
	v_fma_f32 v10, v8, s56, -v12
	v_fmac_f32_e32 v10, 0xb102e308, v8
	v_pk_add_f32 v[8:9], v[12:13], v[10:11]
	s_nop 0
	v_sub_f32_e32 v11, v9, v11
	v_sub_f32_e32 v11, v13, v11
	v_add_f32_e32 v15, v14, v11
	v_mov_b32_e32 v14, v12
	v_pk_add_f32 v[12:13], v[8:9], v[12:13] neg_lo:[0,1] neg_hi:[0,1]
	v_pk_add_f32 v[22:23], v[8:9], v[14:15]
	v_mov_b32_e32 v11, v8
	v_mov_b32_e32 v13, v23
	v_pk_add_f32 v[24:25], v[10:11], v[12:13] neg_lo:[0,1] neg_hi:[0,1]
	v_pk_add_f32 v[10:11], v[10:11], v[12:13]
	v_mov_b32_e32 v14, v15
	v_mov_b32_e32 v12, v11
	v_pk_add_f32 v[26:27], v[12:13], v[8:9] neg_lo:[0,1] neg_hi:[0,1]
	v_mov_b32_e32 v10, v23
	v_mov_b32_e32 v13, v26
	v_pk_add_f32 v[28:29], v[22:23], v[12:13] neg_lo:[0,1] neg_hi:[0,1]
	v_mov_b32_e32 v22, v9
	v_mov_b32_e32 v23, v26
	;; [unrolled: 1-line block ×3, first 2 shown]
	v_pk_add_f32 v[10:11], v[10:11], v[22:23] neg_lo:[0,1] neg_hi:[0,1]
	v_mov_b32_e32 v15, v8
	v_pk_add_f32 v[8:9], v[14:15], v[10:11] neg_lo:[0,1] neg_hi:[0,1]
	v_mov_b32_e32 v28, v24
	v_pk_add_f32 v[10:11], v[28:29], v[8:9]
	s_nop 0
	v_mov_b32_e32 v14, v11
	v_pk_add_f32 v[14:15], v[10:11], v[14:15]
	s_nop 0
	v_pk_add_f32 v[12:13], v[12:13], v[14:15]
	v_mov_b32_e32 v9, v14
	v_mov_b32_e32 v11, v12
	v_pk_add_f32 v[22:23], v[10:11], v[24:25] neg_lo:[0,1] neg_hi:[0,1]
	s_nop 0
	v_sub_f32_e32 v10, v10, v22
	v_pk_add_f32 v[8:9], v[8:9], v[22:23] neg_lo:[0,1] neg_hi:[0,1]
	v_sub_f32_e32 v10, v24, v10
	v_add_f32_e32 v8, v8, v10
	v_add_f32_e32 v8, v8, v9
	;; [unrolled: 1-line block ×3, first 2 shown]
	v_cndmask_b32_e32 v23, v8, v20, vcc
.LBB18_107:                             ;   in Loop: Header=BB18_13 Depth=1
	s_or_b64 exec, exec, s[54:55]
	v_lshlrev_b32_e32 v8, 16, v7
	v_readlane_b32 s0, v95, 3
	v_and_b32_e32 v13, 0xffff0000, v7
	v_and_b32_e32 v7, 0xffff0000, v6
	v_lshlrev_b32_e32 v6, 16, v6
	v_and_b32_e32 v9, 0xffff0000, v5
	v_lshlrev_b32_e32 v5, 16, v5
	;; [unrolled: 2-line block ×7, first 2 shown]
	v_mul_f32_e32 v24, s0, v8
	v_mul_f32_e32 v27, s0, v7
	;; [unrolled: 1-line block ×16, first 2 shown]
	v_readlane_b32 s0, v95, 30
	v_readlane_b32 s1, v95, 31
	s_and_b64 vcc, exec, s[0:1]
	s_waitcnt lgkmcnt(0)
	; wave barrier
	s_cbranch_vccz .LBB18_200
; %bb.108:                              ;   in Loop: Header=BB18_13 Depth=1
	v_mul_f32_e32 v82, v21, v0
	scratch_load_dword v0, off, off offset:252 ; 4-byte Folded Reload
	v_readlane_b32 s0, v95, 7
	v_readlane_b32 s1, v95, 8
	scratch_store_dwordx2 off, v[42:43], off offset:168 ; 8-byte Folded Spill
	v_mul_f32_e32 v6, v61, v6
	v_lshl_add_u64 v[40:41], s[0:1], 0, v[16:17]
	v_readlane_b32 s0, v95, 21
	v_readlane_b32 s1, v95, 22
	v_mul_f32_e32 v5, v59, v5
	s_mov_b32 s92, 0
	v_lshl_add_u64 v[42:43], s[0:1], 0, v[16:17]
	v_readlane_b32 s1, v95, 51
	s_cmp_lg_u32 s1, 0
	v_readlane_b32 s0, v95, 44
	s_cselect_b64 s[86:87], -1, 0
	s_cmp_eq_u32 s1, s0
	v_readlane_b32 s0, v95, 33
	v_readlane_b32 s1, v95, 34
	s_cselect_b64 s[90:91], -1, 0
	v_mul_f32_e32 v13, v23, v13
	v_mul_f32_e32 v8, v63, v8
	;; [unrolled: 1-line block ×3, first 2 shown]
	scratch_store_dword off, v6, off offset:80 ; 4-byte Folded Spill
	v_mul_f32_e32 v6, v60, v9
	scratch_store_dword off, v5, off offset:88 ; 4-byte Folded Spill
	v_mul_f32_e32 v5, v58, v10
	v_mul_f32_e32 v4, v94, v4
	;; [unrolled: 1-line block ×9, first 2 shown]
	s_mov_b32 s96, s92
	s_mov_b32 s94, s92
	;; [unrolled: 1-line block ×3, first 2 shown]
	scratch_store_dword off, v13, off offset:68 ; 4-byte Folded Spill
	scratch_store_dword off, v8, off offset:72 ; 4-byte Folded Spill
	;; [unrolled: 1-line block ×6, first 2 shown]
	s_waitcnt vmcnt(9)
	v_cmp_gt_u32_e32 vcc, s82, v0
	scratch_load_dword v0, off, off offset:256 ; 4-byte Folded Reload
	s_or_b64 s[52:53], s[0:1], vcc
	s_waitcnt vmcnt(0)
	v_cmp_gt_u32_e32 vcc, s82, v0
	scratch_load_dword v0, off, off offset:260 ; 4-byte Folded Reload
	s_or_b64 s[54:55], s[0:1], vcc
	;; [unrolled: 4-line block ×15, first 2 shown]
	s_waitcnt vmcnt(0)
	v_cmp_gt_u32_e32 vcc, s82, v0
	s_or_b64 s[82:83], s[0:1], vcc
	v_readlane_b32 s0, v95, 29
	v_readlane_b32 s1, v95, 47
	s_branch .LBB18_110
.LBB18_109:                             ;   in Loop: Header=BB18_110 Depth=2
	s_or_b64 exec, exec, s[84:85]
	v_mul_f32_e32 v20, v83, v20
	v_fma_f32 v45, v83, v74, v8
	v_cndmask_b32_e64 v8, v45, v8, s[16:17]
	v_cndmask_b32_e64 v20, v20, v83, s[16:17]
	s_waitcnt lgkmcnt(0)
	v_fmac_f32_e32 v8, v44, v20
	v_fmac_f32_e32 v9, v8, v84
	;; [unrolled: 1-line block ×10, first 2 shown]
	v_readlane_b32 s4, v95, 23
	v_fmac_f32_e32 v52, v51, v64
	v_readlane_b32 s5, v95, 24
	v_readlane_b32 s6, v95, 25
	;; [unrolled: 1-line block ×3, first 2 shown]
	v_fmac_f32_e32 v53, v52, v16
	s_add_i32 s98, s98, s6
	v_readlane_b32 s4, v95, 17
	v_fmac_f32_e32 v48, v53, v65
	v_readlane_b32 s5, v95, 18
	v_readlane_b32 s6, v95, 19
	;; [unrolled: 1-line block ×3, first 2 shown]
	v_fmac_f32_e32 v49, v48, v66
	s_add_i32 s94, s94, s4
	v_readlane_b32 s4, v95, 9
	v_fmac_f32_e32 v54, v49, v67
	v_readlane_b32 s5, v95, 10
	v_readlane_b32 s8, v95, 13
	v_fmac_f32_e32 v55, v54, v68
	v_and_b32_e32 v45, 0xffff0000, v4
	v_and_b32_e32 v47, 0xffff0000, v5
	v_lshlrev_b32_e32 v44, 16, v4
	v_lshlrev_b32_e32 v46, 16, v5
	v_and_b32_e32 v5, 0xffff0000, v6
	v_and_b32_e32 v57, 0xffff0000, v7
	v_lshlrev_b32_e32 v4, 16, v6
	v_lshlrev_b32_e32 v56, 16, v7
	;; [unrolled: 4-line block ×4, first 2 shown]
	s_add_i32 s1, s1, 8
	s_add_i32 s0, s0, -1
	s_add_i32 s96, s96, s8
	s_add_i32 s92, s92, s5
	v_pk_fma_f32 v[36:37], v[10:11], v[46:47], v[36:37]
	v_pk_fma_f32 v[38:39], v[8:9], v[44:45], v[38:39]
	;; [unrolled: 1-line block ×7, first 2 shown]
	s_cmp_eq_u32 s0, 0
	v_pk_fma_f32 v[26:27], v[48:49], v[0:1], v[26:27]
	v_readlane_b32 s6, v95, 11
	v_readlane_b32 s7, v95, 12
	;; [unrolled: 1-line block ×5, first 2 shown]
	s_cbranch_scc1 .LBB18_199
.LBB18_110:                             ;   Parent Loop BB18_13 Depth=1
                                        ; =>  This Inner Loop Header: Depth=2
	s_lshl_b64 s[84:85], s[92:93], 2
	s_add_u32 s84, s99, s84
	v_readlane_b32 s4, v95, 6
	s_addc_u32 s85, s4, s85
	global_load_dword v44, v17, s[84:85]
	s_mov_b32 s97, s93
	v_lshl_add_u64 v[0:1], s[96:97], 1, v[40:41]
	v_mov_b32_e32 v2, 0
	v_mov_b32_e32 v3, 0
	s_and_saveexec_b64 s[84:85], s[18:19]
	s_cbranch_execz .LBB18_112
; %bb.111:                              ;   in Loop: Header=BB18_110 Depth=2
	global_load_ushort v3, v[0:1], off
.LBB18_112:                             ;   in Loop: Header=BB18_110 Depth=2
	s_or_b64 exec, exec, s[84:85]
	s_and_saveexec_b64 s[84:85], s[20:21]
	s_cbranch_execz .LBB18_114
; %bb.113:                              ;   in Loop: Header=BB18_110 Depth=2
	global_load_ushort v2, v[0:1], off offset:128
.LBB18_114:                             ;   in Loop: Header=BB18_110 Depth=2
	s_or_b64 exec, exec, s[84:85]
	v_mov_b32_e32 v4, 0
	v_mov_b32_e32 v5, 0
	s_and_saveexec_b64 s[84:85], s[22:23]
	s_cbranch_execz .LBB18_116
; %bb.115:                              ;   in Loop: Header=BB18_110 Depth=2
	global_load_ushort v5, v[0:1], off offset:256
.LBB18_116:                             ;   in Loop: Header=BB18_110 Depth=2
	s_or_b64 exec, exec, s[84:85]
	s_and_saveexec_b64 s[84:85], s[24:25]
	s_cbranch_execz .LBB18_118
; %bb.117:                              ;   in Loop: Header=BB18_110 Depth=2
	global_load_ushort v4, v[0:1], off offset:384
.LBB18_118:                             ;   in Loop: Header=BB18_110 Depth=2
	s_or_b64 exec, exec, s[84:85]
	v_mov_b32_e32 v6, 0
	v_mov_b32_e32 v7, 0
	s_and_saveexec_b64 s[84:85], s[26:27]
	s_cbranch_execz .LBB18_120
; %bb.119:                              ;   in Loop: Header=BB18_110 Depth=2
	global_load_ushort v7, v[0:1], off offset:512
.LBB18_120:                             ;   in Loop: Header=BB18_110 Depth=2
	;; [unrolled: 14-line block ×7, first 2 shown]
	s_or_b64 exec, exec, s[84:85]
	s_and_saveexec_b64 s[84:85], s[50:51]
	s_cbranch_execz .LBB18_142
; %bb.141:                              ;   in Loop: Header=BB18_110 Depth=2
	global_load_ushort v16, v[0:1], off offset:1920
.LBB18_142:                             ;   in Loop: Header=BB18_110 Depth=2
	s_or_b64 exec, exec, s[84:85]
	scratch_load_dword v0, off, off offset:4 ; 4-byte Folded Reload
	s_mov_b32 s95, s93
	s_waitcnt vmcnt(0)
	ds_write_b16 v0, v3
	scratch_load_dword v0, off, off offset:8 ; 4-byte Folded Reload
	v_mov_b32_e32 v3, 0
	s_waitcnt vmcnt(0)
	ds_write_b16 v0, v2 offset:128
	scratch_load_dword v0, off, off offset:12 ; 4-byte Folded Reload
	v_mov_b32_e32 v2, 0
	s_waitcnt vmcnt(0)
	ds_write_b16 v0, v5 offset:256
	scratch_load_dword v0, off, off offset:16 ; 4-byte Folded Reload
	s_waitcnt vmcnt(0)
	ds_write_b16 v0, v4 offset:384
	scratch_load_dword v0, off, off offset:20 ; 4-byte Folded Reload
	;; [unrolled: 3-line block ×13, first 2 shown]
	s_waitcnt vmcnt(0)
	ds_write_b16 v0, v16 offset:1920
	; wave barrier
	scratch_load_dword v0, off, off         ; 4-byte Folded Reload
	s_waitcnt vmcnt(0)
	ds_read_b128 v[12:15], v0
	ds_read_b128 v[8:11], v0 offset:16
	v_lshl_add_u64 v[0:1], s[94:95], 1, v[42:43]
	s_and_saveexec_b64 s[84:85], s[18:19]
	s_cbranch_execz .LBB18_144
; %bb.143:                              ;   in Loop: Header=BB18_110 Depth=2
	global_load_ushort v3, v[0:1], off
.LBB18_144:                             ;   in Loop: Header=BB18_110 Depth=2
	s_or_b64 exec, exec, s[84:85]
	s_and_saveexec_b64 s[84:85], s[20:21]
	s_cbranch_execz .LBB18_146
; %bb.145:                              ;   in Loop: Header=BB18_110 Depth=2
	global_load_ushort v2, v[0:1], off offset:128
.LBB18_146:                             ;   in Loop: Header=BB18_110 Depth=2
	s_or_b64 exec, exec, s[84:85]
	v_mov_b32_e32 v4, 0
	v_mov_b32_e32 v5, 0
	s_and_saveexec_b64 s[84:85], s[22:23]
	s_cbranch_execz .LBB18_148
; %bb.147:                              ;   in Loop: Header=BB18_110 Depth=2
	global_load_ushort v5, v[0:1], off offset:256
.LBB18_148:                             ;   in Loop: Header=BB18_110 Depth=2
	s_or_b64 exec, exec, s[84:85]
	s_and_saveexec_b64 s[84:85], s[24:25]
	s_cbranch_execz .LBB18_150
; %bb.149:                              ;   in Loop: Header=BB18_110 Depth=2
	global_load_ushort v4, v[0:1], off offset:384
.LBB18_150:                             ;   in Loop: Header=BB18_110 Depth=2
	s_or_b64 exec, exec, s[84:85]
	v_mov_b32_e32 v6, 0
	v_mov_b32_e32 v7, 0
	s_and_saveexec_b64 s[84:85], s[26:27]
	s_cbranch_execz .LBB18_152
; %bb.151:                              ;   in Loop: Header=BB18_110 Depth=2
	global_load_ushort v7, v[0:1], off offset:512
.LBB18_152:                             ;   in Loop: Header=BB18_110 Depth=2
	;; [unrolled: 14-line block ×7, first 2 shown]
	s_or_b64 exec, exec, s[84:85]
	s_and_saveexec_b64 s[84:85], s[50:51]
	s_cbranch_execz .LBB18_174
; %bb.173:                              ;   in Loop: Header=BB18_110 Depth=2
	global_load_ushort v50, v[0:1], off offset:1920
.LBB18_174:                             ;   in Loop: Header=BB18_110 Depth=2
	s_or_b64 exec, exec, s[84:85]
	scratch_load_dword v0, off, off offset:4 ; 4-byte Folded Reload
	s_andn2_b64 vcc, exec, s[86:87]
	s_waitcnt vmcnt(0)
	ds_write_b16 v0, v3 offset:2112
	scratch_load_dword v0, off, off offset:100 ; 4-byte Folded Reload
	s_waitcnt vmcnt(0)
	ds_write_b16 v0, v2 offset:128
	scratch_load_dword v0, off, off offset:104 ; 4-byte Folded Reload
	;; [unrolled: 3-line block ×15, first 2 shown]
	s_waitcnt vmcnt(0)
	ds_write_b16 v0, v50 offset:1920
	; wave barrier
	scratch_load_dword v0, off, off         ; 4-byte Folded Reload
	s_waitcnt vmcnt(0)
	ds_read_b128 v[4:7], v0 offset:2112
	scratch_load_dword v0, off, off offset:160 ; 4-byte Folded Reload
	s_waitcnt vmcnt(0)
	ds_read_b128 v[0:3], v0 offset:16
	s_cbranch_vccnz .LBB18_176
; %bb.175:                              ;   in Loop: Header=BB18_110 Depth=2
	v_mov_b32_e32 v16, s1
	ds_read_b64 v[46:47], v16
	s_waitcnt lgkmcnt(0)
	v_mov_b32_e32 v45, v47
	s_cbranch_execz .LBB18_177
	s_branch .LBB18_180
.LBB18_176:                             ;   in Loop: Header=BB18_110 Depth=2
                                        ; implicit-def: $vgpr46
                                        ; implicit-def: $vgpr45
.LBB18_177:                             ;   in Loop: Header=BB18_110 Depth=2
	v_readlane_b32 s84, v95, 0
	v_readlane_b32 s85, v95, 1
	s_andn2_b64 vcc, exec, s[84:85]
	v_mov_b32_e32 v45, 0
	s_cbranch_vccnz .LBB18_179
; %bb.178:                              ;   in Loop: Header=BB18_110 Depth=2
	s_mov_b32 s99, s93
	s_lshl_b64 s[84:85], s[98:99], 1
	v_readlane_b32 s4, v95, 27
	s_add_u32 s84, s4, s84
	v_readlane_b32 s4, v95, 28
	s_addc_u32 s85, s4, s85
	global_load_ushort v16, v17, s[84:85]
	v_readlane_b32 s99, v95, 48
	s_waitcnt vmcnt(0)
	v_lshlrev_b32_e32 v45, 16, v16
.LBB18_179:                             ;   in Loop: Header=BB18_110 Depth=2
	v_mov_b32_e32 v46, 1.0
.LBB18_180:                             ;   in Loop: Header=BB18_110 Depth=2
	v_mul_f32_e32 v44, 0x3fb8aa3b, v44
	s_waitcnt lgkmcnt(14)
	v_lshlrev_b32_e32 v49, 16, v8
	v_and_b32_e32 v51, 0xffff0000, v8
	v_mul_f32_e32 v8, v44, v21
	v_cmp_gt_f32_e32 vcc, s33, v8
	v_lshlrev_b32_e32 v54, 16, v10
	v_and_b32_e32 v55, 0xffff0000, v10
	v_cndmask_b32_e32 v8, 0, v72, vcc
	v_mul_f32_e32 v10, v44, v18
	v_lshlrev_b32_e32 v52, 16, v9
	v_and_b32_e32 v53, 0xffff0000, v9
	v_fmac_f32_e32 v8, v44, v21
	v_cndmask_b32_e32 v9, 1.0, v19, vcc
	v_cmp_gt_f32_e32 vcc, s33, v10
	v_exp_f32_e32 v8, v8
	v_lshlrev_b32_e32 v56, 16, v11
	v_cndmask_b32_e32 v10, 0, v72, vcc
	v_fmac_f32_e32 v10, v44, v18
	v_exp_f32_e32 v10, v10
	v_and_b32_e32 v47, 0xffff0000, v11
	v_mul_f32_e32 v9, v8, v9
	v_mul_f32_e32 v11, v44, v70
	v_lshlrev_b32_e32 v16, 16, v12
	v_and_b32_e32 v12, 0xffff0000, v12
	v_cndmask_b32_e64 v83, 1.0, v9, s[52:53]
	v_cndmask_b32_e32 v9, 1.0, v19, vcc
	v_cmp_gt_f32_e32 vcc, s33, v11
	v_mul_f32_e32 v10, v10, v9
	v_mul_f32_e32 v9, v81, v12
	v_cndmask_b32_e32 v11, 0, v72, vcc
	v_mul_f32_e32 v12, v44, v71
	v_fmac_f32_e32 v11, v44, v70
	v_cndmask_b32_e64 v84, 1.0, v10, s[54:55]
	v_cndmask_b32_e32 v10, 1.0, v19, vcc
	v_cmp_gt_f32_e32 vcc, s33, v12
	v_exp_f32_e32 v11, v11
	v_lshlrev_b32_e32 v20, 16, v13
	v_cndmask_b32_e32 v12, 0, v72, vcc
	v_fmac_f32_e32 v12, v44, v71
	v_exp_f32_e32 v12, v12
	v_mul_f32_e32 v11, v11, v10
	v_and_b32_e32 v13, 0xffff0000, v13
	v_cndmask_b32_e64 v85, 1.0, v11, s[56:57]
	v_cndmask_b32_e32 v11, 1.0, v19, vcc
	v_mul_f32_e32 v12, v12, v11
	v_mul_f32_e32 v11, v79, v13
	;; [unrolled: 1-line block ×3, first 2 shown]
	v_cmp_gt_f32_e32 vcc, s33, v13
	v_mul_f32_e32 v8, v82, v16
	v_mul_f32_e32 v16, v44, v91
	v_cndmask_b32_e32 v13, 0, v72, vcc
	v_fmac_f32_e32 v13, v44, v90
	v_cndmask_b32_e64 v86, 1.0, v12, s[58:59]
	v_cndmask_b32_e32 v12, 1.0, v19, vcc
	v_cmp_gt_f32_e32 vcc, s33, v16
	v_exp_f32_e32 v13, v13
	v_lshlrev_b32_e32 v22, 16, v14
	v_cndmask_b32_e32 v16, 0, v72, vcc
	v_fmac_f32_e32 v16, v44, v91
	v_exp_f32_e32 v16, v16
	v_mul_f32_e32 v13, v13, v12
	v_and_b32_e32 v14, 0xffff0000, v14
	v_cndmask_b32_e64 v87, 1.0, v13, s[60:61]
	v_cndmask_b32_e32 v13, 1.0, v19, vcc
	v_mul_f32_e32 v16, v16, v13
	v_mul_f32_e32 v13, v77, v14
	;; [unrolled: 1-line block ×3, first 2 shown]
	v_cmp_gt_f32_e32 vcc, s33, v14
	v_mul_f32_e32 v10, v80, v20
	v_mul_f32_e32 v20, v44, v93
	v_cndmask_b32_e32 v14, 0, v72, vcc
	v_fmac_f32_e32 v14, v44, v92
	v_cndmask_b32_e64 v88, 1.0, v16, s[62:63]
	v_cndmask_b32_e32 v16, 1.0, v19, vcc
	v_cmp_gt_f32_e32 vcc, s33, v20
	v_exp_f32_e32 v14, v14
	v_mul_f32_e32 v12, v78, v22
	v_cndmask_b32_e32 v20, 0, v72, vcc
	v_fmac_f32_e32 v20, v44, v93
	v_exp_f32_e32 v20, v20
	v_mul_f32_e32 v16, v14, v16
	v_cndmask_b32_e64 v69, 1.0, v16, s[64:65]
	v_cndmask_b32_e32 v16, 1.0, v19, vcc
	v_mul_f32_e32 v16, v20, v16
	v_mul_f32_e32 v20, v44, v94
	v_cmp_gt_f32_e32 vcc, s33, v20
	v_cndmask_b32_e64 v73, 1.0, v16, s[66:67]
	v_mul_f32_e32 v22, v44, v58
	v_cndmask_b32_e32 v20, 0, v72, vcc
	v_fmac_f32_e32 v20, v44, v94
	v_exp_f32_e32 v20, v20
	v_cndmask_b32_e32 v16, 1.0, v19, vcc
	v_cmp_gt_f32_e32 vcc, s33, v22
	v_lshlrev_b32_e32 v48, 16, v15
	v_mul_f32_e32 v16, v20, v16
	scratch_load_dword v20, off, off offset:96 ; 4-byte Folded Reload
	v_cndmask_b32_e32 v22, 0, v72, vcc
	v_fmac_f32_e32 v22, v44, v58
	v_mul_f32_e32 v14, v76, v48
	v_exp_f32_e32 v48, v22
	v_cndmask_b32_e64 v22, 1.0, v16, s[68:69]
	v_cndmask_b32_e32 v16, 1.0, v19, vcc
	v_cndmask_b32_e64 v8, 0, v8, s[52:53]
	v_mul_f32_e32 v16, v48, v16
	v_mul_f32_e32 v48, v44, v59
	v_cmp_gt_f32_e32 vcc, s33, v48
	v_cndmask_b32_e64 v89, 1.0, v16, s[70:71]
	v_cndmask_b32_e64 v9, 0, v9, s[54:55]
	v_cndmask_b32_e32 v48, 0, v72, vcc
	v_fmac_f32_e32 v48, v44, v59
	v_exp_f32_e32 v48, v48
	v_cndmask_b32_e32 v16, 1.0, v19, vcc
	v_cndmask_b32_e64 v10, 0, v10, s[56:57]
	v_cndmask_b32_e64 v11, 0, v11, s[58:59]
	v_mul_f32_e32 v16, v48, v16
	v_mul_f32_e32 v48, v44, v60
	v_cmp_gt_f32_e32 vcc, s33, v48
	v_cndmask_b32_e64 v64, 1.0, v16, s[72:73]
	v_cndmask_b32_e64 v12, 0, v12, s[60:61]
	v_cndmask_b32_e32 v48, 0, v72, vcc
	v_fmac_f32_e32 v48, v44, v60
	v_exp_f32_e32 v48, v48
	v_cndmask_b32_e32 v16, 1.0, v19, vcc
	v_and_b32_e32 v15, 0xffff0000, v15
	v_cndmask_b32_e64 v13, 0, v13, s[62:63]
	v_mul_f32_e32 v16, v48, v16
	v_mul_f32_e32 v48, v44, v61
	v_cmp_gt_f32_e32 vcc, s33, v48
	v_cndmask_b32_e64 v14, 0, v14, s[64:65]
	v_mul_f32_e32 v15, v75, v15
	v_cndmask_b32_e32 v48, 0, v72, vcc
	v_fmac_f32_e32 v48, v44, v61
	v_exp_f32_e32 v48, v48
	v_cndmask_b32_e64 v15, 0, v15, s[66:67]
	v_cndmask_b32_e64 v16, 1.0, v16, s[74:75]
	v_readlane_b32 s4, v95, 35
	v_readlane_b32 s5, v95, 36
	s_waitcnt vmcnt(0)
	v_mul_f32_e32 v20, v20, v49
	v_cndmask_b32_e64 v50, 0, v20, s[68:69]
	scratch_load_dword v20, off, off offset:92 ; 4-byte Folded Reload
	v_mul_f32_e32 v49, v44, v62
	s_waitcnt vmcnt(0)
	v_mul_f32_e32 v20, v20, v51
	v_cndmask_b32_e64 v51, 0, v20, s[70:71]
	scratch_load_dword v20, off, off offset:88 ; 4-byte Folded Reload
	s_waitcnt vmcnt(0)
	v_mul_f32_e32 v20, v20, v52
	v_cndmask_b32_e64 v52, 0, v20, s[72:73]
	scratch_load_dword v20, off, off offset:84 ; 4-byte Folded Reload
	s_waitcnt vmcnt(0)
	v_mul_f32_e32 v20, v20, v53
	v_cndmask_b32_e64 v53, 0, v20, s[74:75]
	v_cndmask_b32_e32 v20, 1.0, v19, vcc
	v_mul_f32_e32 v20, v48, v20
	scratch_load_dword v48, off, off offset:80 ; 4-byte Folded Reload
	v_cmp_gt_f32_e32 vcc, s33, v49
	v_cndmask_b32_e64 v65, 1.0, v20, s[76:77]
	s_nop 0
	v_cndmask_b32_e32 v49, 0, v72, vcc
	v_fmac_f32_e32 v49, v44, v62
	v_exp_f32_e32 v49, v49
	v_cndmask_b32_e32 v20, 1.0, v19, vcc
	v_mul_f32_e32 v20, v49, v20
	scratch_load_dword v49, off, off offset:76 ; 4-byte Folded Reload
	v_cndmask_b32_e64 v66, 1.0, v20, s[78:79]
	s_waitcnt vmcnt(1)
	v_mul_f32_e32 v48, v48, v54
	v_mul_f32_e32 v54, v44, v63
	v_cmp_gt_f32_e32 vcc, s33, v54
	v_cndmask_b32_e64 v48, 0, v48, s[76:77]
	s_nop 0
	v_cndmask_b32_e32 v54, 0, v72, vcc
	v_fmac_f32_e32 v54, v44, v63
	v_exp_f32_e32 v54, v54
	v_cndmask_b32_e32 v20, 1.0, v19, vcc
	v_mul_f32_e32 v20, v54, v20
	scratch_load_dword v54, off, off offset:72 ; 4-byte Folded Reload
	s_waitcnt vmcnt(1)
	v_mul_f32_e32 v49, v49, v55
	v_mul_f32_e32 v55, v44, v23
	v_cmp_gt_f32_e32 vcc, s33, v55
	v_cndmask_b32_e64 v67, 1.0, v20, s[80:81]
	v_cndmask_b32_e64 v49, 0, v49, s[78:79]
	v_cndmask_b32_e32 v55, 0, v72, vcc
	v_fmac_f32_e32 v55, v44, v23
	v_exp_f32_e32 v44, v55
	v_cndmask_b32_e32 v20, 1.0, v19, vcc
	v_mul_f32_e32 v20, v44, v20
	scratch_load_dword v44, off, off offset:68 ; 4-byte Folded Reload
	v_cndmask_b32_e64 v68, 1.0, v20, s[82:83]
	v_mul_f32_e32 v20, v84, v83
	v_mul_f32_e32 v20, v20, v85
	;; [unrolled: 1-line block ×14, first 2 shown]
	s_waitcnt vmcnt(1)
	v_mul_f32_e32 v54, v54, v56
	v_cndmask_b32_e64 v54, 0, v54, s[80:81]
	s_waitcnt vmcnt(0)
	v_mul_f32_e32 v44, v44, v47
	v_cndmask_b32_e64 v55, 0, v44, s[82:83]
	v_fma_f32 v44, v84, v8, v9
	v_fma_f32 v44, v44, v85, v10
	;; [unrolled: 1-line block ×14, first 2 shown]
	v_mul_f32_e32 v47, v20, v68
	v_fma_f32 v44, v44, v68, v55
	s_nop 0
	v_mov_b32_dpp v56, v47 row_shr:1 row_mask:0xf bank_mask:0xf
	v_mov_b32_dpp v20, v44 row_shr:1 row_mask:0xf bank_mask:0xf
	s_and_saveexec_b64 s[84:85], s[4:5]
; %bb.181:                              ;   in Loop: Header=BB18_110 Depth=2
	v_mul_f32_e32 v56, v47, v56
	v_fmac_f32_e32 v44, v47, v20
	v_mov_b32_e32 v47, v56
; %bb.182:                              ;   in Loop: Header=BB18_110 Depth=2
	s_or_b64 exec, exec, s[84:85]
	v_readlane_b32 s4, v95, 37
	v_mov_b32_dpp v20, v47 row_shr:2 row_mask:0xf bank_mask:0xf
	v_mov_b32_dpp v56, v44 row_shr:2 row_mask:0xf bank_mask:0xf
	v_readlane_b32 s5, v95, 38
	s_and_saveexec_b64 s[84:85], s[4:5]
; %bb.183:                              ;   in Loop: Header=BB18_110 Depth=2
	v_fmac_f32_e32 v44, v47, v56
	v_mul_f32_e32 v47, v47, v20
; %bb.184:                              ;   in Loop: Header=BB18_110 Depth=2
	s_or_b64 exec, exec, s[84:85]
	s_nop 0
	v_mov_b32_dpp v20, v47 row_shr:4 row_mask:0xf bank_mask:0xf
	v_mov_b32_dpp v56, v44 row_shr:4 row_mask:0xf bank_mask:0xf
	s_and_saveexec_b64 s[84:85], s[2:3]
; %bb.185:                              ;   in Loop: Header=BB18_110 Depth=2
	v_fmac_f32_e32 v44, v47, v56
	v_mul_f32_e32 v47, v47, v20
; %bb.186:                              ;   in Loop: Header=BB18_110 Depth=2
	s_or_b64 exec, exec, s[84:85]
	v_readlane_b32 s4, v95, 39
	v_mov_b32_dpp v20, v47 row_shr:8 row_mask:0xf bank_mask:0xf
	v_mov_b32_dpp v56, v44 row_shr:8 row_mask:0xf bank_mask:0xf
	v_readlane_b32 s5, v95, 40
	s_and_saveexec_b64 s[84:85], s[4:5]
; %bb.187:                              ;   in Loop: Header=BB18_110 Depth=2
	v_fmac_f32_e32 v44, v47, v56
	v_mul_f32_e32 v47, v47, v20
; %bb.188:                              ;   in Loop: Header=BB18_110 Depth=2
	s_or_b64 exec, exec, s[84:85]
	v_readlane_b32 s4, v95, 41
	v_mov_b32_dpp v20, v47 row_bcast:15 row_mask:0xf bank_mask:0xf
	v_mov_b32_dpp v56, v44 row_bcast:15 row_mask:0xf bank_mask:0xf
	v_readlane_b32 s5, v95, 42
	s_and_saveexec_b64 s[84:85], s[4:5]
; %bb.189:                              ;   in Loop: Header=BB18_110 Depth=2
	v_fmac_f32_e32 v44, v47, v56
	v_mul_f32_e32 v47, v47, v20
; %bb.190:                              ;   in Loop: Header=BB18_110 Depth=2
	s_or_b64 exec, exec, s[84:85]
	s_nop 0
	v_mov_b32_dpp v20, v47 row_bcast:31 row_mask:0xf bank_mask:0xf
	v_mov_b32_dpp v56, v44 row_bcast:31 row_mask:0xf bank_mask:0xf
	v_mov_b32_e32 v57, v44
	v_mul_f32_e32 v20, v47, v20
	v_fmac_f32_e32 v57, v47, v56
	v_readlane_b32 s4, v95, 45
	v_cndmask_b32_e64 v56, v47, v20, s[12:13]
	v_cndmask_b32_e64 v57, v44, v57, s[12:13]
	v_readlane_b32 s5, v95, 46
	s_and_saveexec_b64 s[84:85], s[4:5]
	s_cbranch_execz .LBB18_192
; %bb.191:                              ;   in Loop: Header=BB18_110 Depth=2
	ds_write_b64 v17, v[56:57] offset:4224
.LBB18_192:                             ;   in Loop: Header=BB18_110 Depth=2
	s_or_b64 exec, exec, s[84:85]
	scratch_load_dword v44, off, off offset:164 ; 4-byte Folded Reload
	s_waitcnt lgkmcnt(0)
	; wave barrier
	s_waitcnt vmcnt(0) lgkmcnt(0)
	ds_bpermute_b32 v20, v44, v56
	ds_bpermute_b32 v74, v44, v57
	s_and_saveexec_b64 s[84:85], s[14:15]
	s_cbranch_execz .LBB18_196
; %bb.193:                              ;   in Loop: Header=BB18_110 Depth=2
	ds_read_b64 v[56:57], v17 offset:4224
	s_and_saveexec_b64 s[88:89], s[16:17]
	s_cbranch_execz .LBB18_195
; %bb.194:                              ;   in Loop: Header=BB18_110 Depth=2
	v_mov_b32_e32 v47, v45
	ds_write_b64 v17, v[46:47] offset:4224
.LBB18_195:                             ;   in Loop: Header=BB18_110 Depth=2
	s_or_b64 exec, exec, s[88:89]
	s_waitcnt lgkmcnt(0)
	v_mul_f32_e32 v47, v56, v45
	v_pk_add_f32 v[44:45], v[46:47], v[56:57]
	v_mul_f32_e32 v46, v46, v56
.LBB18_196:                             ;   in Loop: Header=BB18_110 Depth=2
	s_or_b64 exec, exec, s[84:85]
	s_waitcnt lgkmcnt(0)
	; wave barrier
	s_waitcnt lgkmcnt(0)
	ds_read_b32 v44, v17 offset:4228
	s_and_saveexec_b64 s[84:85], s[16:17]
	s_cbranch_execz .LBB18_109
; %bb.197:                              ;   in Loop: Header=BB18_110 Depth=2
	v_mov_b32_e32 v47, v45
	v_mov_b32_e32 v56, s1
	s_andn2_b64 vcc, exec, s[90:91]
	ds_write_b64 v56, v[46:47]
	s_cbranch_vccnz .LBB18_109
; %bb.198:                              ;   in Loop: Header=BB18_110 Depth=2
	v_bfe_u32 v46, v45, 16, 1
	s_movk_i32 s4, 0x7fff
	s_mov_b32 s99, s93
	v_add3_u32 v46, v45, v46, s4
	s_lshl_b64 s[88:89], s[98:99], 1
	v_readlane_b32 s4, v95, 27
	v_lshrrev_b32_e32 v46, 16, v46
	v_cmp_o_f32_e32 vcc, v45, v45
	v_mov_b32_e32 v45, 0x7fc0
	s_add_u32 s88, s4, s88
	v_readlane_b32 s4, v95, 28
	v_cndmask_b32_e32 v45, v45, v46, vcc
	v_readlane_b32 s99, v95, 48
	s_addc_u32 s89, s4, s89
	global_store_short v17, v45, s[88:89]
	s_branch .LBB18_109
.LBB18_199:                             ;   in Loop: Header=BB18_13 Depth=1
	scratch_load_dwordx2 v[42:43], off, off offset:168 ; 8-byte Folded Reload
	v_readlane_b32 s4, v95, 49
	v_readlane_b32 s5, v95, 50
	s_mov_b32 s6, 0x41a00000
	s_mov_b32 s7, 0x3fb8aa3b
	;; [unrolled: 1-line block ×8, first 2 shown]
	v_mov_b32_e32 v40, 0x3ecc95a3
	v_mov_b32_e32 v41, 0x7f800000
.LBB18_200:                             ;   in Loop: Header=BB18_13 Depth=1
	s_waitcnt lgkmcnt(0)
	; wave barrier
	scratch_load_dword v9, off, off         ; 4-byte Folded Reload
	v_bfe_u32 v0, v38, 16, 1
	s_movk_i32 s0, 0x7fff
	v_bfe_u32 v1, v39, 16, 1
	v_add3_u32 v0, v38, v0, s0
	v_bfe_u32 v2, v36, 16, 1
	v_add3_u32 v1, v39, v1, s0
	v_lshrrev_b32_e32 v0, 16, v0
	v_cmp_o_f32_e32 vcc, v38, v38
	v_mov_b32_e32 v10, 0x7fc0
	v_bfe_u32 v3, v37, 16, 1
	v_add3_u32 v2, v36, v2, s0
	v_lshrrev_b32_e32 v1, 16, v1
	v_cndmask_b32_e32 v0, v10, v0, vcc
	v_cmp_o_f32_e32 vcc, v39, v39
	v_add3_u32 v3, v37, v3, s0
	v_lshrrev_b32_e32 v2, 16, v2
	v_cndmask_b32_e32 v4, v10, v1, vcc
	v_cmp_o_f32_e32 vcc, v36, v36
	v_lshrrev_b32_e32 v3, 16, v3
	v_bfe_u32 v6, v32, 16, 1
	v_cndmask_b32_e32 v1, v10, v2, vcc
	v_cmp_o_f32_e32 vcc, v37, v37
	v_bfe_u32 v2, v34, 16, 1
	v_add3_u32 v2, v34, v2, s0
	v_cndmask_b32_e32 v5, v10, v3, vcc
	v_bfe_u32 v3, v35, 16, 1
	v_add3_u32 v3, v35, v3, s0
	v_lshrrev_b32_e32 v2, 16, v2
	v_cmp_o_f32_e32 vcc, v34, v34
	v_bfe_u32 v7, v33, 16, 1
	v_add3_u32 v6, v32, v6, s0
	v_lshrrev_b32_e32 v3, 16, v3
	v_cndmask_b32_e32 v2, v10, v2, vcc
	v_cmp_o_f32_e32 vcc, v35, v35
	v_add3_u32 v7, v33, v7, s0
	v_lshrrev_b32_e32 v6, 16, v6
	v_cndmask_b32_e32 v8, v10, v3, vcc
	v_cmp_o_f32_e32 vcc, v32, v32
	v_lshrrev_b32_e32 v7, 16, v7
	s_mov_b32 s1, 0x5040100
	v_cndmask_b32_e32 v3, v10, v6, vcc
	v_cmp_o_f32_e32 vcc, v33, v33
	v_perm_b32 v2, v8, v2, s1
	v_perm_b32 v1, v5, v1, s1
	v_cndmask_b32_e32 v6, v10, v7, vcc
	v_perm_b32 v3, v6, v3, s1
	v_perm_b32 v0, v4, v0, s1
	v_cmp_o_f32_e32 vcc, v30, v30
	v_bfe_u32 v6, v24, 16, 1
	v_bfe_u32 v7, v25, 16, 1
	v_add3_u32 v6, v24, v6, s0
	v_add3_u32 v7, v25, v7, s0
	v_lshrrev_b32_e32 v6, 16, v6
	v_lshrrev_b32_e32 v7, 16, v7
	s_waitcnt vmcnt(0)
	ds_write_b128 v9, v[0:3]
	v_bfe_u32 v0, v30, 16, 1
	v_bfe_u32 v1, v31, 16, 1
	v_add3_u32 v0, v30, v0, s0
	v_bfe_u32 v2, v28, 16, 1
	v_add3_u32 v1, v31, v1, s0
	v_lshrrev_b32_e32 v0, 16, v0
	v_bfe_u32 v3, v29, 16, 1
	v_add3_u32 v2, v28, v2, s0
	v_lshrrev_b32_e32 v1, 16, v1
	v_cndmask_b32_e32 v0, v10, v0, vcc
	v_cmp_o_f32_e32 vcc, v31, v31
	v_add3_u32 v3, v29, v3, s0
	v_lshrrev_b32_e32 v2, 16, v2
	v_cndmask_b32_e32 v4, v10, v1, vcc
	v_cmp_o_f32_e32 vcc, v28, v28
	v_lshrrev_b32_e32 v3, 16, v3
	v_perm_b32 v0, v4, v0, s1
	v_cndmask_b32_e32 v1, v10, v2, vcc
	v_cmp_o_f32_e32 vcc, v29, v29
	v_bfe_u32 v2, v26, 16, 1
	v_add3_u32 v2, v26, v2, s0
	v_cndmask_b32_e32 v5, v10, v3, vcc
	v_bfe_u32 v3, v27, 16, 1
	v_add3_u32 v3, v27, v3, s0
	v_lshrrev_b32_e32 v2, 16, v2
	v_cmp_o_f32_e32 vcc, v26, v26
	v_lshrrev_b32_e32 v3, 16, v3
	v_perm_b32 v1, v5, v1, s1
	v_cndmask_b32_e32 v2, v10, v2, vcc
	v_cmp_o_f32_e32 vcc, v27, v27
	s_nop 1
	v_cndmask_b32_e32 v8, v10, v3, vcc
	v_cmp_o_f32_e32 vcc, v24, v24
	v_perm_b32 v2, v8, v2, s1
	s_nop 0
	v_cndmask_b32_e32 v3, v10, v6, vcc
	v_cmp_o_f32_e32 vcc, v25, v25
	s_nop 1
	v_cndmask_b32_e32 v6, v10, v7, vcc
	v_perm_b32 v3, v6, v3, s1
	ds_write_b128 v9, v[0:3] offset:16
	; wave barrier
	scratch_load_dword v0, off, off offset:8 ; 4-byte Folded Reload
	v_readlane_b32 s0, v95, 52
	v_readlane_b32 s1, v95, 53
	s_mov_b32 s1, s93
	s_waitcnt vmcnt(0)
	ds_read_u16 v16, v0 offset:128
	scratch_load_dword v0, off, off offset:12 ; 4-byte Folded Reload
	s_waitcnt vmcnt(0)
	ds_read_u16 v15, v0 offset:256
	scratch_load_dword v0, off, off offset:16 ; 4-byte Folded Reload
	;; [unrolled: 3-line block ×14, first 2 shown]
	s_waitcnt vmcnt(0)
	ds_read_u16 v2, v0 offset:1920
	scratch_load_dwordx2 v[0:1], off, off offset:244 ; 8-byte Folded Reload
	s_waitcnt vmcnt(0)
	v_lshl_add_u64 v[0:1], s[0:1], 1, v[0:1]
	s_and_saveexec_b64 s[52:53], s[18:19]
	s_cbranch_execnz .LBB18_218
; %bb.201:                              ;   in Loop: Header=BB18_13 Depth=1
	s_or_b64 exec, exec, s[52:53]
	s_and_saveexec_b64 s[18:19], s[20:21]
	s_cbranch_execnz .LBB18_219
.LBB18_202:                             ;   in Loop: Header=BB18_13 Depth=1
	s_or_b64 exec, exec, s[18:19]
	s_and_saveexec_b64 s[18:19], s[22:23]
	s_cbranch_execnz .LBB18_220
.LBB18_203:                             ;   in Loop: Header=BB18_13 Depth=1
	s_or_b64 exec, exec, s[18:19]
	s_and_saveexec_b64 s[18:19], s[24:25]
	s_cbranch_execnz .LBB18_221
.LBB18_204:                             ;   in Loop: Header=BB18_13 Depth=1
	s_or_b64 exec, exec, s[18:19]
	s_and_saveexec_b64 s[18:19], s[26:27]
	s_cbranch_execnz .LBB18_222
.LBB18_205:                             ;   in Loop: Header=BB18_13 Depth=1
	s_or_b64 exec, exec, s[18:19]
	s_and_saveexec_b64 s[18:19], s[28:29]
	s_cbranch_execnz .LBB18_223
.LBB18_206:                             ;   in Loop: Header=BB18_13 Depth=1
	s_or_b64 exec, exec, s[18:19]
	s_and_saveexec_b64 s[18:19], s[30:31]
	s_cbranch_execnz .LBB18_224
.LBB18_207:                             ;   in Loop: Header=BB18_13 Depth=1
	s_or_b64 exec, exec, s[18:19]
	s_and_saveexec_b64 s[18:19], s[34:35]
	s_cbranch_execnz .LBB18_225
.LBB18_208:                             ;   in Loop: Header=BB18_13 Depth=1
	s_or_b64 exec, exec, s[18:19]
	s_and_saveexec_b64 s[18:19], s[36:37]
	s_cbranch_execnz .LBB18_226
.LBB18_209:                             ;   in Loop: Header=BB18_13 Depth=1
	s_or_b64 exec, exec, s[18:19]
	s_and_saveexec_b64 s[18:19], s[38:39]
	s_cbranch_execnz .LBB18_227
.LBB18_210:                             ;   in Loop: Header=BB18_13 Depth=1
	s_or_b64 exec, exec, s[18:19]
	s_and_saveexec_b64 s[18:19], s[40:41]
	s_cbranch_execnz .LBB18_228
.LBB18_211:                             ;   in Loop: Header=BB18_13 Depth=1
	s_or_b64 exec, exec, s[18:19]
	s_and_saveexec_b64 s[18:19], s[42:43]
	s_cbranch_execnz .LBB18_229
.LBB18_212:                             ;   in Loop: Header=BB18_13 Depth=1
	s_or_b64 exec, exec, s[18:19]
	s_and_saveexec_b64 s[18:19], s[44:45]
	s_cbranch_execnz .LBB18_230
.LBB18_213:                             ;   in Loop: Header=BB18_13 Depth=1
	s_or_b64 exec, exec, s[18:19]
	s_and_saveexec_b64 s[18:19], s[46:47]
	s_cbranch_execnz .LBB18_231
.LBB18_214:                             ;   in Loop: Header=BB18_13 Depth=1
	s_or_b64 exec, exec, s[18:19]
	s_and_saveexec_b64 s[18:19], s[48:49]
	s_cbranch_execnz .LBB18_232
.LBB18_215:                             ;   in Loop: Header=BB18_13 Depth=1
	s_or_b64 exec, exec, s[18:19]
	s_and_saveexec_b64 s[18:19], s[50:51]
	s_cbranch_execz .LBB18_12
	s_branch .LBB18_233
.LBB18_216:                             ;   in Loop: Header=BB18_13 Depth=1
	global_load_ushort v27, v[8:9], off offset:1664
	s_or_b64 exec, exec, s[52:53]
	s_and_saveexec_b64 s[52:53], s[48:49]
	s_cbranch_execz .LBB18_73
.LBB18_217:                             ;   in Loop: Header=BB18_13 Depth=1
	global_load_ushort v26, v[8:9], off offset:1792
	s_or_b64 exec, exec, s[52:53]
	v_mov_b32_e32 v28, 0
	s_and_saveexec_b64 s[52:53], s[50:51]
	s_cbranch_execnz .LBB18_74
	s_branch .LBB18_75
.LBB18_218:                             ;   in Loop: Header=BB18_13 Depth=1
	scratch_load_dword v18, off, off offset:4 ; 4-byte Folded Reload
	s_waitcnt vmcnt(0)
	ds_read_u16 v18, v18
	s_waitcnt lgkmcnt(0)
	global_store_short v[0:1], v18, off
	s_or_b64 exec, exec, s[52:53]
	s_and_saveexec_b64 s[18:19], s[20:21]
	s_cbranch_execz .LBB18_202
.LBB18_219:                             ;   in Loop: Header=BB18_13 Depth=1
	s_waitcnt lgkmcnt(14)
	global_store_short v[0:1], v16, off offset:128
	s_or_b64 exec, exec, s[18:19]
	s_and_saveexec_b64 s[18:19], s[22:23]
	s_cbranch_execz .LBB18_203
.LBB18_220:                             ;   in Loop: Header=BB18_13 Depth=1
	s_waitcnt lgkmcnt(13)
	global_store_short v[0:1], v15, off offset:256
	s_or_b64 exec, exec, s[18:19]
	s_and_saveexec_b64 s[18:19], s[24:25]
	s_cbranch_execz .LBB18_204
.LBB18_221:                             ;   in Loop: Header=BB18_13 Depth=1
	s_waitcnt lgkmcnt(12)
	global_store_short v[0:1], v14, off offset:384
	s_or_b64 exec, exec, s[18:19]
	s_and_saveexec_b64 s[18:19], s[26:27]
	s_cbranch_execz .LBB18_205
.LBB18_222:                             ;   in Loop: Header=BB18_13 Depth=1
	s_waitcnt lgkmcnt(11)
	global_store_short v[0:1], v13, off offset:512
	s_or_b64 exec, exec, s[18:19]
	s_and_saveexec_b64 s[18:19], s[28:29]
	s_cbranch_execz .LBB18_206
.LBB18_223:                             ;   in Loop: Header=BB18_13 Depth=1
	s_waitcnt lgkmcnt(10)
	global_store_short v[0:1], v12, off offset:640
	s_or_b64 exec, exec, s[18:19]
	s_and_saveexec_b64 s[18:19], s[30:31]
	s_cbranch_execz .LBB18_207
.LBB18_224:                             ;   in Loop: Header=BB18_13 Depth=1
	s_waitcnt lgkmcnt(9)
	global_store_short v[0:1], v11, off offset:768
	s_or_b64 exec, exec, s[18:19]
	s_and_saveexec_b64 s[18:19], s[34:35]
	s_cbranch_execz .LBB18_208
.LBB18_225:                             ;   in Loop: Header=BB18_13 Depth=1
	s_waitcnt lgkmcnt(8)
	global_store_short v[0:1], v10, off offset:896
	s_or_b64 exec, exec, s[18:19]
	s_and_saveexec_b64 s[18:19], s[36:37]
	s_cbranch_execz .LBB18_209
.LBB18_226:                             ;   in Loop: Header=BB18_13 Depth=1
	s_waitcnt lgkmcnt(7)
	global_store_short v[0:1], v9, off offset:1024
	s_or_b64 exec, exec, s[18:19]
	s_and_saveexec_b64 s[18:19], s[38:39]
	s_cbranch_execz .LBB18_210
.LBB18_227:                             ;   in Loop: Header=BB18_13 Depth=1
	s_waitcnt lgkmcnt(6)
	global_store_short v[0:1], v8, off offset:1152
	s_or_b64 exec, exec, s[18:19]
	s_and_saveexec_b64 s[18:19], s[40:41]
	s_cbranch_execz .LBB18_211
.LBB18_228:                             ;   in Loop: Header=BB18_13 Depth=1
	s_waitcnt lgkmcnt(5)
	global_store_short v[0:1], v7, off offset:1280
	s_or_b64 exec, exec, s[18:19]
	s_and_saveexec_b64 s[18:19], s[42:43]
	s_cbranch_execz .LBB18_212
.LBB18_229:                             ;   in Loop: Header=BB18_13 Depth=1
	s_waitcnt lgkmcnt(4)
	global_store_short v[0:1], v6, off offset:1408
	s_or_b64 exec, exec, s[18:19]
	s_and_saveexec_b64 s[18:19], s[44:45]
	s_cbranch_execz .LBB18_213
.LBB18_230:                             ;   in Loop: Header=BB18_13 Depth=1
	s_waitcnt lgkmcnt(3)
	global_store_short v[0:1], v5, off offset:1536
	s_or_b64 exec, exec, s[18:19]
	s_and_saveexec_b64 s[18:19], s[46:47]
	s_cbranch_execz .LBB18_214
.LBB18_231:                             ;   in Loop: Header=BB18_13 Depth=1
	s_waitcnt lgkmcnt(2)
	global_store_short v[0:1], v4, off offset:1664
	s_or_b64 exec, exec, s[18:19]
	s_and_saveexec_b64 s[18:19], s[48:49]
	s_cbranch_execz .LBB18_215
.LBB18_232:                             ;   in Loop: Header=BB18_13 Depth=1
	s_waitcnt lgkmcnt(1)
	global_store_short v[0:1], v3, off offset:1792
	s_or_b64 exec, exec, s[18:19]
	s_and_saveexec_b64 s[18:19], s[50:51]
	s_cbranch_execz .LBB18_12
.LBB18_233:                             ;   in Loop: Header=BB18_13 Depth=1
	s_waitcnt lgkmcnt(0)
	global_store_short v[0:1], v2, off offset:1920
	s_branch .LBB18_12
.LBB18_234:
	s_endpgm
	.section	.rodata,"a",@progbits
	.p2align	6, 0x0
	.amdhsa_kernel _Z25selective_scan_fwd_kernelI32Selective_Scan_fwd_kernel_traitsILi64ELi16ELi1ELb1ELb1ELb1ELb0ELb1EN3c108BFloat16EfS2_EEv13SSMParamsBase
		.amdhsa_group_segment_fixed_size 0
		.amdhsa_private_segment_fixed_size 320
		.amdhsa_kernarg_size 248
		.amdhsa_user_sgpr_count 2
		.amdhsa_user_sgpr_dispatch_ptr 0
		.amdhsa_user_sgpr_queue_ptr 0
		.amdhsa_user_sgpr_kernarg_segment_ptr 1
		.amdhsa_user_sgpr_dispatch_id 0
		.amdhsa_user_sgpr_kernarg_preload_length 0
		.amdhsa_user_sgpr_kernarg_preload_offset 0
		.amdhsa_user_sgpr_private_segment_size 0
		.amdhsa_uses_dynamic_stack 0
		.amdhsa_enable_private_segment 1
		.amdhsa_system_sgpr_workgroup_id_x 1
		.amdhsa_system_sgpr_workgroup_id_y 1
		.amdhsa_system_sgpr_workgroup_id_z 0
		.amdhsa_system_sgpr_workgroup_info 0
		.amdhsa_system_vgpr_workitem_id 0
		.amdhsa_next_free_vgpr 96
		.amdhsa_next_free_sgpr 100
		.amdhsa_accum_offset 96
		.amdhsa_reserve_vcc 1
		.amdhsa_float_round_mode_32 0
		.amdhsa_float_round_mode_16_64 0
		.amdhsa_float_denorm_mode_32 3
		.amdhsa_float_denorm_mode_16_64 3
		.amdhsa_dx10_clamp 1
		.amdhsa_ieee_mode 1
		.amdhsa_fp16_overflow 0
		.amdhsa_tg_split 0
		.amdhsa_exception_fp_ieee_invalid_op 0
		.amdhsa_exception_fp_denorm_src 0
		.amdhsa_exception_fp_ieee_div_zero 0
		.amdhsa_exception_fp_ieee_overflow 0
		.amdhsa_exception_fp_ieee_underflow 0
		.amdhsa_exception_fp_ieee_inexact 0
		.amdhsa_exception_int_div_zero 0
	.end_amdhsa_kernel
	.section	.text._Z25selective_scan_fwd_kernelI32Selective_Scan_fwd_kernel_traitsILi64ELi16ELi1ELb1ELb1ELb1ELb0ELb1EN3c108BFloat16EfS2_EEv13SSMParamsBase,"axG",@progbits,_Z25selective_scan_fwd_kernelI32Selective_Scan_fwd_kernel_traitsILi64ELi16ELi1ELb1ELb1ELb1ELb0ELb1EN3c108BFloat16EfS2_EEv13SSMParamsBase,comdat
.Lfunc_end18:
	.size	_Z25selective_scan_fwd_kernelI32Selective_Scan_fwd_kernel_traitsILi64ELi16ELi1ELb1ELb1ELb1ELb0ELb1EN3c108BFloat16EfS2_EEv13SSMParamsBase, .Lfunc_end18-_Z25selective_scan_fwd_kernelI32Selective_Scan_fwd_kernel_traitsILi64ELi16ELi1ELb1ELb1ELb1ELb0ELb1EN3c108BFloat16EfS2_EEv13SSMParamsBase
                                        ; -- End function
	.section	.AMDGPU.csdata,"",@progbits
; Kernel info:
; codeLenInByte = 22296
; NumSgprs: 106
; NumVgprs: 96
; NumAgprs: 0
; TotalNumVgprs: 96
; ScratchSize: 320
; MemoryBound: 0
; FloatMode: 240
; IeeeMode: 1
; LDSByteSize: 0 bytes/workgroup (compile time only)
; SGPRBlocks: 13
; VGPRBlocks: 11
; NumSGPRsForWavesPerEU: 106
; NumVGPRsForWavesPerEU: 96
; AccumOffset: 96
; Occupancy: 5
; WaveLimiterHint : 1
; COMPUTE_PGM_RSRC2:SCRATCH_EN: 1
; COMPUTE_PGM_RSRC2:USER_SGPR: 2
; COMPUTE_PGM_RSRC2:TRAP_HANDLER: 0
; COMPUTE_PGM_RSRC2:TGID_X_EN: 1
; COMPUTE_PGM_RSRC2:TGID_Y_EN: 1
; COMPUTE_PGM_RSRC2:TGID_Z_EN: 0
; COMPUTE_PGM_RSRC2:TIDIG_COMP_CNT: 0
; COMPUTE_PGM_RSRC3_GFX90A:ACCUM_OFFSET: 23
; COMPUTE_PGM_RSRC3_GFX90A:TG_SPLIT: 0
	.section	.text._Z25selective_scan_fwd_kernelI32Selective_Scan_fwd_kernel_traitsILi64ELi16ELi1ELb1ELb1ELb1ELb0ELb0EN3c108BFloat16EfS2_EEv13SSMParamsBase,"axG",@progbits,_Z25selective_scan_fwd_kernelI32Selective_Scan_fwd_kernel_traitsILi64ELi16ELi1ELb1ELb1ELb1ELb0ELb0EN3c108BFloat16EfS2_EEv13SSMParamsBase,comdat
	.protected	_Z25selective_scan_fwd_kernelI32Selective_Scan_fwd_kernel_traitsILi64ELi16ELi1ELb1ELb1ELb1ELb0ELb0EN3c108BFloat16EfS2_EEv13SSMParamsBase ; -- Begin function _Z25selective_scan_fwd_kernelI32Selective_Scan_fwd_kernel_traitsILi64ELi16ELi1ELb1ELb1ELb1ELb0ELb0EN3c108BFloat16EfS2_EEv13SSMParamsBase
	.globl	_Z25selective_scan_fwd_kernelI32Selective_Scan_fwd_kernel_traitsILi64ELi16ELi1ELb1ELb1ELb1ELb0ELb0EN3c108BFloat16EfS2_EEv13SSMParamsBase
	.p2align	8
	.type	_Z25selective_scan_fwd_kernelI32Selective_Scan_fwd_kernel_traitsILi64ELi16ELi1ELb1ELb1ELb1ELb0ELb0EN3c108BFloat16EfS2_EEv13SSMParamsBase,@function
_Z25selective_scan_fwd_kernelI32Selective_Scan_fwd_kernel_traitsILi64ELi16ELi1ELb1ELb1ELb1ELb0ELb0EN3c108BFloat16EfS2_EEv13SSMParamsBase: ; @_Z25selective_scan_fwd_kernelI32Selective_Scan_fwd_kernel_traitsILi64ELi16ELi1ELb1ELb1ELb1ELb0ELb0EN3c108BFloat16EfS2_EEv13SSMParamsBase
; %bb.0:
	s_load_dword s27, s[0:1], 0x18
	s_load_dwordx4 s[4:7], s[0:1], 0xe8
	s_mov_b32 s22, s3
	s_waitcnt lgkmcnt(0)
	s_abs_i32 s26, s27
	v_cvt_f32_u32_e32 v1, s26
	s_cmp_eq_u64 s[6:7], 0
	v_rcp_iflag_f32_e32 v1, v1
	s_nop 0
	v_mul_f32_e32 v1, 0x4f7ffffe, v1
	v_cvt_u32_f32_e32 v1, v1
	s_nop 0
	v_readfirstlane_b32 s24, v1
	s_cbranch_scc1 .LBB19_3
; %bb.1:
	s_ashr_i32 s3, s2, 31
	s_add_u32 s6, s6, s2
	s_addc_u32 s7, s7, s3
	v_mov_b32_e32 v1, 0
	global_load_ubyte v1, v1, s[6:7]
	s_waitcnt vmcnt(0)
	v_and_b32_e32 v1, 1, v1
	v_cmp_eq_u32_e64 s[72:73], 1, v1
	s_load_dwordx2 s[6:7], s[0:1], 0x20
	s_cmp_eq_u64 s[4:5], 0
	s_cbranch_scc1 .LBB19_4
.LBB19_2:
	s_ashr_i32 s3, s2, 31
	s_lshl_b64 s[8:9], s[2:3], 2
	s_add_u32 s4, s4, s8
	s_addc_u32 s5, s5, s9
	s_load_dword s20, s[4:5], 0x0
	s_waitcnt lgkmcnt(0)
	s_ashr_i32 s21, s20, 31
	s_cmp_eq_u64 s[6:7], s[20:21]
	s_cbranch_scc0 .LBB19_5
	s_branch .LBB19_81
.LBB19_3:
	s_mov_b64 s[72:73], 0
	s_load_dwordx2 s[6:7], s[0:1], 0x20
	s_cmp_eq_u64 s[4:5], 0
	s_cbranch_scc0 .LBB19_2
.LBB19_4:
	s_mov_b32 s20, s2
	s_ashr_i32 s21, s20, 31
	s_waitcnt lgkmcnt(0)
	s_cmp_eq_u64 s[6:7], s[20:21]
	s_cbranch_scc1 .LBB19_81
.LBB19_5:
	s_load_dwordx16 s[4:19], s[0:1], 0x88
	s_load_dwordx2 s[30:31], s[0:1], 0x8
	s_mov_b32 s33, 0
	s_mov_b32 s74, 0
	s_waitcnt lgkmcnt(0)
	s_cmp_eq_u64 s[10:11], 0
	s_cbranch_scc1 .LBB19_7
; %bb.6:
	s_ashr_i32 s23, s22, 31
	s_lshl_b64 s[28:29], s[22:23], 2
	s_add_u32 s10, s10, s28
	s_addc_u32 s11, s11, s29
	s_load_dword s74, s[10:11], 0x0
.LBB19_7:
	s_cmp_eq_u64 s[16:17], 0
	s_cbranch_scc1 .LBB19_9
; %bb.8:
	s_ashr_i32 s23, s22, 31
	s_lshl_b64 s[10:11], s[22:23], 2
	s_add_u32 s10, s16, s10
	s_addc_u32 s11, s17, s11
	s_load_dword s33, s[10:11], 0x0
.LBB19_9:
	s_cmp_lt_i32 s30, 1
	s_cbranch_scc1 .LBB19_81
; %bb.10:
	s_sub_i32 s3, 0, s26
	s_mul_i32 s3, s3, s24
	s_mul_hi_u32 s3, s24, s3
	s_abs_i32 s21, s22
	s_add_i32 s3, s24, s3
	s_load_dwordx8 s[60:67], s[0:1], 0x2c
	s_load_dwordx2 s[10:11], s[0:1], 0x5c
	s_load_dwordx4 s[68:71], s[0:1], 0x4c
	s_load_dwordx4 s[56:59], s[0:1], 0x7c
	s_load_dwordx2 s[24:25], s[0:1], 0x6c
	s_load_dwordx2 s[16:17], s[0:1], 0xc8
	s_mul_hi_u32 s3, s21, s3
	s_load_dword s23, s[0:1], 0x28
	s_ashr_i32 s0, s22, 31
	s_ashr_i32 s1, s27, 31
	s_xor_b32 s0, s0, s1
	s_mul_i32 s1, s3, s26
	s_sub_i32 s1, s21, s1
	s_add_i32 s21, s3, 1
	s_sub_i32 s27, s1, s26
	s_cmp_ge_u32 s1, s26
	s_cselect_b32 s3, s21, s3
	s_cselect_b32 s1, s27, s1
	s_add_i32 s21, s3, 1
	s_cmp_ge_u32 s1, s26
	s_cselect_b32 s1, s21, s3
	s_xor_b32 s1, s1, s0
	s_waitcnt lgkmcnt(0)
	s_mul_i32 s76, s70, s2
	s_mov_b32 s77, 0
	s_sub_i32 s3, s1, s0
	s_lshl_b64 s[0:1], s[76:77], 1
	s_add_u32 s12, s12, s0
	s_mul_i32 s76, s71, s22
	s_addc_u32 s13, s13, s1
	s_lshl_b64 s[0:1], s[76:77], 1
	s_add_u32 s70, s12, s0
	s_mul_i32 s76, s10, s2
	s_addc_u32 s71, s13, s1
	;; [unrolled: 4-line block ×10, first 2 shown]
	s_lshl_b64 s[0:1], s[76:77], 1
	s_add_u32 s65, s3, s0
	s_addc_u32 s69, s4, s1
	s_add_i32 s0, s30, 0x7ff
	v_mbcnt_lo_u32_b32 v1, -1, 0
	s_lshr_b32 s1, s0, 11
	v_mbcnt_hi_u32_b32 v2, -1, v1
	s_movk_i32 s0, 0x80
	v_cmp_gt_u32_e64 s[4:5], s0, v2
                                        ; implicit-def: $vgpr95 : SGPR spill to VGPR lane
	v_add_u32_e32 v1, 64, v2
	v_lshrrev_b32_e32 v3, 5, v2
	v_writelane_b32 v95, s4, 0
	v_add_u32_e32 v3, v3, v2
	s_bitcmp1_b32 s23, 0
	v_writelane_b32 v95, s5, 1
	v_cmp_gt_u32_e64 s[4:5], s0, v1
	v_lshrrev_b32_e32 v1, 5, v1
	v_lshl_add_u32 v3, v3, 4, 0
	v_writelane_b32 v95, s4, 2
	v_add_lshl_u32 v1, v1, v2, 4
	s_cselect_b64 s[80:81], -1, 0
	s_cmp_gt_i32 s31, 0
	v_writelane_b32 v95, s5, 3
	scratch_store_dword off, v3, off        ; 4-byte Folded Spill
	v_add_u32_e32 v3, 0, v1
	s_cselect_b64 s[4:5], -1, 0
	scratch_store_dword off, v3, off offset:4 ; 4-byte Folded Spill
	v_lshlrev_b32_e32 v3, 1, v2
	v_bfe_u32 v4, v2, 4, 27
	v_writelane_b32 v95, s4, 4
	s_add_i32 s0, 0, 0x840
	v_add_lshl_u32 v3, v4, v3, 4
	v_writelane_b32 v95, s5, 5
	v_add_u32_e32 v1, s0, v1
	scratch_store_dword off, v1, off offset:48 ; 4-byte Folded Spill
	v_add_u32_e32 v1, s0, v3
	v_writelane_b32 v95, s30, 6
	s_and_b32 s0, s30, 0x3ff
	s_cmp_eq_u32 s0, 0
	v_writelane_b32 v95, s31, 7
	scratch_store_dword off, v1, off offset:52 ; 4-byte Folded Spill
	s_cselect_b64 s[84:85], -1, 0
	v_and_b32_e32 v1, 15, v2
	v_writelane_b32 v95, s1, 8
	s_add_i32 s0, s1, -1
	s_mul_i32 s76, s24, s2
	v_cmp_ne_u32_e64 s[4:5], 0, v1
	v_cmp_lt_u32_e64 s[6:7], 1, v1
	v_cmp_lt_u32_e64 s[8:9], 3, v1
	;; [unrolled: 1-line block ×3, first 2 shown]
	v_and_b32_e32 v1, 16, v2
	v_writelane_b32 v95, s0, 9
	s_lshl_b64 s[0:1], s[76:77], 1
	v_add_u32_e32 v4, 0, v3
	s_add_u32 s2, s18, s0
	v_cmp_ne_u32_e64 s[12:13], 0, v1
	v_add_u32_e32 v1, -1, v2
	v_and_b32_e32 v3, 64, v2
	s_mul_i32 s76, s25, s22
	s_addc_u32 s3, s19, s1
	v_cmp_lt_i32_e32 vcc, v1, v3
	s_lshl_b64 s[0:1], s[76:77], 1
	s_add_u32 s0, s2, s0
	v_cndmask_b32_e32 v1, v1, v2, vcc
	v_mov_b32_e32 v33, 0
	v_lshlrev_b32_e32 v1, 2, v1
	s_addc_u32 s1, s3, s1
	v_lshlrev_b32_e32 v32, 4, v2
	scratch_store_dword off, v4, off offset:8 ; 4-byte Folded Spill
	v_lshlrev_b32_e32 v4, 4, v0
	v_cmp_eq_u32_e64 s[16:17], 63, v0
	scratch_store_dword off, v1, off offset:56 ; 4-byte Folded Spill
	v_cmp_gt_u32_e64 s[18:19], 64, v0
	v_cmp_eq_u32_e64 s[20:21], 0, v0
	v_lshl_add_u64 v[0:1], s[0:1], 0, v[32:33]
	scratch_store_dwordx2 off, v[0:1], off offset:132 ; 8-byte Folded Spill
	v_or_b32_e32 v0, 1, v4
	scratch_store_dword off, v0, off offset:144 ; 4-byte Folded Spill
	v_or_b32_e32 v0, 2, v4
	scratch_store_dword off, v0, off offset:148 ; 4-byte Folded Spill
	;; [unrolled: 2-line block ×14, first 2 shown]
	scratch_store_dword off, v4, off offset:140 ; 4-byte Folded Spill
	v_or_b32_e32 v0, 15, v4
	scratch_store_dword off, v0, off offset:200 ; 4-byte Folded Spill
                                        ; implicit-def: $vgpr0
	s_add_i32 s0, 0, 0x1088
	v_cmp_lt_u32_e64 s[14:15], 31, v2
	v_lshlrev_b32_e32 v32, 4, v2
	s_mov_b32 s82, 0x41a00000
	s_mov_b32 s83, 0x33800000
	v_writelane_b32 v95, s0, 10
	s_mov_b32 s75, 0xc2fc0000
	s_movk_i32 s0, 0x7fff
	s_mov_b32 s1, 0x5040100
	v_mov_b32_e32 v0, 0x3f317218
	v_mov_b32_e32 v80, 0x42800000
	;; [unrolled: 1-line block ×3, first 2 shown]
	s_mov_b32 s56, 0
	scratch_store_dwordx2 off, v[0:1], off offset:60 ; 8-byte Folded Spill
                                        ; implicit-def: $vgpr0_vgpr1
	scratch_store_dwordx4 off, v[0:3], off offset:68 ; 16-byte Folded Spill
                                        ; implicit-def: $vgpr18_vgpr19
                                        ; implicit-def: $vgpr26_vgpr27
                                        ; implicit-def: $vgpr22_vgpr23
	s_branch .LBB19_13
.LBB19_11:                              ;   in Loop: Header=BB19_13 Depth=1
	scratch_load_dwordx4 v[18:21], off, off offset:84 ; 16-byte Folded Reload
	scratch_load_dwordx4 v[22:25], off, off offset:100 ; 16-byte Folded Reload
	;; [unrolled: 1-line block ×3, first 2 shown]
.LBB19_12:                              ;   in Loop: Header=BB19_13 Depth=1
	s_waitcnt lgkmcnt(0)
	; wave barrier
	scratch_load_dword v9, off, off offset:8 ; 4-byte Folded Reload
	v_bfe_u32 v0, v52, 16, 1
	v_bfe_u32 v1, v53, 16, 1
	v_add3_u32 v0, v52, v0, s0
	v_bfe_u32 v2, v50, 16, 1
	v_add3_u32 v1, v53, v1, s0
	v_lshrrev_b32_e32 v0, 16, v0
	v_cmp_o_f32_e32 vcc, v52, v52
	v_mov_b32_e32 v10, 0x7fc0
	v_bfe_u32 v3, v51, 16, 1
	v_add3_u32 v2, v50, v2, s0
	v_lshrrev_b32_e32 v1, 16, v1
	v_cndmask_b32_e32 v0, v10, v0, vcc
	v_cmp_o_f32_e32 vcc, v53, v53
	v_add3_u32 v3, v51, v3, s0
	v_lshrrev_b32_e32 v2, 16, v2
	v_cndmask_b32_e32 v4, v10, v1, vcc
	v_cmp_o_f32_e32 vcc, v50, v50
	v_lshrrev_b32_e32 v3, 16, v3
	v_bfe_u32 v6, v46, 16, 1
	v_cndmask_b32_e32 v1, v10, v2, vcc
	v_cmp_o_f32_e32 vcc, v51, v51
	v_bfe_u32 v2, v48, 16, 1
	v_add3_u32 v2, v48, v2, s0
	v_cndmask_b32_e32 v5, v10, v3, vcc
	v_bfe_u32 v3, v49, 16, 1
	v_add3_u32 v3, v49, v3, s0
	v_lshrrev_b32_e32 v2, 16, v2
	v_cmp_o_f32_e32 vcc, v48, v48
	v_bfe_u32 v7, v47, 16, 1
	v_add3_u32 v6, v46, v6, s0
	v_lshrrev_b32_e32 v3, 16, v3
	v_cndmask_b32_e32 v2, v10, v2, vcc
	v_cmp_o_f32_e32 vcc, v49, v49
	v_add3_u32 v7, v47, v7, s0
	v_lshrrev_b32_e32 v6, 16, v6
	v_cndmask_b32_e32 v8, v10, v3, vcc
	v_cmp_o_f32_e32 vcc, v46, v46
	v_lshrrev_b32_e32 v7, 16, v7
	v_perm_b32 v2, v8, v2, s1
	v_cndmask_b32_e32 v3, v10, v6, vcc
	v_cmp_o_f32_e32 vcc, v47, v47
	v_perm_b32 v1, v5, v1, s1
	v_perm_b32 v0, v4, v0, s1
	v_cndmask_b32_e32 v6, v10, v7, vcc
	v_perm_b32 v3, v6, v3, s1
	v_cmp_o_f32_e32 vcc, v44, v44
	v_bfe_u32 v6, v38, 16, 1
	v_bfe_u32 v7, v39, 16, 1
	v_add3_u32 v6, v38, v6, s0
	v_add3_u32 v7, v39, v7, s0
	v_lshrrev_b32_e32 v6, 16, v6
	v_lshrrev_b32_e32 v7, 16, v7
	s_mov_b32 s3, s77
	s_add_u32 s78, s78, 0x800
	s_addc_u32 s79, s79, 0
	s_add_u32 s70, s70, 0x800
	s_addc_u32 s71, s71, 0
	;; [unrolled: 2-line block ×4, first 2 shown]
	s_add_i32 s56, s56, 1
	s_waitcnt vmcnt(0)
	ds_write_b128 v9, v[0:3]
	v_bfe_u32 v0, v44, 16, 1
	v_bfe_u32 v1, v45, 16, 1
	v_add3_u32 v0, v44, v0, s0
	v_bfe_u32 v2, v42, 16, 1
	v_add3_u32 v1, v45, v1, s0
	v_lshrrev_b32_e32 v0, 16, v0
	v_bfe_u32 v3, v43, 16, 1
	v_add3_u32 v2, v42, v2, s0
	v_lshrrev_b32_e32 v1, 16, v1
	v_cndmask_b32_e32 v0, v10, v0, vcc
	v_cmp_o_f32_e32 vcc, v45, v45
	v_add3_u32 v3, v43, v3, s0
	v_lshrrev_b32_e32 v2, 16, v2
	v_cndmask_b32_e32 v4, v10, v1, vcc
	v_cmp_o_f32_e32 vcc, v42, v42
	v_lshrrev_b32_e32 v3, 16, v3
	v_perm_b32 v0, v4, v0, s1
	v_cndmask_b32_e32 v1, v10, v2, vcc
	v_cmp_o_f32_e32 vcc, v43, v43
	v_bfe_u32 v2, v40, 16, 1
	v_add3_u32 v2, v40, v2, s0
	v_cndmask_b32_e32 v5, v10, v3, vcc
	v_bfe_u32 v3, v41, 16, 1
	v_add3_u32 v3, v41, v3, s0
	v_lshrrev_b32_e32 v2, 16, v2
	v_cmp_o_f32_e32 vcc, v40, v40
	v_lshrrev_b32_e32 v3, 16, v3
	v_perm_b32 v1, v5, v1, s1
	v_cndmask_b32_e32 v2, v10, v2, vcc
	v_cmp_o_f32_e32 vcc, v41, v41
	s_nop 1
	v_cndmask_b32_e32 v8, v10, v3, vcc
	v_cmp_o_f32_e32 vcc, v38, v38
	v_perm_b32 v2, v8, v2, s1
	s_nop 0
	v_cndmask_b32_e32 v3, v10, v6, vcc
	v_cmp_o_f32_e32 vcc, v39, v39
	s_nop 1
	v_cndmask_b32_e32 v6, v10, v7, vcc
	v_perm_b32 v3, v6, v3, s1
	ds_write_b128 v9, v[0:3] offset:16
	; wave barrier
	scratch_load_dwordx2 v[4:5], off, off offset:132 ; 8-byte Folded Reload
	scratch_load_dword v0, off, off         ; 4-byte Folded Reload
	s_waitcnt vmcnt(1)
	v_lshl_add_u64 v[8:9], s[2:3], 1, v[4:5]
	scratch_load_dword v4, off, off offset:4 ; 4-byte Folded Reload
	s_waitcnt vmcnt(1)
	ds_read_b128 v[0:3], v0
	v_readlane_b32 s2, v95, 8
	s_cmp_eq_u32 s56, s2
	s_waitcnt vmcnt(0)
	ds_read_b128 v[4:7], v4 offset:1024
	s_waitcnt lgkmcnt(1)
	global_store_short v[8:9], v0, off
	v_alignbit_b32 v11, v2, v1, 16
	v_alignbit_b32 v10, v1, v0, 16
	;; [unrolled: 1-line block ×3, first 2 shown]
	global_store_short_d16_hi v[8:9], v3, off offset:14
	global_store_dword v[8:9], v0, off offset:10
	global_store_dwordx2 v[8:9], v[10:11], off offset:2
	s_waitcnt lgkmcnt(0)
	global_store_dwordx4 v[8:9], v[4:7], off offset:1024
	s_cbranch_scc1 .LBB19_81
.LBB19_13:                              ; =>This Loop Header: Depth=1
                                        ;     Child Loop BB19_56 Depth 2
	v_lshl_add_u64 v[16:17], s[70:71], 0, v[32:33]
	s_waitcnt lgkmcnt(0)
	; wave barrier
	s_mov_b64 s[2:3], exec
	v_readlane_b32 s22, v95, 0
	v_readlane_b32 s23, v95, 1
	s_and_b64 s[22:23], s[2:3], s[22:23]
	s_mov_b64 exec, s[22:23]
	s_cbranch_execz .LBB19_15
; %bb.14:                               ;   in Loop: Header=BB19_13 Depth=1
	global_load_dwordx4 v[26:29], v[16:17], off
.LBB19_15:                              ;   in Loop: Header=BB19_13 Depth=1
	s_or_b64 exec, exec, s[2:3]
	s_mov_b64 s[2:3], exec
	v_readlane_b32 s22, v95, 2
	v_readlane_b32 s23, v95, 3
	s_and_b64 s[22:23], s[2:3], s[22:23]
	s_mov_b64 exec, s[22:23]
	s_cbranch_execz .LBB19_17
; %bb.16:                               ;   in Loop: Header=BB19_13 Depth=1
	global_load_dwordx4 v[22:25], v[16:17], off offset:1024
.LBB19_17:                              ;   in Loop: Header=BB19_13 Depth=1
	s_or_b64 exec, exec, s[2:3]
	scratch_load_dword v0, off, off         ; 4-byte Folded Reload
	v_lshl_add_u64 v[16:17], s[78:79], 0, v[32:33]
	s_waitcnt vmcnt(0)
	ds_write_b128 v0, v[26:29]
	scratch_load_dword v0, off, off offset:4 ; 4-byte Folded Reload
	s_waitcnt vmcnt(0)
	ds_write_b128 v0, v[22:25] offset:1024
	; wave barrier
	scratch_load_dword v0, off, off offset:8 ; 4-byte Folded Reload
	s_waitcnt vmcnt(0)
	ds_read_b128 v[26:29], v0
	ds_read_b128 v[22:25], v0 offset:16
	s_waitcnt lgkmcnt(0)
	; wave barrier
	s_waitcnt lgkmcnt(0)
	s_mov_b64 s[2:3], exec
	v_readlane_b32 s22, v95, 0
	v_readlane_b32 s23, v95, 1
	s_and_b64 s[22:23], s[2:3], s[22:23]
	s_mov_b64 exec, s[22:23]
	s_cbranch_execz .LBB19_19
; %bb.18:                               ;   in Loop: Header=BB19_13 Depth=1
	global_load_dwordx4 v[0:3], v[16:17], off
	s_waitcnt vmcnt(0)
	scratch_store_dwordx4 off, v[0:3], off offset:68 ; 16-byte Folded Spill
.LBB19_19:                              ;   in Loop: Header=BB19_13 Depth=1
	s_or_b64 exec, exec, s[2:3]
	s_mov_b64 s[2:3], exec
	v_readlane_b32 s22, v95, 2
	v_readlane_b32 s23, v95, 3
	s_and_b64 s[22:23], s[2:3], s[22:23]
	s_mov_b64 exec, s[22:23]
	s_cbranch_execz .LBB19_21
; %bb.20:                               ;   in Loop: Header=BB19_13 Depth=1
	global_load_dwordx4 v[18:21], v[16:17], off offset:1024
.LBB19_21:                              ;   in Loop: Header=BB19_13 Depth=1
	s_or_b64 exec, exec, s[2:3]
	scratch_load_dword v0, off, off         ; 4-byte Folded Reload
	scratch_load_dwordx4 v[2:5], off, off offset:68 ; 16-byte Folded Reload
	s_waitcnt vmcnt(0)
	ds_write_b128 v0, v[2:5]
	scratch_load_dword v0, off, off offset:4 ; 4-byte Folded Reload
	s_waitcnt vmcnt(0)
	ds_write_b128 v0, v[18:21] offset:1024
	; wave barrier
	scratch_load_dword v0, off, off offset:8 ; 4-byte Folded Reload
	s_waitcnt vmcnt(0)
	ds_read_b128 v[2:5], v0
	ds_read_b128 v[18:21], v0 offset:16
	s_waitcnt lgkmcnt(1)
	v_lshlrev_b32_e32 v0, 16, v2
	v_add_f32_e32 v83, s33, v0
	v_cmp_ge_f32_e32 vcc, s82, v83
	s_and_b64 s[2:3], s[80:81], vcc
	scratch_store_dwordx4 off, v[2:5], off offset:68 ; 16-byte Folded Spill
	s_and_saveexec_b64 s[22:23], s[2:3]
	s_cbranch_execz .LBB19_23
; %bb.22:                               ;   in Loop: Header=BB19_13 Depth=1
	v_mul_f32_e32 v0, 0x3fb8aa3b, v83
	v_rndne_f32_e32 v1, v0
	s_mov_b32 s2, 0x3fb8aa3b
	v_sub_f32_e32 v2, v0, v1
	v_fma_f32 v0, v83, s2, -v0
	v_fmac_f32_e32 v0, 0x32a5705f, v83
	v_add_f32_e32 v0, v2, v0
	v_cvt_i32_f32_e32 v1, v1
	v_exp_f32_e32 v0, v0
	s_mov_b32 s2, 0xc2ce8ed0
	v_cmp_ngt_f32_e32 vcc, s2, v83
	s_mov_b32 s2, 0x42b17218
	v_ldexp_f32 v0, v0, v1
	v_cndmask_b32_e32 v0, 0, v0, vcc
	v_cmp_nlt_f32_e32 vcc, s2, v83
	v_mov_b32_e32 v1, 0x7f800000
	s_mov_b32 s2, 0x3f2aaaab
	v_cndmask_b32_e32 v16, v1, v0, vcc
	v_add_f32_e32 v2, 1.0, v16
	v_add_f32_e32 v0, -1.0, v2
	v_sub_f32_e32 v1, v0, v2
	v_add_f32_e32 v1, 1.0, v1
	v_sub_f32_e32 v0, v16, v0
	v_add_f32_e32 v3, v0, v1
	v_frexp_mant_f32_e32 v4, v2
	v_cvt_f64_f32_e32 v[0:1], v2
	v_frexp_exp_i32_f64_e32 v0, v[0:1]
	v_cmp_gt_f32_e32 vcc, s2, v4
	s_mov_b32 s2, 0x3f317218
	s_nop 0
	v_subbrev_co_u32_e32 v8, vcc, 0, v0, vcc
	v_sub_u32_e32 v0, 0, v8
	v_ldexp_f32 v1, v2, v0
	v_add_f32_e32 v2, -1.0, v1
	v_add_f32_e32 v4, 1.0, v1
	v_ldexp_f32 v0, v3, v0
	v_add_f32_e32 v3, 1.0, v2
	v_add_f32_e32 v5, -1.0, v4
	v_sub_f32_e32 v3, v1, v3
	v_sub_f32_e32 v1, v1, v5
	v_add_f32_e32 v3, v0, v3
	v_add_f32_e32 v0, v0, v1
	;; [unrolled: 1-line block ×3, first 2 shown]
	v_rcp_f32_e32 v11, v9
	v_sub_f32_e32 v1, v4, v9
	v_add_f32_e32 v10, v0, v1
	v_add_f32_e32 v1, v2, v3
	v_mul_f32_e32 v13, v1, v11
	v_sub_f32_e32 v0, v2, v1
	v_mul_f32_e32 v2, v9, v13
	v_fma_f32 v4, v13, v9, -v2
	v_fmac_f32_e32 v4, v13, v10
	v_add_f32_e32 v12, v3, v0
	v_add_f32_e32 v0, v2, v4
	v_sub_f32_e32 v3, v1, v0
	v_pk_add_f32 v[6:7], v[0:1], v[2:3] neg_lo:[0,1] neg_hi:[0,1]
	v_mov_b32_e32 v5, v0
	v_pk_add_f32 v[0:1], v[6:7], v[4:5] neg_lo:[0,1] neg_hi:[0,1]
	s_nop 0
	v_add_f32_e32 v1, v12, v1
	v_add_f32_e32 v0, v0, v1
	v_add_f32_e32 v1, v3, v0
	v_mul_f32_e32 v12, v11, v1
	v_mul_f32_e32 v2, v9, v12
	v_fma_f32 v4, v12, v9, -v2
	v_fmac_f32_e32 v4, v12, v10
	v_sub_f32_e32 v3, v3, v1
	v_add_f32_e32 v9, v0, v3
	v_add_f32_e32 v0, v2, v4
	v_sub_f32_e32 v3, v1, v0
	v_pk_add_f32 v[6:7], v[0:1], v[2:3] neg_lo:[0,1] neg_hi:[0,1]
	v_mov_b32_e32 v5, v0
	v_pk_add_f32 v[0:1], v[6:7], v[4:5] neg_lo:[0,1] neg_hi:[0,1]
	scratch_load_dwordx2 v[6:7], off, off offset:60 ; 8-byte Folded Reload
	v_add_f32_e32 v1, v9, v1
	v_add_f32_e32 v0, v0, v1
	;; [unrolled: 1-line block ×4, first 2 shown]
	v_sub_f32_e32 v2, v1, v13
	v_mul_f32_e32 v0, v11, v0
	v_sub_f32_e32 v2, v12, v2
	v_add_f32_e32 v2, v2, v0
	v_add_f32_e32 v4, v1, v2
	v_mul_f32_e32 v5, v4, v4
	v_mov_b32_e32 v0, 0x3ecc95a3
	v_fmamk_f32 v0, v5, 0x3e9b6dac, v0
	v_fmaak_f32 v11, v5, v0, 0x3f2aaada
	v_cvt_f32_i32_e32 v0, v8
	v_sub_f32_e32 v1, v4, v1
	v_sub_f32_e32 v1, v2, v1
	v_ldexp_f32 v3, v4, 1
	s_waitcnt vmcnt(0)
	v_mov_b32_e32 v10, v6
	v_ldexp_f32 v6, v1, 1
	v_mul_f32_e32 v1, v4, v5
	v_mov_b32_e32 v2, v10
	v_pk_mul_f32 v[4:5], v[0:1], v[10:11]
	scratch_store_dwordx2 off, v[2:3], off offset:60 ; 8-byte Folded Spill
	v_fma_f32 v2, v0, s2, -v4
	v_fmac_f32_e32 v2, 0xb102e308, v0
	v_pk_add_f32 v[0:1], v[4:5], v[2:3]
	s_mov_b32 s2, 0x7f800000
	v_sub_f32_e32 v3, v1, v3
	v_sub_f32_e32 v3, v5, v3
	v_add_f32_e32 v7, v6, v3
	v_mov_b32_e32 v6, v4
	v_pk_add_f32 v[4:5], v[0:1], v[4:5] neg_lo:[0,1] neg_hi:[0,1]
	v_pk_add_f32 v[8:9], v[0:1], v[6:7]
	v_mov_b32_e32 v3, v0
	v_mov_b32_e32 v5, v9
	v_pk_add_f32 v[10:11], v[2:3], v[4:5] neg_lo:[0,1] neg_hi:[0,1]
	v_pk_add_f32 v[2:3], v[2:3], v[4:5]
	v_mov_b32_e32 v6, v7
	v_mov_b32_e32 v4, v3
	v_pk_add_f32 v[12:13], v[4:5], v[0:1] neg_lo:[0,1] neg_hi:[0,1]
	v_mov_b32_e32 v2, v9
	v_mov_b32_e32 v5, v12
	v_pk_add_f32 v[14:15], v[8:9], v[4:5] neg_lo:[0,1] neg_hi:[0,1]
	v_mov_b32_e32 v8, v1
	v_mov_b32_e32 v9, v12
	;; [unrolled: 1-line block ×3, first 2 shown]
	v_pk_add_f32 v[2:3], v[2:3], v[8:9] neg_lo:[0,1] neg_hi:[0,1]
	v_mov_b32_e32 v7, v0
	v_pk_add_f32 v[0:1], v[6:7], v[2:3] neg_lo:[0,1] neg_hi:[0,1]
	v_mov_b32_e32 v14, v10
	v_pk_add_f32 v[2:3], v[14:15], v[0:1]
	v_cmp_eq_f32_e32 vcc, s2, v16
	v_mov_b32_e32 v6, v3
	v_pk_add_f32 v[6:7], v[2:3], v[6:7]
	v_cmp_gt_f32_e64 s[2:3], s83, v16
	v_pk_add_f32 v[4:5], v[4:5], v[6:7]
	v_mov_b32_e32 v1, v6
	v_mov_b32_e32 v3, v4
	v_pk_add_f32 v[8:9], v[2:3], v[10:11] neg_lo:[0,1] neg_hi:[0,1]
	s_or_b64 vcc, s[2:3], vcc
	v_sub_f32_e32 v2, v2, v8
	v_pk_add_f32 v[0:1], v[0:1], v[8:9] neg_lo:[0,1] neg_hi:[0,1]
	v_sub_f32_e32 v2, v10, v2
	v_add_f32_e32 v0, v0, v2
	v_add_f32_e32 v0, v0, v1
	;; [unrolled: 1-line block ×3, first 2 shown]
	v_cndmask_b32_e32 v83, v0, v16, vcc
.LBB19_23:                              ;   in Loop: Header=BB19_13 Depth=1
	s_or_b64 exec, exec, s[22:23]
	scratch_load_dwordx4 v[0:3], off, off offset:68 ; 16-byte Folded Reload
	s_waitcnt vmcnt(0)
	v_and_b32_e32 v0, 0xffff0000, v0
	v_add_f32_e32 v84, s33, v0
	v_cmp_ge_f32_e32 vcc, s82, v84
	s_and_b64 s[2:3], s[80:81], vcc
	s_and_saveexec_b64 s[22:23], s[2:3]
	s_cbranch_execz .LBB19_25
; %bb.24:                               ;   in Loop: Header=BB19_13 Depth=1
	v_mul_f32_e32 v0, 0x3fb8aa3b, v84
	v_rndne_f32_e32 v1, v0
	s_mov_b32 s2, 0x3fb8aa3b
	v_sub_f32_e32 v2, v0, v1
	v_fma_f32 v0, v84, s2, -v0
	v_fmac_f32_e32 v0, 0x32a5705f, v84
	v_add_f32_e32 v0, v2, v0
	v_cvt_i32_f32_e32 v1, v1
	v_exp_f32_e32 v0, v0
	s_mov_b32 s2, 0xc2ce8ed0
	v_cmp_ngt_f32_e32 vcc, s2, v84
	s_mov_b32 s2, 0x42b17218
	v_ldexp_f32 v0, v0, v1
	v_cndmask_b32_e32 v0, 0, v0, vcc
	v_cmp_nlt_f32_e32 vcc, s2, v84
	v_mov_b32_e32 v1, 0x7f800000
	s_mov_b32 s2, 0x3f2aaaab
	v_cndmask_b32_e32 v16, v1, v0, vcc
	v_add_f32_e32 v2, 1.0, v16
	v_add_f32_e32 v0, -1.0, v2
	v_sub_f32_e32 v1, v0, v2
	v_add_f32_e32 v1, 1.0, v1
	v_sub_f32_e32 v0, v16, v0
	v_add_f32_e32 v3, v0, v1
	v_frexp_mant_f32_e32 v4, v2
	v_cvt_f64_f32_e32 v[0:1], v2
	v_frexp_exp_i32_f64_e32 v0, v[0:1]
	v_cmp_gt_f32_e32 vcc, s2, v4
	s_mov_b32 s2, 0x3f317218
	s_nop 0
	v_subbrev_co_u32_e32 v8, vcc, 0, v0, vcc
	v_sub_u32_e32 v0, 0, v8
	v_ldexp_f32 v1, v2, v0
	v_add_f32_e32 v2, -1.0, v1
	v_add_f32_e32 v4, 1.0, v1
	v_ldexp_f32 v0, v3, v0
	v_add_f32_e32 v3, 1.0, v2
	v_add_f32_e32 v5, -1.0, v4
	v_sub_f32_e32 v3, v1, v3
	v_sub_f32_e32 v1, v1, v5
	v_add_f32_e32 v3, v0, v3
	v_add_f32_e32 v0, v0, v1
	;; [unrolled: 1-line block ×3, first 2 shown]
	v_rcp_f32_e32 v11, v9
	v_sub_f32_e32 v1, v4, v9
	v_add_f32_e32 v10, v0, v1
	v_add_f32_e32 v1, v2, v3
	v_mul_f32_e32 v13, v1, v11
	v_sub_f32_e32 v0, v2, v1
	v_mul_f32_e32 v2, v9, v13
	v_fma_f32 v4, v13, v9, -v2
	v_fmac_f32_e32 v4, v13, v10
	v_add_f32_e32 v12, v3, v0
	v_add_f32_e32 v0, v2, v4
	v_sub_f32_e32 v3, v1, v0
	v_pk_add_f32 v[6:7], v[0:1], v[2:3] neg_lo:[0,1] neg_hi:[0,1]
	v_mov_b32_e32 v5, v0
	v_pk_add_f32 v[0:1], v[6:7], v[4:5] neg_lo:[0,1] neg_hi:[0,1]
	s_nop 0
	v_add_f32_e32 v1, v12, v1
	v_add_f32_e32 v0, v0, v1
	;; [unrolled: 1-line block ×3, first 2 shown]
	v_mul_f32_e32 v12, v11, v1
	v_mul_f32_e32 v2, v9, v12
	v_fma_f32 v4, v12, v9, -v2
	v_fmac_f32_e32 v4, v12, v10
	v_sub_f32_e32 v3, v3, v1
	v_add_f32_e32 v9, v0, v3
	v_add_f32_e32 v0, v2, v4
	v_sub_f32_e32 v3, v1, v0
	v_pk_add_f32 v[6:7], v[0:1], v[2:3] neg_lo:[0,1] neg_hi:[0,1]
	v_mov_b32_e32 v5, v0
	v_pk_add_f32 v[0:1], v[6:7], v[4:5] neg_lo:[0,1] neg_hi:[0,1]
	scratch_load_dwordx2 v[6:7], off, off offset:60 ; 8-byte Folded Reload
	v_add_f32_e32 v1, v9, v1
	v_add_f32_e32 v0, v0, v1
	;; [unrolled: 1-line block ×4, first 2 shown]
	v_sub_f32_e32 v2, v1, v13
	v_mul_f32_e32 v0, v11, v0
	v_sub_f32_e32 v2, v12, v2
	v_add_f32_e32 v2, v2, v0
	v_add_f32_e32 v4, v1, v2
	v_mul_f32_e32 v5, v4, v4
	v_mov_b32_e32 v0, 0x3ecc95a3
	v_fmamk_f32 v0, v5, 0x3e9b6dac, v0
	v_fmaak_f32 v11, v5, v0, 0x3f2aaada
	v_cvt_f32_i32_e32 v0, v8
	v_sub_f32_e32 v1, v4, v1
	v_sub_f32_e32 v1, v2, v1
	v_ldexp_f32 v3, v4, 1
	s_waitcnt vmcnt(0)
	v_mov_b32_e32 v10, v6
	v_ldexp_f32 v6, v1, 1
	v_mul_f32_e32 v1, v4, v5
	v_mov_b32_e32 v2, v10
	v_pk_mul_f32 v[4:5], v[0:1], v[10:11]
	scratch_store_dwordx2 off, v[2:3], off offset:60 ; 8-byte Folded Spill
	v_fma_f32 v2, v0, s2, -v4
	v_fmac_f32_e32 v2, 0xb102e308, v0
	v_pk_add_f32 v[0:1], v[4:5], v[2:3]
	s_mov_b32 s2, 0x7f800000
	v_sub_f32_e32 v3, v1, v3
	v_sub_f32_e32 v3, v5, v3
	v_add_f32_e32 v7, v6, v3
	v_mov_b32_e32 v6, v4
	v_pk_add_f32 v[4:5], v[0:1], v[4:5] neg_lo:[0,1] neg_hi:[0,1]
	v_pk_add_f32 v[8:9], v[0:1], v[6:7]
	v_mov_b32_e32 v3, v0
	v_mov_b32_e32 v5, v9
	v_pk_add_f32 v[10:11], v[2:3], v[4:5] neg_lo:[0,1] neg_hi:[0,1]
	v_pk_add_f32 v[2:3], v[2:3], v[4:5]
	v_mov_b32_e32 v6, v7
	v_mov_b32_e32 v4, v3
	v_pk_add_f32 v[12:13], v[4:5], v[0:1] neg_lo:[0,1] neg_hi:[0,1]
	v_mov_b32_e32 v2, v9
	v_mov_b32_e32 v5, v12
	v_pk_add_f32 v[14:15], v[8:9], v[4:5] neg_lo:[0,1] neg_hi:[0,1]
	v_mov_b32_e32 v8, v1
	v_mov_b32_e32 v9, v12
	;; [unrolled: 1-line block ×3, first 2 shown]
	v_pk_add_f32 v[2:3], v[2:3], v[8:9] neg_lo:[0,1] neg_hi:[0,1]
	v_mov_b32_e32 v7, v0
	v_pk_add_f32 v[0:1], v[6:7], v[2:3] neg_lo:[0,1] neg_hi:[0,1]
	v_mov_b32_e32 v14, v10
	v_pk_add_f32 v[2:3], v[14:15], v[0:1]
	v_cmp_eq_f32_e32 vcc, s2, v16
	v_mov_b32_e32 v6, v3
	v_pk_add_f32 v[6:7], v[2:3], v[6:7]
	v_cmp_gt_f32_e64 s[2:3], s83, v16
	v_pk_add_f32 v[4:5], v[4:5], v[6:7]
	v_mov_b32_e32 v1, v6
	v_mov_b32_e32 v3, v4
	v_pk_add_f32 v[8:9], v[2:3], v[10:11] neg_lo:[0,1] neg_hi:[0,1]
	s_or_b64 vcc, s[2:3], vcc
	v_sub_f32_e32 v2, v2, v8
	v_pk_add_f32 v[0:1], v[0:1], v[8:9] neg_lo:[0,1] neg_hi:[0,1]
	v_sub_f32_e32 v2, v10, v2
	v_add_f32_e32 v0, v0, v2
	v_add_f32_e32 v0, v0, v1
	;; [unrolled: 1-line block ×3, first 2 shown]
	v_cndmask_b32_e32 v84, v0, v16, vcc
.LBB19_25:                              ;   in Loop: Header=BB19_13 Depth=1
	s_or_b64 exec, exec, s[22:23]
	scratch_load_dwordx4 v[0:3], off, off offset:68 ; 16-byte Folded Reload
	s_waitcnt vmcnt(0)
	v_lshlrev_b32_e32 v0, 16, v1
	v_add_f32_e32 v85, s33, v0
	v_cmp_ge_f32_e32 vcc, s82, v85
	s_and_b64 s[2:3], s[80:81], vcc
	s_and_saveexec_b64 s[22:23], s[2:3]
	s_cbranch_execz .LBB19_27
; %bb.26:                               ;   in Loop: Header=BB19_13 Depth=1
	v_mul_f32_e32 v0, 0x3fb8aa3b, v85
	v_rndne_f32_e32 v1, v0
	s_mov_b32 s2, 0x3fb8aa3b
	v_sub_f32_e32 v2, v0, v1
	v_fma_f32 v0, v85, s2, -v0
	v_fmac_f32_e32 v0, 0x32a5705f, v85
	v_add_f32_e32 v0, v2, v0
	v_cvt_i32_f32_e32 v1, v1
	v_exp_f32_e32 v0, v0
	s_mov_b32 s2, 0xc2ce8ed0
	v_cmp_ngt_f32_e32 vcc, s2, v85
	s_mov_b32 s2, 0x42b17218
	v_ldexp_f32 v0, v0, v1
	v_cndmask_b32_e32 v0, 0, v0, vcc
	v_cmp_nlt_f32_e32 vcc, s2, v85
	v_mov_b32_e32 v1, 0x7f800000
	s_mov_b32 s2, 0x3f2aaaab
	v_cndmask_b32_e32 v16, v1, v0, vcc
	v_add_f32_e32 v2, 1.0, v16
	v_add_f32_e32 v0, -1.0, v2
	v_sub_f32_e32 v1, v0, v2
	v_add_f32_e32 v1, 1.0, v1
	v_sub_f32_e32 v0, v16, v0
	v_add_f32_e32 v3, v0, v1
	v_frexp_mant_f32_e32 v4, v2
	v_cvt_f64_f32_e32 v[0:1], v2
	v_frexp_exp_i32_f64_e32 v0, v[0:1]
	v_cmp_gt_f32_e32 vcc, s2, v4
	s_mov_b32 s2, 0x3f317218
	s_nop 0
	v_subbrev_co_u32_e32 v8, vcc, 0, v0, vcc
	v_sub_u32_e32 v0, 0, v8
	v_ldexp_f32 v1, v2, v0
	v_add_f32_e32 v2, -1.0, v1
	v_add_f32_e32 v4, 1.0, v1
	v_ldexp_f32 v0, v3, v0
	v_add_f32_e32 v3, 1.0, v2
	v_add_f32_e32 v5, -1.0, v4
	v_sub_f32_e32 v3, v1, v3
	v_sub_f32_e32 v1, v1, v5
	v_add_f32_e32 v3, v0, v3
	v_add_f32_e32 v0, v0, v1
	;; [unrolled: 1-line block ×3, first 2 shown]
	v_rcp_f32_e32 v11, v9
	v_sub_f32_e32 v1, v4, v9
	v_add_f32_e32 v10, v0, v1
	v_add_f32_e32 v1, v2, v3
	v_mul_f32_e32 v13, v1, v11
	v_sub_f32_e32 v0, v2, v1
	v_mul_f32_e32 v2, v9, v13
	v_fma_f32 v4, v13, v9, -v2
	v_fmac_f32_e32 v4, v13, v10
	v_add_f32_e32 v12, v3, v0
	v_add_f32_e32 v0, v2, v4
	v_sub_f32_e32 v3, v1, v0
	v_pk_add_f32 v[6:7], v[0:1], v[2:3] neg_lo:[0,1] neg_hi:[0,1]
	v_mov_b32_e32 v5, v0
	v_pk_add_f32 v[0:1], v[6:7], v[4:5] neg_lo:[0,1] neg_hi:[0,1]
	s_nop 0
	v_add_f32_e32 v1, v12, v1
	v_add_f32_e32 v0, v0, v1
	;; [unrolled: 1-line block ×3, first 2 shown]
	v_mul_f32_e32 v12, v11, v1
	v_mul_f32_e32 v2, v9, v12
	v_fma_f32 v4, v12, v9, -v2
	v_fmac_f32_e32 v4, v12, v10
	v_sub_f32_e32 v3, v3, v1
	v_add_f32_e32 v9, v0, v3
	v_add_f32_e32 v0, v2, v4
	v_sub_f32_e32 v3, v1, v0
	v_pk_add_f32 v[6:7], v[0:1], v[2:3] neg_lo:[0,1] neg_hi:[0,1]
	v_mov_b32_e32 v5, v0
	v_pk_add_f32 v[0:1], v[6:7], v[4:5] neg_lo:[0,1] neg_hi:[0,1]
	scratch_load_dwordx2 v[6:7], off, off offset:60 ; 8-byte Folded Reload
	v_add_f32_e32 v1, v9, v1
	v_add_f32_e32 v0, v0, v1
	;; [unrolled: 1-line block ×4, first 2 shown]
	v_sub_f32_e32 v2, v1, v13
	v_mul_f32_e32 v0, v11, v0
	v_sub_f32_e32 v2, v12, v2
	v_add_f32_e32 v2, v2, v0
	v_add_f32_e32 v4, v1, v2
	v_mul_f32_e32 v5, v4, v4
	v_mov_b32_e32 v0, 0x3ecc95a3
	v_fmamk_f32 v0, v5, 0x3e9b6dac, v0
	v_fmaak_f32 v11, v5, v0, 0x3f2aaada
	v_cvt_f32_i32_e32 v0, v8
	v_sub_f32_e32 v1, v4, v1
	v_sub_f32_e32 v1, v2, v1
	v_ldexp_f32 v3, v4, 1
	s_waitcnt vmcnt(0)
	v_mov_b32_e32 v10, v6
	v_ldexp_f32 v6, v1, 1
	v_mul_f32_e32 v1, v4, v5
	v_mov_b32_e32 v2, v10
	v_pk_mul_f32 v[4:5], v[0:1], v[10:11]
	scratch_store_dwordx2 off, v[2:3], off offset:60 ; 8-byte Folded Spill
	v_fma_f32 v2, v0, s2, -v4
	v_fmac_f32_e32 v2, 0xb102e308, v0
	v_pk_add_f32 v[0:1], v[4:5], v[2:3]
	s_mov_b32 s2, 0x7f800000
	v_sub_f32_e32 v3, v1, v3
	v_sub_f32_e32 v3, v5, v3
	v_add_f32_e32 v7, v6, v3
	v_mov_b32_e32 v6, v4
	v_pk_add_f32 v[4:5], v[0:1], v[4:5] neg_lo:[0,1] neg_hi:[0,1]
	v_pk_add_f32 v[8:9], v[0:1], v[6:7]
	v_mov_b32_e32 v3, v0
	v_mov_b32_e32 v5, v9
	v_pk_add_f32 v[10:11], v[2:3], v[4:5] neg_lo:[0,1] neg_hi:[0,1]
	v_pk_add_f32 v[2:3], v[2:3], v[4:5]
	v_mov_b32_e32 v6, v7
	v_mov_b32_e32 v4, v3
	v_pk_add_f32 v[12:13], v[4:5], v[0:1] neg_lo:[0,1] neg_hi:[0,1]
	v_mov_b32_e32 v2, v9
	v_mov_b32_e32 v5, v12
	v_pk_add_f32 v[14:15], v[8:9], v[4:5] neg_lo:[0,1] neg_hi:[0,1]
	v_mov_b32_e32 v8, v1
	v_mov_b32_e32 v9, v12
	;; [unrolled: 1-line block ×3, first 2 shown]
	v_pk_add_f32 v[2:3], v[2:3], v[8:9] neg_lo:[0,1] neg_hi:[0,1]
	v_mov_b32_e32 v7, v0
	v_pk_add_f32 v[0:1], v[6:7], v[2:3] neg_lo:[0,1] neg_hi:[0,1]
	v_mov_b32_e32 v14, v10
	v_pk_add_f32 v[2:3], v[14:15], v[0:1]
	v_cmp_eq_f32_e32 vcc, s2, v16
	v_mov_b32_e32 v6, v3
	v_pk_add_f32 v[6:7], v[2:3], v[6:7]
	v_cmp_gt_f32_e64 s[2:3], s83, v16
	v_pk_add_f32 v[4:5], v[4:5], v[6:7]
	v_mov_b32_e32 v1, v6
	v_mov_b32_e32 v3, v4
	v_pk_add_f32 v[8:9], v[2:3], v[10:11] neg_lo:[0,1] neg_hi:[0,1]
	s_or_b64 vcc, s[2:3], vcc
	v_sub_f32_e32 v2, v2, v8
	v_pk_add_f32 v[0:1], v[0:1], v[8:9] neg_lo:[0,1] neg_hi:[0,1]
	v_sub_f32_e32 v2, v10, v2
	v_add_f32_e32 v0, v0, v2
	v_add_f32_e32 v0, v0, v1
	;; [unrolled: 1-line block ×3, first 2 shown]
	v_cndmask_b32_e32 v85, v0, v16, vcc
.LBB19_27:                              ;   in Loop: Header=BB19_13 Depth=1
	s_or_b64 exec, exec, s[22:23]
	scratch_load_dwordx4 v[0:3], off, off offset:68 ; 16-byte Folded Reload
	s_waitcnt vmcnt(0)
	v_and_b32_e32 v0, 0xffff0000, v1
	v_add_f32_e32 v86, s33, v0
	v_cmp_ge_f32_e32 vcc, s82, v86
	s_and_b64 s[2:3], s[80:81], vcc
	s_and_saveexec_b64 s[22:23], s[2:3]
	s_cbranch_execz .LBB19_29
; %bb.28:                               ;   in Loop: Header=BB19_13 Depth=1
	v_mul_f32_e32 v0, 0x3fb8aa3b, v86
	v_rndne_f32_e32 v1, v0
	s_mov_b32 s2, 0x3fb8aa3b
	v_sub_f32_e32 v2, v0, v1
	v_fma_f32 v0, v86, s2, -v0
	v_fmac_f32_e32 v0, 0x32a5705f, v86
	v_add_f32_e32 v0, v2, v0
	v_cvt_i32_f32_e32 v1, v1
	v_exp_f32_e32 v0, v0
	s_mov_b32 s2, 0xc2ce8ed0
	v_cmp_ngt_f32_e32 vcc, s2, v86
	s_mov_b32 s2, 0x42b17218
	v_ldexp_f32 v0, v0, v1
	v_cndmask_b32_e32 v0, 0, v0, vcc
	v_cmp_nlt_f32_e32 vcc, s2, v86
	v_mov_b32_e32 v1, 0x7f800000
	s_mov_b32 s2, 0x3f2aaaab
	v_cndmask_b32_e32 v16, v1, v0, vcc
	v_add_f32_e32 v2, 1.0, v16
	v_add_f32_e32 v0, -1.0, v2
	v_sub_f32_e32 v1, v0, v2
	v_add_f32_e32 v1, 1.0, v1
	v_sub_f32_e32 v0, v16, v0
	v_add_f32_e32 v3, v0, v1
	v_frexp_mant_f32_e32 v4, v2
	v_cvt_f64_f32_e32 v[0:1], v2
	v_frexp_exp_i32_f64_e32 v0, v[0:1]
	v_cmp_gt_f32_e32 vcc, s2, v4
	s_mov_b32 s2, 0x3f317218
	s_nop 0
	v_subbrev_co_u32_e32 v8, vcc, 0, v0, vcc
	v_sub_u32_e32 v0, 0, v8
	v_ldexp_f32 v1, v2, v0
	v_add_f32_e32 v2, -1.0, v1
	v_add_f32_e32 v4, 1.0, v1
	v_ldexp_f32 v0, v3, v0
	v_add_f32_e32 v3, 1.0, v2
	v_add_f32_e32 v5, -1.0, v4
	v_sub_f32_e32 v3, v1, v3
	v_sub_f32_e32 v1, v1, v5
	v_add_f32_e32 v3, v0, v3
	v_add_f32_e32 v0, v0, v1
	;; [unrolled: 1-line block ×3, first 2 shown]
	v_rcp_f32_e32 v11, v9
	v_sub_f32_e32 v1, v4, v9
	v_add_f32_e32 v10, v0, v1
	v_add_f32_e32 v1, v2, v3
	v_mul_f32_e32 v13, v1, v11
	v_sub_f32_e32 v0, v2, v1
	v_mul_f32_e32 v2, v9, v13
	v_fma_f32 v4, v13, v9, -v2
	v_fmac_f32_e32 v4, v13, v10
	v_add_f32_e32 v12, v3, v0
	v_add_f32_e32 v0, v2, v4
	v_sub_f32_e32 v3, v1, v0
	v_pk_add_f32 v[6:7], v[0:1], v[2:3] neg_lo:[0,1] neg_hi:[0,1]
	v_mov_b32_e32 v5, v0
	v_pk_add_f32 v[0:1], v[6:7], v[4:5] neg_lo:[0,1] neg_hi:[0,1]
	s_nop 0
	v_add_f32_e32 v1, v12, v1
	v_add_f32_e32 v0, v0, v1
	v_add_f32_e32 v1, v3, v0
	v_mul_f32_e32 v12, v11, v1
	v_mul_f32_e32 v2, v9, v12
	v_fma_f32 v4, v12, v9, -v2
	v_fmac_f32_e32 v4, v12, v10
	v_sub_f32_e32 v3, v3, v1
	v_add_f32_e32 v9, v0, v3
	v_add_f32_e32 v0, v2, v4
	v_sub_f32_e32 v3, v1, v0
	v_pk_add_f32 v[6:7], v[0:1], v[2:3] neg_lo:[0,1] neg_hi:[0,1]
	v_mov_b32_e32 v5, v0
	v_pk_add_f32 v[0:1], v[6:7], v[4:5] neg_lo:[0,1] neg_hi:[0,1]
	scratch_load_dwordx2 v[6:7], off, off offset:60 ; 8-byte Folded Reload
	v_add_f32_e32 v1, v9, v1
	v_add_f32_e32 v0, v0, v1
	;; [unrolled: 1-line block ×4, first 2 shown]
	v_sub_f32_e32 v2, v1, v13
	v_mul_f32_e32 v0, v11, v0
	v_sub_f32_e32 v2, v12, v2
	v_add_f32_e32 v2, v2, v0
	v_add_f32_e32 v4, v1, v2
	v_mul_f32_e32 v5, v4, v4
	v_mov_b32_e32 v0, 0x3ecc95a3
	v_fmamk_f32 v0, v5, 0x3e9b6dac, v0
	v_fmaak_f32 v11, v5, v0, 0x3f2aaada
	v_cvt_f32_i32_e32 v0, v8
	v_sub_f32_e32 v1, v4, v1
	v_sub_f32_e32 v1, v2, v1
	v_ldexp_f32 v3, v4, 1
	s_waitcnt vmcnt(0)
	v_mov_b32_e32 v10, v6
	v_ldexp_f32 v6, v1, 1
	v_mul_f32_e32 v1, v4, v5
	v_mov_b32_e32 v2, v10
	v_pk_mul_f32 v[4:5], v[0:1], v[10:11]
	scratch_store_dwordx2 off, v[2:3], off offset:60 ; 8-byte Folded Spill
	v_fma_f32 v2, v0, s2, -v4
	v_fmac_f32_e32 v2, 0xb102e308, v0
	v_pk_add_f32 v[0:1], v[4:5], v[2:3]
	s_mov_b32 s2, 0x7f800000
	v_sub_f32_e32 v3, v1, v3
	v_sub_f32_e32 v3, v5, v3
	v_add_f32_e32 v7, v6, v3
	v_mov_b32_e32 v6, v4
	v_pk_add_f32 v[4:5], v[0:1], v[4:5] neg_lo:[0,1] neg_hi:[0,1]
	v_pk_add_f32 v[8:9], v[0:1], v[6:7]
	v_mov_b32_e32 v3, v0
	v_mov_b32_e32 v5, v9
	v_pk_add_f32 v[10:11], v[2:3], v[4:5] neg_lo:[0,1] neg_hi:[0,1]
	v_pk_add_f32 v[2:3], v[2:3], v[4:5]
	v_mov_b32_e32 v6, v7
	v_mov_b32_e32 v4, v3
	v_pk_add_f32 v[12:13], v[4:5], v[0:1] neg_lo:[0,1] neg_hi:[0,1]
	v_mov_b32_e32 v2, v9
	v_mov_b32_e32 v5, v12
	v_pk_add_f32 v[14:15], v[8:9], v[4:5] neg_lo:[0,1] neg_hi:[0,1]
	v_mov_b32_e32 v8, v1
	v_mov_b32_e32 v9, v12
	v_mov_b32_e32 v11, v3
	v_pk_add_f32 v[2:3], v[2:3], v[8:9] neg_lo:[0,1] neg_hi:[0,1]
	v_mov_b32_e32 v7, v0
	v_pk_add_f32 v[0:1], v[6:7], v[2:3] neg_lo:[0,1] neg_hi:[0,1]
	v_mov_b32_e32 v14, v10
	v_pk_add_f32 v[2:3], v[14:15], v[0:1]
	v_cmp_eq_f32_e32 vcc, s2, v16
	v_mov_b32_e32 v6, v3
	v_pk_add_f32 v[6:7], v[2:3], v[6:7]
	v_cmp_gt_f32_e64 s[2:3], s83, v16
	v_pk_add_f32 v[4:5], v[4:5], v[6:7]
	v_mov_b32_e32 v1, v6
	v_mov_b32_e32 v3, v4
	v_pk_add_f32 v[8:9], v[2:3], v[10:11] neg_lo:[0,1] neg_hi:[0,1]
	s_or_b64 vcc, s[2:3], vcc
	v_sub_f32_e32 v2, v2, v8
	v_pk_add_f32 v[0:1], v[0:1], v[8:9] neg_lo:[0,1] neg_hi:[0,1]
	v_sub_f32_e32 v2, v10, v2
	v_add_f32_e32 v0, v0, v2
	v_add_f32_e32 v0, v0, v1
	;; [unrolled: 1-line block ×3, first 2 shown]
	v_cndmask_b32_e32 v86, v0, v16, vcc
.LBB19_29:                              ;   in Loop: Header=BB19_13 Depth=1
	s_or_b64 exec, exec, s[22:23]
	scratch_load_dwordx4 v[0:3], off, off offset:68 ; 16-byte Folded Reload
	s_waitcnt vmcnt(0)
	v_lshlrev_b32_e32 v0, 16, v2
	v_add_f32_e32 v87, s33, v0
	v_cmp_ge_f32_e32 vcc, s82, v87
	s_and_b64 s[2:3], s[80:81], vcc
	s_and_saveexec_b64 s[22:23], s[2:3]
	s_cbranch_execz .LBB19_31
; %bb.30:                               ;   in Loop: Header=BB19_13 Depth=1
	v_mul_f32_e32 v0, 0x3fb8aa3b, v87
	v_rndne_f32_e32 v1, v0
	s_mov_b32 s2, 0x3fb8aa3b
	v_sub_f32_e32 v2, v0, v1
	v_fma_f32 v0, v87, s2, -v0
	v_fmac_f32_e32 v0, 0x32a5705f, v87
	v_add_f32_e32 v0, v2, v0
	v_cvt_i32_f32_e32 v1, v1
	v_exp_f32_e32 v0, v0
	s_mov_b32 s2, 0xc2ce8ed0
	v_cmp_ngt_f32_e32 vcc, s2, v87
	s_mov_b32 s2, 0x42b17218
	v_ldexp_f32 v0, v0, v1
	v_cndmask_b32_e32 v0, 0, v0, vcc
	v_cmp_nlt_f32_e32 vcc, s2, v87
	v_mov_b32_e32 v1, 0x7f800000
	s_mov_b32 s2, 0x3f2aaaab
	v_cndmask_b32_e32 v16, v1, v0, vcc
	v_add_f32_e32 v2, 1.0, v16
	v_add_f32_e32 v0, -1.0, v2
	v_sub_f32_e32 v1, v0, v2
	v_add_f32_e32 v1, 1.0, v1
	v_sub_f32_e32 v0, v16, v0
	v_add_f32_e32 v3, v0, v1
	v_frexp_mant_f32_e32 v4, v2
	v_cvt_f64_f32_e32 v[0:1], v2
	v_frexp_exp_i32_f64_e32 v0, v[0:1]
	v_cmp_gt_f32_e32 vcc, s2, v4
	s_mov_b32 s2, 0x3f317218
	s_nop 0
	v_subbrev_co_u32_e32 v8, vcc, 0, v0, vcc
	v_sub_u32_e32 v0, 0, v8
	v_ldexp_f32 v1, v2, v0
	v_add_f32_e32 v2, -1.0, v1
	v_add_f32_e32 v4, 1.0, v1
	v_ldexp_f32 v0, v3, v0
	v_add_f32_e32 v3, 1.0, v2
	v_add_f32_e32 v5, -1.0, v4
	v_sub_f32_e32 v3, v1, v3
	v_sub_f32_e32 v1, v1, v5
	v_add_f32_e32 v3, v0, v3
	v_add_f32_e32 v0, v0, v1
	v_add_f32_e32 v9, v4, v0
	v_rcp_f32_e32 v11, v9
	v_sub_f32_e32 v1, v4, v9
	v_add_f32_e32 v10, v0, v1
	v_add_f32_e32 v1, v2, v3
	v_mul_f32_e32 v13, v1, v11
	v_sub_f32_e32 v0, v2, v1
	v_mul_f32_e32 v2, v9, v13
	v_fma_f32 v4, v13, v9, -v2
	v_fmac_f32_e32 v4, v13, v10
	v_add_f32_e32 v12, v3, v0
	v_add_f32_e32 v0, v2, v4
	v_sub_f32_e32 v3, v1, v0
	v_pk_add_f32 v[6:7], v[0:1], v[2:3] neg_lo:[0,1] neg_hi:[0,1]
	v_mov_b32_e32 v5, v0
	v_pk_add_f32 v[0:1], v[6:7], v[4:5] neg_lo:[0,1] neg_hi:[0,1]
	s_nop 0
	v_add_f32_e32 v1, v12, v1
	v_add_f32_e32 v0, v0, v1
	;; [unrolled: 1-line block ×3, first 2 shown]
	v_mul_f32_e32 v12, v11, v1
	v_mul_f32_e32 v2, v9, v12
	v_fma_f32 v4, v12, v9, -v2
	v_fmac_f32_e32 v4, v12, v10
	v_sub_f32_e32 v3, v3, v1
	v_add_f32_e32 v9, v0, v3
	v_add_f32_e32 v0, v2, v4
	v_sub_f32_e32 v3, v1, v0
	v_pk_add_f32 v[6:7], v[0:1], v[2:3] neg_lo:[0,1] neg_hi:[0,1]
	v_mov_b32_e32 v5, v0
	v_pk_add_f32 v[0:1], v[6:7], v[4:5] neg_lo:[0,1] neg_hi:[0,1]
	scratch_load_dwordx2 v[6:7], off, off offset:60 ; 8-byte Folded Reload
	v_add_f32_e32 v1, v9, v1
	v_add_f32_e32 v0, v0, v1
	;; [unrolled: 1-line block ×4, first 2 shown]
	v_sub_f32_e32 v2, v1, v13
	v_mul_f32_e32 v0, v11, v0
	v_sub_f32_e32 v2, v12, v2
	v_add_f32_e32 v2, v2, v0
	v_add_f32_e32 v4, v1, v2
	v_mul_f32_e32 v5, v4, v4
	v_mov_b32_e32 v0, 0x3ecc95a3
	v_fmamk_f32 v0, v5, 0x3e9b6dac, v0
	v_fmaak_f32 v11, v5, v0, 0x3f2aaada
	v_cvt_f32_i32_e32 v0, v8
	v_sub_f32_e32 v1, v4, v1
	v_sub_f32_e32 v1, v2, v1
	v_ldexp_f32 v3, v4, 1
	s_waitcnt vmcnt(0)
	v_mov_b32_e32 v10, v6
	v_ldexp_f32 v6, v1, 1
	v_mul_f32_e32 v1, v4, v5
	v_mov_b32_e32 v2, v10
	v_pk_mul_f32 v[4:5], v[0:1], v[10:11]
	scratch_store_dwordx2 off, v[2:3], off offset:60 ; 8-byte Folded Spill
	v_fma_f32 v2, v0, s2, -v4
	v_fmac_f32_e32 v2, 0xb102e308, v0
	v_pk_add_f32 v[0:1], v[4:5], v[2:3]
	s_mov_b32 s2, 0x7f800000
	v_sub_f32_e32 v3, v1, v3
	v_sub_f32_e32 v3, v5, v3
	v_add_f32_e32 v7, v6, v3
	v_mov_b32_e32 v6, v4
	v_pk_add_f32 v[4:5], v[0:1], v[4:5] neg_lo:[0,1] neg_hi:[0,1]
	v_pk_add_f32 v[8:9], v[0:1], v[6:7]
	v_mov_b32_e32 v3, v0
	v_mov_b32_e32 v5, v9
	v_pk_add_f32 v[10:11], v[2:3], v[4:5] neg_lo:[0,1] neg_hi:[0,1]
	v_pk_add_f32 v[2:3], v[2:3], v[4:5]
	v_mov_b32_e32 v6, v7
	v_mov_b32_e32 v4, v3
	v_pk_add_f32 v[12:13], v[4:5], v[0:1] neg_lo:[0,1] neg_hi:[0,1]
	v_mov_b32_e32 v2, v9
	v_mov_b32_e32 v5, v12
	v_pk_add_f32 v[14:15], v[8:9], v[4:5] neg_lo:[0,1] neg_hi:[0,1]
	v_mov_b32_e32 v8, v1
	v_mov_b32_e32 v9, v12
	;; [unrolled: 1-line block ×3, first 2 shown]
	v_pk_add_f32 v[2:3], v[2:3], v[8:9] neg_lo:[0,1] neg_hi:[0,1]
	v_mov_b32_e32 v7, v0
	v_pk_add_f32 v[0:1], v[6:7], v[2:3] neg_lo:[0,1] neg_hi:[0,1]
	v_mov_b32_e32 v14, v10
	v_pk_add_f32 v[2:3], v[14:15], v[0:1]
	v_cmp_eq_f32_e32 vcc, s2, v16
	v_mov_b32_e32 v6, v3
	v_pk_add_f32 v[6:7], v[2:3], v[6:7]
	v_cmp_gt_f32_e64 s[2:3], s83, v16
	v_pk_add_f32 v[4:5], v[4:5], v[6:7]
	v_mov_b32_e32 v1, v6
	v_mov_b32_e32 v3, v4
	v_pk_add_f32 v[8:9], v[2:3], v[10:11] neg_lo:[0,1] neg_hi:[0,1]
	s_or_b64 vcc, s[2:3], vcc
	v_sub_f32_e32 v2, v2, v8
	v_pk_add_f32 v[0:1], v[0:1], v[8:9] neg_lo:[0,1] neg_hi:[0,1]
	v_sub_f32_e32 v2, v10, v2
	v_add_f32_e32 v0, v0, v2
	v_add_f32_e32 v0, v0, v1
	;; [unrolled: 1-line block ×3, first 2 shown]
	v_cndmask_b32_e32 v87, v0, v16, vcc
.LBB19_31:                              ;   in Loop: Header=BB19_13 Depth=1
	s_or_b64 exec, exec, s[22:23]
	scratch_load_dwordx4 v[0:3], off, off offset:68 ; 16-byte Folded Reload
	s_waitcnt vmcnt(0)
	v_and_b32_e32 v0, 0xffff0000, v2
	v_add_f32_e32 v88, s33, v0
	v_cmp_ge_f32_e32 vcc, s82, v88
	s_and_b64 s[2:3], s[80:81], vcc
	s_and_saveexec_b64 s[22:23], s[2:3]
	s_cbranch_execz .LBB19_33
; %bb.32:                               ;   in Loop: Header=BB19_13 Depth=1
	v_mul_f32_e32 v0, 0x3fb8aa3b, v88
	v_rndne_f32_e32 v1, v0
	s_mov_b32 s2, 0x3fb8aa3b
	v_sub_f32_e32 v2, v0, v1
	v_fma_f32 v0, v88, s2, -v0
	v_fmac_f32_e32 v0, 0x32a5705f, v88
	v_add_f32_e32 v0, v2, v0
	v_cvt_i32_f32_e32 v1, v1
	v_exp_f32_e32 v0, v0
	s_mov_b32 s2, 0xc2ce8ed0
	v_cmp_ngt_f32_e32 vcc, s2, v88
	s_mov_b32 s2, 0x42b17218
	v_ldexp_f32 v0, v0, v1
	v_cndmask_b32_e32 v0, 0, v0, vcc
	v_cmp_nlt_f32_e32 vcc, s2, v88
	v_mov_b32_e32 v1, 0x7f800000
	s_mov_b32 s2, 0x3f2aaaab
	v_cndmask_b32_e32 v16, v1, v0, vcc
	v_add_f32_e32 v2, 1.0, v16
	v_add_f32_e32 v0, -1.0, v2
	v_sub_f32_e32 v1, v0, v2
	v_add_f32_e32 v1, 1.0, v1
	v_sub_f32_e32 v0, v16, v0
	v_add_f32_e32 v3, v0, v1
	v_frexp_mant_f32_e32 v4, v2
	v_cvt_f64_f32_e32 v[0:1], v2
	v_frexp_exp_i32_f64_e32 v0, v[0:1]
	v_cmp_gt_f32_e32 vcc, s2, v4
	s_mov_b32 s2, 0x3f317218
	s_nop 0
	v_subbrev_co_u32_e32 v8, vcc, 0, v0, vcc
	v_sub_u32_e32 v0, 0, v8
	v_ldexp_f32 v1, v2, v0
	v_add_f32_e32 v2, -1.0, v1
	v_add_f32_e32 v4, 1.0, v1
	v_ldexp_f32 v0, v3, v0
	v_add_f32_e32 v3, 1.0, v2
	v_add_f32_e32 v5, -1.0, v4
	v_sub_f32_e32 v3, v1, v3
	v_sub_f32_e32 v1, v1, v5
	v_add_f32_e32 v3, v0, v3
	v_add_f32_e32 v0, v0, v1
	;; [unrolled: 1-line block ×3, first 2 shown]
	v_rcp_f32_e32 v11, v9
	v_sub_f32_e32 v1, v4, v9
	v_add_f32_e32 v10, v0, v1
	v_add_f32_e32 v1, v2, v3
	v_mul_f32_e32 v13, v1, v11
	v_sub_f32_e32 v0, v2, v1
	v_mul_f32_e32 v2, v9, v13
	v_fma_f32 v4, v13, v9, -v2
	v_fmac_f32_e32 v4, v13, v10
	v_add_f32_e32 v12, v3, v0
	v_add_f32_e32 v0, v2, v4
	v_sub_f32_e32 v3, v1, v0
	v_pk_add_f32 v[6:7], v[0:1], v[2:3] neg_lo:[0,1] neg_hi:[0,1]
	v_mov_b32_e32 v5, v0
	v_pk_add_f32 v[0:1], v[6:7], v[4:5] neg_lo:[0,1] neg_hi:[0,1]
	s_nop 0
	v_add_f32_e32 v1, v12, v1
	v_add_f32_e32 v0, v0, v1
	;; [unrolled: 1-line block ×3, first 2 shown]
	v_mul_f32_e32 v12, v11, v1
	v_mul_f32_e32 v2, v9, v12
	v_fma_f32 v4, v12, v9, -v2
	v_fmac_f32_e32 v4, v12, v10
	v_sub_f32_e32 v3, v3, v1
	v_add_f32_e32 v9, v0, v3
	v_add_f32_e32 v0, v2, v4
	v_sub_f32_e32 v3, v1, v0
	v_pk_add_f32 v[6:7], v[0:1], v[2:3] neg_lo:[0,1] neg_hi:[0,1]
	v_mov_b32_e32 v5, v0
	v_pk_add_f32 v[0:1], v[6:7], v[4:5] neg_lo:[0,1] neg_hi:[0,1]
	scratch_load_dwordx2 v[6:7], off, off offset:60 ; 8-byte Folded Reload
	v_add_f32_e32 v1, v9, v1
	v_add_f32_e32 v0, v0, v1
	;; [unrolled: 1-line block ×4, first 2 shown]
	v_sub_f32_e32 v2, v1, v13
	v_mul_f32_e32 v0, v11, v0
	v_sub_f32_e32 v2, v12, v2
	v_add_f32_e32 v2, v2, v0
	v_add_f32_e32 v4, v1, v2
	v_mul_f32_e32 v5, v4, v4
	v_mov_b32_e32 v0, 0x3ecc95a3
	v_fmamk_f32 v0, v5, 0x3e9b6dac, v0
	v_fmaak_f32 v11, v5, v0, 0x3f2aaada
	v_cvt_f32_i32_e32 v0, v8
	v_sub_f32_e32 v1, v4, v1
	v_sub_f32_e32 v1, v2, v1
	v_ldexp_f32 v3, v4, 1
	s_waitcnt vmcnt(0)
	v_mov_b32_e32 v10, v6
	v_ldexp_f32 v6, v1, 1
	v_mul_f32_e32 v1, v4, v5
	v_mov_b32_e32 v2, v10
	v_pk_mul_f32 v[4:5], v[0:1], v[10:11]
	scratch_store_dwordx2 off, v[2:3], off offset:60 ; 8-byte Folded Spill
	v_fma_f32 v2, v0, s2, -v4
	v_fmac_f32_e32 v2, 0xb102e308, v0
	v_pk_add_f32 v[0:1], v[4:5], v[2:3]
	s_mov_b32 s2, 0x7f800000
	v_sub_f32_e32 v3, v1, v3
	v_sub_f32_e32 v3, v5, v3
	v_add_f32_e32 v7, v6, v3
	v_mov_b32_e32 v6, v4
	v_pk_add_f32 v[4:5], v[0:1], v[4:5] neg_lo:[0,1] neg_hi:[0,1]
	v_pk_add_f32 v[8:9], v[0:1], v[6:7]
	v_mov_b32_e32 v3, v0
	v_mov_b32_e32 v5, v9
	v_pk_add_f32 v[10:11], v[2:3], v[4:5] neg_lo:[0,1] neg_hi:[0,1]
	v_pk_add_f32 v[2:3], v[2:3], v[4:5]
	v_mov_b32_e32 v6, v7
	v_mov_b32_e32 v4, v3
	v_pk_add_f32 v[12:13], v[4:5], v[0:1] neg_lo:[0,1] neg_hi:[0,1]
	v_mov_b32_e32 v2, v9
	v_mov_b32_e32 v5, v12
	v_pk_add_f32 v[14:15], v[8:9], v[4:5] neg_lo:[0,1] neg_hi:[0,1]
	v_mov_b32_e32 v8, v1
	v_mov_b32_e32 v9, v12
	v_mov_b32_e32 v11, v3
	v_pk_add_f32 v[2:3], v[2:3], v[8:9] neg_lo:[0,1] neg_hi:[0,1]
	v_mov_b32_e32 v7, v0
	v_pk_add_f32 v[0:1], v[6:7], v[2:3] neg_lo:[0,1] neg_hi:[0,1]
	v_mov_b32_e32 v14, v10
	v_pk_add_f32 v[2:3], v[14:15], v[0:1]
	v_cmp_eq_f32_e32 vcc, s2, v16
	v_mov_b32_e32 v6, v3
	v_pk_add_f32 v[6:7], v[2:3], v[6:7]
	v_cmp_gt_f32_e64 s[2:3], s83, v16
	v_pk_add_f32 v[4:5], v[4:5], v[6:7]
	v_mov_b32_e32 v1, v6
	v_mov_b32_e32 v3, v4
	v_pk_add_f32 v[8:9], v[2:3], v[10:11] neg_lo:[0,1] neg_hi:[0,1]
	s_or_b64 vcc, s[2:3], vcc
	v_sub_f32_e32 v2, v2, v8
	v_pk_add_f32 v[0:1], v[0:1], v[8:9] neg_lo:[0,1] neg_hi:[0,1]
	v_sub_f32_e32 v2, v10, v2
	v_add_f32_e32 v0, v0, v2
	v_add_f32_e32 v0, v0, v1
	;; [unrolled: 1-line block ×3, first 2 shown]
	v_cndmask_b32_e32 v88, v0, v16, vcc
.LBB19_33:                              ;   in Loop: Header=BB19_13 Depth=1
	s_or_b64 exec, exec, s[22:23]
	scratch_load_dwordx4 v[0:3], off, off offset:68 ; 16-byte Folded Reload
	s_waitcnt vmcnt(0)
	v_lshlrev_b32_e32 v0, 16, v3
	v_add_f32_e32 v89, s33, v0
	v_cmp_ge_f32_e32 vcc, s82, v89
	s_and_b64 s[2:3], s[80:81], vcc
	s_and_saveexec_b64 s[22:23], s[2:3]
	s_cbranch_execz .LBB19_35
; %bb.34:                               ;   in Loop: Header=BB19_13 Depth=1
	v_mul_f32_e32 v0, 0x3fb8aa3b, v89
	v_rndne_f32_e32 v1, v0
	s_mov_b32 s2, 0x3fb8aa3b
	v_sub_f32_e32 v2, v0, v1
	v_fma_f32 v0, v89, s2, -v0
	v_fmac_f32_e32 v0, 0x32a5705f, v89
	v_add_f32_e32 v0, v2, v0
	v_cvt_i32_f32_e32 v1, v1
	v_exp_f32_e32 v0, v0
	s_mov_b32 s2, 0xc2ce8ed0
	v_cmp_ngt_f32_e32 vcc, s2, v89
	s_mov_b32 s2, 0x42b17218
	v_ldexp_f32 v0, v0, v1
	v_cndmask_b32_e32 v0, 0, v0, vcc
	v_cmp_nlt_f32_e32 vcc, s2, v89
	v_mov_b32_e32 v1, 0x7f800000
	s_mov_b32 s2, 0x3f2aaaab
	v_cndmask_b32_e32 v16, v1, v0, vcc
	v_add_f32_e32 v2, 1.0, v16
	v_add_f32_e32 v0, -1.0, v2
	v_sub_f32_e32 v1, v0, v2
	v_add_f32_e32 v1, 1.0, v1
	v_sub_f32_e32 v0, v16, v0
	v_add_f32_e32 v3, v0, v1
	v_frexp_mant_f32_e32 v4, v2
	v_cvt_f64_f32_e32 v[0:1], v2
	v_frexp_exp_i32_f64_e32 v0, v[0:1]
	v_cmp_gt_f32_e32 vcc, s2, v4
	s_mov_b32 s2, 0x3f317218
	s_nop 0
	v_subbrev_co_u32_e32 v8, vcc, 0, v0, vcc
	v_sub_u32_e32 v0, 0, v8
	v_ldexp_f32 v1, v2, v0
	v_add_f32_e32 v2, -1.0, v1
	v_add_f32_e32 v4, 1.0, v1
	v_ldexp_f32 v0, v3, v0
	v_add_f32_e32 v3, 1.0, v2
	v_add_f32_e32 v5, -1.0, v4
	v_sub_f32_e32 v3, v1, v3
	v_sub_f32_e32 v1, v1, v5
	v_add_f32_e32 v3, v0, v3
	v_add_f32_e32 v0, v0, v1
	;; [unrolled: 1-line block ×3, first 2 shown]
	v_rcp_f32_e32 v11, v9
	v_sub_f32_e32 v1, v4, v9
	v_add_f32_e32 v10, v0, v1
	v_add_f32_e32 v1, v2, v3
	v_mul_f32_e32 v13, v1, v11
	v_sub_f32_e32 v0, v2, v1
	v_mul_f32_e32 v2, v9, v13
	v_fma_f32 v4, v13, v9, -v2
	v_fmac_f32_e32 v4, v13, v10
	v_add_f32_e32 v12, v3, v0
	v_add_f32_e32 v0, v2, v4
	v_sub_f32_e32 v3, v1, v0
	v_pk_add_f32 v[6:7], v[0:1], v[2:3] neg_lo:[0,1] neg_hi:[0,1]
	v_mov_b32_e32 v5, v0
	v_pk_add_f32 v[0:1], v[6:7], v[4:5] neg_lo:[0,1] neg_hi:[0,1]
	s_nop 0
	v_add_f32_e32 v1, v12, v1
	v_add_f32_e32 v0, v0, v1
	;; [unrolled: 1-line block ×3, first 2 shown]
	v_mul_f32_e32 v12, v11, v1
	v_mul_f32_e32 v2, v9, v12
	v_fma_f32 v4, v12, v9, -v2
	v_fmac_f32_e32 v4, v12, v10
	v_sub_f32_e32 v3, v3, v1
	v_add_f32_e32 v9, v0, v3
	v_add_f32_e32 v0, v2, v4
	v_sub_f32_e32 v3, v1, v0
	v_pk_add_f32 v[6:7], v[0:1], v[2:3] neg_lo:[0,1] neg_hi:[0,1]
	v_mov_b32_e32 v5, v0
	v_pk_add_f32 v[0:1], v[6:7], v[4:5] neg_lo:[0,1] neg_hi:[0,1]
	scratch_load_dwordx2 v[6:7], off, off offset:60 ; 8-byte Folded Reload
	v_add_f32_e32 v1, v9, v1
	v_add_f32_e32 v0, v0, v1
	;; [unrolled: 1-line block ×4, first 2 shown]
	v_sub_f32_e32 v2, v1, v13
	v_mul_f32_e32 v0, v11, v0
	v_sub_f32_e32 v2, v12, v2
	v_add_f32_e32 v2, v2, v0
	v_add_f32_e32 v4, v1, v2
	v_mul_f32_e32 v5, v4, v4
	v_mov_b32_e32 v0, 0x3ecc95a3
	v_fmamk_f32 v0, v5, 0x3e9b6dac, v0
	v_fmaak_f32 v11, v5, v0, 0x3f2aaada
	v_cvt_f32_i32_e32 v0, v8
	v_sub_f32_e32 v1, v4, v1
	v_sub_f32_e32 v1, v2, v1
	v_ldexp_f32 v3, v4, 1
	s_waitcnt vmcnt(0)
	v_mov_b32_e32 v10, v6
	v_ldexp_f32 v6, v1, 1
	v_mul_f32_e32 v1, v4, v5
	v_mov_b32_e32 v2, v10
	v_pk_mul_f32 v[4:5], v[0:1], v[10:11]
	scratch_store_dwordx2 off, v[2:3], off offset:60 ; 8-byte Folded Spill
	v_fma_f32 v2, v0, s2, -v4
	v_fmac_f32_e32 v2, 0xb102e308, v0
	v_pk_add_f32 v[0:1], v[4:5], v[2:3]
	s_mov_b32 s2, 0x7f800000
	v_sub_f32_e32 v3, v1, v3
	v_sub_f32_e32 v3, v5, v3
	v_add_f32_e32 v7, v6, v3
	v_mov_b32_e32 v6, v4
	v_pk_add_f32 v[4:5], v[0:1], v[4:5] neg_lo:[0,1] neg_hi:[0,1]
	v_pk_add_f32 v[8:9], v[0:1], v[6:7]
	v_mov_b32_e32 v3, v0
	v_mov_b32_e32 v5, v9
	v_pk_add_f32 v[10:11], v[2:3], v[4:5] neg_lo:[0,1] neg_hi:[0,1]
	v_pk_add_f32 v[2:3], v[2:3], v[4:5]
	v_mov_b32_e32 v6, v7
	v_mov_b32_e32 v4, v3
	v_pk_add_f32 v[12:13], v[4:5], v[0:1] neg_lo:[0,1] neg_hi:[0,1]
	v_mov_b32_e32 v2, v9
	v_mov_b32_e32 v5, v12
	v_pk_add_f32 v[14:15], v[8:9], v[4:5] neg_lo:[0,1] neg_hi:[0,1]
	v_mov_b32_e32 v8, v1
	v_mov_b32_e32 v9, v12
	;; [unrolled: 1-line block ×3, first 2 shown]
	v_pk_add_f32 v[2:3], v[2:3], v[8:9] neg_lo:[0,1] neg_hi:[0,1]
	v_mov_b32_e32 v7, v0
	v_pk_add_f32 v[0:1], v[6:7], v[2:3] neg_lo:[0,1] neg_hi:[0,1]
	v_mov_b32_e32 v14, v10
	v_pk_add_f32 v[2:3], v[14:15], v[0:1]
	v_cmp_eq_f32_e32 vcc, s2, v16
	v_mov_b32_e32 v6, v3
	v_pk_add_f32 v[6:7], v[2:3], v[6:7]
	v_cmp_gt_f32_e64 s[2:3], s83, v16
	v_pk_add_f32 v[4:5], v[4:5], v[6:7]
	v_mov_b32_e32 v1, v6
	v_mov_b32_e32 v3, v4
	v_pk_add_f32 v[8:9], v[2:3], v[10:11] neg_lo:[0,1] neg_hi:[0,1]
	s_or_b64 vcc, s[2:3], vcc
	v_sub_f32_e32 v2, v2, v8
	v_pk_add_f32 v[0:1], v[0:1], v[8:9] neg_lo:[0,1] neg_hi:[0,1]
	v_sub_f32_e32 v2, v10, v2
	v_add_f32_e32 v0, v0, v2
	v_add_f32_e32 v0, v0, v1
	v_add_f32_e32 v0, v4, v0
	v_cndmask_b32_e32 v89, v0, v16, vcc
.LBB19_35:                              ;   in Loop: Header=BB19_13 Depth=1
	s_or_b64 exec, exec, s[22:23]
	scratch_load_dwordx4 v[0:3], off, off offset:68 ; 16-byte Folded Reload
	s_waitcnt vmcnt(0)
	v_and_b32_e32 v0, 0xffff0000, v3
	v_add_f32_e32 v90, s33, v0
	v_cmp_ge_f32_e32 vcc, s82, v90
	s_and_b64 s[2:3], s[80:81], vcc
	s_and_saveexec_b64 s[22:23], s[2:3]
	s_cbranch_execz .LBB19_37
; %bb.36:                               ;   in Loop: Header=BB19_13 Depth=1
	v_mul_f32_e32 v0, 0x3fb8aa3b, v90
	v_rndne_f32_e32 v1, v0
	s_mov_b32 s2, 0x3fb8aa3b
	v_sub_f32_e32 v2, v0, v1
	v_fma_f32 v0, v90, s2, -v0
	v_fmac_f32_e32 v0, 0x32a5705f, v90
	v_add_f32_e32 v0, v2, v0
	v_cvt_i32_f32_e32 v1, v1
	v_exp_f32_e32 v0, v0
	s_mov_b32 s2, 0xc2ce8ed0
	v_cmp_ngt_f32_e32 vcc, s2, v90
	s_mov_b32 s2, 0x42b17218
	v_ldexp_f32 v0, v0, v1
	v_cndmask_b32_e32 v0, 0, v0, vcc
	v_cmp_nlt_f32_e32 vcc, s2, v90
	v_mov_b32_e32 v1, 0x7f800000
	s_mov_b32 s2, 0x3f2aaaab
	v_cndmask_b32_e32 v16, v1, v0, vcc
	v_add_f32_e32 v2, 1.0, v16
	v_add_f32_e32 v0, -1.0, v2
	v_sub_f32_e32 v1, v0, v2
	v_add_f32_e32 v1, 1.0, v1
	v_sub_f32_e32 v0, v16, v0
	v_add_f32_e32 v3, v0, v1
	v_frexp_mant_f32_e32 v4, v2
	v_cvt_f64_f32_e32 v[0:1], v2
	v_frexp_exp_i32_f64_e32 v0, v[0:1]
	v_cmp_gt_f32_e32 vcc, s2, v4
	s_mov_b32 s2, 0x3f317218
	s_nop 0
	v_subbrev_co_u32_e32 v8, vcc, 0, v0, vcc
	v_sub_u32_e32 v0, 0, v8
	v_ldexp_f32 v1, v2, v0
	v_add_f32_e32 v2, -1.0, v1
	v_add_f32_e32 v4, 1.0, v1
	v_ldexp_f32 v0, v3, v0
	v_add_f32_e32 v3, 1.0, v2
	v_add_f32_e32 v5, -1.0, v4
	v_sub_f32_e32 v3, v1, v3
	v_sub_f32_e32 v1, v1, v5
	v_add_f32_e32 v3, v0, v3
	v_add_f32_e32 v0, v0, v1
	;; [unrolled: 1-line block ×3, first 2 shown]
	v_rcp_f32_e32 v11, v9
	v_sub_f32_e32 v1, v4, v9
	v_add_f32_e32 v10, v0, v1
	v_add_f32_e32 v1, v2, v3
	v_mul_f32_e32 v13, v1, v11
	v_sub_f32_e32 v0, v2, v1
	v_mul_f32_e32 v2, v9, v13
	v_fma_f32 v4, v13, v9, -v2
	v_fmac_f32_e32 v4, v13, v10
	v_add_f32_e32 v12, v3, v0
	v_add_f32_e32 v0, v2, v4
	v_sub_f32_e32 v3, v1, v0
	v_pk_add_f32 v[6:7], v[0:1], v[2:3] neg_lo:[0,1] neg_hi:[0,1]
	v_mov_b32_e32 v5, v0
	v_pk_add_f32 v[0:1], v[6:7], v[4:5] neg_lo:[0,1] neg_hi:[0,1]
	s_nop 0
	v_add_f32_e32 v1, v12, v1
	v_add_f32_e32 v0, v0, v1
	;; [unrolled: 1-line block ×3, first 2 shown]
	v_mul_f32_e32 v12, v11, v1
	v_mul_f32_e32 v2, v9, v12
	v_fma_f32 v4, v12, v9, -v2
	v_fmac_f32_e32 v4, v12, v10
	v_sub_f32_e32 v3, v3, v1
	v_add_f32_e32 v9, v0, v3
	v_add_f32_e32 v0, v2, v4
	v_sub_f32_e32 v3, v1, v0
	v_pk_add_f32 v[6:7], v[0:1], v[2:3] neg_lo:[0,1] neg_hi:[0,1]
	v_mov_b32_e32 v5, v0
	v_pk_add_f32 v[0:1], v[6:7], v[4:5] neg_lo:[0,1] neg_hi:[0,1]
	scratch_load_dwordx2 v[6:7], off, off offset:60 ; 8-byte Folded Reload
	v_add_f32_e32 v1, v9, v1
	v_add_f32_e32 v0, v0, v1
	;; [unrolled: 1-line block ×4, first 2 shown]
	v_sub_f32_e32 v2, v1, v13
	v_mul_f32_e32 v0, v11, v0
	v_sub_f32_e32 v2, v12, v2
	v_add_f32_e32 v2, v2, v0
	v_add_f32_e32 v4, v1, v2
	v_mul_f32_e32 v5, v4, v4
	v_mov_b32_e32 v0, 0x3ecc95a3
	v_fmamk_f32 v0, v5, 0x3e9b6dac, v0
	v_fmaak_f32 v11, v5, v0, 0x3f2aaada
	v_cvt_f32_i32_e32 v0, v8
	v_sub_f32_e32 v1, v4, v1
	v_sub_f32_e32 v1, v2, v1
	v_ldexp_f32 v3, v4, 1
	s_waitcnt vmcnt(0)
	v_mov_b32_e32 v10, v6
	v_ldexp_f32 v6, v1, 1
	v_mul_f32_e32 v1, v4, v5
	v_mov_b32_e32 v2, v10
	v_pk_mul_f32 v[4:5], v[0:1], v[10:11]
	scratch_store_dwordx2 off, v[2:3], off offset:60 ; 8-byte Folded Spill
	v_fma_f32 v2, v0, s2, -v4
	v_fmac_f32_e32 v2, 0xb102e308, v0
	v_pk_add_f32 v[0:1], v[4:5], v[2:3]
	s_mov_b32 s2, 0x7f800000
	v_sub_f32_e32 v3, v1, v3
	v_sub_f32_e32 v3, v5, v3
	v_add_f32_e32 v7, v6, v3
	v_mov_b32_e32 v6, v4
	v_pk_add_f32 v[4:5], v[0:1], v[4:5] neg_lo:[0,1] neg_hi:[0,1]
	v_pk_add_f32 v[8:9], v[0:1], v[6:7]
	v_mov_b32_e32 v3, v0
	v_mov_b32_e32 v5, v9
	v_pk_add_f32 v[10:11], v[2:3], v[4:5] neg_lo:[0,1] neg_hi:[0,1]
	v_pk_add_f32 v[2:3], v[2:3], v[4:5]
	v_mov_b32_e32 v6, v7
	v_mov_b32_e32 v4, v3
	v_pk_add_f32 v[12:13], v[4:5], v[0:1] neg_lo:[0,1] neg_hi:[0,1]
	v_mov_b32_e32 v2, v9
	v_mov_b32_e32 v5, v12
	v_pk_add_f32 v[14:15], v[8:9], v[4:5] neg_lo:[0,1] neg_hi:[0,1]
	v_mov_b32_e32 v8, v1
	v_mov_b32_e32 v9, v12
	;; [unrolled: 1-line block ×3, first 2 shown]
	v_pk_add_f32 v[2:3], v[2:3], v[8:9] neg_lo:[0,1] neg_hi:[0,1]
	v_mov_b32_e32 v7, v0
	v_pk_add_f32 v[0:1], v[6:7], v[2:3] neg_lo:[0,1] neg_hi:[0,1]
	v_mov_b32_e32 v14, v10
	v_pk_add_f32 v[2:3], v[14:15], v[0:1]
	v_cmp_eq_f32_e32 vcc, s2, v16
	v_mov_b32_e32 v6, v3
	v_pk_add_f32 v[6:7], v[2:3], v[6:7]
	v_cmp_gt_f32_e64 s[2:3], s83, v16
	v_pk_add_f32 v[4:5], v[4:5], v[6:7]
	v_mov_b32_e32 v1, v6
	v_mov_b32_e32 v3, v4
	v_pk_add_f32 v[8:9], v[2:3], v[10:11] neg_lo:[0,1] neg_hi:[0,1]
	s_or_b64 vcc, s[2:3], vcc
	v_sub_f32_e32 v2, v2, v8
	v_pk_add_f32 v[0:1], v[0:1], v[8:9] neg_lo:[0,1] neg_hi:[0,1]
	v_sub_f32_e32 v2, v10, v2
	v_add_f32_e32 v0, v0, v2
	v_add_f32_e32 v0, v0, v1
	;; [unrolled: 1-line block ×3, first 2 shown]
	v_cndmask_b32_e32 v90, v0, v16, vcc
.LBB19_37:                              ;   in Loop: Header=BB19_13 Depth=1
	s_or_b64 exec, exec, s[22:23]
	s_waitcnt lgkmcnt(0)
	v_lshlrev_b32_e32 v0, 16, v18
	v_add_f32_e32 v91, s33, v0
	v_cmp_ge_f32_e32 vcc, s82, v91
	s_and_b64 s[2:3], s[80:81], vcc
	s_and_saveexec_b64 s[22:23], s[2:3]
	s_cbranch_execz .LBB19_39
; %bb.38:                               ;   in Loop: Header=BB19_13 Depth=1
	v_mul_f32_e32 v0, 0x3fb8aa3b, v91
	v_rndne_f32_e32 v1, v0
	s_mov_b32 s2, 0x3fb8aa3b
	v_sub_f32_e32 v2, v0, v1
	v_fma_f32 v0, v91, s2, -v0
	v_fmac_f32_e32 v0, 0x32a5705f, v91
	v_add_f32_e32 v0, v2, v0
	v_cvt_i32_f32_e32 v1, v1
	v_exp_f32_e32 v0, v0
	s_mov_b32 s2, 0xc2ce8ed0
	v_cmp_ngt_f32_e32 vcc, s2, v91
	s_mov_b32 s2, 0x42b17218
	v_ldexp_f32 v0, v0, v1
	v_cndmask_b32_e32 v0, 0, v0, vcc
	v_cmp_nlt_f32_e32 vcc, s2, v91
	v_mov_b32_e32 v1, 0x7f800000
	s_mov_b32 s2, 0x3f2aaaab
	v_cndmask_b32_e32 v16, v1, v0, vcc
	v_add_f32_e32 v2, 1.0, v16
	v_add_f32_e32 v0, -1.0, v2
	v_sub_f32_e32 v1, v0, v2
	v_add_f32_e32 v1, 1.0, v1
	v_sub_f32_e32 v0, v16, v0
	v_add_f32_e32 v3, v0, v1
	v_frexp_mant_f32_e32 v4, v2
	v_cvt_f64_f32_e32 v[0:1], v2
	v_frexp_exp_i32_f64_e32 v0, v[0:1]
	v_cmp_gt_f32_e32 vcc, s2, v4
	s_mov_b32 s2, 0x3f317218
	s_nop 0
	v_subbrev_co_u32_e32 v8, vcc, 0, v0, vcc
	v_sub_u32_e32 v0, 0, v8
	v_ldexp_f32 v1, v2, v0
	v_add_f32_e32 v2, -1.0, v1
	v_add_f32_e32 v4, 1.0, v1
	v_ldexp_f32 v0, v3, v0
	v_add_f32_e32 v3, 1.0, v2
	v_add_f32_e32 v5, -1.0, v4
	v_sub_f32_e32 v3, v1, v3
	v_sub_f32_e32 v1, v1, v5
	v_add_f32_e32 v3, v0, v3
	v_add_f32_e32 v0, v0, v1
	;; [unrolled: 1-line block ×3, first 2 shown]
	v_rcp_f32_e32 v11, v9
	v_sub_f32_e32 v1, v4, v9
	v_add_f32_e32 v10, v0, v1
	v_add_f32_e32 v1, v2, v3
	v_mul_f32_e32 v13, v1, v11
	v_sub_f32_e32 v0, v2, v1
	v_mul_f32_e32 v2, v9, v13
	v_fma_f32 v4, v13, v9, -v2
	v_fmac_f32_e32 v4, v13, v10
	v_add_f32_e32 v12, v3, v0
	v_add_f32_e32 v0, v2, v4
	v_sub_f32_e32 v3, v1, v0
	v_pk_add_f32 v[6:7], v[0:1], v[2:3] neg_lo:[0,1] neg_hi:[0,1]
	v_mov_b32_e32 v5, v0
	v_pk_add_f32 v[0:1], v[6:7], v[4:5] neg_lo:[0,1] neg_hi:[0,1]
	s_nop 0
	v_add_f32_e32 v1, v12, v1
	v_add_f32_e32 v0, v0, v1
	;; [unrolled: 1-line block ×3, first 2 shown]
	v_mul_f32_e32 v12, v11, v1
	v_mul_f32_e32 v2, v9, v12
	v_fma_f32 v4, v12, v9, -v2
	v_fmac_f32_e32 v4, v12, v10
	v_sub_f32_e32 v3, v3, v1
	v_add_f32_e32 v9, v0, v3
	v_add_f32_e32 v0, v2, v4
	v_sub_f32_e32 v3, v1, v0
	v_pk_add_f32 v[6:7], v[0:1], v[2:3] neg_lo:[0,1] neg_hi:[0,1]
	v_mov_b32_e32 v5, v0
	v_pk_add_f32 v[0:1], v[6:7], v[4:5] neg_lo:[0,1] neg_hi:[0,1]
	scratch_load_dwordx2 v[6:7], off, off offset:60 ; 8-byte Folded Reload
	v_add_f32_e32 v1, v9, v1
	v_add_f32_e32 v0, v0, v1
	;; [unrolled: 1-line block ×4, first 2 shown]
	v_sub_f32_e32 v2, v1, v13
	v_mul_f32_e32 v0, v11, v0
	v_sub_f32_e32 v2, v12, v2
	v_add_f32_e32 v2, v2, v0
	v_add_f32_e32 v4, v1, v2
	v_mul_f32_e32 v5, v4, v4
	v_mov_b32_e32 v0, 0x3ecc95a3
	v_fmamk_f32 v0, v5, 0x3e9b6dac, v0
	v_fmaak_f32 v11, v5, v0, 0x3f2aaada
	v_cvt_f32_i32_e32 v0, v8
	v_sub_f32_e32 v1, v4, v1
	v_sub_f32_e32 v1, v2, v1
	v_ldexp_f32 v3, v4, 1
	s_waitcnt vmcnt(0)
	v_mov_b32_e32 v10, v6
	v_ldexp_f32 v6, v1, 1
	v_mul_f32_e32 v1, v4, v5
	v_mov_b32_e32 v2, v10
	v_pk_mul_f32 v[4:5], v[0:1], v[10:11]
	scratch_store_dwordx2 off, v[2:3], off offset:60 ; 8-byte Folded Spill
	v_fma_f32 v2, v0, s2, -v4
	v_fmac_f32_e32 v2, 0xb102e308, v0
	v_pk_add_f32 v[0:1], v[4:5], v[2:3]
	s_mov_b32 s2, 0x7f800000
	v_sub_f32_e32 v3, v1, v3
	v_sub_f32_e32 v3, v5, v3
	v_add_f32_e32 v7, v6, v3
	v_mov_b32_e32 v6, v4
	v_pk_add_f32 v[4:5], v[0:1], v[4:5] neg_lo:[0,1] neg_hi:[0,1]
	v_pk_add_f32 v[8:9], v[0:1], v[6:7]
	v_mov_b32_e32 v3, v0
	v_mov_b32_e32 v5, v9
	v_pk_add_f32 v[10:11], v[2:3], v[4:5] neg_lo:[0,1] neg_hi:[0,1]
	v_pk_add_f32 v[2:3], v[2:3], v[4:5]
	v_mov_b32_e32 v6, v7
	v_mov_b32_e32 v4, v3
	v_pk_add_f32 v[12:13], v[4:5], v[0:1] neg_lo:[0,1] neg_hi:[0,1]
	v_mov_b32_e32 v2, v9
	v_mov_b32_e32 v5, v12
	v_pk_add_f32 v[14:15], v[8:9], v[4:5] neg_lo:[0,1] neg_hi:[0,1]
	v_mov_b32_e32 v8, v1
	v_mov_b32_e32 v9, v12
	;; [unrolled: 1-line block ×3, first 2 shown]
	v_pk_add_f32 v[2:3], v[2:3], v[8:9] neg_lo:[0,1] neg_hi:[0,1]
	v_mov_b32_e32 v7, v0
	v_pk_add_f32 v[0:1], v[6:7], v[2:3] neg_lo:[0,1] neg_hi:[0,1]
	v_mov_b32_e32 v14, v10
	v_pk_add_f32 v[2:3], v[14:15], v[0:1]
	v_cmp_eq_f32_e32 vcc, s2, v16
	v_mov_b32_e32 v6, v3
	v_pk_add_f32 v[6:7], v[2:3], v[6:7]
	v_cmp_gt_f32_e64 s[2:3], s83, v16
	v_pk_add_f32 v[4:5], v[4:5], v[6:7]
	v_mov_b32_e32 v1, v6
	v_mov_b32_e32 v3, v4
	v_pk_add_f32 v[8:9], v[2:3], v[10:11] neg_lo:[0,1] neg_hi:[0,1]
	s_or_b64 vcc, s[2:3], vcc
	v_sub_f32_e32 v2, v2, v8
	v_pk_add_f32 v[0:1], v[0:1], v[8:9] neg_lo:[0,1] neg_hi:[0,1]
	v_sub_f32_e32 v2, v10, v2
	v_add_f32_e32 v0, v0, v2
	v_add_f32_e32 v0, v0, v1
	;; [unrolled: 1-line block ×3, first 2 shown]
	v_cndmask_b32_e32 v91, v0, v16, vcc
.LBB19_39:                              ;   in Loop: Header=BB19_13 Depth=1
	s_or_b64 exec, exec, s[22:23]
	v_and_b32_e32 v0, 0xffff0000, v18
	v_add_f32_e32 v92, s33, v0
	v_cmp_ge_f32_e32 vcc, s82, v92
	s_and_b64 s[2:3], s[80:81], vcc
	s_and_saveexec_b64 s[22:23], s[2:3]
	s_cbranch_execz .LBB19_41
; %bb.40:                               ;   in Loop: Header=BB19_13 Depth=1
	v_mul_f32_e32 v0, 0x3fb8aa3b, v92
	v_rndne_f32_e32 v1, v0
	s_mov_b32 s2, 0x3fb8aa3b
	v_sub_f32_e32 v2, v0, v1
	v_fma_f32 v0, v92, s2, -v0
	v_fmac_f32_e32 v0, 0x32a5705f, v92
	v_add_f32_e32 v0, v2, v0
	v_cvt_i32_f32_e32 v1, v1
	v_exp_f32_e32 v0, v0
	s_mov_b32 s2, 0xc2ce8ed0
	v_cmp_ngt_f32_e32 vcc, s2, v92
	s_mov_b32 s2, 0x42b17218
	v_ldexp_f32 v0, v0, v1
	v_cndmask_b32_e32 v0, 0, v0, vcc
	v_cmp_nlt_f32_e32 vcc, s2, v92
	v_mov_b32_e32 v1, 0x7f800000
	s_mov_b32 s2, 0x3f2aaaab
	v_cndmask_b32_e32 v16, v1, v0, vcc
	v_add_f32_e32 v2, 1.0, v16
	v_add_f32_e32 v0, -1.0, v2
	v_sub_f32_e32 v1, v0, v2
	v_add_f32_e32 v1, 1.0, v1
	v_sub_f32_e32 v0, v16, v0
	v_add_f32_e32 v3, v0, v1
	v_frexp_mant_f32_e32 v4, v2
	v_cvt_f64_f32_e32 v[0:1], v2
	v_frexp_exp_i32_f64_e32 v0, v[0:1]
	v_cmp_gt_f32_e32 vcc, s2, v4
	s_mov_b32 s2, 0x3f317218
	s_nop 0
	v_subbrev_co_u32_e32 v8, vcc, 0, v0, vcc
	v_sub_u32_e32 v0, 0, v8
	v_ldexp_f32 v1, v2, v0
	v_add_f32_e32 v2, -1.0, v1
	v_add_f32_e32 v4, 1.0, v1
	v_ldexp_f32 v0, v3, v0
	v_add_f32_e32 v3, 1.0, v2
	v_add_f32_e32 v5, -1.0, v4
	v_sub_f32_e32 v3, v1, v3
	v_sub_f32_e32 v1, v1, v5
	v_add_f32_e32 v3, v0, v3
	v_add_f32_e32 v0, v0, v1
	;; [unrolled: 1-line block ×3, first 2 shown]
	v_rcp_f32_e32 v11, v9
	v_sub_f32_e32 v1, v4, v9
	v_add_f32_e32 v10, v0, v1
	v_add_f32_e32 v1, v2, v3
	v_mul_f32_e32 v13, v1, v11
	v_sub_f32_e32 v0, v2, v1
	v_mul_f32_e32 v2, v9, v13
	v_fma_f32 v4, v13, v9, -v2
	v_fmac_f32_e32 v4, v13, v10
	v_add_f32_e32 v12, v3, v0
	v_add_f32_e32 v0, v2, v4
	v_sub_f32_e32 v3, v1, v0
	v_pk_add_f32 v[6:7], v[0:1], v[2:3] neg_lo:[0,1] neg_hi:[0,1]
	v_mov_b32_e32 v5, v0
	v_pk_add_f32 v[0:1], v[6:7], v[4:5] neg_lo:[0,1] neg_hi:[0,1]
	s_nop 0
	v_add_f32_e32 v1, v12, v1
	v_add_f32_e32 v0, v0, v1
	;; [unrolled: 1-line block ×3, first 2 shown]
	v_mul_f32_e32 v12, v11, v1
	v_mul_f32_e32 v2, v9, v12
	v_fma_f32 v4, v12, v9, -v2
	v_fmac_f32_e32 v4, v12, v10
	v_sub_f32_e32 v3, v3, v1
	v_add_f32_e32 v9, v0, v3
	v_add_f32_e32 v0, v2, v4
	v_sub_f32_e32 v3, v1, v0
	v_pk_add_f32 v[6:7], v[0:1], v[2:3] neg_lo:[0,1] neg_hi:[0,1]
	v_mov_b32_e32 v5, v0
	v_pk_add_f32 v[0:1], v[6:7], v[4:5] neg_lo:[0,1] neg_hi:[0,1]
	scratch_load_dwordx2 v[6:7], off, off offset:60 ; 8-byte Folded Reload
	v_add_f32_e32 v1, v9, v1
	v_add_f32_e32 v0, v0, v1
	v_add_f32_e32 v1, v13, v12
	v_add_f32_e32 v0, v3, v0
	v_sub_f32_e32 v2, v1, v13
	v_mul_f32_e32 v0, v11, v0
	v_sub_f32_e32 v2, v12, v2
	v_add_f32_e32 v2, v2, v0
	v_add_f32_e32 v4, v1, v2
	v_mul_f32_e32 v5, v4, v4
	v_mov_b32_e32 v0, 0x3ecc95a3
	v_fmamk_f32 v0, v5, 0x3e9b6dac, v0
	v_fmaak_f32 v11, v5, v0, 0x3f2aaada
	v_cvt_f32_i32_e32 v0, v8
	v_sub_f32_e32 v1, v4, v1
	v_sub_f32_e32 v1, v2, v1
	v_ldexp_f32 v3, v4, 1
	s_waitcnt vmcnt(0)
	v_mov_b32_e32 v10, v6
	v_ldexp_f32 v6, v1, 1
	v_mul_f32_e32 v1, v4, v5
	v_mov_b32_e32 v2, v10
	v_pk_mul_f32 v[4:5], v[0:1], v[10:11]
	scratch_store_dwordx2 off, v[2:3], off offset:60 ; 8-byte Folded Spill
	v_fma_f32 v2, v0, s2, -v4
	v_fmac_f32_e32 v2, 0xb102e308, v0
	v_pk_add_f32 v[0:1], v[4:5], v[2:3]
	s_mov_b32 s2, 0x7f800000
	v_sub_f32_e32 v3, v1, v3
	v_sub_f32_e32 v3, v5, v3
	v_add_f32_e32 v7, v6, v3
	v_mov_b32_e32 v6, v4
	v_pk_add_f32 v[4:5], v[0:1], v[4:5] neg_lo:[0,1] neg_hi:[0,1]
	v_pk_add_f32 v[8:9], v[0:1], v[6:7]
	v_mov_b32_e32 v3, v0
	v_mov_b32_e32 v5, v9
	v_pk_add_f32 v[10:11], v[2:3], v[4:5] neg_lo:[0,1] neg_hi:[0,1]
	v_pk_add_f32 v[2:3], v[2:3], v[4:5]
	v_mov_b32_e32 v6, v7
	v_mov_b32_e32 v4, v3
	v_pk_add_f32 v[12:13], v[4:5], v[0:1] neg_lo:[0,1] neg_hi:[0,1]
	v_mov_b32_e32 v2, v9
	v_mov_b32_e32 v5, v12
	v_pk_add_f32 v[14:15], v[8:9], v[4:5] neg_lo:[0,1] neg_hi:[0,1]
	v_mov_b32_e32 v8, v1
	v_mov_b32_e32 v9, v12
	;; [unrolled: 1-line block ×3, first 2 shown]
	v_pk_add_f32 v[2:3], v[2:3], v[8:9] neg_lo:[0,1] neg_hi:[0,1]
	v_mov_b32_e32 v7, v0
	v_pk_add_f32 v[0:1], v[6:7], v[2:3] neg_lo:[0,1] neg_hi:[0,1]
	v_mov_b32_e32 v14, v10
	v_pk_add_f32 v[2:3], v[14:15], v[0:1]
	v_cmp_eq_f32_e32 vcc, s2, v16
	v_mov_b32_e32 v6, v3
	v_pk_add_f32 v[6:7], v[2:3], v[6:7]
	v_cmp_gt_f32_e64 s[2:3], s83, v16
	v_pk_add_f32 v[4:5], v[4:5], v[6:7]
	v_mov_b32_e32 v1, v6
	v_mov_b32_e32 v3, v4
	v_pk_add_f32 v[8:9], v[2:3], v[10:11] neg_lo:[0,1] neg_hi:[0,1]
	s_or_b64 vcc, s[2:3], vcc
	v_sub_f32_e32 v2, v2, v8
	v_pk_add_f32 v[0:1], v[0:1], v[8:9] neg_lo:[0,1] neg_hi:[0,1]
	v_sub_f32_e32 v2, v10, v2
	v_add_f32_e32 v0, v0, v2
	v_add_f32_e32 v0, v0, v1
	;; [unrolled: 1-line block ×3, first 2 shown]
	v_cndmask_b32_e32 v92, v0, v16, vcc
.LBB19_41:                              ;   in Loop: Header=BB19_13 Depth=1
	s_or_b64 exec, exec, s[22:23]
	v_lshlrev_b32_e32 v0, 16, v19
	v_add_f32_e32 v93, s33, v0
	v_cmp_ge_f32_e32 vcc, s82, v93
	s_and_b64 s[2:3], s[80:81], vcc
	s_and_saveexec_b64 s[22:23], s[2:3]
	s_cbranch_execz .LBB19_43
; %bb.42:                               ;   in Loop: Header=BB19_13 Depth=1
	v_mul_f32_e32 v0, 0x3fb8aa3b, v93
	v_rndne_f32_e32 v1, v0
	s_mov_b32 s2, 0x3fb8aa3b
	v_sub_f32_e32 v2, v0, v1
	v_fma_f32 v0, v93, s2, -v0
	v_fmac_f32_e32 v0, 0x32a5705f, v93
	v_add_f32_e32 v0, v2, v0
	v_cvt_i32_f32_e32 v1, v1
	v_exp_f32_e32 v0, v0
	s_mov_b32 s2, 0xc2ce8ed0
	v_cmp_ngt_f32_e32 vcc, s2, v93
	s_mov_b32 s2, 0x42b17218
	v_ldexp_f32 v0, v0, v1
	v_cndmask_b32_e32 v0, 0, v0, vcc
	v_cmp_nlt_f32_e32 vcc, s2, v93
	v_mov_b32_e32 v1, 0x7f800000
	s_mov_b32 s2, 0x3f2aaaab
	v_cndmask_b32_e32 v16, v1, v0, vcc
	v_add_f32_e32 v2, 1.0, v16
	v_add_f32_e32 v0, -1.0, v2
	v_sub_f32_e32 v1, v0, v2
	v_add_f32_e32 v1, 1.0, v1
	v_sub_f32_e32 v0, v16, v0
	v_add_f32_e32 v3, v0, v1
	v_frexp_mant_f32_e32 v4, v2
	v_cvt_f64_f32_e32 v[0:1], v2
	v_frexp_exp_i32_f64_e32 v0, v[0:1]
	v_cmp_gt_f32_e32 vcc, s2, v4
	s_mov_b32 s2, 0x3f317218
	s_nop 0
	v_subbrev_co_u32_e32 v8, vcc, 0, v0, vcc
	v_sub_u32_e32 v0, 0, v8
	v_ldexp_f32 v1, v2, v0
	v_add_f32_e32 v2, -1.0, v1
	v_add_f32_e32 v4, 1.0, v1
	v_ldexp_f32 v0, v3, v0
	v_add_f32_e32 v3, 1.0, v2
	v_add_f32_e32 v5, -1.0, v4
	v_sub_f32_e32 v3, v1, v3
	v_sub_f32_e32 v1, v1, v5
	v_add_f32_e32 v3, v0, v3
	v_add_f32_e32 v0, v0, v1
	;; [unrolled: 1-line block ×3, first 2 shown]
	v_rcp_f32_e32 v11, v9
	v_sub_f32_e32 v1, v4, v9
	v_add_f32_e32 v10, v0, v1
	v_add_f32_e32 v1, v2, v3
	v_mul_f32_e32 v13, v1, v11
	v_sub_f32_e32 v0, v2, v1
	v_mul_f32_e32 v2, v9, v13
	v_fma_f32 v4, v13, v9, -v2
	v_fmac_f32_e32 v4, v13, v10
	v_add_f32_e32 v12, v3, v0
	v_add_f32_e32 v0, v2, v4
	v_sub_f32_e32 v3, v1, v0
	v_pk_add_f32 v[6:7], v[0:1], v[2:3] neg_lo:[0,1] neg_hi:[0,1]
	v_mov_b32_e32 v5, v0
	v_pk_add_f32 v[0:1], v[6:7], v[4:5] neg_lo:[0,1] neg_hi:[0,1]
	s_nop 0
	v_add_f32_e32 v1, v12, v1
	v_add_f32_e32 v0, v0, v1
	;; [unrolled: 1-line block ×3, first 2 shown]
	v_mul_f32_e32 v12, v11, v1
	v_mul_f32_e32 v2, v9, v12
	v_fma_f32 v4, v12, v9, -v2
	v_fmac_f32_e32 v4, v12, v10
	v_sub_f32_e32 v3, v3, v1
	v_add_f32_e32 v9, v0, v3
	v_add_f32_e32 v0, v2, v4
	v_sub_f32_e32 v3, v1, v0
	v_pk_add_f32 v[6:7], v[0:1], v[2:3] neg_lo:[0,1] neg_hi:[0,1]
	v_mov_b32_e32 v5, v0
	v_pk_add_f32 v[0:1], v[6:7], v[4:5] neg_lo:[0,1] neg_hi:[0,1]
	scratch_load_dwordx2 v[6:7], off, off offset:60 ; 8-byte Folded Reload
	v_add_f32_e32 v1, v9, v1
	v_add_f32_e32 v0, v0, v1
	;; [unrolled: 1-line block ×4, first 2 shown]
	v_sub_f32_e32 v2, v1, v13
	v_mul_f32_e32 v0, v11, v0
	v_sub_f32_e32 v2, v12, v2
	v_add_f32_e32 v2, v2, v0
	v_add_f32_e32 v4, v1, v2
	v_mul_f32_e32 v5, v4, v4
	v_mov_b32_e32 v0, 0x3ecc95a3
	v_fmamk_f32 v0, v5, 0x3e9b6dac, v0
	v_fmaak_f32 v11, v5, v0, 0x3f2aaada
	v_cvt_f32_i32_e32 v0, v8
	v_sub_f32_e32 v1, v4, v1
	v_sub_f32_e32 v1, v2, v1
	v_ldexp_f32 v3, v4, 1
	s_waitcnt vmcnt(0)
	v_mov_b32_e32 v10, v6
	v_ldexp_f32 v6, v1, 1
	v_mul_f32_e32 v1, v4, v5
	v_mov_b32_e32 v2, v10
	v_pk_mul_f32 v[4:5], v[0:1], v[10:11]
	scratch_store_dwordx2 off, v[2:3], off offset:60 ; 8-byte Folded Spill
	v_fma_f32 v2, v0, s2, -v4
	v_fmac_f32_e32 v2, 0xb102e308, v0
	v_pk_add_f32 v[0:1], v[4:5], v[2:3]
	s_mov_b32 s2, 0x7f800000
	v_sub_f32_e32 v3, v1, v3
	v_sub_f32_e32 v3, v5, v3
	v_add_f32_e32 v7, v6, v3
	v_mov_b32_e32 v6, v4
	v_pk_add_f32 v[4:5], v[0:1], v[4:5] neg_lo:[0,1] neg_hi:[0,1]
	v_pk_add_f32 v[8:9], v[0:1], v[6:7]
	v_mov_b32_e32 v3, v0
	v_mov_b32_e32 v5, v9
	v_pk_add_f32 v[10:11], v[2:3], v[4:5] neg_lo:[0,1] neg_hi:[0,1]
	v_pk_add_f32 v[2:3], v[2:3], v[4:5]
	v_mov_b32_e32 v6, v7
	v_mov_b32_e32 v4, v3
	v_pk_add_f32 v[12:13], v[4:5], v[0:1] neg_lo:[0,1] neg_hi:[0,1]
	v_mov_b32_e32 v2, v9
	v_mov_b32_e32 v5, v12
	v_pk_add_f32 v[14:15], v[8:9], v[4:5] neg_lo:[0,1] neg_hi:[0,1]
	v_mov_b32_e32 v8, v1
	v_mov_b32_e32 v9, v12
	;; [unrolled: 1-line block ×3, first 2 shown]
	v_pk_add_f32 v[2:3], v[2:3], v[8:9] neg_lo:[0,1] neg_hi:[0,1]
	v_mov_b32_e32 v7, v0
	v_pk_add_f32 v[0:1], v[6:7], v[2:3] neg_lo:[0,1] neg_hi:[0,1]
	v_mov_b32_e32 v14, v10
	v_pk_add_f32 v[2:3], v[14:15], v[0:1]
	v_cmp_eq_f32_e32 vcc, s2, v16
	v_mov_b32_e32 v6, v3
	v_pk_add_f32 v[6:7], v[2:3], v[6:7]
	v_cmp_gt_f32_e64 s[2:3], s83, v16
	v_pk_add_f32 v[4:5], v[4:5], v[6:7]
	v_mov_b32_e32 v1, v6
	v_mov_b32_e32 v3, v4
	v_pk_add_f32 v[8:9], v[2:3], v[10:11] neg_lo:[0,1] neg_hi:[0,1]
	s_or_b64 vcc, s[2:3], vcc
	v_sub_f32_e32 v2, v2, v8
	v_pk_add_f32 v[0:1], v[0:1], v[8:9] neg_lo:[0,1] neg_hi:[0,1]
	v_sub_f32_e32 v2, v10, v2
	v_add_f32_e32 v0, v0, v2
	v_add_f32_e32 v0, v0, v1
	v_add_f32_e32 v0, v4, v0
	v_cndmask_b32_e32 v93, v0, v16, vcc
.LBB19_43:                              ;   in Loop: Header=BB19_13 Depth=1
	s_or_b64 exec, exec, s[22:23]
	v_and_b32_e32 v0, 0xffff0000, v19
	v_add_f32_e32 v77, s33, v0
	v_cmp_ge_f32_e32 vcc, s82, v77
	s_and_b64 s[2:3], s[80:81], vcc
	s_and_saveexec_b64 s[22:23], s[2:3]
	s_cbranch_execz .LBB19_45
; %bb.44:                               ;   in Loop: Header=BB19_13 Depth=1
	v_mul_f32_e32 v0, 0x3fb8aa3b, v77
	v_rndne_f32_e32 v1, v0
	s_mov_b32 s2, 0x3fb8aa3b
	v_sub_f32_e32 v2, v0, v1
	v_fma_f32 v0, v77, s2, -v0
	v_fmac_f32_e32 v0, 0x32a5705f, v77
	v_add_f32_e32 v0, v2, v0
	v_cvt_i32_f32_e32 v1, v1
	v_exp_f32_e32 v0, v0
	s_mov_b32 s2, 0xc2ce8ed0
	v_cmp_ngt_f32_e32 vcc, s2, v77
	s_mov_b32 s2, 0x42b17218
	v_ldexp_f32 v0, v0, v1
	v_cndmask_b32_e32 v0, 0, v0, vcc
	v_cmp_nlt_f32_e32 vcc, s2, v77
	v_mov_b32_e32 v1, 0x7f800000
	s_mov_b32 s2, 0x3f2aaaab
	v_cndmask_b32_e32 v16, v1, v0, vcc
	v_add_f32_e32 v2, 1.0, v16
	v_add_f32_e32 v0, -1.0, v2
	v_sub_f32_e32 v1, v0, v2
	v_add_f32_e32 v1, 1.0, v1
	v_sub_f32_e32 v0, v16, v0
	v_add_f32_e32 v3, v0, v1
	v_frexp_mant_f32_e32 v4, v2
	v_cvt_f64_f32_e32 v[0:1], v2
	v_frexp_exp_i32_f64_e32 v0, v[0:1]
	v_cmp_gt_f32_e32 vcc, s2, v4
	s_mov_b32 s2, 0x3f317218
	s_nop 0
	v_subbrev_co_u32_e32 v8, vcc, 0, v0, vcc
	v_sub_u32_e32 v0, 0, v8
	v_ldexp_f32 v1, v2, v0
	v_add_f32_e32 v2, -1.0, v1
	v_add_f32_e32 v4, 1.0, v1
	v_ldexp_f32 v0, v3, v0
	v_add_f32_e32 v3, 1.0, v2
	v_add_f32_e32 v5, -1.0, v4
	v_sub_f32_e32 v3, v1, v3
	v_sub_f32_e32 v1, v1, v5
	v_add_f32_e32 v3, v0, v3
	v_add_f32_e32 v0, v0, v1
	;; [unrolled: 1-line block ×3, first 2 shown]
	v_rcp_f32_e32 v11, v9
	v_sub_f32_e32 v1, v4, v9
	v_add_f32_e32 v10, v0, v1
	v_add_f32_e32 v1, v2, v3
	v_mul_f32_e32 v13, v1, v11
	v_sub_f32_e32 v0, v2, v1
	v_mul_f32_e32 v2, v9, v13
	v_fma_f32 v4, v13, v9, -v2
	v_fmac_f32_e32 v4, v13, v10
	v_add_f32_e32 v12, v3, v0
	v_add_f32_e32 v0, v2, v4
	v_sub_f32_e32 v3, v1, v0
	v_pk_add_f32 v[6:7], v[0:1], v[2:3] neg_lo:[0,1] neg_hi:[0,1]
	v_mov_b32_e32 v5, v0
	v_pk_add_f32 v[0:1], v[6:7], v[4:5] neg_lo:[0,1] neg_hi:[0,1]
	s_nop 0
	v_add_f32_e32 v1, v12, v1
	v_add_f32_e32 v0, v0, v1
	;; [unrolled: 1-line block ×3, first 2 shown]
	v_mul_f32_e32 v12, v11, v1
	v_mul_f32_e32 v2, v9, v12
	v_fma_f32 v4, v12, v9, -v2
	v_fmac_f32_e32 v4, v12, v10
	v_sub_f32_e32 v3, v3, v1
	v_add_f32_e32 v9, v0, v3
	v_add_f32_e32 v0, v2, v4
	v_sub_f32_e32 v3, v1, v0
	v_pk_add_f32 v[6:7], v[0:1], v[2:3] neg_lo:[0,1] neg_hi:[0,1]
	v_mov_b32_e32 v5, v0
	v_pk_add_f32 v[0:1], v[6:7], v[4:5] neg_lo:[0,1] neg_hi:[0,1]
	scratch_load_dwordx2 v[6:7], off, off offset:60 ; 8-byte Folded Reload
	v_add_f32_e32 v1, v9, v1
	v_add_f32_e32 v0, v0, v1
	;; [unrolled: 1-line block ×4, first 2 shown]
	v_sub_f32_e32 v2, v1, v13
	v_mul_f32_e32 v0, v11, v0
	v_sub_f32_e32 v2, v12, v2
	v_add_f32_e32 v2, v2, v0
	v_add_f32_e32 v4, v1, v2
	v_mul_f32_e32 v5, v4, v4
	v_mov_b32_e32 v0, 0x3ecc95a3
	v_fmamk_f32 v0, v5, 0x3e9b6dac, v0
	v_fmaak_f32 v11, v5, v0, 0x3f2aaada
	v_cvt_f32_i32_e32 v0, v8
	v_sub_f32_e32 v1, v4, v1
	v_sub_f32_e32 v1, v2, v1
	v_ldexp_f32 v3, v4, 1
	s_waitcnt vmcnt(0)
	v_mov_b32_e32 v10, v6
	v_ldexp_f32 v6, v1, 1
	v_mul_f32_e32 v1, v4, v5
	v_mov_b32_e32 v2, v10
	v_pk_mul_f32 v[4:5], v[0:1], v[10:11]
	scratch_store_dwordx2 off, v[2:3], off offset:60 ; 8-byte Folded Spill
	v_fma_f32 v2, v0, s2, -v4
	v_fmac_f32_e32 v2, 0xb102e308, v0
	v_pk_add_f32 v[0:1], v[4:5], v[2:3]
	s_mov_b32 s2, 0x7f800000
	v_sub_f32_e32 v3, v1, v3
	v_sub_f32_e32 v3, v5, v3
	v_add_f32_e32 v7, v6, v3
	v_mov_b32_e32 v6, v4
	v_pk_add_f32 v[4:5], v[0:1], v[4:5] neg_lo:[0,1] neg_hi:[0,1]
	v_pk_add_f32 v[8:9], v[0:1], v[6:7]
	v_mov_b32_e32 v3, v0
	v_mov_b32_e32 v5, v9
	v_pk_add_f32 v[10:11], v[2:3], v[4:5] neg_lo:[0,1] neg_hi:[0,1]
	v_pk_add_f32 v[2:3], v[2:3], v[4:5]
	v_mov_b32_e32 v6, v7
	v_mov_b32_e32 v4, v3
	v_pk_add_f32 v[12:13], v[4:5], v[0:1] neg_lo:[0,1] neg_hi:[0,1]
	v_mov_b32_e32 v2, v9
	v_mov_b32_e32 v5, v12
	v_pk_add_f32 v[14:15], v[8:9], v[4:5] neg_lo:[0,1] neg_hi:[0,1]
	v_mov_b32_e32 v8, v1
	v_mov_b32_e32 v9, v12
	;; [unrolled: 1-line block ×3, first 2 shown]
	v_pk_add_f32 v[2:3], v[2:3], v[8:9] neg_lo:[0,1] neg_hi:[0,1]
	v_mov_b32_e32 v7, v0
	v_pk_add_f32 v[0:1], v[6:7], v[2:3] neg_lo:[0,1] neg_hi:[0,1]
	v_mov_b32_e32 v14, v10
	v_pk_add_f32 v[2:3], v[14:15], v[0:1]
	v_cmp_eq_f32_e32 vcc, s2, v16
	v_mov_b32_e32 v6, v3
	v_pk_add_f32 v[6:7], v[2:3], v[6:7]
	v_cmp_gt_f32_e64 s[2:3], s83, v16
	v_pk_add_f32 v[4:5], v[4:5], v[6:7]
	v_mov_b32_e32 v1, v6
	v_mov_b32_e32 v3, v4
	v_pk_add_f32 v[8:9], v[2:3], v[10:11] neg_lo:[0,1] neg_hi:[0,1]
	s_or_b64 vcc, s[2:3], vcc
	v_sub_f32_e32 v2, v2, v8
	v_pk_add_f32 v[0:1], v[0:1], v[8:9] neg_lo:[0,1] neg_hi:[0,1]
	v_sub_f32_e32 v2, v10, v2
	v_add_f32_e32 v0, v0, v2
	v_add_f32_e32 v0, v0, v1
	;; [unrolled: 1-line block ×3, first 2 shown]
	v_cndmask_b32_e32 v77, v0, v16, vcc
.LBB19_45:                              ;   in Loop: Header=BB19_13 Depth=1
	s_or_b64 exec, exec, s[22:23]
	v_lshlrev_b32_e32 v0, 16, v20
	v_add_f32_e32 v34, s33, v0
	v_cmp_ge_f32_e32 vcc, s82, v34
	s_and_b64 s[2:3], s[80:81], vcc
	s_and_saveexec_b64 s[22:23], s[2:3]
	s_cbranch_execz .LBB19_47
; %bb.46:                               ;   in Loop: Header=BB19_13 Depth=1
	v_mul_f32_e32 v0, 0x3fb8aa3b, v34
	v_rndne_f32_e32 v1, v0
	s_mov_b32 s2, 0x3fb8aa3b
	v_sub_f32_e32 v2, v0, v1
	v_fma_f32 v0, v34, s2, -v0
	v_fmac_f32_e32 v0, 0x32a5705f, v34
	v_add_f32_e32 v0, v2, v0
	v_cvt_i32_f32_e32 v1, v1
	v_exp_f32_e32 v0, v0
	s_mov_b32 s2, 0xc2ce8ed0
	v_cmp_ngt_f32_e32 vcc, s2, v34
	s_mov_b32 s2, 0x42b17218
	v_ldexp_f32 v0, v0, v1
	v_cndmask_b32_e32 v0, 0, v0, vcc
	v_cmp_nlt_f32_e32 vcc, s2, v34
	v_mov_b32_e32 v1, 0x7f800000
	s_mov_b32 s2, 0x3f2aaaab
	v_cndmask_b32_e32 v16, v1, v0, vcc
	v_add_f32_e32 v2, 1.0, v16
	v_add_f32_e32 v0, -1.0, v2
	v_sub_f32_e32 v1, v0, v2
	v_add_f32_e32 v1, 1.0, v1
	v_sub_f32_e32 v0, v16, v0
	v_add_f32_e32 v3, v0, v1
	v_frexp_mant_f32_e32 v4, v2
	v_cvt_f64_f32_e32 v[0:1], v2
	v_frexp_exp_i32_f64_e32 v0, v[0:1]
	v_cmp_gt_f32_e32 vcc, s2, v4
	s_mov_b32 s2, 0x3f317218
	s_nop 0
	v_subbrev_co_u32_e32 v8, vcc, 0, v0, vcc
	v_sub_u32_e32 v0, 0, v8
	v_ldexp_f32 v1, v2, v0
	v_add_f32_e32 v2, -1.0, v1
	v_add_f32_e32 v4, 1.0, v1
	v_ldexp_f32 v0, v3, v0
	v_add_f32_e32 v3, 1.0, v2
	v_add_f32_e32 v5, -1.0, v4
	v_sub_f32_e32 v3, v1, v3
	v_sub_f32_e32 v1, v1, v5
	v_add_f32_e32 v3, v0, v3
	v_add_f32_e32 v0, v0, v1
	;; [unrolled: 1-line block ×3, first 2 shown]
	v_rcp_f32_e32 v11, v9
	v_sub_f32_e32 v1, v4, v9
	v_add_f32_e32 v10, v0, v1
	v_add_f32_e32 v1, v2, v3
	v_mul_f32_e32 v13, v1, v11
	v_sub_f32_e32 v0, v2, v1
	v_mul_f32_e32 v2, v9, v13
	v_fma_f32 v4, v13, v9, -v2
	v_fmac_f32_e32 v4, v13, v10
	v_add_f32_e32 v12, v3, v0
	v_add_f32_e32 v0, v2, v4
	v_sub_f32_e32 v3, v1, v0
	v_pk_add_f32 v[6:7], v[0:1], v[2:3] neg_lo:[0,1] neg_hi:[0,1]
	v_mov_b32_e32 v5, v0
	v_pk_add_f32 v[0:1], v[6:7], v[4:5] neg_lo:[0,1] neg_hi:[0,1]
	s_nop 0
	v_add_f32_e32 v1, v12, v1
	v_add_f32_e32 v0, v0, v1
	;; [unrolled: 1-line block ×3, first 2 shown]
	v_mul_f32_e32 v12, v11, v1
	v_mul_f32_e32 v2, v9, v12
	v_fma_f32 v4, v12, v9, -v2
	v_fmac_f32_e32 v4, v12, v10
	v_sub_f32_e32 v3, v3, v1
	v_add_f32_e32 v9, v0, v3
	v_add_f32_e32 v0, v2, v4
	v_sub_f32_e32 v3, v1, v0
	v_pk_add_f32 v[6:7], v[0:1], v[2:3] neg_lo:[0,1] neg_hi:[0,1]
	v_mov_b32_e32 v5, v0
	v_pk_add_f32 v[0:1], v[6:7], v[4:5] neg_lo:[0,1] neg_hi:[0,1]
	scratch_load_dwordx2 v[6:7], off, off offset:60 ; 8-byte Folded Reload
	v_add_f32_e32 v1, v9, v1
	v_add_f32_e32 v0, v0, v1
	;; [unrolled: 1-line block ×4, first 2 shown]
	v_sub_f32_e32 v2, v1, v13
	v_mul_f32_e32 v0, v11, v0
	v_sub_f32_e32 v2, v12, v2
	v_add_f32_e32 v2, v2, v0
	v_add_f32_e32 v4, v1, v2
	v_mul_f32_e32 v5, v4, v4
	v_mov_b32_e32 v0, 0x3ecc95a3
	v_fmamk_f32 v0, v5, 0x3e9b6dac, v0
	v_fmaak_f32 v11, v5, v0, 0x3f2aaada
	v_cvt_f32_i32_e32 v0, v8
	v_sub_f32_e32 v1, v4, v1
	v_sub_f32_e32 v1, v2, v1
	v_ldexp_f32 v3, v4, 1
	s_waitcnt vmcnt(0)
	v_mov_b32_e32 v10, v6
	v_ldexp_f32 v6, v1, 1
	v_mul_f32_e32 v1, v4, v5
	v_mov_b32_e32 v2, v10
	v_pk_mul_f32 v[4:5], v[0:1], v[10:11]
	scratch_store_dwordx2 off, v[2:3], off offset:60 ; 8-byte Folded Spill
	v_fma_f32 v2, v0, s2, -v4
	v_fmac_f32_e32 v2, 0xb102e308, v0
	v_pk_add_f32 v[0:1], v[4:5], v[2:3]
	s_mov_b32 s2, 0x7f800000
	v_sub_f32_e32 v3, v1, v3
	v_sub_f32_e32 v3, v5, v3
	v_add_f32_e32 v7, v6, v3
	v_mov_b32_e32 v6, v4
	v_pk_add_f32 v[4:5], v[0:1], v[4:5] neg_lo:[0,1] neg_hi:[0,1]
	v_pk_add_f32 v[8:9], v[0:1], v[6:7]
	v_mov_b32_e32 v3, v0
	v_mov_b32_e32 v5, v9
	v_pk_add_f32 v[10:11], v[2:3], v[4:5] neg_lo:[0,1] neg_hi:[0,1]
	v_pk_add_f32 v[2:3], v[2:3], v[4:5]
	v_mov_b32_e32 v6, v7
	v_mov_b32_e32 v4, v3
	v_pk_add_f32 v[12:13], v[4:5], v[0:1] neg_lo:[0,1] neg_hi:[0,1]
	v_mov_b32_e32 v2, v9
	v_mov_b32_e32 v5, v12
	v_pk_add_f32 v[14:15], v[8:9], v[4:5] neg_lo:[0,1] neg_hi:[0,1]
	v_mov_b32_e32 v8, v1
	v_mov_b32_e32 v9, v12
	;; [unrolled: 1-line block ×3, first 2 shown]
	v_pk_add_f32 v[2:3], v[2:3], v[8:9] neg_lo:[0,1] neg_hi:[0,1]
	v_mov_b32_e32 v7, v0
	v_pk_add_f32 v[0:1], v[6:7], v[2:3] neg_lo:[0,1] neg_hi:[0,1]
	v_mov_b32_e32 v14, v10
	v_pk_add_f32 v[2:3], v[14:15], v[0:1]
	v_cmp_eq_f32_e32 vcc, s2, v16
	v_mov_b32_e32 v6, v3
	v_pk_add_f32 v[6:7], v[2:3], v[6:7]
	v_cmp_gt_f32_e64 s[2:3], s83, v16
	v_pk_add_f32 v[4:5], v[4:5], v[6:7]
	v_mov_b32_e32 v1, v6
	v_mov_b32_e32 v3, v4
	v_pk_add_f32 v[8:9], v[2:3], v[10:11] neg_lo:[0,1] neg_hi:[0,1]
	s_or_b64 vcc, s[2:3], vcc
	v_sub_f32_e32 v2, v2, v8
	v_pk_add_f32 v[0:1], v[0:1], v[8:9] neg_lo:[0,1] neg_hi:[0,1]
	v_sub_f32_e32 v2, v10, v2
	v_add_f32_e32 v0, v0, v2
	v_add_f32_e32 v0, v0, v1
	;; [unrolled: 1-line block ×3, first 2 shown]
	v_cndmask_b32_e32 v34, v0, v16, vcc
.LBB19_47:                              ;   in Loop: Header=BB19_13 Depth=1
	s_or_b64 exec, exec, s[22:23]
	v_and_b32_e32 v0, 0xffff0000, v20
	v_add_f32_e32 v35, s33, v0
	v_cmp_ge_f32_e32 vcc, s82, v35
	s_and_b64 s[2:3], s[80:81], vcc
	s_and_saveexec_b64 s[22:23], s[2:3]
	s_cbranch_execz .LBB19_49
; %bb.48:                               ;   in Loop: Header=BB19_13 Depth=1
	v_mul_f32_e32 v0, 0x3fb8aa3b, v35
	v_rndne_f32_e32 v1, v0
	s_mov_b32 s2, 0x3fb8aa3b
	v_sub_f32_e32 v2, v0, v1
	v_fma_f32 v0, v35, s2, -v0
	v_fmac_f32_e32 v0, 0x32a5705f, v35
	v_add_f32_e32 v0, v2, v0
	v_cvt_i32_f32_e32 v1, v1
	v_exp_f32_e32 v0, v0
	s_mov_b32 s2, 0xc2ce8ed0
	v_cmp_ngt_f32_e32 vcc, s2, v35
	s_mov_b32 s2, 0x42b17218
	v_ldexp_f32 v0, v0, v1
	v_cndmask_b32_e32 v0, 0, v0, vcc
	v_cmp_nlt_f32_e32 vcc, s2, v35
	v_mov_b32_e32 v1, 0x7f800000
	s_mov_b32 s2, 0x3f2aaaab
	v_cndmask_b32_e32 v16, v1, v0, vcc
	v_add_f32_e32 v2, 1.0, v16
	v_add_f32_e32 v0, -1.0, v2
	v_sub_f32_e32 v1, v0, v2
	v_add_f32_e32 v1, 1.0, v1
	v_sub_f32_e32 v0, v16, v0
	v_add_f32_e32 v3, v0, v1
	v_frexp_mant_f32_e32 v4, v2
	v_cvt_f64_f32_e32 v[0:1], v2
	v_frexp_exp_i32_f64_e32 v0, v[0:1]
	v_cmp_gt_f32_e32 vcc, s2, v4
	s_mov_b32 s2, 0x3f317218
	s_nop 0
	v_subbrev_co_u32_e32 v8, vcc, 0, v0, vcc
	v_sub_u32_e32 v0, 0, v8
	v_ldexp_f32 v1, v2, v0
	v_add_f32_e32 v2, -1.0, v1
	v_add_f32_e32 v4, 1.0, v1
	v_ldexp_f32 v0, v3, v0
	v_add_f32_e32 v3, 1.0, v2
	v_add_f32_e32 v5, -1.0, v4
	v_sub_f32_e32 v3, v1, v3
	v_sub_f32_e32 v1, v1, v5
	v_add_f32_e32 v3, v0, v3
	v_add_f32_e32 v0, v0, v1
	;; [unrolled: 1-line block ×3, first 2 shown]
	v_rcp_f32_e32 v11, v9
	v_sub_f32_e32 v1, v4, v9
	v_add_f32_e32 v10, v0, v1
	v_add_f32_e32 v1, v2, v3
	v_mul_f32_e32 v13, v1, v11
	v_sub_f32_e32 v0, v2, v1
	v_mul_f32_e32 v2, v9, v13
	v_fma_f32 v4, v13, v9, -v2
	v_fmac_f32_e32 v4, v13, v10
	v_add_f32_e32 v12, v3, v0
	v_add_f32_e32 v0, v2, v4
	v_sub_f32_e32 v3, v1, v0
	v_pk_add_f32 v[6:7], v[0:1], v[2:3] neg_lo:[0,1] neg_hi:[0,1]
	v_mov_b32_e32 v5, v0
	v_pk_add_f32 v[0:1], v[6:7], v[4:5] neg_lo:[0,1] neg_hi:[0,1]
	s_nop 0
	v_add_f32_e32 v1, v12, v1
	v_add_f32_e32 v0, v0, v1
	;; [unrolled: 1-line block ×3, first 2 shown]
	v_mul_f32_e32 v12, v11, v1
	v_mul_f32_e32 v2, v9, v12
	v_fma_f32 v4, v12, v9, -v2
	v_fmac_f32_e32 v4, v12, v10
	v_sub_f32_e32 v3, v3, v1
	v_add_f32_e32 v9, v0, v3
	v_add_f32_e32 v0, v2, v4
	v_sub_f32_e32 v3, v1, v0
	v_pk_add_f32 v[6:7], v[0:1], v[2:3] neg_lo:[0,1] neg_hi:[0,1]
	v_mov_b32_e32 v5, v0
	v_pk_add_f32 v[0:1], v[6:7], v[4:5] neg_lo:[0,1] neg_hi:[0,1]
	scratch_load_dwordx2 v[6:7], off, off offset:60 ; 8-byte Folded Reload
	v_add_f32_e32 v1, v9, v1
	v_add_f32_e32 v0, v0, v1
	;; [unrolled: 1-line block ×4, first 2 shown]
	v_sub_f32_e32 v2, v1, v13
	v_mul_f32_e32 v0, v11, v0
	v_sub_f32_e32 v2, v12, v2
	v_add_f32_e32 v2, v2, v0
	v_add_f32_e32 v4, v1, v2
	v_mul_f32_e32 v5, v4, v4
	v_mov_b32_e32 v0, 0x3ecc95a3
	v_fmamk_f32 v0, v5, 0x3e9b6dac, v0
	v_fmaak_f32 v11, v5, v0, 0x3f2aaada
	v_cvt_f32_i32_e32 v0, v8
	v_sub_f32_e32 v1, v4, v1
	v_sub_f32_e32 v1, v2, v1
	v_ldexp_f32 v3, v4, 1
	s_waitcnt vmcnt(0)
	v_mov_b32_e32 v10, v6
	v_ldexp_f32 v6, v1, 1
	v_mul_f32_e32 v1, v4, v5
	v_mov_b32_e32 v2, v10
	v_pk_mul_f32 v[4:5], v[0:1], v[10:11]
	scratch_store_dwordx2 off, v[2:3], off offset:60 ; 8-byte Folded Spill
	v_fma_f32 v2, v0, s2, -v4
	v_fmac_f32_e32 v2, 0xb102e308, v0
	v_pk_add_f32 v[0:1], v[4:5], v[2:3]
	s_mov_b32 s2, 0x7f800000
	v_sub_f32_e32 v3, v1, v3
	v_sub_f32_e32 v3, v5, v3
	v_add_f32_e32 v7, v6, v3
	v_mov_b32_e32 v6, v4
	v_pk_add_f32 v[4:5], v[0:1], v[4:5] neg_lo:[0,1] neg_hi:[0,1]
	v_pk_add_f32 v[8:9], v[0:1], v[6:7]
	v_mov_b32_e32 v3, v0
	v_mov_b32_e32 v5, v9
	v_pk_add_f32 v[10:11], v[2:3], v[4:5] neg_lo:[0,1] neg_hi:[0,1]
	v_pk_add_f32 v[2:3], v[2:3], v[4:5]
	v_mov_b32_e32 v6, v7
	v_mov_b32_e32 v4, v3
	v_pk_add_f32 v[12:13], v[4:5], v[0:1] neg_lo:[0,1] neg_hi:[0,1]
	v_mov_b32_e32 v2, v9
	v_mov_b32_e32 v5, v12
	v_pk_add_f32 v[14:15], v[8:9], v[4:5] neg_lo:[0,1] neg_hi:[0,1]
	v_mov_b32_e32 v8, v1
	v_mov_b32_e32 v9, v12
	;; [unrolled: 1-line block ×3, first 2 shown]
	v_pk_add_f32 v[2:3], v[2:3], v[8:9] neg_lo:[0,1] neg_hi:[0,1]
	v_mov_b32_e32 v7, v0
	v_pk_add_f32 v[0:1], v[6:7], v[2:3] neg_lo:[0,1] neg_hi:[0,1]
	v_mov_b32_e32 v14, v10
	v_pk_add_f32 v[2:3], v[14:15], v[0:1]
	v_cmp_eq_f32_e32 vcc, s2, v16
	v_mov_b32_e32 v6, v3
	v_pk_add_f32 v[6:7], v[2:3], v[6:7]
	v_cmp_gt_f32_e64 s[2:3], s83, v16
	v_pk_add_f32 v[4:5], v[4:5], v[6:7]
	v_mov_b32_e32 v1, v6
	v_mov_b32_e32 v3, v4
	v_pk_add_f32 v[8:9], v[2:3], v[10:11] neg_lo:[0,1] neg_hi:[0,1]
	s_or_b64 vcc, s[2:3], vcc
	v_sub_f32_e32 v2, v2, v8
	v_pk_add_f32 v[0:1], v[0:1], v[8:9] neg_lo:[0,1] neg_hi:[0,1]
	v_sub_f32_e32 v2, v10, v2
	v_add_f32_e32 v0, v0, v2
	v_add_f32_e32 v0, v0, v1
	;; [unrolled: 1-line block ×3, first 2 shown]
	v_cndmask_b32_e32 v35, v0, v16, vcc
.LBB19_49:                              ;   in Loop: Header=BB19_13 Depth=1
	s_or_b64 exec, exec, s[22:23]
	v_lshlrev_b32_e32 v0, 16, v21
	v_add_f32_e32 v94, s33, v0
	v_cmp_ge_f32_e32 vcc, s82, v94
	s_and_b64 s[2:3], s[80:81], vcc
	s_and_saveexec_b64 s[22:23], s[2:3]
	s_cbranch_execz .LBB19_51
; %bb.50:                               ;   in Loop: Header=BB19_13 Depth=1
	v_mul_f32_e32 v0, 0x3fb8aa3b, v94
	v_rndne_f32_e32 v1, v0
	s_mov_b32 s2, 0x3fb8aa3b
	v_sub_f32_e32 v2, v0, v1
	v_fma_f32 v0, v94, s2, -v0
	v_fmac_f32_e32 v0, 0x32a5705f, v94
	v_add_f32_e32 v0, v2, v0
	v_cvt_i32_f32_e32 v1, v1
	v_exp_f32_e32 v0, v0
	s_mov_b32 s2, 0xc2ce8ed0
	v_cmp_ngt_f32_e32 vcc, s2, v94
	s_mov_b32 s2, 0x42b17218
	v_ldexp_f32 v0, v0, v1
	v_cndmask_b32_e32 v0, 0, v0, vcc
	v_cmp_nlt_f32_e32 vcc, s2, v94
	v_mov_b32_e32 v1, 0x7f800000
	s_mov_b32 s2, 0x3f2aaaab
	v_cndmask_b32_e32 v16, v1, v0, vcc
	v_add_f32_e32 v2, 1.0, v16
	v_add_f32_e32 v0, -1.0, v2
	v_sub_f32_e32 v1, v0, v2
	v_add_f32_e32 v1, 1.0, v1
	v_sub_f32_e32 v0, v16, v0
	v_add_f32_e32 v3, v0, v1
	v_frexp_mant_f32_e32 v4, v2
	v_cvt_f64_f32_e32 v[0:1], v2
	v_frexp_exp_i32_f64_e32 v0, v[0:1]
	v_cmp_gt_f32_e32 vcc, s2, v4
	s_mov_b32 s2, 0x3f317218
	s_nop 0
	v_subbrev_co_u32_e32 v8, vcc, 0, v0, vcc
	v_sub_u32_e32 v0, 0, v8
	v_ldexp_f32 v1, v2, v0
	v_add_f32_e32 v2, -1.0, v1
	v_add_f32_e32 v4, 1.0, v1
	v_ldexp_f32 v0, v3, v0
	v_add_f32_e32 v3, 1.0, v2
	v_add_f32_e32 v5, -1.0, v4
	v_sub_f32_e32 v3, v1, v3
	v_sub_f32_e32 v1, v1, v5
	v_add_f32_e32 v3, v0, v3
	v_add_f32_e32 v0, v0, v1
	;; [unrolled: 1-line block ×3, first 2 shown]
	v_rcp_f32_e32 v11, v9
	v_sub_f32_e32 v1, v4, v9
	v_add_f32_e32 v10, v0, v1
	v_add_f32_e32 v1, v2, v3
	v_mul_f32_e32 v13, v1, v11
	v_sub_f32_e32 v0, v2, v1
	v_mul_f32_e32 v2, v9, v13
	v_fma_f32 v4, v13, v9, -v2
	v_fmac_f32_e32 v4, v13, v10
	v_add_f32_e32 v12, v3, v0
	v_add_f32_e32 v0, v2, v4
	v_sub_f32_e32 v3, v1, v0
	v_pk_add_f32 v[6:7], v[0:1], v[2:3] neg_lo:[0,1] neg_hi:[0,1]
	v_mov_b32_e32 v5, v0
	v_pk_add_f32 v[0:1], v[6:7], v[4:5] neg_lo:[0,1] neg_hi:[0,1]
	s_nop 0
	v_add_f32_e32 v1, v12, v1
	v_add_f32_e32 v0, v0, v1
	;; [unrolled: 1-line block ×3, first 2 shown]
	v_mul_f32_e32 v12, v11, v1
	v_mul_f32_e32 v2, v9, v12
	v_fma_f32 v4, v12, v9, -v2
	v_fmac_f32_e32 v4, v12, v10
	v_sub_f32_e32 v3, v3, v1
	v_add_f32_e32 v9, v0, v3
	v_add_f32_e32 v0, v2, v4
	v_sub_f32_e32 v3, v1, v0
	v_pk_add_f32 v[6:7], v[0:1], v[2:3] neg_lo:[0,1] neg_hi:[0,1]
	v_mov_b32_e32 v5, v0
	v_pk_add_f32 v[0:1], v[6:7], v[4:5] neg_lo:[0,1] neg_hi:[0,1]
	scratch_load_dwordx2 v[6:7], off, off offset:60 ; 8-byte Folded Reload
	v_add_f32_e32 v1, v9, v1
	v_add_f32_e32 v0, v0, v1
	;; [unrolled: 1-line block ×4, first 2 shown]
	v_sub_f32_e32 v2, v1, v13
	v_mul_f32_e32 v0, v11, v0
	v_sub_f32_e32 v2, v12, v2
	v_add_f32_e32 v2, v2, v0
	v_add_f32_e32 v4, v1, v2
	v_mul_f32_e32 v5, v4, v4
	v_mov_b32_e32 v0, 0x3ecc95a3
	v_fmamk_f32 v0, v5, 0x3e9b6dac, v0
	v_fmaak_f32 v11, v5, v0, 0x3f2aaada
	v_cvt_f32_i32_e32 v0, v8
	v_sub_f32_e32 v1, v4, v1
	v_sub_f32_e32 v1, v2, v1
	v_ldexp_f32 v3, v4, 1
	s_waitcnt vmcnt(0)
	v_mov_b32_e32 v10, v6
	v_ldexp_f32 v6, v1, 1
	v_mul_f32_e32 v1, v4, v5
	v_mov_b32_e32 v2, v10
	v_pk_mul_f32 v[4:5], v[0:1], v[10:11]
	scratch_store_dwordx2 off, v[2:3], off offset:60 ; 8-byte Folded Spill
	v_fma_f32 v2, v0, s2, -v4
	v_fmac_f32_e32 v2, 0xb102e308, v0
	v_pk_add_f32 v[0:1], v[4:5], v[2:3]
	s_mov_b32 s2, 0x7f800000
	v_sub_f32_e32 v3, v1, v3
	v_sub_f32_e32 v3, v5, v3
	v_add_f32_e32 v7, v6, v3
	v_mov_b32_e32 v6, v4
	v_pk_add_f32 v[4:5], v[0:1], v[4:5] neg_lo:[0,1] neg_hi:[0,1]
	v_pk_add_f32 v[8:9], v[0:1], v[6:7]
	v_mov_b32_e32 v3, v0
	v_mov_b32_e32 v5, v9
	v_pk_add_f32 v[10:11], v[2:3], v[4:5] neg_lo:[0,1] neg_hi:[0,1]
	v_pk_add_f32 v[2:3], v[2:3], v[4:5]
	v_mov_b32_e32 v6, v7
	v_mov_b32_e32 v4, v3
	v_pk_add_f32 v[12:13], v[4:5], v[0:1] neg_lo:[0,1] neg_hi:[0,1]
	v_mov_b32_e32 v2, v9
	v_mov_b32_e32 v5, v12
	v_pk_add_f32 v[14:15], v[8:9], v[4:5] neg_lo:[0,1] neg_hi:[0,1]
	v_mov_b32_e32 v8, v1
	v_mov_b32_e32 v9, v12
	;; [unrolled: 1-line block ×3, first 2 shown]
	v_pk_add_f32 v[2:3], v[2:3], v[8:9] neg_lo:[0,1] neg_hi:[0,1]
	v_mov_b32_e32 v7, v0
	v_pk_add_f32 v[0:1], v[6:7], v[2:3] neg_lo:[0,1] neg_hi:[0,1]
	v_mov_b32_e32 v14, v10
	v_pk_add_f32 v[2:3], v[14:15], v[0:1]
	v_cmp_eq_f32_e32 vcc, s2, v16
	v_mov_b32_e32 v6, v3
	v_pk_add_f32 v[6:7], v[2:3], v[6:7]
	v_cmp_gt_f32_e64 s[2:3], s83, v16
	v_pk_add_f32 v[4:5], v[4:5], v[6:7]
	v_mov_b32_e32 v1, v6
	v_mov_b32_e32 v3, v4
	v_pk_add_f32 v[8:9], v[2:3], v[10:11] neg_lo:[0,1] neg_hi:[0,1]
	s_or_b64 vcc, s[2:3], vcc
	v_sub_f32_e32 v2, v2, v8
	v_pk_add_f32 v[0:1], v[0:1], v[8:9] neg_lo:[0,1] neg_hi:[0,1]
	v_sub_f32_e32 v2, v10, v2
	v_add_f32_e32 v0, v0, v2
	v_add_f32_e32 v0, v0, v1
	;; [unrolled: 1-line block ×3, first 2 shown]
	v_cndmask_b32_e32 v94, v0, v16, vcc
.LBB19_51:                              ;   in Loop: Header=BB19_13 Depth=1
	s_or_b64 exec, exec, s[22:23]
	v_and_b32_e32 v0, 0xffff0000, v21
	v_add_f32_e32 v37, s33, v0
	v_cmp_ge_f32_e32 vcc, s82, v37
	s_and_b64 s[2:3], s[80:81], vcc
	s_and_saveexec_b64 s[22:23], s[2:3]
	s_cbranch_execz .LBB19_53
; %bb.52:                               ;   in Loop: Header=BB19_13 Depth=1
	v_mul_f32_e32 v0, 0x3fb8aa3b, v37
	v_rndne_f32_e32 v1, v0
	s_mov_b32 s2, 0x3fb8aa3b
	v_sub_f32_e32 v2, v0, v1
	v_fma_f32 v0, v37, s2, -v0
	v_fmac_f32_e32 v0, 0x32a5705f, v37
	v_add_f32_e32 v0, v2, v0
	v_cvt_i32_f32_e32 v1, v1
	v_exp_f32_e32 v0, v0
	s_mov_b32 s2, 0xc2ce8ed0
	v_cmp_ngt_f32_e32 vcc, s2, v37
	s_mov_b32 s2, 0x42b17218
	v_ldexp_f32 v0, v0, v1
	v_cndmask_b32_e32 v0, 0, v0, vcc
	v_cmp_nlt_f32_e32 vcc, s2, v37
	v_mov_b32_e32 v1, 0x7f800000
	s_mov_b32 s2, 0x3f2aaaab
	v_cndmask_b32_e32 v16, v1, v0, vcc
	v_add_f32_e32 v2, 1.0, v16
	v_add_f32_e32 v0, -1.0, v2
	v_sub_f32_e32 v1, v0, v2
	v_add_f32_e32 v1, 1.0, v1
	v_sub_f32_e32 v0, v16, v0
	v_add_f32_e32 v3, v0, v1
	v_frexp_mant_f32_e32 v4, v2
	v_cvt_f64_f32_e32 v[0:1], v2
	v_frexp_exp_i32_f64_e32 v0, v[0:1]
	v_cmp_gt_f32_e32 vcc, s2, v4
	s_mov_b32 s2, 0x3f317218
	s_nop 0
	v_subbrev_co_u32_e32 v8, vcc, 0, v0, vcc
	v_sub_u32_e32 v0, 0, v8
	v_ldexp_f32 v1, v2, v0
	v_add_f32_e32 v2, -1.0, v1
	v_add_f32_e32 v4, 1.0, v1
	v_ldexp_f32 v0, v3, v0
	v_add_f32_e32 v3, 1.0, v2
	v_add_f32_e32 v5, -1.0, v4
	v_sub_f32_e32 v3, v1, v3
	v_sub_f32_e32 v1, v1, v5
	v_add_f32_e32 v3, v0, v3
	v_add_f32_e32 v0, v0, v1
	;; [unrolled: 1-line block ×3, first 2 shown]
	v_rcp_f32_e32 v11, v9
	v_sub_f32_e32 v1, v4, v9
	v_add_f32_e32 v10, v0, v1
	v_add_f32_e32 v1, v2, v3
	v_mul_f32_e32 v13, v1, v11
	v_sub_f32_e32 v0, v2, v1
	v_mul_f32_e32 v2, v9, v13
	v_fma_f32 v4, v13, v9, -v2
	v_fmac_f32_e32 v4, v13, v10
	v_add_f32_e32 v12, v3, v0
	v_add_f32_e32 v0, v2, v4
	v_sub_f32_e32 v3, v1, v0
	v_pk_add_f32 v[6:7], v[0:1], v[2:3] neg_lo:[0,1] neg_hi:[0,1]
	v_mov_b32_e32 v5, v0
	v_pk_add_f32 v[0:1], v[6:7], v[4:5] neg_lo:[0,1] neg_hi:[0,1]
	s_nop 0
	v_add_f32_e32 v1, v12, v1
	v_add_f32_e32 v0, v0, v1
	;; [unrolled: 1-line block ×3, first 2 shown]
	v_mul_f32_e32 v12, v11, v1
	v_mul_f32_e32 v2, v9, v12
	v_fma_f32 v4, v12, v9, -v2
	v_fmac_f32_e32 v4, v12, v10
	v_sub_f32_e32 v3, v3, v1
	v_add_f32_e32 v9, v0, v3
	v_add_f32_e32 v0, v2, v4
	v_sub_f32_e32 v3, v1, v0
	v_pk_add_f32 v[6:7], v[0:1], v[2:3] neg_lo:[0,1] neg_hi:[0,1]
	v_mov_b32_e32 v5, v0
	v_pk_add_f32 v[0:1], v[6:7], v[4:5] neg_lo:[0,1] neg_hi:[0,1]
	scratch_load_dwordx2 v[6:7], off, off offset:60 ; 8-byte Folded Reload
	v_add_f32_e32 v1, v9, v1
	v_add_f32_e32 v0, v0, v1
	;; [unrolled: 1-line block ×4, first 2 shown]
	v_sub_f32_e32 v2, v1, v13
	v_mul_f32_e32 v0, v11, v0
	v_sub_f32_e32 v2, v12, v2
	v_add_f32_e32 v2, v2, v0
	v_add_f32_e32 v4, v1, v2
	v_mul_f32_e32 v5, v4, v4
	v_mov_b32_e32 v0, 0x3ecc95a3
	v_fmamk_f32 v0, v5, 0x3e9b6dac, v0
	v_fmaak_f32 v11, v5, v0, 0x3f2aaada
	v_cvt_f32_i32_e32 v0, v8
	v_sub_f32_e32 v1, v4, v1
	v_sub_f32_e32 v1, v2, v1
	v_ldexp_f32 v3, v4, 1
	s_waitcnt vmcnt(0)
	v_mov_b32_e32 v10, v6
	v_ldexp_f32 v6, v1, 1
	v_mul_f32_e32 v1, v4, v5
	v_mov_b32_e32 v2, v10
	v_pk_mul_f32 v[4:5], v[0:1], v[10:11]
	scratch_store_dwordx2 off, v[2:3], off offset:60 ; 8-byte Folded Spill
	v_fma_f32 v2, v0, s2, -v4
	v_fmac_f32_e32 v2, 0xb102e308, v0
	v_pk_add_f32 v[0:1], v[4:5], v[2:3]
	s_mov_b32 s2, 0x7f800000
	v_sub_f32_e32 v3, v1, v3
	v_sub_f32_e32 v3, v5, v3
	v_add_f32_e32 v7, v6, v3
	v_mov_b32_e32 v6, v4
	v_pk_add_f32 v[4:5], v[0:1], v[4:5] neg_lo:[0,1] neg_hi:[0,1]
	v_pk_add_f32 v[8:9], v[0:1], v[6:7]
	v_mov_b32_e32 v3, v0
	v_mov_b32_e32 v5, v9
	v_pk_add_f32 v[10:11], v[2:3], v[4:5] neg_lo:[0,1] neg_hi:[0,1]
	v_pk_add_f32 v[2:3], v[2:3], v[4:5]
	v_mov_b32_e32 v6, v7
	v_mov_b32_e32 v4, v3
	v_pk_add_f32 v[12:13], v[4:5], v[0:1] neg_lo:[0,1] neg_hi:[0,1]
	v_mov_b32_e32 v2, v9
	v_mov_b32_e32 v5, v12
	v_pk_add_f32 v[14:15], v[8:9], v[4:5] neg_lo:[0,1] neg_hi:[0,1]
	v_mov_b32_e32 v8, v1
	v_mov_b32_e32 v9, v12
	v_mov_b32_e32 v11, v3
	v_pk_add_f32 v[2:3], v[2:3], v[8:9] neg_lo:[0,1] neg_hi:[0,1]
	v_mov_b32_e32 v7, v0
	v_pk_add_f32 v[0:1], v[6:7], v[2:3] neg_lo:[0,1] neg_hi:[0,1]
	v_mov_b32_e32 v14, v10
	v_pk_add_f32 v[2:3], v[14:15], v[0:1]
	v_cmp_eq_f32_e32 vcc, s2, v16
	v_mov_b32_e32 v6, v3
	v_pk_add_f32 v[6:7], v[2:3], v[6:7]
	v_cmp_gt_f32_e64 s[2:3], s83, v16
	v_pk_add_f32 v[4:5], v[4:5], v[6:7]
	v_mov_b32_e32 v1, v6
	v_mov_b32_e32 v3, v4
	v_pk_add_f32 v[8:9], v[2:3], v[10:11] neg_lo:[0,1] neg_hi:[0,1]
	s_or_b64 vcc, s[2:3], vcc
	v_sub_f32_e32 v2, v2, v8
	v_pk_add_f32 v[0:1], v[0:1], v[8:9] neg_lo:[0,1] neg_hi:[0,1]
	v_sub_f32_e32 v2, v10, v2
	v_add_f32_e32 v0, v0, v2
	v_add_f32_e32 v0, v0, v1
	;; [unrolled: 1-line block ×3, first 2 shown]
	v_cndmask_b32_e32 v37, v0, v16, vcc
.LBB19_53:                              ;   in Loop: Header=BB19_13 Depth=1
	s_or_b64 exec, exec, s[22:23]
	v_readlane_b32 s22, v95, 4
	v_lshlrev_b32_e32 v0, 16, v25
	v_and_b32_e32 v6, 0xffff0000, v25
	v_and_b32_e32 v1, 0xffff0000, v24
	v_lshlrev_b32_e32 v2, 16, v24
	v_and_b32_e32 v3, 0xffff0000, v23
	v_lshlrev_b32_e32 v4, 16, v23
	;; [unrolled: 2-line block ×7, first 2 shown]
	v_readlane_b32 s23, v95, 5
	v_mul_f32_e32 v38, s74, v0
	v_mul_f32_e32 v41, s74, v1
	;; [unrolled: 1-line block ×15, first 2 shown]
	s_lshl_b32 s2, s56, 10
	v_mul_f32_e32 v39, s74, v6
	s_and_b64 vcc, exec, s[22:23]
	s_waitcnt lgkmcnt(0)
	; wave barrier
	s_cbranch_vccz .LBB19_12
; %bb.54:                               ;   in Loop: Header=BB19_13 Depth=1
	v_mul_f32_e32 v0, v94, v0
	scratch_store_dwordx4 off, v[26:29], off offset:116 ; 16-byte Folded Spill
	scratch_store_dwordx4 off, v[22:25], off offset:100 ; 16-byte Folded Spill
	scratch_store_dwordx4 off, v[18:21], off offset:84 ; 16-byte Folded Spill
	scratch_store_dword off, v0, off offset:16 ; 4-byte Folded Spill
	v_mul_f32_e32 v0, v35, v1
	scratch_store_dword off, v0, off offset:20 ; 4-byte Folded Spill
	v_mul_f32_e32 v0, v34, v2
	;; [unrolled: 2-line block ×7, first 2 shown]
	scratch_store_dword off, v0, off offset:44 ; 4-byte Folded Spill
	scratch_load_dword v0, off, off offset:140 ; 4-byte Folded Reload
	v_readlane_b32 s90, v95, 6
	s_sub_i32 s3, s90, s2
	s_cmp_lg_u32 s56, 0
	v_readlane_b32 s22, v95, 9
	s_cselect_b64 s[86:87], -1, 0
	s_cmp_eq_u32 s56, s22
	s_cselect_b64 s[88:89], -1, 0
	v_mul_f32_e32 v6, v37, v6
	v_readlane_b32 s91, v95, 7
	s_mov_b32 s76, 0
	scratch_store_dword off, v6, off offset:12 ; 4-byte Folded Spill
	v_lshl_add_u64 v[54:55], s[62:63], 0, v[32:33]
	v_lshl_add_u64 v[56:57], s[66:67], 0, v[32:33]
	v_mul_f32_e32 v5, v89, v9
	v_mul_f32_e32 v6, v88, v10
	;; [unrolled: 1-line block ×7, first 2 shown]
	s_mov_b32 s90, s76
	s_mov_b32 s92, s76
	;; [unrolled: 1-line block ×3, first 2 shown]
	v_readlane_b32 s57, v95, 10
	s_waitcnt vmcnt(1)
	v_cmp_gt_u32_e32 vcc, s3, v0
	scratch_load_dword v0, off, off offset:144 ; 4-byte Folded Reload
	s_or_b64 s[22:23], s[84:85], vcc
	s_waitcnt vmcnt(0)
	v_cmp_gt_u32_e32 vcc, s3, v0
	scratch_load_dword v0, off, off offset:148 ; 4-byte Folded Reload
	s_or_b64 s[24:25], s[84:85], vcc
	;; [unrolled: 4-line block ×15, first 2 shown]
	s_waitcnt vmcnt(0)
	v_cmp_gt_u32_e32 vcc, s3, v0
	s_or_b64 s[54:55], s[84:85], vcc
	s_mov_b32 s3, s91
	s_branch .LBB19_56
.LBB19_55:                              ;   in Loop: Header=BB19_56 Depth=2
	s_or_b64 exec, exec, s[96:97]
	v_mul_f32_e32 v3, v12, v3
	v_fma_f32 v4, v12, v4, v24
	v_cndmask_b32_e64 v24, v4, v24, s[20:21]
	v_cndmask_b32_e64 v3, v3, v12, s[20:21]
	s_waitcnt lgkmcnt(0)
	v_fmac_f32_e32 v24, v58, v3
	v_fmac_f32_e32 v25, v24, v13
	;; [unrolled: 1-line block ×16, first 2 shown]
	v_and_b32_e32 v1, 0xffff0000, v20
	v_and_b32_e32 v3, 0xffff0000, v21
	v_lshlrev_b32_e32 v0, 16, v20
	v_lshlrev_b32_e32 v2, 16, v21
	v_and_b32_e32 v13, 0xffff0000, v22
	v_and_b32_e32 v15, 0xffff0000, v23
	v_lshlrev_b32_e32 v12, 16, v22
	v_lshlrev_b32_e32 v14, 16, v23
	;; [unrolled: 4-line block ×4, first 2 shown]
	s_add_i32 s57, s57, 8
	s_add_i32 s3, s3, -1
	s_add_i32 s94, s94, s58
	s_add_i32 s92, s92, s68
	;; [unrolled: 1-line block ×4, first 2 shown]
	v_pk_fma_f32 v[50:51], v[26:27], v[2:3], v[50:51]
	v_pk_fma_f32 v[52:53], v[24:25], v[0:1], v[52:53]
	;; [unrolled: 1-line block ×7, first 2 shown]
	s_cmp_eq_u32 s3, 0
	v_pk_fma_f32 v[40:41], v[64:65], v[16:17], v[40:41]
	s_cbranch_scc1 .LBB19_11
.LBB19_56:                              ;   Parent Loop BB19_13 Depth=1
                                        ; =>  This Inner Loop Header: Depth=2
	s_lshl_b64 s[96:97], s[76:77], 2
	s_add_u32 s96, s59, s96
	s_mov_b32 s91, s77
	s_addc_u32 s97, s60, s97
	v_lshl_add_u64 v[2:3], s[90:91], 1, v[54:55]
	global_load_dword v0, v33, s[96:97]
	global_load_dwordx4 v[12:15], v[2:3], off
	scratch_load_dword v1, off, off         ; 4-byte Folded Reload
	s_mov_b32 s93, s77
	s_andn2_b64 vcc, exec, s[86:87]
	s_waitcnt vmcnt(0)
	ds_write_b128 v1, v[12:15]
	global_load_dwordx4 v[12:15], v[2:3], off offset:1024
	s_nop 0
	scratch_load_dword v2, off, off offset:4 ; 4-byte Folded Reload
	s_waitcnt vmcnt(0)
	ds_write_b128 v2, v[12:15] offset:1024
	; wave barrier
	scratch_load_dword v4, off, off offset:8 ; 4-byte Folded Reload
	v_lshl_add_u64 v[2:3], s[92:93], 1, v[56:57]
	s_waitcnt vmcnt(0)
	ds_read_b128 v[28:31], v4
	ds_read_b128 v[24:27], v4 offset:16
	global_load_dwordx4 v[12:15], v[2:3], off
	s_waitcnt vmcnt(0)
	ds_write_b128 v1, v[12:15] offset:2112
	global_load_dwordx4 v[12:15], v[2:3], off offset:1024
	scratch_load_dword v1, off, off offset:48 ; 4-byte Folded Reload
	s_waitcnt vmcnt(0)
	ds_write_b128 v1, v[12:15] offset:1024
	; wave barrier
	scratch_load_dword v1, off, off offset:52 ; 4-byte Folded Reload
	ds_read_b128 v[20:23], v4 offset:2112
	s_waitcnt vmcnt(0)
	ds_read_b128 v[16:19], v1 offset:16
	s_cbranch_vccnz .LBB19_58
; %bb.57:                               ;   in Loop: Header=BB19_56 Depth=2
	v_mov_b32_e32 v1, s57
	ds_read_b64 v[60:61], v1
	s_waitcnt lgkmcnt(0)
	v_mov_b32_e32 v59, v61
	s_cbranch_execz .LBB19_59
	s_branch .LBB19_62
.LBB19_58:                              ;   in Loop: Header=BB19_56 Depth=2
                                        ; implicit-def: $vgpr60
                                        ; implicit-def: $vgpr59
.LBB19_59:                              ;   in Loop: Header=BB19_56 Depth=2
	s_andn2_b64 vcc, exec, s[72:73]
	v_mov_b32_e32 v59, 0
	s_cbranch_vccnz .LBB19_61
; %bb.60:                               ;   in Loop: Header=BB19_56 Depth=2
	s_mov_b32 s95, s77
	s_lshl_b64 s[96:97], s[94:95], 1
	s_add_u32 s96, s65, s96
	s_addc_u32 s97, s69, s97
	global_load_ushort v1, v33, s[96:97]
	s_waitcnt vmcnt(0)
	v_lshlrev_b32_e32 v59, 16, v1
.LBB19_61:                              ;   in Loop: Header=BB19_56 Depth=2
	v_mov_b32_e32 v60, 1.0
.LBB19_62:                              ;   in Loop: Header=BB19_56 Depth=2
	v_mul_f32_e32 v1, 0x3fb8aa3b, v0
	s_waitcnt lgkmcnt(5)
	v_and_b32_e32 v3, 0xffff0000, v28
	v_mul_f32_e32 v2, v1, v83
	v_lshlrev_b32_e32 v4, 16, v29
	v_cmp_gt_f32_e32 vcc, s75, v2
	v_mul_f32_e32 v3, v10, v3
	v_and_b32_e32 v15, 0xffff0000, v29
	s_waitcnt lgkmcnt(4)
	v_lshlrev_b32_e32 v64, 16, v25
	v_and_b32_e32 v65, 0xffff0000, v25
	v_cndmask_b32_e32 v2, 0, v80, vcc
	v_cndmask_b32_e64 v25, 0, v3, s[24:25]
	v_mul_f32_e32 v3, v9, v4
	v_lshlrev_b32_e32 v0, 16, v28
	v_lshlrev_b32_e32 v28, 16, v30
	;; [unrolled: 1-line block ×3, first 2 shown]
	v_and_b32_e32 v69, 0xffff0000, v26
	v_fmac_f32_e32 v2, v1, v83
	v_cndmask_b32_e64 v26, 0, v3, s[26:27]
	v_mul_f32_e32 v3, v8, v15
	v_and_b32_e32 v29, 0xffff0000, v30
	v_exp_f32_e32 v12, v2
	v_lshlrev_b32_e32 v70, 16, v27
	v_and_b32_e32 v2, 0xffff0000, v27
	v_cndmask_b32_e64 v27, 0, v3, s[28:29]
	v_mul_f32_e32 v3, v7, v28
	v_lshlrev_b32_e32 v30, 16, v31
	v_cndmask_b32_e64 v28, 0, v3, s[30:31]
	v_mul_f32_e32 v3, v6, v29
	v_cndmask_b32_e64 v29, 0, v3, s[34:35]
	v_mul_f32_e32 v3, v5, v30
	v_cndmask_b32_e64 v30, 0, v3, s[36:37]
	scratch_load_dword v3, off, off offset:44 ; 4-byte Folded Reload
	v_and_b32_e32 v31, 0xffff0000, v31
	v_lshlrev_b32_e32 v58, 16, v24
	v_and_b32_e32 v61, 0xffff0000, v24
	v_cndmask_b32_e32 v13, 1.0, v81, vcc
	v_mul_f32_e32 v12, v12, v13
	v_mul_f32_e32 v13, v1, v84
	v_cmp_gt_f32_e32 vcc, s75, v13
	v_mul_f32_e32 v0, v11, v0
	v_cndmask_b32_e64 v24, 0, v0, s[22:23]
	v_cndmask_b32_e32 v13, 0, v80, vcc
	v_fmac_f32_e32 v13, v1, v84
	v_exp_f32_e32 v13, v13
	v_cndmask_b32_e32 v0, 1.0, v81, vcc
	v_mul_f32_e32 v4, v1, v86
	v_cndmask_b32_e64 v12, 1.0, v12, s[22:23]
	v_mul_f32_e32 v0, v13, v0
	v_mul_f32_e32 v13, v1, v85
	v_cmp_gt_f32_e32 vcc, s75, v13
	s_waitcnt vmcnt(0)
	v_mul_f32_e32 v3, v3, v31
	v_cndmask_b32_e64 v31, 0, v3, s[38:39]
	scratch_load_dword v3, off, off offset:40 ; 4-byte Folded Reload
	v_cndmask_b32_e32 v13, 0, v80, vcc
	v_fmac_f32_e32 v13, v1, v85
	v_exp_f32_e32 v14, v13
	v_cndmask_b32_e64 v13, 1.0, v0, s[24:25]
	v_cndmask_b32_e32 v0, 1.0, v81, vcc
	v_cmp_gt_f32_e32 vcc, s75, v4
	v_mul_f32_e32 v0, v14, v0
	v_cndmask_b32_e64 v14, 1.0, v0, s[26:27]
	v_cndmask_b32_e32 v4, 0, v80, vcc
	v_fmac_f32_e32 v4, v1, v86
	v_exp_f32_e32 v4, v4
	v_cndmask_b32_e32 v0, 1.0, v81, vcc
	v_mul_f32_e32 v0, v4, v0
	v_mul_f32_e32 v4, v1, v87
	v_cmp_gt_f32_e32 vcc, s75, v4
	v_cndmask_b32_e64 v15, 1.0, v0, s[28:29]
	s_waitcnt vmcnt(0)
	v_mul_f32_e32 v3, v3, v58
	v_cndmask_b32_e64 v62, 0, v3, s[40:41]
	scratch_load_dword v3, off, off offset:36 ; 4-byte Folded Reload
	v_cndmask_b32_e32 v4, 0, v80, vcc
	v_fmac_f32_e32 v4, v1, v87
	v_exp_f32_e32 v4, v4
	v_cndmask_b32_e32 v0, 1.0, v81, vcc
	v_mul_f32_e32 v58, v1, v37
	v_mul_f32_e32 v0, v4, v0
	;; [unrolled: 1-line block ×3, first 2 shown]
	v_cmp_gt_f32_e32 vcc, s75, v4
	v_cndmask_b32_e64 v73, 1.0, v0, s[30:31]
	s_waitcnt vmcnt(0)
	v_mul_f32_e32 v3, v3, v61
	v_cndmask_b32_e64 v63, 0, v3, s[42:43]
	scratch_load_dword v3, off, off offset:32 ; 4-byte Folded Reload
	v_cndmask_b32_e32 v4, 0, v80, vcc
	v_fmac_f32_e32 v4, v1, v88
	v_exp_f32_e32 v4, v4
	v_cndmask_b32_e32 v0, 1.0, v81, vcc
	v_mul_f32_e32 v0, v4, v0
	v_mul_f32_e32 v4, v1, v89
	v_cmp_gt_f32_e32 vcc, s75, v4
	v_cndmask_b32_e64 v78, 1.0, v0, s[34:35]
	s_waitcnt vmcnt(0)
	v_mul_f32_e32 v3, v3, v64
	v_cndmask_b32_e64 v66, 0, v3, s[44:45]
	scratch_load_dword v3, off, off offset:28 ; 4-byte Folded Reload
	v_cndmask_b32_e32 v4, 0, v80, vcc
	v_fmac_f32_e32 v4, v1, v89
	v_exp_f32_e32 v4, v4
	v_cndmask_b32_e32 v0, 1.0, v81, vcc
	v_mul_f32_e32 v0, v4, v0
	v_mul_f32_e32 v4, v1, v90
	;; [unrolled: 12-line block ×4, first 2 shown]
	v_cmp_gt_f32_e32 vcc, s75, v4
	v_cndmask_b32_e64 v74, 1.0, v0, s[40:41]
	s_waitcnt vmcnt(0)
	v_mul_f32_e32 v3, v3, v69
	v_cndmask_b32_e32 v4, 0, v80, vcc
	v_fmac_f32_e32 v4, v1, v92
	v_exp_f32_e32 v4, v4
	v_cndmask_b32_e32 v0, 1.0, v81, vcc
	v_cndmask_b32_e64 v65, 0, v3, s[50:51]
	v_mul_f32_e32 v0, v4, v0
	v_mul_f32_e32 v4, v1, v93
	v_cmp_gt_f32_e32 vcc, s75, v4
	v_cndmask_b32_e64 v79, 1.0, v0, s[42:43]
	s_nop 0
	v_cndmask_b32_e32 v4, 0, v80, vcc
	v_fmac_f32_e32 v4, v1, v93
	v_exp_f32_e32 v4, v4
	v_cndmask_b32_e32 v0, 1.0, v81, vcc
	v_mul_f32_e32 v0, v4, v0
	v_mul_f32_e32 v4, v1, v77
	v_cmp_gt_f32_e32 vcc, s75, v4
	v_cndmask_b32_e64 v75, 1.0, v0, s[44:45]
	s_nop 0
	v_cndmask_b32_e32 v4, 0, v80, vcc
	v_fmac_f32_e32 v4, v1, v77
	v_exp_f32_e32 v4, v4
	v_cndmask_b32_e32 v0, 1.0, v81, vcc
	;; [unrolled: 9-line block ×5, first 2 shown]
	v_cmp_gt_f32_e32 vcc, s75, v58
	v_mul_f32_e32 v3, v4, v3
	scratch_load_dword v4, off, off offset:16 ; 4-byte Folded Reload
	v_cndmask_b32_e32 v58, 0, v80, vcc
	v_fmac_f32_e32 v58, v1, v37
	v_exp_f32_e32 v58, v58
	v_cndmask_b32_e64 v1, 1.0, v3, s[52:53]
	v_cndmask_b32_e32 v3, 1.0, v81, vcc
	v_mul_f32_e32 v3, v58, v3
	s_waitcnt vmcnt(0)
	v_mul_f32_e32 v4, v4, v70
	v_cndmask_b32_e64 v68, 0, v4, s[52:53]
	scratch_load_dword v4, off, off offset:12 ; 4-byte Folded Reload
	s_waitcnt vmcnt(0)
	v_mul_f32_e32 v2, v4, v2
	v_cndmask_b32_e64 v69, 0, v2, s[54:55]
	v_cndmask_b32_e64 v2, 1.0, v3, s[54:55]
	v_mul_f32_e32 v3, v13, v12
	v_fma_f32 v4, v13, v24, v25
	v_mul_f32_e32 v3, v3, v14
	v_fma_f32 v4, v4, v14, v26
	;; [unrolled: 2-line block ×15, first 2 shown]
	s_nop 0
	v_mov_b32_dpp v4, v61 row_shr:1 row_mask:0xf bank_mask:0xf
	v_mov_b32_dpp v3, v58 row_shr:1 row_mask:0xf bank_mask:0xf
	s_and_saveexec_b64 s[96:97], s[4:5]
; %bb.63:                               ;   in Loop: Header=BB19_56 Depth=2
	v_mul_f32_e32 v4, v61, v4
	v_fmac_f32_e32 v58, v61, v3
	v_mov_b32_e32 v61, v4
; %bb.64:                               ;   in Loop: Header=BB19_56 Depth=2
	s_or_b64 exec, exec, s[96:97]
	s_nop 0
	v_mov_b32_dpp v3, v61 row_shr:2 row_mask:0xf bank_mask:0xf
	v_mov_b32_dpp v4, v58 row_shr:2 row_mask:0xf bank_mask:0xf
	s_and_saveexec_b64 s[96:97], s[6:7]
; %bb.65:                               ;   in Loop: Header=BB19_56 Depth=2
	v_fmac_f32_e32 v58, v61, v4
	v_mul_f32_e32 v61, v61, v3
; %bb.66:                               ;   in Loop: Header=BB19_56 Depth=2
	s_or_b64 exec, exec, s[96:97]
	s_nop 0
	v_mov_b32_dpp v3, v61 row_shr:4 row_mask:0xf bank_mask:0xf
	v_mov_b32_dpp v4, v58 row_shr:4 row_mask:0xf bank_mask:0xf
	s_and_saveexec_b64 s[96:97], s[8:9]
; %bb.67:                               ;   in Loop: Header=BB19_56 Depth=2
	v_fmac_f32_e32 v58, v61, v4
	v_mul_f32_e32 v61, v61, v3
	;; [unrolled: 9-line block ×3, first 2 shown]
; %bb.70:                               ;   in Loop: Header=BB19_56 Depth=2
	s_or_b64 exec, exec, s[96:97]
	s_nop 0
	v_mov_b32_dpp v3, v61 row_bcast:15 row_mask:0xf bank_mask:0xf
	v_mov_b32_dpp v4, v58 row_bcast:15 row_mask:0xf bank_mask:0xf
	s_and_saveexec_b64 s[96:97], s[12:13]
; %bb.71:                               ;   in Loop: Header=BB19_56 Depth=2
	v_fmac_f32_e32 v58, v61, v4
	v_mul_f32_e32 v61, v61, v3
; %bb.72:                               ;   in Loop: Header=BB19_56 Depth=2
	s_or_b64 exec, exec, s[96:97]
	s_nop 0
	v_mov_b32_dpp v3, v61 row_bcast:31 row_mask:0xf bank_mask:0xf
	v_mov_b32_dpp v4, v58 row_bcast:31 row_mask:0xf bank_mask:0xf
	v_mov_b32_e32 v71, v58
	v_mul_f32_e32 v3, v61, v3
	v_fmac_f32_e32 v71, v61, v4
	v_cndmask_b32_e64 v70, v61, v3, s[14:15]
	v_cndmask_b32_e64 v71, v58, v71, s[14:15]
	s_and_saveexec_b64 s[96:97], s[16:17]
	s_cbranch_execz .LBB19_74
; %bb.73:                               ;   in Loop: Header=BB19_56 Depth=2
	ds_write_b64 v33, v[70:71] offset:4224
.LBB19_74:                              ;   in Loop: Header=BB19_56 Depth=2
	s_or_b64 exec, exec, s[96:97]
	scratch_load_dword v4, off, off offset:56 ; 4-byte Folded Reload
	s_waitcnt lgkmcnt(0)
	; wave barrier
	s_waitcnt vmcnt(0) lgkmcnt(0)
	ds_bpermute_b32 v3, v4, v70
	ds_bpermute_b32 v4, v4, v71
	s_and_saveexec_b64 s[96:97], s[18:19]
	s_cbranch_execz .LBB19_78
; %bb.75:                               ;   in Loop: Header=BB19_56 Depth=2
	ds_read_b64 v[70:71], v33 offset:4224
	s_and_saveexec_b64 s[98:99], s[20:21]
	s_cbranch_execz .LBB19_77
; %bb.76:                               ;   in Loop: Header=BB19_56 Depth=2
	v_mov_b32_e32 v61, v59
	ds_write_b64 v33, v[60:61] offset:4224
.LBB19_77:                              ;   in Loop: Header=BB19_56 Depth=2
	s_or_b64 exec, exec, s[98:99]
	s_waitcnt lgkmcnt(0)
	v_mul_f32_e32 v61, v70, v59
	v_pk_add_f32 v[58:59], v[60:61], v[70:71]
	v_mul_f32_e32 v60, v60, v70
.LBB19_78:                              ;   in Loop: Header=BB19_56 Depth=2
	s_or_b64 exec, exec, s[96:97]
	s_waitcnt lgkmcnt(0)
	; wave barrier
	s_waitcnt lgkmcnt(0)
	ds_read_b32 v58, v33 offset:4228
	s_and_saveexec_b64 s[96:97], s[20:21]
	s_cbranch_execz .LBB19_55
; %bb.79:                               ;   in Loop: Header=BB19_56 Depth=2
	v_mov_b32_e32 v61, v59
	v_mov_b32_e32 v70, s57
	s_andn2_b64 vcc, exec, s[88:89]
	ds_write_b64 v70, v[60:61]
	s_cbranch_vccnz .LBB19_55
; %bb.80:                               ;   in Loop: Header=BB19_56 Depth=2
	v_bfe_u32 v60, v59, 16, 1
	s_mov_b32 s95, s77
	v_add3_u32 v60, v59, v60, s0
	s_lshl_b64 s[98:99], s[94:95], 1
	v_lshrrev_b32_e32 v60, 16, v60
	v_cmp_o_f32_e32 vcc, v59, v59
	v_mov_b32_e32 v59, 0x7fc0
	s_add_u32 s98, s65, s98
	v_cndmask_b32_e32 v59, v59, v60, vcc
	s_addc_u32 s99, s69, s99
	global_store_short v33, v59, s[98:99]
	s_branch .LBB19_55
.LBB19_81:
	s_endpgm
	.section	.rodata,"a",@progbits
	.p2align	6, 0x0
	.amdhsa_kernel _Z25selective_scan_fwd_kernelI32Selective_Scan_fwd_kernel_traitsILi64ELi16ELi1ELb1ELb1ELb1ELb0ELb0EN3c108BFloat16EfS2_EEv13SSMParamsBase
		.amdhsa_group_segment_fixed_size 0
		.amdhsa_private_segment_fixed_size 208
		.amdhsa_kernarg_size 248
		.amdhsa_user_sgpr_count 2
		.amdhsa_user_sgpr_dispatch_ptr 0
		.amdhsa_user_sgpr_queue_ptr 0
		.amdhsa_user_sgpr_kernarg_segment_ptr 1
		.amdhsa_user_sgpr_dispatch_id 0
		.amdhsa_user_sgpr_kernarg_preload_length 0
		.amdhsa_user_sgpr_kernarg_preload_offset 0
		.amdhsa_user_sgpr_private_segment_size 0
		.amdhsa_uses_dynamic_stack 0
		.amdhsa_enable_private_segment 1
		.amdhsa_system_sgpr_workgroup_id_x 1
		.amdhsa_system_sgpr_workgroup_id_y 1
		.amdhsa_system_sgpr_workgroup_id_z 0
		.amdhsa_system_sgpr_workgroup_info 0
		.amdhsa_system_vgpr_workitem_id 0
		.amdhsa_next_free_vgpr 96
		.amdhsa_next_free_sgpr 100
		.amdhsa_accum_offset 96
		.amdhsa_reserve_vcc 1
		.amdhsa_float_round_mode_32 0
		.amdhsa_float_round_mode_16_64 0
		.amdhsa_float_denorm_mode_32 3
		.amdhsa_float_denorm_mode_16_64 3
		.amdhsa_dx10_clamp 1
		.amdhsa_ieee_mode 1
		.amdhsa_fp16_overflow 0
		.amdhsa_tg_split 0
		.amdhsa_exception_fp_ieee_invalid_op 0
		.amdhsa_exception_fp_denorm_src 0
		.amdhsa_exception_fp_ieee_div_zero 0
		.amdhsa_exception_fp_ieee_overflow 0
		.amdhsa_exception_fp_ieee_underflow 0
		.amdhsa_exception_fp_ieee_inexact 0
		.amdhsa_exception_int_div_zero 0
	.end_amdhsa_kernel
	.section	.text._Z25selective_scan_fwd_kernelI32Selective_Scan_fwd_kernel_traitsILi64ELi16ELi1ELb1ELb1ELb1ELb0ELb0EN3c108BFloat16EfS2_EEv13SSMParamsBase,"axG",@progbits,_Z25selective_scan_fwd_kernelI32Selective_Scan_fwd_kernel_traitsILi64ELi16ELi1ELb1ELb1ELb1ELb0ELb0EN3c108BFloat16EfS2_EEv13SSMParamsBase,comdat
.Lfunc_end19:
	.size	_Z25selective_scan_fwd_kernelI32Selective_Scan_fwd_kernel_traitsILi64ELi16ELi1ELb1ELb1ELb1ELb0ELb0EN3c108BFloat16EfS2_EEv13SSMParamsBase, .Lfunc_end19-_Z25selective_scan_fwd_kernelI32Selective_Scan_fwd_kernel_traitsILi64ELi16ELi1ELb1ELb1ELb1ELb0ELb0EN3c108BFloat16EfS2_EEv13SSMParamsBase
                                        ; -- End function
	.section	.AMDGPU.csdata,"",@progbits
; Kernel info:
; codeLenInByte = 18008
; NumSgprs: 106
; NumVgprs: 96
; NumAgprs: 0
; TotalNumVgprs: 96
; ScratchSize: 208
; MemoryBound: 1
; FloatMode: 240
; IeeeMode: 1
; LDSByteSize: 0 bytes/workgroup (compile time only)
; SGPRBlocks: 13
; VGPRBlocks: 11
; NumSGPRsForWavesPerEU: 106
; NumVGPRsForWavesPerEU: 96
; AccumOffset: 96
; Occupancy: 5
; WaveLimiterHint : 1
; COMPUTE_PGM_RSRC2:SCRATCH_EN: 1
; COMPUTE_PGM_RSRC2:USER_SGPR: 2
; COMPUTE_PGM_RSRC2:TRAP_HANDLER: 0
; COMPUTE_PGM_RSRC2:TGID_X_EN: 1
; COMPUTE_PGM_RSRC2:TGID_Y_EN: 1
; COMPUTE_PGM_RSRC2:TGID_Z_EN: 0
; COMPUTE_PGM_RSRC2:TIDIG_COMP_CNT: 0
; COMPUTE_PGM_RSRC3_GFX90A:ACCUM_OFFSET: 23
; COMPUTE_PGM_RSRC3_GFX90A:TG_SPLIT: 0
	.section	.text._Z25selective_scan_fwd_kernelI32Selective_Scan_fwd_kernel_traitsILi64ELi16ELi1ELb0ELb1ELb1ELb1ELb1EN3c108BFloat16EfS2_EEv13SSMParamsBase,"axG",@progbits,_Z25selective_scan_fwd_kernelI32Selective_Scan_fwd_kernel_traitsILi64ELi16ELi1ELb0ELb1ELb1ELb1ELb1EN3c108BFloat16EfS2_EEv13SSMParamsBase,comdat
	.protected	_Z25selective_scan_fwd_kernelI32Selective_Scan_fwd_kernel_traitsILi64ELi16ELi1ELb0ELb1ELb1ELb1ELb1EN3c108BFloat16EfS2_EEv13SSMParamsBase ; -- Begin function _Z25selective_scan_fwd_kernelI32Selective_Scan_fwd_kernel_traitsILi64ELi16ELi1ELb0ELb1ELb1ELb1ELb1EN3c108BFloat16EfS2_EEv13SSMParamsBase
	.globl	_Z25selective_scan_fwd_kernelI32Selective_Scan_fwd_kernel_traitsILi64ELi16ELi1ELb0ELb1ELb1ELb1ELb1EN3c108BFloat16EfS2_EEv13SSMParamsBase
	.p2align	8
	.type	_Z25selective_scan_fwd_kernelI32Selective_Scan_fwd_kernel_traitsILi64ELi16ELi1ELb0ELb1ELb1ELb1ELb1EN3c108BFloat16EfS2_EEv13SSMParamsBase,@function
_Z25selective_scan_fwd_kernelI32Selective_Scan_fwd_kernel_traitsILi64ELi16ELi1ELb0ELb1ELb1ELb1ELb1EN3c108BFloat16EfS2_EEv13SSMParamsBase: ; @_Z25selective_scan_fwd_kernelI32Selective_Scan_fwd_kernel_traitsILi64ELi16ELi1ELb0ELb1ELb1ELb1ELb1EN3c108BFloat16EfS2_EEv13SSMParamsBase
; %bb.0:
	s_load_dword s36, s[0:1], 0x18
	s_load_dwordx4 s[4:7], s[0:1], 0xe8
	s_load_dwordx8 s[20:27], s[0:1], 0xc8
	s_mov_b32 s34, s3
	s_ashr_i32 s3, s2, 31
	s_lshl_b64 s[8:9], s[2:3], 2
	s_waitcnt lgkmcnt(0)
	s_abs_i32 s33, s36
	v_cvt_f32_u32_e32 v1, s33
	s_add_u32 s28, s26, s8
	s_addc_u32 s29, s27, s9
	s_cmp_eq_u64 s[6:7], 0
	v_rcp_iflag_f32_e32 v1, v1
                                        ; implicit-def: $vgpr95 : SGPR spill to VGPR lane
	s_nop 0
	v_mul_f32_e32 v1, 0x4f7ffffe, v1
	v_cvt_u32_f32_e32 v1, v1
	s_nop 0
	v_readfirstlane_b32 s37, v1
	s_cbranch_scc1 .LBB20_2
; %bb.1:
	s_add_u32 s6, s6, s2
	s_addc_u32 s7, s7, s3
	v_mov_b32_e32 v1, 0
	global_load_ubyte v1, v1, s[6:7]
	s_waitcnt vmcnt(0)
	v_and_b32_e32 v1, 1, v1
	v_cmp_eq_u32_e64 s[6:7], 1, v1
	s_branch .LBB20_3
.LBB20_2:
	s_mov_b64 s[6:7], 0
.LBB20_3:
	s_nop 0
	v_writelane_b32 v95, s6, 0
	s_cmp_eq_u64 s[4:5], 0
	s_nop 0
	v_writelane_b32 v95, s7, 1
	s_load_dwordx2 s[6:7], s[0:1], 0x20
	s_cbranch_scc1 .LBB20_5
; %bb.4:
	s_add_u32 s2, s4, s8
	s_addc_u32 s3, s5, s9
	s_load_dword s2, s[2:3], 0x0
	s_waitcnt lgkmcnt(0)
	s_ashr_i32 s3, s2, 31
.LBB20_5:
	s_waitcnt lgkmcnt(0)
	s_cmp_eq_u64 s[6:7], s[2:3]
	s_cbranch_scc1 .LBB20_298
; %bb.6:
	s_load_dwordx16 s[4:19], s[0:1], 0x88
	s_load_dwordx2 s[26:27], s[28:29], 0x0
	s_mov_b32 s3, 0
	v_writelane_b32 v95, s3, 2
	v_writelane_b32 v95, s3, 3
	s_waitcnt lgkmcnt(0)
	s_cmp_eq_u64 s[10:11], 0
	s_cbranch_scc1 .LBB20_8
; %bb.7:
	s_ashr_i32 s35, s34, 31
	s_lshl_b64 s[28:29], s[34:35], 2
	s_add_u32 s10, s10, s28
	s_addc_u32 s11, s11, s29
	s_load_dword s3, s[10:11], 0x0
	s_waitcnt lgkmcnt(0)
	v_writelane_b32 v95, s3, 3
.LBB20_8:
	s_cmp_eq_u64 s[16:17], 0
	s_cbranch_scc1 .LBB20_10
; %bb.9:
	s_ashr_i32 s35, s34, 31
	s_lshl_b64 s[10:11], s[34:35], 2
	s_add_u32 s10, s16, s10
	s_addc_u32 s11, s17, s11
	s_load_dword s3, s[10:11], 0x0
	s_waitcnt lgkmcnt(0)
	v_writelane_b32 v95, s3, 2
.LBB20_10:
	s_sub_i32 s35, s27, s26
	s_cmp_lt_i32 s35, 1
	s_cbranch_scc1 .LBB20_298
; %bb.11:
	v_mbcnt_lo_u32_b32 v1, -1, 0
	v_mbcnt_hi_u32_b32 v20, -1, v1
	s_sub_i32 s3, 0, s33
	v_lshrrev_b32_e32 v1, 5, v20
	s_mul_i32 s3, s3, s37
	v_and_b32_e32 v1, 2, v1
	s_mul_hi_u32 s3, s37, s3
	v_add_u32_e32 v1, v1, v20
	s_abs_i32 s16, s34
	s_add_i32 s37, s37, s3
	v_add_u32_e32 v2, 64, v20
	v_lshl_add_u32 v1, v1, 1, 0
	s_load_dwordx8 s[40:47], s[0:1], 0x2c
	s_load_dwordx2 s[10:11], s[0:1], 0x7c
	s_load_dwordx4 s[28:31], s[0:1], 0x6c
	s_load_dwordx8 s[48:55], s[0:1], 0x4c
	s_mul_hi_u32 s3, s16, s37
	s_load_dword s37, s[0:1], 0xc
	s_load_dword s17, s[0:1], 0x28
	scratch_store_dword off, v1, off        ; 4-byte Folded Spill
	scratch_store_dword off, v2, off offset:184 ; 4-byte Folded Spill
	v_lshrrev_b32_e32 v1, 5, v2
	v_and_b32_e32 v1, 6, v1
	v_add_lshl_u32 v1, v1, v20, 1
	v_or_b32_e32 v3, 0x80, v20
	v_add_u32_e32 v2, 0, v1
	scratch_store_dword off, v2, off offset:8 ; 4-byte Folded Spill
	scratch_store_dword off, v3, off offset:188 ; 4-byte Folded Spill
	v_lshrrev_b32_e32 v2, 5, v3
	v_and_b32_e32 v2, 6, v2
	s_load_dword s97, s[0:1], 0x84
	s_ashr_i32 s0, s34, 31
	s_ashr_i32 s1, s36, 31
	v_add_lshl_u32 v2, v2, v20, 1
	s_xor_b32 s0, s0, s1
	s_mul_i32 s1, s3, s33
	v_add_u32_e32 v4, 0xc0, v20
	v_add_u32_e32 v3, 0, v2
	s_sub_i32 s1, s16, s1
	scratch_store_dword off, v3, off offset:12 ; 4-byte Folded Spill
	scratch_store_dword off, v4, off offset:192 ; 4-byte Folded Spill
	v_lshrrev_b32_e32 v3, 5, v4
	s_add_i32 s16, s3, 1
	s_sub_i32 s27, s1, s33
	v_and_b32_e32 v3, 14, v3
	s_cmp_ge_u32 s1, s33
	v_add_lshl_u32 v3, v3, v20, 1
	s_cselect_b32 s3, s16, s3
	v_or_b32_e32 v5, 0x100, v20
	v_add_u32_e32 v4, 0, v3
	s_cselect_b32 s1, s27, s1
	s_add_i32 s16, s3, 1
	scratch_store_dword off, v4, off offset:16 ; 4-byte Folded Spill
	scratch_store_dword off, v5, off offset:196 ; 4-byte Folded Spill
	v_lshrrev_b32_e32 v4, 5, v5
	s_cmp_ge_u32 s1, s33
	v_and_b32_e32 v4, 10, v4
	s_cselect_b32 s1, s16, s3
	v_add_lshl_u32 v4, v4, v20, 1
	s_xor_b32 s1, s1, s0
	s_waitcnt lgkmcnt(0)
	s_mul_i32 s98, s26, s50
	s_mov_b32 s99, 0
	v_add_u32_e32 v6, 0x140, v20
	v_add_u32_e32 v5, 0, v4
	s_sub_i32 s3, s1, s0
	s_lshl_b64 s[0:1], s[98:99], 1
	scratch_store_dword off, v5, off offset:20 ; 4-byte Folded Spill
	scratch_store_dword off, v6, off offset:200 ; 4-byte Folded Spill
	v_lshrrev_b32_e32 v5, 5, v6
	s_add_u32 s12, s12, s0
	s_mul_i32 s98, s51, s34
	v_and_b32_e32 v5, 14, v5
	s_addc_u32 s13, s13, s1
	s_lshl_b64 s[0:1], s[98:99], 1
	v_add_lshl_u32 v5, v5, v20, 1
	s_add_u32 s38, s12, s0
	s_mul_i32 s98, s26, s52
	v_or_b32_e32 v7, 0x180, v20
	v_add_u32_e32 v6, 0, v5
	s_addc_u32 s39, s13, s1
	s_lshl_b64 s[0:1], s[98:99], 1
	scratch_store_dword off, v6, off offset:24 ; 4-byte Folded Spill
	scratch_store_dword off, v7, off offset:204 ; 4-byte Folded Spill
	v_lshrrev_b32_e32 v6, 5, v7
	s_add_u32 s12, s14, s0
	s_mul_i32 s98, s53, s34
	v_and_b32_e32 v6, 14, v6
	s_addc_u32 s13, s15, s1
	s_lshl_b64 s[0:1], s[98:99], 1
	v_add_lshl_u32 v6, v6, v20, 1
	s_add_u32 s0, s12, s0
	v_add_u32_e32 v8, 0x1c0, v20
	v_add_u32_e32 v7, 0, v6
	s_addc_u32 s1, s13, s1
	scratch_store_dword off, v7, off offset:28 ; 4-byte Folded Spill
	scratch_store_dword off, v8, off offset:208 ; 4-byte Folded Spill
	v_lshrrev_b32_e32 v7, 5, v8
	v_writelane_b32 v95, s0, 4
	s_mul_i32 s98, s40, s34
	v_and_b32_e32 v7, 30, v7
	v_writelane_b32 v95, s1, 5
	s_lshl_b64 s[0:1], s[98:99], 2
	v_add_lshl_u32 v7, v7, v20, 1
	s_add_u32 s0, s4, s0
	v_or_b32_e32 v9, 0x200, v20
	v_add_u32_e32 v8, 0, v7
	v_writelane_b32 v95, s0, 6
	s_addc_u32 s0, s5, s1
	s_mul_i32 s98, s26, s42
	scratch_store_dword off, v8, off offset:32 ; 4-byte Folded Spill
	scratch_store_dword off, v9, off offset:212 ; 4-byte Folded Spill
	v_lshrrev_b32_e32 v8, 5, v9
	v_writelane_b32 v95, s0, 7
	s_lshl_b64 s[0:1], s[98:99], 1
	v_and_b32_e32 v8, 18, v8
	s_add_u32 s4, s6, s0
	s_mul_i32 s98, s3, s45
	v_add_lshl_u32 v8, v8, v20, 1
	s_addc_u32 s5, s7, s1
	s_lshl_b64 s[0:1], s[98:99], 1
	v_add_u32_e32 v10, 0x240, v20
	v_add_u32_e32 v9, 0, v8
	s_add_u32 s0, s4, s0
	scratch_store_dword off, v9, off offset:36 ; 4-byte Folded Spill
	scratch_store_dword off, v10, off offset:216 ; 4-byte Folded Spill
	v_lshrrev_b32_e32 v9, 5, v10
	s_addc_u32 s1, s5, s1
	v_and_b32_e32 v9, 22, v9
	v_writelane_b32 v95, s0, 8
	v_add_lshl_u32 v9, v9, v20, 1
	v_or_b32_e32 v11, 0x280, v20
	v_writelane_b32 v95, s1, 9
	v_add_u32_e32 v10, 0, v9
	v_writelane_b32 v95, s40, 10
	scratch_store_dword off, v10, off offset:40 ; 4-byte Folded Spill
	scratch_store_dword off, v11, off offset:220 ; 4-byte Folded Spill
	v_lshrrev_b32_e32 v10, 5, v11
	v_writelane_b32 v95, s41, 11
	v_and_b32_e32 v10, 22, v10
	v_writelane_b32 v95, s42, 12
	s_mul_i32 s98, s26, s46
	v_add_lshl_u32 v10, v10, v20, 1
	v_writelane_b32 v95, s43, 13
	s_lshl_b64 s[0:1], s[98:99], 1
	v_add_u32_e32 v12, 0x2c0, v20
	v_add_u32_e32 v11, 0, v10
	v_writelane_b32 v95, s44, 14
	s_add_u32 s4, s8, s0
	s_mul_i32 s98, s3, s49
	scratch_store_dword off, v11, off offset:44 ; 4-byte Folded Spill
	scratch_store_dword off, v12, off offset:224 ; 4-byte Folded Spill
	v_lshrrev_b32_e32 v11, 5, v12
	v_writelane_b32 v95, s45, 15
	s_addc_u32 s5, s9, s1
	s_lshl_b64 s[0:1], s[98:99], 1
	v_and_b32_e32 v11, 30, v11
	v_writelane_b32 v95, s46, 16
	s_add_u32 s0, s4, s0
	v_add_lshl_u32 v11, v11, v20, 1
	v_writelane_b32 v95, s47, 17
	s_addc_u32 s1, s5, s1
	v_or_b32_e32 v13, 0x300, v20
	v_add_u32_e32 v12, 0, v11
	v_writelane_b32 v95, s0, 18
	s_mul_i32 s98, s2, s10
	scratch_store_dword off, v12, off offset:48 ; 4-byte Folded Spill
	scratch_store_dword off, v13, off offset:228 ; 4-byte Folded Spill
	v_lshrrev_b32_e32 v12, 5, v13
	v_writelane_b32 v95, s1, 19
	s_lshl_b64 s[0:1], s[98:99], 1
	v_and_b32_e32 v12, 26, v12
	s_add_u32 s2, s20, s0
	s_mul_i32 s98, s11, s34
	v_add_lshl_u32 v12, v12, v20, 1
	s_addc_u32 s3, s21, s1
	s_lshl_b64 s[0:1], s[98:99], 1
	v_add_u32_e32 v14, 0x340, v20
	v_add_u32_e32 v13, 0, v12
	s_add_u32 s0, s2, s0
	scratch_store_dword off, v13, off offset:52 ; 4-byte Folded Spill
	scratch_store_dword off, v14, off offset:232 ; 4-byte Folded Spill
	v_lshrrev_b32_e32 v13, 5, v14
	v_writelane_b32 v95, s0, 20
	s_addc_u32 s0, s3, s1
	v_and_b32_e32 v13, 30, v13
	v_writelane_b32 v95, s0, 21
	s_add_i32 s0, s35, 0x7ff
	v_add_lshl_u32 v13, v13, v20, 1
	s_lshr_b32 s1, s0, 11
	v_or_b32_e32 v15, 0x380, v20
	v_add_u32_e32 v14, 0, v13
	scratch_store_dword off, v14, off offset:56 ; 4-byte Folded Spill
	scratch_store_dword off, v15, off offset:236 ; 4-byte Folded Spill
	v_lshrrev_b32_e32 v14, 5, v15
	s_bitcmp1_b32 s17, 0
	v_and_b32_e32 v14, 30, v14
	s_cselect_b64 s[6:7], -1, 0
	s_cmp_gt_i32 s37, 0
	v_add_lshl_u32 v14, v14, v20, 1
	s_cselect_b64 s[2:3], -1, 0
	s_add_i32 s0, 0, 0x840
	v_add_u32_e32 v15, 0, v14
	v_add_u32_e32 v1, s0, v1
	v_add_u32_e32 v16, 0x3c0, v20
	scratch_store_dword off, v15, off offset:60 ; 4-byte Folded Spill
	scratch_store_dword off, v16, off offset:240 ; 4-byte Folded Spill
	;; [unrolled: 1-line block ×3, first 2 shown]
	v_add_u32_e32 v1, s0, v2
	scratch_store_dword off, v1, off offset:104 ; 4-byte Folded Spill
	v_add_u32_e32 v1, s0, v3
	scratch_store_dword off, v1, off offset:108 ; 4-byte Folded Spill
	;; [unrolled: 2-line block ×7, first 2 shown]
	v_add_u32_e32 v1, s0, v9
	v_lshrrev_b32_e32 v15, 5, v16
	scratch_store_dword off, v1, off offset:132 ; 4-byte Folded Spill
	v_add_u32_e32 v1, s0, v10
	v_and_b32_e32 v15, 62, v15
	scratch_store_dword off, v1, off offset:136 ; 4-byte Folded Spill
	v_add_u32_e32 v1, s0, v11
	v_add_lshl_u32 v15, v15, v20, 1
	scratch_store_dword off, v1, off offset:140 ; 4-byte Folded Spill
	v_add_u32_e32 v1, s0, v12
	v_add_u32_e32 v16, 0, v15
	v_lshrrev_b32_e32 v18, 1, v20
	scratch_store_dword off, v1, off offset:144 ; 4-byte Folded Spill
	v_add_u32_e32 v1, s0, v13
	scratch_store_dword off, v16, off offset:64 ; 4-byte Folded Spill
	v_lshlrev_b32_e32 v16, 4, v20
	v_and_b32_e32 v18, 62, v18
	scratch_store_dword off, v1, off offset:148 ; 4-byte Folded Spill
	v_add_u32_e32 v1, s0, v14
	v_add_lshl_u32 v16, v18, v16, 1
	v_writelane_b32 v95, s37, 22
	scratch_store_dword off, v1, off offset:152 ; 4-byte Folded Spill
	v_add_u32_e32 v1, s0, v15
	v_writelane_b32 v95, s2, 23
	scratch_store_dword off, v1, off offset:156 ; 4-byte Folded Spill
	v_add_u32_e32 v1, s0, v16
	s_and_b32 s0, s35, 0x3ff
	v_writelane_b32 v95, s3, 24
	s_cmp_eq_u32 s0, 0
	v_writelane_b32 v95, s35, 25
	s_cselect_b64 s[2:3], -1, 0
	v_writelane_b32 v95, s2, 26
	s_add_i32 s0, s1, -1
	s_mul_i32 s98, s26, s28
	v_writelane_b32 v95, s3, 27
	v_writelane_b32 v95, s1, 28
	v_writelane_b32 v95, s0, 29
	s_lshl_b64 s[0:1], s[98:99], 1
	scratch_store_dword off, v1, off offset:160 ; 4-byte Folded Spill
	v_and_b32_e32 v1, 15, v20
	s_add_u32 s4, s18, s0
	s_addc_u32 s5, s19, s1
	v_cmp_ne_u32_e64 s[0:1], 0, v1
	v_cmp_lt_u32_e64 s[2:3], 3, v1
	s_mul_i32 s98, s29, s34
	v_writelane_b32 v95, s0, 30
	v_and_b32_e32 v2, 64, v20
	v_lshlrev_b32_e32 v19, 4, v0
	v_writelane_b32 v95, s1, 31
	v_cmp_lt_u32_e64 s[0:1], 1, v1
	v_cmp_eq_u32_e64 s[16:17], 0, v0
	v_add_u32_e32 v18, 0, v16
	v_writelane_b32 v95, s0, 32
	v_mov_b32_e32 v17, 0
	scratch_store_dword off, v18, off offset:4 ; 4-byte Folded Spill
	v_writelane_b32 v95, s1, 33
	v_cmp_lt_u32_e64 s[0:1], 7, v1
	v_and_b32_e32 v1, 16, v20
	v_lshlrev_b32_e32 v16, 1, v20
	v_writelane_b32 v95, s0, 34
	v_cmp_lt_u32_e64 s[12:13], 31, v20
	s_mov_b32 s8, 0xc2ce8ed0
	v_writelane_b32 v95, s1, 35
	v_cmp_ne_u32_e64 s[0:1], 0, v1
	v_add_u32_e32 v1, -1, v20
	v_cmp_lt_i32_e32 vcc, v1, v2
	v_writelane_b32 v95, s0, 36
	s_mov_b32 s9, 0x42b17218
	v_cndmask_b32_e32 v1, v1, v20, vcc
	v_writelane_b32 v95, s1, 37
	s_lshl_b64 s[0:1], s[98:99], 1
	s_add_u32 s0, s4, s0
	s_mul_i32 s98, s26, s54
	s_addc_u32 s1, s5, s1
	s_lshl_b64 s[4:5], s[98:99], 1
	s_add_u32 s14, s22, s4
	v_writelane_b32 v95, s48, 38
	s_mul_i32 s98, s55, s34
	s_addc_u32 s15, s23, s5
	s_lshl_b64 s[4:5], s[98:99], 1
	s_add_u32 s18, s14, s4
	s_mul_i32 s98, s26, s30
	s_addc_u32 s19, s15, s5
	s_lshl_b64 s[14:15], s[98:99], 1
	s_add_u32 s22, s24, s14
	v_cmp_eq_u32_e64 s[4:5], 63, v0
	v_lshlrev_b32_e32 v1, 2, v1
	s_addc_u32 s23, s25, s15
	v_cmp_gt_u32_e64 s[14:15], 64, v0
	v_mov_b32_e32 v0, v20
	scratch_store_dwordx2 off, v[0:1], off offset:176 ; 8-byte Folded Spill
	v_or_b32_e32 v0, 1, v19
	scratch_store_dword off, v0, off offset:272 ; 4-byte Folded Spill
	v_or_b32_e32 v0, 2, v19
	scratch_store_dword off, v0, off offset:276 ; 4-byte Folded Spill
	;; [unrolled: 2-line block ×6, first 2 shown]
                                        ; implicit-def: $vgpr0
	v_writelane_b32 v95, s49, 39
	v_or_b32_e32 v0, 7, v19
	v_writelane_b32 v95, s50, 40
	scratch_store_dword off, v0, off offset:296 ; 4-byte Folded Spill
	v_or_b32_e32 v0, 8, v19
	v_writelane_b32 v95, s51, 41
	scratch_store_dword off, v0, off offset:300 ; 4-byte Folded Spill
	;; [unrolled: 3-line block ×4, first 2 shown]
	v_or_b32_e32 v0, 11, v19
	v_writelane_b32 v95, s54, 44
	s_mul_i32 s98, s31, s34
	scratch_store_dword off, v0, off offset:312 ; 4-byte Folded Spill
	v_or_b32_e32 v0, 12, v19
	v_writelane_b32 v95, s55, 45
	s_lshl_b64 s[20:21], s[98:99], 1
	scratch_store_dword off, v0, off offset:316 ; 4-byte Folded Spill
	v_or_b32_e32 v0, 13, v19
	v_writelane_b32 v95, s4, 46
	s_add_u32 s20, s22, s20
	scratch_store_dword off, v0, off offset:320 ; 4-byte Folded Spill
	v_or_b32_e32 v0, 14, v19
	v_writelane_b32 v95, s5, 47
	scratch_store_dword off, v1, off offset:164 ; 4-byte Folded Spill
	s_addc_u32 s21, s23, s21
	s_add_i32 s22, 0, 0x1088
	scratch_store_dword off, v0, off offset:324 ; 4-byte Folded Spill
	scratch_store_dword off, v19, off offset:268 ; 4-byte Folded Spill
	v_or_b32_e32 v0, 15, v19
	v_writelane_b32 v95, s22, 48
	scratch_store_dword off, v0, off offset:328 ; 4-byte Folded Spill
	v_lshl_add_u64 v[0:1], s[0:1], 0, v[16:17]
	scratch_store_dwordx2 off, v[0:1], off offset:244 ; 8-byte Folded Spill
	v_lshl_add_u64 v[0:1], s[18:19], 0, v[16:17]
	v_writelane_b32 v95, s97, 49
	scratch_store_dwordx2 off, v[0:1], off offset:252 ; 8-byte Folded Spill
	v_lshl_add_u64 v[0:1], s[20:21], 0, v[16:17]
	v_writelane_b32 v95, s6, 50
	s_mov_b32 s4, 0x41a00000
	s_mov_b32 s5, 0x3fb8aa3b
	;; [unrolled: 1-line block ×7, first 2 shown]
	v_mov_b32_e32 v39, 0x7f800000
	v_mov_b32_e32 v22, 0x42800000
	;; [unrolled: 1-line block ×3, first 2 shown]
	s_mov_b32 s1, 0
	scratch_store_dwordx2 off, v[0:1], off offset:260 ; 8-byte Folded Spill
	v_mov_b32_e32 v0, 0x3f317218
	v_writelane_b32 v95, s7, 51
	scratch_store_dwordx2 off, v[0:1], off offset:168 ; 8-byte Folded Spill
	s_branch .LBB20_13
.LBB20_12:                              ;   in Loop: Header=BB20_13 Depth=1
	s_or_b64 exec, exec, s[18:19]
	v_readlane_b32 s0, v95, 4
	v_readlane_b32 s1, v95, 5
	s_add_u32 s0, s0, 0x800
	s_addc_u32 s1, s1, 0
	v_writelane_b32 v95, s0, 4
	s_nop 1
	v_writelane_b32 v95, s1, 5
	s_nop 0
	v_readlane_b32 s38, v95, 55
	v_readlane_b32 s39, v95, 56
	s_add_u32 s38, s38, 0x800
	s_addc_u32 s39, s39, 0
	v_readlane_b32 s0, v95, 8
	v_readlane_b32 s1, v95, 9
	s_add_u32 s0, s0, 0x800
	s_addc_u32 s1, s1, 0
	v_writelane_b32 v95, s0, 8
	s_nop 1
	v_writelane_b32 v95, s1, 9
	s_nop 0
	v_readlane_b32 s0, v95, 18
	v_readlane_b32 s1, v95, 19
	s_add_u32 s0, s0, 0x800
	s_addc_u32 s1, s1, 0
	v_writelane_b32 v95, s0, 18
	s_nop 1
	v_writelane_b32 v95, s1, 19
	s_nop 0
	v_readlane_b32 s1, v95, 52
	s_add_i32 s1, s1, 1
	v_readlane_b32 s0, v95, 28
	s_cmp_lg_u32 s1, s0
	s_cbranch_scc0 .LBB20_298
.LBB20_13:                              ; =>This Loop Header: Depth=1
                                        ;     Child Loop BB20_110 Depth 2
	s_waitcnt lgkmcnt(0)
	; wave barrier
	s_waitcnt vmcnt(63) expcnt(7) lgkmcnt(15)
	scratch_load_dwordx2 v[0:1], off, off offset:176 ; 8-byte Folded Reload
	s_lshl_b32 s20, s1, 10
	v_writelane_b32 v95, s1, 52
	s_mov_b32 s18, s20
	v_readlane_b32 s0, v95, 25
	v_writelane_b32 v95, s18, 53
	s_sub_i32 s82, s0, s20
	s_waitcnt vmcnt(0) lgkmcnt(0)
	v_mov_b32_e32 v2, v0
	v_writelane_b32 v95, s19, 54
	v_lshlrev_b32_e32 v16, 1, v2
	v_writelane_b32 v95, s38, 55
	v_cmp_gt_u32_e64 s[18:19], s82, v2
	v_mov_b32_e32 v2, 0
	v_writelane_b32 v95, s39, 56
	v_lshl_add_u64 v[0:1], s[38:39], 0, v[16:17]
	s_and_saveexec_b64 s[20:21], s[18:19]
	s_cbranch_execz .LBB20_15
; %bb.14:                               ;   in Loop: Header=BB20_13 Depth=1
	global_load_ushort v2, v[0:1], off
.LBB20_15:                              ;   in Loop: Header=BB20_13 Depth=1
	s_or_b64 exec, exec, s[20:21]
	scratch_load_dword v3, off, off offset:184 ; 4-byte Folded Reload
	v_mov_b32_e32 v4, 0
	s_waitcnt vmcnt(0)
	v_cmp_gt_u32_e64 s[20:21], s82, v3
	v_mov_b32_e32 v3, 0
	s_and_saveexec_b64 s[22:23], s[20:21]
	s_cbranch_execz .LBB20_17
; %bb.16:                               ;   in Loop: Header=BB20_13 Depth=1
	global_load_ushort v4, v[0:1], off offset:128
.LBB20_17:                              ;   in Loop: Header=BB20_13 Depth=1
	s_or_b64 exec, exec, s[22:23]
	scratch_load_dword v5, off, off offset:188 ; 4-byte Folded Reload
	s_waitcnt vmcnt(0)
	v_cmp_gt_u32_e64 s[22:23], s82, v5
	s_and_saveexec_b64 s[24:25], s[22:23]
	s_cbranch_execz .LBB20_19
; %bb.18:                               ;   in Loop: Header=BB20_13 Depth=1
	global_load_ushort v3, v[0:1], off offset:256
.LBB20_19:                              ;   in Loop: Header=BB20_13 Depth=1
	s_or_b64 exec, exec, s[24:25]
	scratch_load_dword v5, off, off offset:192 ; 4-byte Folded Reload
	v_mov_b32_e32 v6, 0
	s_waitcnt vmcnt(0)
	v_cmp_gt_u32_e64 s[24:25], s82, v5
	v_mov_b32_e32 v5, 0
	s_and_saveexec_b64 s[26:27], s[24:25]
	s_cbranch_execz .LBB20_21
; %bb.20:                               ;   in Loop: Header=BB20_13 Depth=1
	global_load_ushort v6, v[0:1], off offset:384
.LBB20_21:                              ;   in Loop: Header=BB20_13 Depth=1
	s_or_b64 exec, exec, s[26:27]
	scratch_load_dword v7, off, off offset:196 ; 4-byte Folded Reload
	s_waitcnt vmcnt(0)
	v_cmp_gt_u32_e64 s[26:27], s82, v7
	s_and_saveexec_b64 s[28:29], s[26:27]
	s_cbranch_execz .LBB20_23
; %bb.22:                               ;   in Loop: Header=BB20_13 Depth=1
	global_load_ushort v5, v[0:1], off offset:512
.LBB20_23:                              ;   in Loop: Header=BB20_13 Depth=1
	;; [unrolled: 20-line block ×4, first 2 shown]
	s_or_b64 exec, exec, s[38:39]
	scratch_load_dword v10, off, off offset:216 ; 4-byte Folded Reload
	v_mov_b32_e32 v12, 0
	v_mov_b32_e32 v13, 0
	s_waitcnt vmcnt(0)
	v_cmp_gt_u32_e64 s[38:39], s82, v10
	s_and_saveexec_b64 s[40:41], s[38:39]
	s_cbranch_execz .LBB20_33
; %bb.32:                               ;   in Loop: Header=BB20_13 Depth=1
	global_load_ushort v13, v[0:1], off offset:1152
.LBB20_33:                              ;   in Loop: Header=BB20_13 Depth=1
	s_or_b64 exec, exec, s[40:41]
	scratch_load_dword v10, off, off offset:220 ; 4-byte Folded Reload
	s_waitcnt vmcnt(0)
	v_cmp_gt_u32_e64 s[40:41], s82, v10
	s_and_saveexec_b64 s[42:43], s[40:41]
	s_cbranch_execz .LBB20_35
; %bb.34:                               ;   in Loop: Header=BB20_13 Depth=1
	global_load_ushort v12, v[0:1], off offset:1280
.LBB20_35:                              ;   in Loop: Header=BB20_13 Depth=1
	s_or_b64 exec, exec, s[42:43]
	scratch_load_dword v10, off, off offset:224 ; 4-byte Folded Reload
	v_mov_b32_e32 v14, 0
	v_mov_b32_e32 v15, 0
	s_waitcnt vmcnt(0)
	v_cmp_gt_u32_e64 s[42:43], s82, v10
	s_and_saveexec_b64 s[44:45], s[42:43]
	s_cbranch_execz .LBB20_37
; %bb.36:                               ;   in Loop: Header=BB20_13 Depth=1
	global_load_ushort v15, v[0:1], off offset:1408
.LBB20_37:                              ;   in Loop: Header=BB20_13 Depth=1
	s_or_b64 exec, exec, s[44:45]
	scratch_load_dword v10, off, off offset:228 ; 4-byte Folded Reload
	s_waitcnt vmcnt(0)
	v_cmp_gt_u32_e64 s[44:45], s82, v10
	s_and_saveexec_b64 s[46:47], s[44:45]
	s_cbranch_execz .LBB20_39
; %bb.38:                               ;   in Loop: Header=BB20_13 Depth=1
	global_load_ushort v14, v[0:1], off offset:1536
.LBB20_39:                              ;   in Loop: Header=BB20_13 Depth=1
	;; [unrolled: 20-line block ×3, first 2 shown]
	s_or_b64 exec, exec, s[50:51]
	scratch_load_dword v10, off, off offset:240 ; 4-byte Folded Reload
	v_mov_b32_e32 v20, 0
	s_waitcnt vmcnt(0)
	v_cmp_gt_u32_e64 s[50:51], s82, v10
	v_mov_b32_e32 v10, 0
	s_and_saveexec_b64 s[52:53], s[50:51]
	s_cbranch_execz .LBB20_45
; %bb.44:                               ;   in Loop: Header=BB20_13 Depth=1
	global_load_ushort v20, v[0:1], off offset:1920
.LBB20_45:                              ;   in Loop: Header=BB20_13 Depth=1
	s_or_b64 exec, exec, s[52:53]
	scratch_load_dword v0, off, off         ; 4-byte Folded Reload
	v_readlane_b32 s0, v95, 4
	v_readlane_b32 s1, v95, 5
	s_waitcnt vmcnt(0)
	ds_write_b16 v0, v2
	scratch_load_dword v0, off, off offset:8 ; 4-byte Folded Reload
	s_waitcnt vmcnt(0)
	ds_write_b16 v0, v4 offset:128
	scratch_load_dword v0, off, off offset:12 ; 4-byte Folded Reload
	s_waitcnt vmcnt(0)
	ds_write_b16 v0, v3 offset:256
	;; [unrolled: 3-line block ×8, first 2 shown]
	scratch_load_dword v0, off, off offset:40 ; 4-byte Folded Reload
	v_lshl_add_u64 v[8:9], s[0:1], 0, v[16:17]
	s_waitcnt vmcnt(0)
	ds_write_b16 v0, v13 offset:1152
	scratch_load_dword v0, off, off offset:44 ; 4-byte Folded Reload
	s_waitcnt vmcnt(0)
	ds_write_b16 v0, v12 offset:1280
	scratch_load_dword v0, off, off offset:48 ; 4-byte Folded Reload
	;; [unrolled: 3-line block ×6, first 2 shown]
	s_waitcnt vmcnt(0)
	ds_write_b16 v0, v20 offset:1920
	; wave barrier
	scratch_load_dword v4, off, off offset:4 ; 4-byte Folded Reload
	s_waitcnt vmcnt(0)
	ds_read_b128 v[0:3], v4
	ds_read_b128 v[4:7], v4 offset:16
	s_waitcnt lgkmcnt(0)
	; wave barrier
	s_waitcnt lgkmcnt(0)
	s_and_saveexec_b64 s[52:53], s[18:19]
	s_cbranch_execz .LBB20_47
; %bb.46:                               ;   in Loop: Header=BB20_13 Depth=1
	global_load_ushort v10, v[8:9], off
.LBB20_47:                              ;   in Loop: Header=BB20_13 Depth=1
	s_or_b64 exec, exec, s[52:53]
	v_mov_b32_e32 v11, 0
	v_mov_b32_e32 v12, 0
	s_and_saveexec_b64 s[52:53], s[20:21]
	s_cbranch_execz .LBB20_49
; %bb.48:                               ;   in Loop: Header=BB20_13 Depth=1
	global_load_ushort v12, v[8:9], off offset:128
.LBB20_49:                              ;   in Loop: Header=BB20_13 Depth=1
	s_or_b64 exec, exec, s[52:53]
	s_and_saveexec_b64 s[52:53], s[22:23]
	s_cbranch_execz .LBB20_51
; %bb.50:                               ;   in Loop: Header=BB20_13 Depth=1
	global_load_ushort v11, v[8:9], off offset:256
.LBB20_51:                              ;   in Loop: Header=BB20_13 Depth=1
	s_or_b64 exec, exec, s[52:53]
	v_mov_b32_e32 v13, 0
	v_mov_b32_e32 v14, 0
	s_and_saveexec_b64 s[52:53], s[24:25]
	s_cbranch_execz .LBB20_53
; %bb.52:                               ;   in Loop: Header=BB20_13 Depth=1
	global_load_ushort v14, v[8:9], off offset:384
.LBB20_53:                              ;   in Loop: Header=BB20_13 Depth=1
	s_or_b64 exec, exec, s[52:53]
	s_and_saveexec_b64 s[52:53], s[26:27]
	s_cbranch_execz .LBB20_55
; %bb.54:                               ;   in Loop: Header=BB20_13 Depth=1
	global_load_ushort v13, v[8:9], off offset:512
.LBB20_55:                              ;   in Loop: Header=BB20_13 Depth=1
	;; [unrolled: 14-line block ×6, first 2 shown]
	s_or_b64 exec, exec, s[52:53]
	v_mov_b32_e32 v27, 0
	v_mov_b32_e32 v28, 0
	s_and_saveexec_b64 s[52:53], s[46:47]
	s_cbranch_execnz .LBB20_267
; %bb.72:                               ;   in Loop: Header=BB20_13 Depth=1
	s_or_b64 exec, exec, s[52:53]
	s_and_saveexec_b64 s[52:53], s[48:49]
	s_cbranch_execnz .LBB20_268
.LBB20_73:                              ;   in Loop: Header=BB20_13 Depth=1
	s_or_b64 exec, exec, s[52:53]
	v_mov_b32_e32 v29, 0
	s_and_saveexec_b64 s[52:53], s[50:51]
	s_cbranch_execz .LBB20_75
.LBB20_74:                              ;   in Loop: Header=BB20_13 Depth=1
	global_load_ushort v29, v[8:9], off offset:1920
.LBB20_75:                              ;   in Loop: Header=BB20_13 Depth=1
	s_or_b64 exec, exec, s[52:53]
	scratch_load_dword v8, off, off         ; 4-byte Folded Reload
	v_readlane_b32 s0, v95, 2
	s_waitcnt vmcnt(0)
	ds_write_b16 v8, v10
	scratch_load_dword v8, off, off offset:8 ; 4-byte Folded Reload
	s_waitcnt vmcnt(0)
	ds_write_b16 v8, v12 offset:128
	scratch_load_dword v8, off, off offset:12 ; 4-byte Folded Reload
	s_waitcnt vmcnt(0)
	ds_write_b16 v8, v11 offset:256
	;; [unrolled: 3-line block ×15, first 2 shown]
	; wave barrier
	scratch_load_dword v8, off, off offset:4 ; 4-byte Folded Reload
	s_waitcnt vmcnt(0)
	ds_read_b128 v[12:15], v8
	ds_read_b128 v[8:11], v8 offset:16
	s_waitcnt lgkmcnt(1)
	v_lshlrev_b32_e32 v18, 16, v12
	v_add_f32_e32 v25, s0, v18
	v_cmp_ge_f32_e32 vcc, s4, v25
	s_and_b64 s[0:1], s[6:7], vcc
	s_and_saveexec_b64 s[54:55], s[0:1]
	s_cbranch_execz .LBB20_77
; %bb.76:                               ;   in Loop: Header=BB20_13 Depth=1
	v_mul_f32_e32 v18, 0x3fb8aa3b, v25
	v_rndne_f32_e32 v19, v18
	v_sub_f32_e32 v20, v18, v19
	v_fma_f32 v18, v25, s5, -v18
	v_fmac_f32_e32 v18, 0x32a5705f, v25
	v_add_f32_e32 v18, v20, v18
	v_cvt_i32_f32_e32 v19, v19
	v_exp_f32_e32 v18, v18
	v_cmp_ngt_f32_e32 vcc, s8, v25
	v_ldexp_f32 v18, v18, v19
	s_nop 0
	v_cndmask_b32_e32 v18, 0, v18, vcc
	v_cmp_nlt_f32_e32 vcc, s9, v25
	s_nop 1
	v_cndmask_b32_e32 v36, v39, v18, vcc
	v_add_f32_e32 v20, 1.0, v36
	v_add_f32_e32 v18, -1.0, v20
	v_sub_f32_e32 v19, v18, v20
	v_add_f32_e32 v19, 1.0, v19
	v_sub_f32_e32 v18, v36, v18
	v_add_f32_e32 v21, v18, v19
	v_frexp_mant_f32_e32 v24, v20
	v_cvt_f64_f32_e32 v[18:19], v20
	v_frexp_exp_i32_f64_e32 v18, v[18:19]
	v_cmp_gt_f32_e32 vcc, s11, v24
	v_cmp_gt_f32_e64 s[52:53], s57, v36
	s_nop 0
	v_subbrev_co_u32_e32 v28, vcc, 0, v18, vcc
	v_sub_u32_e32 v18, 0, v28
	v_ldexp_f32 v19, v20, v18
	v_add_f32_e32 v20, -1.0, v19
	v_add_f32_e32 v24, 1.0, v19
	v_ldexp_f32 v18, v21, v18
	v_add_f32_e32 v21, 1.0, v20
	v_add_f32_e32 v25, -1.0, v24
	v_sub_f32_e32 v21, v19, v21
	v_sub_f32_e32 v19, v19, v25
	v_add_f32_e32 v21, v18, v21
	v_add_f32_e32 v18, v18, v19
	;; [unrolled: 1-line block ×3, first 2 shown]
	v_rcp_f32_e32 v31, v29
	v_sub_f32_e32 v19, v24, v29
	v_add_f32_e32 v30, v18, v19
	v_add_f32_e32 v19, v20, v21
	v_mul_f32_e32 v33, v19, v31
	v_sub_f32_e32 v18, v20, v19
	v_mul_f32_e32 v20, v29, v33
	v_fma_f32 v24, v33, v29, -v20
	v_fmac_f32_e32 v24, v33, v30
	v_add_f32_e32 v32, v21, v18
	v_add_f32_e32 v18, v20, v24
	v_sub_f32_e32 v21, v19, v18
	v_pk_add_f32 v[26:27], v[18:19], v[20:21] neg_lo:[0,1] neg_hi:[0,1]
	v_mov_b32_e32 v25, v18
	v_pk_add_f32 v[18:19], v[26:27], v[24:25] neg_lo:[0,1] neg_hi:[0,1]
	v_cmp_eq_f32_e32 vcc, s10, v36
	v_add_f32_e32 v19, v32, v19
	v_add_f32_e32 v18, v18, v19
	;; [unrolled: 1-line block ×3, first 2 shown]
	v_mul_f32_e32 v32, v31, v19
	v_mul_f32_e32 v20, v29, v32
	v_fma_f32 v24, v32, v29, -v20
	v_fmac_f32_e32 v24, v32, v30
	v_sub_f32_e32 v21, v21, v19
	v_add_f32_e32 v29, v18, v21
	v_add_f32_e32 v18, v20, v24
	v_sub_f32_e32 v21, v19, v18
	v_pk_add_f32 v[26:27], v[18:19], v[20:21] neg_lo:[0,1] neg_hi:[0,1]
	v_mov_b32_e32 v25, v18
	v_pk_add_f32 v[18:19], v[26:27], v[24:25] neg_lo:[0,1] neg_hi:[0,1]
	scratch_load_dwordx2 v[26:27], off, off offset:168 ; 8-byte Folded Reload
	v_add_f32_e32 v19, v29, v19
	v_add_f32_e32 v18, v18, v19
	;; [unrolled: 1-line block ×4, first 2 shown]
	v_sub_f32_e32 v20, v19, v33
	v_mul_f32_e32 v18, v31, v18
	v_sub_f32_e32 v20, v32, v20
	v_add_f32_e32 v20, v20, v18
	v_add_f32_e32 v24, v19, v20
	v_mul_f32_e32 v25, v24, v24
	v_mov_b32_e32 v18, 0x3ecc95a3
	v_fmamk_f32 v18, v25, 0x3e9b6dac, v18
	v_fmaak_f32 v31, v25, v18, 0x3f2aaada
	v_cvt_f32_i32_e32 v18, v28
	v_sub_f32_e32 v19, v24, v19
	v_sub_f32_e32 v19, v20, v19
	v_ldexp_f32 v21, v24, 1
	s_or_b64 vcc, s[52:53], vcc
	s_waitcnt vmcnt(0)
	v_mov_b32_e32 v30, v26
	v_ldexp_f32 v26, v19, 1
	v_mul_f32_e32 v19, v24, v25
	v_mov_b32_e32 v20, v30
	v_pk_mul_f32 v[24:25], v[18:19], v[30:31]
	scratch_store_dwordx2 off, v[20:21], off offset:168 ; 8-byte Folded Spill
	v_fma_f32 v20, v18, s56, -v24
	v_fmac_f32_e32 v20, 0xb102e308, v18
	v_pk_add_f32 v[18:19], v[24:25], v[20:21]
	s_nop 0
	v_sub_f32_e32 v21, v19, v21
	v_sub_f32_e32 v21, v25, v21
	v_add_f32_e32 v27, v26, v21
	v_mov_b32_e32 v26, v24
	v_pk_add_f32 v[24:25], v[18:19], v[24:25] neg_lo:[0,1] neg_hi:[0,1]
	v_pk_add_f32 v[28:29], v[18:19], v[26:27]
	v_mov_b32_e32 v21, v18
	v_mov_b32_e32 v25, v29
	v_pk_add_f32 v[30:31], v[20:21], v[24:25] neg_lo:[0,1] neg_hi:[0,1]
	v_pk_add_f32 v[20:21], v[20:21], v[24:25]
	v_mov_b32_e32 v26, v27
	v_mov_b32_e32 v24, v21
	v_pk_add_f32 v[32:33], v[24:25], v[18:19] neg_lo:[0,1] neg_hi:[0,1]
	v_mov_b32_e32 v20, v29
	v_mov_b32_e32 v25, v32
	v_pk_add_f32 v[34:35], v[28:29], v[24:25] neg_lo:[0,1] neg_hi:[0,1]
	v_mov_b32_e32 v28, v19
	v_mov_b32_e32 v29, v32
	;; [unrolled: 1-line block ×3, first 2 shown]
	v_pk_add_f32 v[20:21], v[20:21], v[28:29] neg_lo:[0,1] neg_hi:[0,1]
	v_mov_b32_e32 v27, v18
	v_pk_add_f32 v[18:19], v[26:27], v[20:21] neg_lo:[0,1] neg_hi:[0,1]
	v_mov_b32_e32 v34, v30
	v_pk_add_f32 v[20:21], v[34:35], v[18:19]
	s_nop 0
	v_mov_b32_e32 v26, v21
	v_pk_add_f32 v[26:27], v[20:21], v[26:27]
	s_nop 0
	v_pk_add_f32 v[24:25], v[24:25], v[26:27]
	v_mov_b32_e32 v19, v26
	v_mov_b32_e32 v21, v24
	v_pk_add_f32 v[28:29], v[20:21], v[30:31] neg_lo:[0,1] neg_hi:[0,1]
	s_nop 0
	v_sub_f32_e32 v20, v20, v28
	v_pk_add_f32 v[18:19], v[18:19], v[28:29] neg_lo:[0,1] neg_hi:[0,1]
	v_sub_f32_e32 v20, v30, v20
	v_add_f32_e32 v18, v18, v20
	v_add_f32_e32 v18, v18, v19
	;; [unrolled: 1-line block ×3, first 2 shown]
	v_cndmask_b32_e32 v25, v18, v36, vcc
.LBB20_77:                              ;   in Loop: Header=BB20_13 Depth=1
	s_or_b64 exec, exec, s[54:55]
	v_and_b32_e32 v12, 0xffff0000, v12
	v_readlane_b32 s0, v95, 2
	s_nop 1
	v_add_f32_e32 v18, s0, v12
	v_cmp_ge_f32_e32 vcc, s4, v18
	s_and_b64 s[0:1], s[6:7], vcc
	s_and_saveexec_b64 s[54:55], s[0:1]
	s_cbranch_execz .LBB20_79
; %bb.78:                               ;   in Loop: Header=BB20_13 Depth=1
	v_mul_f32_e32 v12, 0x3fb8aa3b, v18
	v_rndne_f32_e32 v19, v12
	v_sub_f32_e32 v20, v12, v19
	v_fma_f32 v12, v18, s5, -v12
	v_fmac_f32_e32 v12, 0x32a5705f, v18
	v_add_f32_e32 v12, v20, v12
	v_cvt_i32_f32_e32 v19, v19
	v_exp_f32_e32 v12, v12
	v_cmp_ngt_f32_e32 vcc, s8, v18
	v_ldexp_f32 v12, v12, v19
	s_nop 0
	v_cndmask_b32_e32 v12, 0, v12, vcc
	v_cmp_nlt_f32_e32 vcc, s9, v18
	s_nop 1
	v_cndmask_b32_e32 v36, v39, v12, vcc
	v_add_f32_e32 v12, 1.0, v36
	v_add_f32_e32 v18, -1.0, v12
	v_sub_f32_e32 v19, v18, v12
	v_add_f32_e32 v19, 1.0, v19
	v_sub_f32_e32 v18, v36, v18
	v_add_f32_e32 v20, v18, v19
	v_frexp_mant_f32_e32 v21, v12
	v_cvt_f64_f32_e32 v[18:19], v12
	v_frexp_exp_i32_f64_e32 v18, v[18:19]
	v_cmp_gt_f32_e32 vcc, s11, v21
	v_cmp_gt_f32_e64 s[52:53], s57, v36
	s_nop 0
	v_subbrev_co_u32_e32 v24, vcc, 0, v18, vcc
	v_sub_u32_e32 v18, 0, v24
	v_ldexp_f32 v12, v12, v18
	v_ldexp_f32 v18, v20, v18
	v_add_f32_e32 v20, -1.0, v12
	v_add_f32_e32 v19, 1.0, v20
	v_sub_f32_e32 v19, v12, v19
	v_add_f32_e32 v21, v18, v19
	v_add_f32_e32 v19, 1.0, v12
	v_add_f32_e32 v26, -1.0, v19
	v_sub_f32_e32 v12, v12, v26
	v_add_f32_e32 v12, v18, v12
	v_add_f32_e32 v30, v19, v12
	v_rcp_f32_e32 v31, v30
	v_sub_f32_e32 v18, v19, v30
	v_add_f32_e32 v19, v20, v21
	v_add_f32_e32 v12, v12, v18
	v_mul_f32_e32 v33, v19, v31
	v_sub_f32_e32 v18, v20, v19
	v_mul_f32_e32 v20, v30, v33
	v_fma_f32 v26, v33, v30, -v20
	v_fmac_f32_e32 v26, v33, v12
	v_add_f32_e32 v32, v21, v18
	v_add_f32_e32 v18, v20, v26
	v_sub_f32_e32 v21, v19, v18
	v_pk_add_f32 v[28:29], v[18:19], v[20:21] neg_lo:[0,1] neg_hi:[0,1]
	v_mov_b32_e32 v27, v18
	v_pk_add_f32 v[18:19], v[28:29], v[26:27] neg_lo:[0,1] neg_hi:[0,1]
	v_cmp_eq_f32_e32 vcc, s10, v36
	v_add_f32_e32 v19, v32, v19
	v_add_f32_e32 v18, v18, v19
	;; [unrolled: 1-line block ×3, first 2 shown]
	v_mul_f32_e32 v32, v31, v19
	v_mul_f32_e32 v20, v30, v32
	v_fma_f32 v26, v32, v30, -v20
	v_fmac_f32_e32 v26, v32, v12
	v_sub_f32_e32 v12, v21, v19
	v_add_f32_e32 v12, v18, v12
	v_add_f32_e32 v18, v20, v26
	v_sub_f32_e32 v21, v19, v18
	v_pk_add_f32 v[28:29], v[18:19], v[20:21] neg_lo:[0,1] neg_hi:[0,1]
	v_mov_b32_e32 v27, v18
	v_pk_add_f32 v[18:19], v[28:29], v[26:27] neg_lo:[0,1] neg_hi:[0,1]
	scratch_load_dwordx2 v[28:29], off, off offset:168 ; 8-byte Folded Reload
	v_add_f32_e32 v12, v12, v19
	v_add_f32_e32 v12, v18, v12
	;; [unrolled: 1-line block ×4, first 2 shown]
	v_sub_f32_e32 v18, v19, v33
	v_mul_f32_e32 v12, v31, v12
	v_sub_f32_e32 v18, v32, v18
	v_add_f32_e32 v12, v18, v12
	v_add_f32_e32 v20, v19, v12
	v_mul_f32_e32 v26, v20, v20
	v_mov_b32_e32 v18, 0x3ecc95a3
	v_fmamk_f32 v18, v26, 0x3e9b6dac, v18
	s_waitcnt vmcnt(0)
	v_fmaak_f32 v29, v26, v18, 0x3f2aaada
	v_cvt_f32_i32_e32 v18, v24
	v_sub_f32_e32 v19, v20, v19
	v_sub_f32_e32 v12, v12, v19
	v_mul_f32_e32 v19, v20, v26
	v_ldexp_f32 v21, v20, 1
	v_ldexp_f32 v12, v12, 1
	s_or_b64 vcc, s[52:53], vcc
	v_mov_b32_e32 v20, v28
	v_pk_mul_f32 v[26:27], v[18:19], v[28:29]
	scratch_store_dwordx2 off, v[20:21], off offset:168 ; 8-byte Folded Spill
	v_fma_f32 v20, v18, s56, -v26
	v_fmac_f32_e32 v20, 0xb102e308, v18
	v_pk_add_f32 v[18:19], v[26:27], v[20:21]
	v_mov_b32_e32 v28, v26
	v_sub_f32_e32 v21, v19, v21
	v_sub_f32_e32 v21, v27, v21
	v_add_f32_e32 v29, v12, v21
	v_pk_add_f32 v[26:27], v[18:19], v[26:27] neg_lo:[0,1] neg_hi:[0,1]
	v_pk_add_f32 v[30:31], v[18:19], v[28:29]
	v_mov_b32_e32 v21, v18
	v_mov_b32_e32 v27, v31
	v_pk_add_f32 v[32:33], v[20:21], v[26:27] neg_lo:[0,1] neg_hi:[0,1]
	v_pk_add_f32 v[20:21], v[20:21], v[26:27]
	s_nop 0
	v_mov_b32_e32 v12, v21
	v_pk_add_f32 v[26:27], v[12:13], v[18:19] neg_lo:[0,1] neg_hi:[0,1]
	v_mov_b32_e32 v20, v31
	v_mov_b32_e32 v27, v26
	v_pk_add_f32 v[34:35], v[30:31], v[26:27] neg_lo:[0,1] neg_hi:[0,1]
	v_mov_b32_e32 v30, v19
	v_mov_b32_e32 v31, v26
	;; [unrolled: 1-line block ×3, first 2 shown]
	v_pk_add_f32 v[20:21], v[20:21], v[30:31] neg_lo:[0,1] neg_hi:[0,1]
	v_mov_b32_e32 v26, v29
	v_mov_b32_e32 v27, v18
	v_pk_add_f32 v[18:19], v[26:27], v[20:21] neg_lo:[0,1] neg_hi:[0,1]
	v_mov_b32_e32 v34, v32
	v_pk_add_f32 v[20:21], v[34:35], v[18:19]
	s_nop 0
	v_mov_b32_e32 v24, v21
	v_pk_add_f32 v[26:27], v[20:21], v[24:25]
	s_nop 0
	v_pk_add_f32 v[28:29], v[12:13], v[26:27]
	v_mov_b32_e32 v19, v26
	v_mov_b32_e32 v21, v28
	v_pk_add_f32 v[30:31], v[20:21], v[32:33] neg_lo:[0,1] neg_hi:[0,1]
	s_nop 0
	v_sub_f32_e32 v12, v20, v30
	v_pk_add_f32 v[18:19], v[18:19], v[30:31] neg_lo:[0,1] neg_hi:[0,1]
	v_sub_f32_e32 v12, v32, v12
	v_add_f32_e32 v12, v18, v12
	v_add_f32_e32 v12, v12, v19
	;; [unrolled: 1-line block ×3, first 2 shown]
	v_cndmask_b32_e32 v18, v12, v36, vcc
.LBB20_79:                              ;   in Loop: Header=BB20_13 Depth=1
	s_or_b64 exec, exec, s[54:55]
	v_lshlrev_b32_e32 v12, 16, v13
	v_readlane_b32 s0, v95, 2
	s_nop 1
	v_add_f32_e32 v20, s0, v12
	v_cmp_ge_f32_e32 vcc, s4, v20
	s_and_b64 s[0:1], s[6:7], vcc
	s_and_saveexec_b64 s[54:55], s[0:1]
	s_cbranch_execz .LBB20_81
; %bb.80:                               ;   in Loop: Header=BB20_13 Depth=1
	v_mul_f32_e32 v12, 0x3fb8aa3b, v20
	v_rndne_f32_e32 v19, v12
	v_sub_f32_e32 v21, v12, v19
	v_fma_f32 v12, v20, s5, -v12
	v_fmac_f32_e32 v12, 0x32a5705f, v20
	v_add_f32_e32 v12, v21, v12
	v_cvt_i32_f32_e32 v19, v19
	v_exp_f32_e32 v12, v12
	v_cmp_ngt_f32_e32 vcc, s8, v20
	v_ldexp_f32 v12, v12, v19
	s_nop 0
	v_cndmask_b32_e32 v12, 0, v12, vcc
	v_cmp_nlt_f32_e32 vcc, s9, v20
	s_nop 1
	v_cndmask_b32_e32 v38, v39, v12, vcc
	v_add_f32_e32 v12, 1.0, v38
	v_add_f32_e32 v19, -1.0, v12
	v_sub_f32_e32 v20, v19, v12
	v_add_f32_e32 v20, 1.0, v20
	v_sub_f32_e32 v19, v38, v19
	v_add_f32_e32 v19, v19, v20
	v_frexp_mant_f32_e32 v24, v12
	v_cvt_f64_f32_e32 v[20:21], v12
	v_frexp_exp_i32_f64_e32 v20, v[20:21]
	v_cmp_gt_f32_e32 vcc, s11, v24
	v_cmp_gt_f32_e64 s[52:53], s57, v38
	s_nop 0
	v_subbrev_co_u32_e32 v24, vcc, 0, v20, vcc
	v_sub_u32_e32 v20, 0, v24
	v_ldexp_f32 v12, v12, v20
	v_ldexp_f32 v19, v19, v20
	v_add_f32_e32 v20, -1.0, v12
	v_add_f32_e32 v21, 1.0, v20
	v_sub_f32_e32 v21, v12, v21
	v_add_f32_e32 v26, v19, v21
	v_add_f32_e32 v21, 1.0, v12
	v_add_f32_e32 v27, -1.0, v21
	v_sub_f32_e32 v12, v12, v27
	v_add_f32_e32 v12, v19, v12
	v_add_f32_e32 v19, v21, v12
	v_rcp_f32_e32 v32, v19
	v_sub_f32_e32 v21, v21, v19
	v_add_f32_e32 v12, v12, v21
	v_add_f32_e32 v21, v20, v26
	v_sub_f32_e32 v20, v20, v21
	v_mul_f32_e32 v34, v21, v32
	v_add_f32_e32 v33, v26, v20
	v_mul_f32_e32 v26, v19, v34
	v_fma_f32 v28, v34, v19, -v26
	v_fmac_f32_e32 v28, v34, v12
	v_add_f32_e32 v20, v26, v28
	v_sub_f32_e32 v27, v21, v20
	v_pk_add_f32 v[30:31], v[20:21], v[26:27] neg_lo:[0,1] neg_hi:[0,1]
	v_mov_b32_e32 v29, v20
	v_pk_add_f32 v[20:21], v[30:31], v[28:29] neg_lo:[0,1] neg_hi:[0,1]
	v_cmp_eq_f32_e32 vcc, s10, v38
	v_add_f32_e32 v21, v33, v21
	v_add_f32_e32 v20, v20, v21
	;; [unrolled: 1-line block ×3, first 2 shown]
	v_mul_f32_e32 v33, v32, v21
	v_mul_f32_e32 v26, v19, v33
	v_fma_f32 v28, v33, v19, -v26
	v_fmac_f32_e32 v28, v33, v12
	v_sub_f32_e32 v12, v27, v21
	v_add_f32_e32 v12, v20, v12
	v_add_f32_e32 v20, v26, v28
	v_sub_f32_e32 v27, v21, v20
	v_pk_add_f32 v[30:31], v[20:21], v[26:27] neg_lo:[0,1] neg_hi:[0,1]
	v_mov_b32_e32 v29, v20
	v_pk_add_f32 v[20:21], v[30:31], v[28:29] neg_lo:[0,1] neg_hi:[0,1]
	scratch_load_dwordx2 v[28:29], off, off offset:168 ; 8-byte Folded Reload
	v_add_f32_e32 v12, v12, v21
	v_add_f32_e32 v12, v20, v12
	;; [unrolled: 1-line block ×4, first 2 shown]
	v_sub_f32_e32 v20, v19, v34
	v_mul_f32_e32 v12, v32, v12
	v_sub_f32_e32 v20, v33, v20
	v_add_f32_e32 v12, v20, v12
	v_add_f32_e32 v21, v19, v12
	v_mul_f32_e32 v26, v21, v21
	v_mov_b32_e32 v20, 0x3ecc95a3
	v_fmamk_f32 v20, v26, 0x3e9b6dac, v20
	s_waitcnt vmcnt(0)
	v_fmaak_f32 v29, v26, v20, 0x3f2aaada
	v_cvt_f32_i32_e32 v20, v24
	v_sub_f32_e32 v19, v21, v19
	v_ldexp_f32 v27, v21, 1
	v_mul_f32_e32 v21, v21, v26
	v_sub_f32_e32 v12, v12, v19
	v_ldexp_f32 v12, v12, 1
	s_or_b64 vcc, s[52:53], vcc
	v_mov_b32_e32 v24, v28
	v_pk_mul_f32 v[28:29], v[20:21], v[28:29]
	scratch_store_dwordx2 off, v[24:25], off offset:168 ; 8-byte Folded Spill
	v_fma_f32 v26, v20, s56, -v28
	v_fmac_f32_e32 v26, 0xb102e308, v20
	v_pk_add_f32 v[20:21], v[28:29], v[26:27]
	v_mov_b32_e32 v30, v28
	v_sub_f32_e32 v19, v21, v27
	v_sub_f32_e32 v19, v29, v19
	v_add_f32_e32 v31, v12, v19
	v_pk_add_f32 v[28:29], v[20:21], v[28:29] neg_lo:[0,1] neg_hi:[0,1]
	v_pk_add_f32 v[32:33], v[20:21], v[30:31]
	v_mov_b32_e32 v27, v20
	v_mov_b32_e32 v29, v33
	v_pk_add_f32 v[34:35], v[26:27], v[28:29] neg_lo:[0,1] neg_hi:[0,1]
	v_pk_add_f32 v[26:27], v[26:27], v[28:29]
	s_nop 0
	v_mov_b32_e32 v12, v27
	v_pk_add_f32 v[28:29], v[12:13], v[20:21] neg_lo:[0,1] neg_hi:[0,1]
	v_mov_b32_e32 v26, v33
	v_mov_b32_e32 v19, v28
	v_pk_add_f32 v[36:37], v[32:33], v[18:19] neg_lo:[0,1] neg_hi:[0,1]
	v_mov_b32_e32 v32, v21
	v_mov_b32_e32 v33, v28
	;; [unrolled: 1-line block ×3, first 2 shown]
	v_pk_add_f32 v[26:27], v[26:27], v[32:33] neg_lo:[0,1] neg_hi:[0,1]
	v_mov_b32_e32 v28, v31
	v_mov_b32_e32 v29, v20
	v_pk_add_f32 v[20:21], v[28:29], v[26:27] neg_lo:[0,1] neg_hi:[0,1]
	v_mov_b32_e32 v36, v34
	v_pk_add_f32 v[26:27], v[36:37], v[20:21]
	s_nop 0
	v_mov_b32_e32 v24, v27
	v_pk_add_f32 v[28:29], v[26:27], v[24:25]
	s_nop 0
	v_pk_add_f32 v[30:31], v[12:13], v[28:29]
	v_mov_b32_e32 v21, v28
	v_mov_b32_e32 v27, v30
	v_pk_add_f32 v[32:33], v[26:27], v[34:35] neg_lo:[0,1] neg_hi:[0,1]
	s_nop 0
	v_sub_f32_e32 v12, v26, v32
	v_pk_add_f32 v[20:21], v[20:21], v[32:33] neg_lo:[0,1] neg_hi:[0,1]
	v_sub_f32_e32 v12, v34, v12
	v_add_f32_e32 v12, v20, v12
	v_add_f32_e32 v12, v12, v21
	;; [unrolled: 1-line block ×3, first 2 shown]
	v_cndmask_b32_e32 v20, v12, v38, vcc
.LBB20_81:                              ;   in Loop: Header=BB20_13 Depth=1
	s_or_b64 exec, exec, s[54:55]
	v_and_b32_e32 v12, 0xffff0000, v13
	v_readlane_b32 s0, v95, 2
	s_nop 1
	v_add_f32_e32 v94, s0, v12
	v_cmp_ge_f32_e32 vcc, s4, v94
	s_and_b64 s[0:1], s[6:7], vcc
	s_and_saveexec_b64 s[54:55], s[0:1]
	s_cbranch_execz .LBB20_83
; %bb.82:                               ;   in Loop: Header=BB20_13 Depth=1
	v_mul_f32_e32 v12, 0x3fb8aa3b, v94
	v_rndne_f32_e32 v13, v12
	v_sub_f32_e32 v19, v12, v13
	v_fma_f32 v12, v94, s5, -v12
	v_fmac_f32_e32 v12, 0x32a5705f, v94
	v_add_f32_e32 v12, v19, v12
	v_cvt_i32_f32_e32 v13, v13
	v_exp_f32_e32 v12, v12
	v_cmp_ngt_f32_e32 vcc, s8, v94
	v_ldexp_f32 v12, v12, v13
	s_nop 0
	v_cndmask_b32_e32 v12, 0, v12, vcc
	v_cmp_nlt_f32_e32 vcc, s9, v94
	s_nop 1
	v_cndmask_b32_e32 v21, v39, v12, vcc
	v_add_f32_e32 v19, 1.0, v21
	v_add_f32_e32 v12, -1.0, v19
	v_sub_f32_e32 v13, v12, v19
	v_add_f32_e32 v13, 1.0, v13
	v_sub_f32_e32 v12, v21, v12
	v_add_f32_e32 v24, v12, v13
	v_frexp_mant_f32_e32 v26, v19
	v_cvt_f64_f32_e32 v[12:13], v19
	v_frexp_exp_i32_f64_e32 v12, v[12:13]
	v_cmp_gt_f32_e32 vcc, s11, v26
	v_cmp_gt_f32_e64 s[52:53], s57, v21
	s_nop 0
	v_subbrev_co_u32_e32 v32, vcc, 0, v12, vcc
	v_sub_u32_e32 v12, 0, v32
	v_ldexp_f32 v13, v19, v12
	v_add_f32_e32 v19, -1.0, v13
	v_add_f32_e32 v26, 1.0, v13
	v_ldexp_f32 v12, v24, v12
	v_add_f32_e32 v24, 1.0, v19
	v_add_f32_e32 v27, -1.0, v26
	v_sub_f32_e32 v24, v13, v24
	v_sub_f32_e32 v13, v13, v27
	v_add_f32_e32 v24, v12, v24
	v_add_f32_e32 v12, v12, v13
	;; [unrolled: 1-line block ×3, first 2 shown]
	v_rcp_f32_e32 v35, v33
	v_sub_f32_e32 v13, v26, v33
	v_add_f32_e32 v34, v12, v13
	v_add_f32_e32 v13, v19, v24
	v_sub_f32_e32 v12, v19, v13
	v_add_f32_e32 v19, v24, v12
	v_mul_f32_e32 v24, v13, v35
	v_mul_f32_e32 v26, v33, v24
	v_fma_f32 v28, v24, v33, -v26
	v_fmac_f32_e32 v28, v24, v34
	v_add_f32_e32 v12, v26, v28
	v_sub_f32_e32 v27, v13, v12
	v_pk_add_f32 v[30:31], v[12:13], v[26:27] neg_lo:[0,1] neg_hi:[0,1]
	v_mov_b32_e32 v29, v12
	v_pk_add_f32 v[12:13], v[30:31], v[28:29] neg_lo:[0,1] neg_hi:[0,1]
	v_cmp_eq_f32_e32 vcc, s10, v21
	v_add_f32_e32 v13, v19, v13
	v_add_f32_e32 v12, v12, v13
	;; [unrolled: 1-line block ×3, first 2 shown]
	v_mul_f32_e32 v19, v35, v13
	v_mul_f32_e32 v26, v33, v19
	v_fma_f32 v28, v19, v33, -v26
	v_fmac_f32_e32 v28, v19, v34
	v_sub_f32_e32 v27, v27, v13
	v_add_f32_e32 v33, v12, v27
	v_add_f32_e32 v12, v26, v28
	v_sub_f32_e32 v27, v13, v12
	v_pk_add_f32 v[30:31], v[12:13], v[26:27] neg_lo:[0,1] neg_hi:[0,1]
	v_mov_b32_e32 v29, v12
	v_pk_add_f32 v[12:13], v[30:31], v[28:29] neg_lo:[0,1] neg_hi:[0,1]
	scratch_load_dwordx2 v[28:29], off, off offset:168 ; 8-byte Folded Reload
	v_add_f32_e32 v13, v33, v13
	v_add_f32_e32 v12, v12, v13
	;; [unrolled: 1-line block ×4, first 2 shown]
	v_sub_f32_e32 v24, v13, v24
	v_mul_f32_e32 v12, v35, v12
	v_sub_f32_e32 v19, v19, v24
	v_add_f32_e32 v19, v19, v12
	v_add_f32_e32 v24, v13, v19
	v_mul_f32_e32 v26, v24, v24
	v_mov_b32_e32 v12, 0x3ecc95a3
	v_fmamk_f32 v12, v26, 0x3e9b6dac, v12
	s_waitcnt vmcnt(0)
	v_fmaak_f32 v29, v26, v12, 0x3f2aaada
	v_cvt_f32_i32_e32 v12, v32
	v_sub_f32_e32 v13, v24, v13
	v_sub_f32_e32 v13, v19, v13
	v_ldexp_f32 v19, v13, 1
	v_mul_f32_e32 v13, v24, v26
	v_ldexp_f32 v27, v24, 1
	s_or_b64 vcc, s[52:53], vcc
	v_mov_b32_e32 v24, v28
	v_pk_mul_f32 v[28:29], v[12:13], v[28:29]
	scratch_store_dwordx2 off, v[24:25], off offset:168 ; 8-byte Folded Spill
	v_fma_f32 v26, v12, s56, -v28
	v_fmac_f32_e32 v26, 0xb102e308, v12
	v_pk_add_f32 v[12:13], v[28:29], v[26:27]
	v_mov_b32_e32 v30, v28
	v_sub_f32_e32 v24, v13, v27
	v_sub_f32_e32 v24, v29, v24
	v_add_f32_e32 v31, v19, v24
	v_pk_add_f32 v[28:29], v[12:13], v[28:29] neg_lo:[0,1] neg_hi:[0,1]
	v_pk_add_f32 v[32:33], v[12:13], v[30:31]
	v_mov_b32_e32 v27, v12
	v_mov_b32_e32 v29, v33
	v_pk_add_f32 v[34:35], v[26:27], v[28:29] neg_lo:[0,1] neg_hi:[0,1]
	v_pk_add_f32 v[26:27], v[26:27], v[28:29]
	s_nop 0
	v_mov_b32_e32 v24, v27
	v_pk_add_f32 v[28:29], v[24:25], v[12:13] neg_lo:[0,1] neg_hi:[0,1]
	v_mov_b32_e32 v26, v33
	v_mov_b32_e32 v19, v28
	v_pk_add_f32 v[36:37], v[32:33], v[18:19] neg_lo:[0,1] neg_hi:[0,1]
	v_mov_b32_e32 v32, v13
	v_mov_b32_e32 v33, v28
	;; [unrolled: 1-line block ×3, first 2 shown]
	v_pk_add_f32 v[26:27], v[26:27], v[32:33] neg_lo:[0,1] neg_hi:[0,1]
	v_mov_b32_e32 v28, v31
	v_mov_b32_e32 v29, v12
	v_pk_add_f32 v[12:13], v[28:29], v[26:27] neg_lo:[0,1] neg_hi:[0,1]
	v_mov_b32_e32 v36, v34
	v_pk_add_f32 v[26:27], v[36:37], v[12:13]
	s_nop 0
	v_mov_b32_e32 v28, v27
	v_pk_add_f32 v[28:29], v[26:27], v[28:29]
	s_nop 0
	v_pk_add_f32 v[30:31], v[24:25], v[28:29]
	v_mov_b32_e32 v13, v28
	v_mov_b32_e32 v27, v30
	v_pk_add_f32 v[32:33], v[26:27], v[34:35] neg_lo:[0,1] neg_hi:[0,1]
	s_nop 0
	v_sub_f32_e32 v19, v26, v32
	v_pk_add_f32 v[12:13], v[12:13], v[32:33] neg_lo:[0,1] neg_hi:[0,1]
	v_sub_f32_e32 v19, v34, v19
	v_add_f32_e32 v12, v12, v19
	v_add_f32_e32 v12, v12, v13
	;; [unrolled: 1-line block ×3, first 2 shown]
	v_cndmask_b32_e32 v94, v12, v21, vcc
.LBB20_83:                              ;   in Loop: Header=BB20_13 Depth=1
	s_or_b64 exec, exec, s[54:55]
	v_lshlrev_b32_e32 v12, 16, v14
	v_readlane_b32 s0, v95, 2
	s_nop 1
	v_add_f32_e32 v62, s0, v12
	v_cmp_ge_f32_e32 vcc, s4, v62
	s_and_b64 s[0:1], s[6:7], vcc
	s_and_saveexec_b64 s[54:55], s[0:1]
	s_cbranch_execz .LBB20_85
; %bb.84:                               ;   in Loop: Header=BB20_13 Depth=1
	v_mul_f32_e32 v12, 0x3fb8aa3b, v62
	v_rndne_f32_e32 v13, v12
	v_sub_f32_e32 v19, v12, v13
	v_fma_f32 v12, v62, s5, -v12
	v_fmac_f32_e32 v12, 0x32a5705f, v62
	v_add_f32_e32 v12, v19, v12
	v_cvt_i32_f32_e32 v13, v13
	v_exp_f32_e32 v12, v12
	v_cmp_ngt_f32_e32 vcc, s8, v62
	v_ldexp_f32 v12, v12, v13
	s_nop 0
	v_cndmask_b32_e32 v12, 0, v12, vcc
	v_cmp_nlt_f32_e32 vcc, s9, v62
	s_nop 1
	v_cndmask_b32_e32 v21, v39, v12, vcc
	v_add_f32_e32 v19, 1.0, v21
	v_add_f32_e32 v12, -1.0, v19
	v_sub_f32_e32 v13, v12, v19
	v_add_f32_e32 v13, 1.0, v13
	v_sub_f32_e32 v12, v21, v12
	v_add_f32_e32 v24, v12, v13
	v_frexp_mant_f32_e32 v26, v19
	v_cvt_f64_f32_e32 v[12:13], v19
	v_frexp_exp_i32_f64_e32 v12, v[12:13]
	v_cmp_gt_f32_e32 vcc, s11, v26
	v_cmp_gt_f32_e64 s[52:53], s57, v21
	s_nop 0
	v_subbrev_co_u32_e32 v32, vcc, 0, v12, vcc
	v_sub_u32_e32 v12, 0, v32
	v_ldexp_f32 v13, v19, v12
	v_add_f32_e32 v19, -1.0, v13
	v_add_f32_e32 v26, 1.0, v13
	v_ldexp_f32 v12, v24, v12
	v_add_f32_e32 v24, 1.0, v19
	v_add_f32_e32 v27, -1.0, v26
	v_sub_f32_e32 v24, v13, v24
	v_sub_f32_e32 v13, v13, v27
	v_add_f32_e32 v24, v12, v24
	v_add_f32_e32 v12, v12, v13
	;; [unrolled: 1-line block ×3, first 2 shown]
	v_rcp_f32_e32 v35, v33
	v_sub_f32_e32 v13, v26, v33
	v_add_f32_e32 v34, v12, v13
	v_add_f32_e32 v13, v19, v24
	v_sub_f32_e32 v12, v19, v13
	v_add_f32_e32 v19, v24, v12
	v_mul_f32_e32 v24, v13, v35
	v_mul_f32_e32 v26, v33, v24
	v_fma_f32 v28, v24, v33, -v26
	v_fmac_f32_e32 v28, v24, v34
	v_add_f32_e32 v12, v26, v28
	v_sub_f32_e32 v27, v13, v12
	v_pk_add_f32 v[30:31], v[12:13], v[26:27] neg_lo:[0,1] neg_hi:[0,1]
	v_mov_b32_e32 v29, v12
	v_pk_add_f32 v[12:13], v[30:31], v[28:29] neg_lo:[0,1] neg_hi:[0,1]
	v_cmp_eq_f32_e32 vcc, s10, v21
	v_add_f32_e32 v13, v19, v13
	v_add_f32_e32 v12, v12, v13
	;; [unrolled: 1-line block ×3, first 2 shown]
	v_mul_f32_e32 v19, v35, v13
	v_mul_f32_e32 v26, v33, v19
	v_fma_f32 v28, v19, v33, -v26
	v_fmac_f32_e32 v28, v19, v34
	v_sub_f32_e32 v27, v27, v13
	v_add_f32_e32 v33, v12, v27
	v_add_f32_e32 v12, v26, v28
	v_sub_f32_e32 v27, v13, v12
	v_pk_add_f32 v[30:31], v[12:13], v[26:27] neg_lo:[0,1] neg_hi:[0,1]
	v_mov_b32_e32 v29, v12
	v_pk_add_f32 v[12:13], v[30:31], v[28:29] neg_lo:[0,1] neg_hi:[0,1]
	scratch_load_dwordx2 v[28:29], off, off offset:168 ; 8-byte Folded Reload
	v_add_f32_e32 v13, v33, v13
	v_add_f32_e32 v12, v12, v13
	;; [unrolled: 1-line block ×4, first 2 shown]
	v_sub_f32_e32 v24, v13, v24
	v_mul_f32_e32 v12, v35, v12
	v_sub_f32_e32 v19, v19, v24
	v_add_f32_e32 v19, v19, v12
	v_add_f32_e32 v24, v13, v19
	v_mul_f32_e32 v26, v24, v24
	v_mov_b32_e32 v12, 0x3ecc95a3
	v_fmamk_f32 v12, v26, 0x3e9b6dac, v12
	s_waitcnt vmcnt(0)
	v_fmaak_f32 v29, v26, v12, 0x3f2aaada
	v_cvt_f32_i32_e32 v12, v32
	v_sub_f32_e32 v13, v24, v13
	v_sub_f32_e32 v13, v19, v13
	v_ldexp_f32 v19, v13, 1
	v_mul_f32_e32 v13, v24, v26
	v_ldexp_f32 v27, v24, 1
	s_or_b64 vcc, s[52:53], vcc
	v_mov_b32_e32 v24, v28
	v_pk_mul_f32 v[28:29], v[12:13], v[28:29]
	scratch_store_dwordx2 off, v[24:25], off offset:168 ; 8-byte Folded Spill
	v_fma_f32 v26, v12, s56, -v28
	v_fmac_f32_e32 v26, 0xb102e308, v12
	v_pk_add_f32 v[12:13], v[28:29], v[26:27]
	v_mov_b32_e32 v30, v28
	v_sub_f32_e32 v24, v13, v27
	v_sub_f32_e32 v24, v29, v24
	v_add_f32_e32 v31, v19, v24
	v_pk_add_f32 v[28:29], v[12:13], v[28:29] neg_lo:[0,1] neg_hi:[0,1]
	v_pk_add_f32 v[32:33], v[12:13], v[30:31]
	v_mov_b32_e32 v27, v12
	v_mov_b32_e32 v29, v33
	v_pk_add_f32 v[34:35], v[26:27], v[28:29] neg_lo:[0,1] neg_hi:[0,1]
	v_pk_add_f32 v[26:27], v[26:27], v[28:29]
	s_nop 0
	v_mov_b32_e32 v24, v27
	v_pk_add_f32 v[28:29], v[24:25], v[12:13] neg_lo:[0,1] neg_hi:[0,1]
	v_mov_b32_e32 v26, v33
	v_mov_b32_e32 v19, v28
	v_pk_add_f32 v[36:37], v[32:33], v[18:19] neg_lo:[0,1] neg_hi:[0,1]
	v_mov_b32_e32 v32, v13
	v_mov_b32_e32 v33, v28
	v_mov_b32_e32 v35, v27
	v_pk_add_f32 v[26:27], v[26:27], v[32:33] neg_lo:[0,1] neg_hi:[0,1]
	v_mov_b32_e32 v28, v31
	v_mov_b32_e32 v29, v12
	v_pk_add_f32 v[12:13], v[28:29], v[26:27] neg_lo:[0,1] neg_hi:[0,1]
	v_mov_b32_e32 v36, v34
	v_pk_add_f32 v[26:27], v[36:37], v[12:13]
	s_nop 0
	v_mov_b32_e32 v28, v27
	v_pk_add_f32 v[28:29], v[26:27], v[28:29]
	s_nop 0
	v_pk_add_f32 v[30:31], v[24:25], v[28:29]
	v_mov_b32_e32 v13, v28
	v_mov_b32_e32 v27, v30
	v_pk_add_f32 v[32:33], v[26:27], v[34:35] neg_lo:[0,1] neg_hi:[0,1]
	s_nop 0
	v_sub_f32_e32 v19, v26, v32
	v_pk_add_f32 v[12:13], v[12:13], v[32:33] neg_lo:[0,1] neg_hi:[0,1]
	v_sub_f32_e32 v19, v34, v19
	v_add_f32_e32 v12, v12, v19
	v_add_f32_e32 v12, v12, v13
	;; [unrolled: 1-line block ×3, first 2 shown]
	v_cndmask_b32_e32 v62, v12, v21, vcc
.LBB20_85:                              ;   in Loop: Header=BB20_13 Depth=1
	s_or_b64 exec, exec, s[54:55]
	v_and_b32_e32 v12, 0xffff0000, v14
	v_readlane_b32 s0, v95, 2
	s_nop 1
	v_add_f32_e32 v63, s0, v12
	v_cmp_ge_f32_e32 vcc, s4, v63
	s_and_b64 s[0:1], s[6:7], vcc
	s_and_saveexec_b64 s[54:55], s[0:1]
	s_cbranch_execz .LBB20_87
; %bb.86:                               ;   in Loop: Header=BB20_13 Depth=1
	v_mul_f32_e32 v12, 0x3fb8aa3b, v63
	v_rndne_f32_e32 v13, v12
	v_sub_f32_e32 v14, v12, v13
	v_fma_f32 v12, v63, s5, -v12
	v_fmac_f32_e32 v12, 0x32a5705f, v63
	v_add_f32_e32 v12, v14, v12
	v_cvt_i32_f32_e32 v13, v13
	v_exp_f32_e32 v12, v12
	v_cmp_ngt_f32_e32 vcc, s8, v63
	v_ldexp_f32 v12, v12, v13
	s_nop 0
	v_cndmask_b32_e32 v12, 0, v12, vcc
	v_cmp_nlt_f32_e32 vcc, s9, v63
	s_nop 1
	v_cndmask_b32_e32 v21, v39, v12, vcc
	v_add_f32_e32 v14, 1.0, v21
	v_add_f32_e32 v12, -1.0, v14
	v_sub_f32_e32 v13, v12, v14
	v_add_f32_e32 v13, 1.0, v13
	v_sub_f32_e32 v12, v21, v12
	v_add_f32_e32 v19, v12, v13
	v_frexp_mant_f32_e32 v24, v14
	v_cvt_f64_f32_e32 v[12:13], v14
	v_frexp_exp_i32_f64_e32 v12, v[12:13]
	v_cmp_gt_f32_e32 vcc, s11, v24
	v_cmp_gt_f32_e64 s[52:53], s57, v21
	s_nop 0
	v_subbrev_co_u32_e32 v24, vcc, 0, v12, vcc
	v_sub_u32_e32 v12, 0, v24
	v_ldexp_f32 v13, v14, v12
	v_add_f32_e32 v14, -1.0, v13
	v_add_f32_e32 v26, 1.0, v13
	v_ldexp_f32 v12, v19, v12
	v_add_f32_e32 v19, 1.0, v14
	v_add_f32_e32 v27, -1.0, v26
	v_sub_f32_e32 v19, v13, v19
	v_sub_f32_e32 v13, v13, v27
	v_add_f32_e32 v19, v12, v19
	v_add_f32_e32 v12, v12, v13
	v_add_f32_e32 v32, v26, v12
	v_rcp_f32_e32 v34, v32
	v_sub_f32_e32 v13, v26, v32
	v_add_f32_e32 v33, v12, v13
	v_add_f32_e32 v13, v14, v19
	v_sub_f32_e32 v12, v14, v13
	v_add_f32_e32 v14, v19, v12
	v_mul_f32_e32 v19, v13, v34
	v_mul_f32_e32 v26, v32, v19
	v_fma_f32 v28, v19, v32, -v26
	v_fmac_f32_e32 v28, v19, v33
	v_add_f32_e32 v12, v26, v28
	v_sub_f32_e32 v27, v13, v12
	v_pk_add_f32 v[30:31], v[12:13], v[26:27] neg_lo:[0,1] neg_hi:[0,1]
	v_mov_b32_e32 v29, v12
	v_pk_add_f32 v[12:13], v[30:31], v[28:29] neg_lo:[0,1] neg_hi:[0,1]
	v_cmp_eq_f32_e32 vcc, s10, v21
	v_add_f32_e32 v13, v14, v13
	v_add_f32_e32 v12, v12, v13
	v_add_f32_e32 v13, v27, v12
	v_mul_f32_e32 v14, v34, v13
	v_mul_f32_e32 v26, v32, v14
	v_fma_f32 v28, v14, v32, -v26
	v_fmac_f32_e32 v28, v14, v33
	v_sub_f32_e32 v27, v27, v13
	v_add_f32_e32 v32, v12, v27
	v_add_f32_e32 v12, v26, v28
	v_sub_f32_e32 v27, v13, v12
	v_pk_add_f32 v[30:31], v[12:13], v[26:27] neg_lo:[0,1] neg_hi:[0,1]
	v_mov_b32_e32 v29, v12
	v_pk_add_f32 v[12:13], v[30:31], v[28:29] neg_lo:[0,1] neg_hi:[0,1]
	scratch_load_dwordx2 v[28:29], off, off offset:168 ; 8-byte Folded Reload
	v_add_f32_e32 v13, v32, v13
	v_add_f32_e32 v12, v12, v13
	;; [unrolled: 1-line block ×4, first 2 shown]
	v_sub_f32_e32 v19, v13, v19
	v_mul_f32_e32 v12, v34, v12
	v_sub_f32_e32 v14, v14, v19
	v_add_f32_e32 v14, v14, v12
	v_add_f32_e32 v19, v13, v14
	v_mul_f32_e32 v26, v19, v19
	v_mov_b32_e32 v12, 0x3ecc95a3
	v_fmamk_f32 v12, v26, 0x3e9b6dac, v12
	s_waitcnt vmcnt(0)
	v_fmaak_f32 v29, v26, v12, 0x3f2aaada
	v_cvt_f32_i32_e32 v12, v24
	v_sub_f32_e32 v13, v19, v13
	v_sub_f32_e32 v13, v14, v13
	v_ldexp_f32 v14, v13, 1
	v_mul_f32_e32 v13, v19, v26
	v_ldexp_f32 v27, v19, 1
	s_or_b64 vcc, s[52:53], vcc
	v_mov_b32_e32 v24, v28
	v_pk_mul_f32 v[28:29], v[12:13], v[28:29]
	scratch_store_dwordx2 off, v[24:25], off offset:168 ; 8-byte Folded Spill
	v_fma_f32 v26, v12, s56, -v28
	v_fmac_f32_e32 v26, 0xb102e308, v12
	v_pk_add_f32 v[12:13], v[28:29], v[26:27]
	v_mov_b32_e32 v30, v28
	v_sub_f32_e32 v19, v13, v27
	v_sub_f32_e32 v19, v29, v19
	v_add_f32_e32 v31, v14, v19
	v_pk_add_f32 v[28:29], v[12:13], v[28:29] neg_lo:[0,1] neg_hi:[0,1]
	v_pk_add_f32 v[32:33], v[12:13], v[30:31]
	v_mov_b32_e32 v27, v12
	v_mov_b32_e32 v29, v33
	v_pk_add_f32 v[34:35], v[26:27], v[28:29] neg_lo:[0,1] neg_hi:[0,1]
	v_pk_add_f32 v[26:27], v[26:27], v[28:29]
	s_nop 0
	v_mov_b32_e32 v14, v27
	v_pk_add_f32 v[28:29], v[14:15], v[12:13] neg_lo:[0,1] neg_hi:[0,1]
	v_mov_b32_e32 v26, v33
	v_mov_b32_e32 v19, v28
	v_pk_add_f32 v[36:37], v[32:33], v[18:19] neg_lo:[0,1] neg_hi:[0,1]
	v_mov_b32_e32 v32, v13
	v_mov_b32_e32 v33, v28
	;; [unrolled: 1-line block ×3, first 2 shown]
	v_pk_add_f32 v[26:27], v[26:27], v[32:33] neg_lo:[0,1] neg_hi:[0,1]
	v_mov_b32_e32 v28, v31
	v_mov_b32_e32 v29, v12
	v_pk_add_f32 v[12:13], v[28:29], v[26:27] neg_lo:[0,1] neg_hi:[0,1]
	v_mov_b32_e32 v36, v34
	v_pk_add_f32 v[26:27], v[36:37], v[12:13]
	s_nop 0
	v_mov_b32_e32 v24, v27
	v_pk_add_f32 v[28:29], v[26:27], v[24:25]
	s_nop 0
	v_pk_add_f32 v[30:31], v[14:15], v[28:29]
	v_mov_b32_e32 v13, v28
	v_mov_b32_e32 v27, v30
	v_pk_add_f32 v[32:33], v[26:27], v[34:35] neg_lo:[0,1] neg_hi:[0,1]
	s_nop 0
	v_sub_f32_e32 v14, v26, v32
	v_pk_add_f32 v[12:13], v[12:13], v[32:33] neg_lo:[0,1] neg_hi:[0,1]
	v_sub_f32_e32 v14, v34, v14
	v_add_f32_e32 v12, v12, v14
	v_add_f32_e32 v12, v12, v13
	;; [unrolled: 1-line block ×3, first 2 shown]
	v_cndmask_b32_e32 v63, v12, v21, vcc
.LBB20_87:                              ;   in Loop: Header=BB20_13 Depth=1
	s_or_b64 exec, exec, s[54:55]
	v_lshlrev_b32_e32 v12, 16, v15
	v_readlane_b32 s0, v95, 2
	s_nop 1
	v_add_f32_e32 v64, s0, v12
	v_cmp_ge_f32_e32 vcc, s4, v64
	s_and_b64 s[0:1], s[6:7], vcc
	s_and_saveexec_b64 s[54:55], s[0:1]
	s_cbranch_execz .LBB20_89
; %bb.88:                               ;   in Loop: Header=BB20_13 Depth=1
	v_mul_f32_e32 v12, 0x3fb8aa3b, v64
	v_rndne_f32_e32 v13, v12
	v_sub_f32_e32 v14, v12, v13
	v_fma_f32 v12, v64, s5, -v12
	v_fmac_f32_e32 v12, 0x32a5705f, v64
	v_add_f32_e32 v12, v14, v12
	v_cvt_i32_f32_e32 v13, v13
	v_exp_f32_e32 v12, v12
	v_cmp_ngt_f32_e32 vcc, s8, v64
	v_ldexp_f32 v12, v12, v13
	s_nop 0
	v_cndmask_b32_e32 v12, 0, v12, vcc
	v_cmp_nlt_f32_e32 vcc, s9, v64
	s_nop 1
	v_cndmask_b32_e32 v21, v39, v12, vcc
	v_add_f32_e32 v14, 1.0, v21
	v_add_f32_e32 v12, -1.0, v14
	v_sub_f32_e32 v13, v12, v14
	v_add_f32_e32 v13, 1.0, v13
	v_sub_f32_e32 v12, v21, v12
	v_add_f32_e32 v19, v12, v13
	v_frexp_mant_f32_e32 v24, v14
	v_cvt_f64_f32_e32 v[12:13], v14
	v_frexp_exp_i32_f64_e32 v12, v[12:13]
	v_cmp_gt_f32_e32 vcc, s11, v24
	v_cmp_gt_f32_e64 s[52:53], s57, v21
	s_nop 0
	v_subbrev_co_u32_e32 v24, vcc, 0, v12, vcc
	v_sub_u32_e32 v12, 0, v24
	v_ldexp_f32 v13, v14, v12
	v_add_f32_e32 v14, -1.0, v13
	v_add_f32_e32 v26, 1.0, v13
	v_ldexp_f32 v12, v19, v12
	v_add_f32_e32 v19, 1.0, v14
	v_add_f32_e32 v27, -1.0, v26
	v_sub_f32_e32 v19, v13, v19
	v_sub_f32_e32 v13, v13, v27
	v_add_f32_e32 v19, v12, v19
	v_add_f32_e32 v12, v12, v13
	v_add_f32_e32 v32, v26, v12
	v_rcp_f32_e32 v34, v32
	v_sub_f32_e32 v13, v26, v32
	v_add_f32_e32 v33, v12, v13
	v_add_f32_e32 v13, v14, v19
	v_sub_f32_e32 v12, v14, v13
	v_add_f32_e32 v14, v19, v12
	v_mul_f32_e32 v19, v13, v34
	v_mul_f32_e32 v26, v32, v19
	v_fma_f32 v28, v19, v32, -v26
	v_fmac_f32_e32 v28, v19, v33
	v_add_f32_e32 v12, v26, v28
	v_sub_f32_e32 v27, v13, v12
	v_pk_add_f32 v[30:31], v[12:13], v[26:27] neg_lo:[0,1] neg_hi:[0,1]
	v_mov_b32_e32 v29, v12
	v_pk_add_f32 v[12:13], v[30:31], v[28:29] neg_lo:[0,1] neg_hi:[0,1]
	v_cmp_eq_f32_e32 vcc, s10, v21
	v_add_f32_e32 v13, v14, v13
	v_add_f32_e32 v12, v12, v13
	;; [unrolled: 1-line block ×3, first 2 shown]
	v_mul_f32_e32 v14, v34, v13
	v_mul_f32_e32 v26, v32, v14
	v_fma_f32 v28, v14, v32, -v26
	v_fmac_f32_e32 v28, v14, v33
	v_sub_f32_e32 v27, v27, v13
	v_add_f32_e32 v32, v12, v27
	v_add_f32_e32 v12, v26, v28
	v_sub_f32_e32 v27, v13, v12
	v_pk_add_f32 v[30:31], v[12:13], v[26:27] neg_lo:[0,1] neg_hi:[0,1]
	v_mov_b32_e32 v29, v12
	v_pk_add_f32 v[12:13], v[30:31], v[28:29] neg_lo:[0,1] neg_hi:[0,1]
	scratch_load_dwordx2 v[28:29], off, off offset:168 ; 8-byte Folded Reload
	v_add_f32_e32 v13, v32, v13
	v_add_f32_e32 v12, v12, v13
	;; [unrolled: 1-line block ×4, first 2 shown]
	v_sub_f32_e32 v19, v13, v19
	v_mul_f32_e32 v12, v34, v12
	v_sub_f32_e32 v14, v14, v19
	v_add_f32_e32 v14, v14, v12
	v_add_f32_e32 v19, v13, v14
	v_mul_f32_e32 v26, v19, v19
	v_mov_b32_e32 v12, 0x3ecc95a3
	v_fmamk_f32 v12, v26, 0x3e9b6dac, v12
	s_waitcnt vmcnt(0)
	v_fmaak_f32 v29, v26, v12, 0x3f2aaada
	v_cvt_f32_i32_e32 v12, v24
	v_sub_f32_e32 v13, v19, v13
	v_sub_f32_e32 v13, v14, v13
	v_ldexp_f32 v14, v13, 1
	v_mul_f32_e32 v13, v19, v26
	v_ldexp_f32 v27, v19, 1
	s_or_b64 vcc, s[52:53], vcc
	v_mov_b32_e32 v24, v28
	v_pk_mul_f32 v[28:29], v[12:13], v[28:29]
	scratch_store_dwordx2 off, v[24:25], off offset:168 ; 8-byte Folded Spill
	v_fma_f32 v26, v12, s56, -v28
	v_fmac_f32_e32 v26, 0xb102e308, v12
	v_pk_add_f32 v[12:13], v[28:29], v[26:27]
	v_mov_b32_e32 v30, v28
	v_sub_f32_e32 v19, v13, v27
	v_sub_f32_e32 v19, v29, v19
	v_add_f32_e32 v31, v14, v19
	v_pk_add_f32 v[28:29], v[12:13], v[28:29] neg_lo:[0,1] neg_hi:[0,1]
	v_pk_add_f32 v[32:33], v[12:13], v[30:31]
	v_mov_b32_e32 v27, v12
	v_mov_b32_e32 v29, v33
	v_pk_add_f32 v[34:35], v[26:27], v[28:29] neg_lo:[0,1] neg_hi:[0,1]
	v_pk_add_f32 v[26:27], v[26:27], v[28:29]
	s_nop 0
	v_mov_b32_e32 v14, v27
	v_pk_add_f32 v[28:29], v[14:15], v[12:13] neg_lo:[0,1] neg_hi:[0,1]
	v_mov_b32_e32 v26, v33
	v_mov_b32_e32 v19, v28
	v_pk_add_f32 v[36:37], v[32:33], v[18:19] neg_lo:[0,1] neg_hi:[0,1]
	v_mov_b32_e32 v32, v13
	v_mov_b32_e32 v33, v28
	;; [unrolled: 1-line block ×3, first 2 shown]
	v_pk_add_f32 v[26:27], v[26:27], v[32:33] neg_lo:[0,1] neg_hi:[0,1]
	v_mov_b32_e32 v28, v31
	v_mov_b32_e32 v29, v12
	v_pk_add_f32 v[12:13], v[28:29], v[26:27] neg_lo:[0,1] neg_hi:[0,1]
	v_mov_b32_e32 v36, v34
	v_pk_add_f32 v[26:27], v[36:37], v[12:13]
	s_nop 0
	v_mov_b32_e32 v24, v27
	v_pk_add_f32 v[28:29], v[26:27], v[24:25]
	s_nop 0
	v_pk_add_f32 v[30:31], v[14:15], v[28:29]
	v_mov_b32_e32 v13, v28
	v_mov_b32_e32 v27, v30
	v_pk_add_f32 v[32:33], v[26:27], v[34:35] neg_lo:[0,1] neg_hi:[0,1]
	s_nop 0
	v_sub_f32_e32 v14, v26, v32
	v_pk_add_f32 v[12:13], v[12:13], v[32:33] neg_lo:[0,1] neg_hi:[0,1]
	v_sub_f32_e32 v14, v34, v14
	v_add_f32_e32 v12, v12, v14
	v_add_f32_e32 v12, v12, v13
	;; [unrolled: 1-line block ×3, first 2 shown]
	v_cndmask_b32_e32 v64, v12, v21, vcc
.LBB20_89:                              ;   in Loop: Header=BB20_13 Depth=1
	s_or_b64 exec, exec, s[54:55]
	v_and_b32_e32 v12, 0xffff0000, v15
	v_readlane_b32 s0, v95, 2
	s_nop 1
	v_add_f32_e32 v65, s0, v12
	v_cmp_ge_f32_e32 vcc, s4, v65
	s_and_b64 s[0:1], s[6:7], vcc
	s_and_saveexec_b64 s[54:55], s[0:1]
	s_cbranch_execz .LBB20_91
; %bb.90:                               ;   in Loop: Header=BB20_13 Depth=1
	v_mul_f32_e32 v12, 0x3fb8aa3b, v65
	v_rndne_f32_e32 v13, v12
	v_sub_f32_e32 v14, v12, v13
	v_fma_f32 v12, v65, s5, -v12
	v_fmac_f32_e32 v12, 0x32a5705f, v65
	v_add_f32_e32 v12, v14, v12
	v_cvt_i32_f32_e32 v13, v13
	v_exp_f32_e32 v12, v12
	v_cmp_ngt_f32_e32 vcc, s8, v65
	v_ldexp_f32 v12, v12, v13
	s_nop 0
	v_cndmask_b32_e32 v12, 0, v12, vcc
	v_cmp_nlt_f32_e32 vcc, s9, v65
	s_nop 1
	v_cndmask_b32_e32 v21, v39, v12, vcc
	v_add_f32_e32 v14, 1.0, v21
	v_add_f32_e32 v12, -1.0, v14
	v_sub_f32_e32 v13, v12, v14
	v_add_f32_e32 v13, 1.0, v13
	v_sub_f32_e32 v12, v21, v12
	v_add_f32_e32 v15, v12, v13
	v_frexp_mant_f32_e32 v19, v14
	v_cvt_f64_f32_e32 v[12:13], v14
	v_frexp_exp_i32_f64_e32 v12, v[12:13]
	v_cmp_gt_f32_e32 vcc, s11, v19
	v_cmp_gt_f32_e64 s[52:53], s57, v21
	s_nop 0
	v_subbrev_co_u32_e32 v19, vcc, 0, v12, vcc
	v_sub_u32_e32 v12, 0, v19
	v_ldexp_f32 v13, v14, v12
	v_add_f32_e32 v14, -1.0, v13
	v_add_f32_e32 v24, 1.0, v13
	v_ldexp_f32 v12, v15, v12
	v_add_f32_e32 v15, 1.0, v14
	v_add_f32_e32 v26, -1.0, v24
	v_sub_f32_e32 v15, v13, v15
	v_sub_f32_e32 v13, v13, v26
	v_add_f32_e32 v15, v12, v15
	v_add_f32_e32 v12, v12, v13
	v_add_f32_e32 v30, v24, v12
	v_rcp_f32_e32 v31, v30
	v_sub_f32_e32 v13, v24, v30
	v_add_f32_e32 v24, v12, v13
	v_add_f32_e32 v13, v14, v15
	v_mul_f32_e32 v33, v13, v31
	v_sub_f32_e32 v12, v14, v13
	v_mul_f32_e32 v14, v30, v33
	v_fma_f32 v26, v33, v30, -v14
	v_fmac_f32_e32 v26, v33, v24
	v_add_f32_e32 v32, v15, v12
	v_add_f32_e32 v12, v14, v26
	v_sub_f32_e32 v15, v13, v12
	v_pk_add_f32 v[28:29], v[12:13], v[14:15] neg_lo:[0,1] neg_hi:[0,1]
	v_mov_b32_e32 v27, v12
	v_pk_add_f32 v[12:13], v[28:29], v[26:27] neg_lo:[0,1] neg_hi:[0,1]
	v_cmp_eq_f32_e32 vcc, s10, v21
	v_add_f32_e32 v13, v32, v13
	v_add_f32_e32 v12, v12, v13
	;; [unrolled: 1-line block ×3, first 2 shown]
	v_mul_f32_e32 v32, v31, v13
	v_mul_f32_e32 v14, v30, v32
	v_fma_f32 v26, v32, v30, -v14
	v_fmac_f32_e32 v26, v32, v24
	v_sub_f32_e32 v15, v15, v13
	v_add_f32_e32 v24, v12, v15
	v_add_f32_e32 v12, v14, v26
	v_sub_f32_e32 v15, v13, v12
	v_pk_add_f32 v[28:29], v[12:13], v[14:15] neg_lo:[0,1] neg_hi:[0,1]
	v_mov_b32_e32 v27, v12
	v_pk_add_f32 v[12:13], v[28:29], v[26:27] neg_lo:[0,1] neg_hi:[0,1]
	scratch_load_dwordx2 v[28:29], off, off offset:168 ; 8-byte Folded Reload
	v_add_f32_e32 v13, v24, v13
	v_add_f32_e32 v12, v12, v13
	;; [unrolled: 1-line block ×4, first 2 shown]
	v_sub_f32_e32 v14, v13, v33
	v_mul_f32_e32 v12, v31, v12
	v_sub_f32_e32 v14, v32, v14
	v_add_f32_e32 v14, v14, v12
	v_add_f32_e32 v24, v13, v14
	v_mul_f32_e32 v26, v24, v24
	v_mov_b32_e32 v12, 0x3ecc95a3
	v_fmamk_f32 v12, v26, 0x3e9b6dac, v12
	s_waitcnt vmcnt(0)
	v_fmaak_f32 v29, v26, v12, 0x3f2aaada
	v_cvt_f32_i32_e32 v12, v19
	v_sub_f32_e32 v13, v24, v13
	v_sub_f32_e32 v13, v14, v13
	v_ldexp_f32 v19, v13, 1
	v_mul_f32_e32 v13, v24, v26
	v_ldexp_f32 v15, v24, 1
	s_or_b64 vcc, s[52:53], vcc
	v_mov_b32_e32 v14, v28
	v_pk_mul_f32 v[26:27], v[12:13], v[28:29]
	scratch_store_dwordx2 off, v[14:15], off offset:168 ; 8-byte Folded Spill
	v_fma_f32 v14, v12, s56, -v26
	v_fmac_f32_e32 v14, 0xb102e308, v12
	v_pk_add_f32 v[12:13], v[26:27], v[14:15]
	v_mov_b32_e32 v28, v26
	v_sub_f32_e32 v15, v13, v15
	v_sub_f32_e32 v15, v27, v15
	v_add_f32_e32 v29, v19, v15
	v_pk_add_f32 v[26:27], v[12:13], v[26:27] neg_lo:[0,1] neg_hi:[0,1]
	v_pk_add_f32 v[30:31], v[12:13], v[28:29]
	v_mov_b32_e32 v15, v12
	v_mov_b32_e32 v27, v31
	v_pk_add_f32 v[32:33], v[14:15], v[26:27] neg_lo:[0,1] neg_hi:[0,1]
	v_pk_add_f32 v[14:15], v[14:15], v[26:27]
	s_nop 0
	v_mov_b32_e32 v24, v15
	v_pk_add_f32 v[26:27], v[24:25], v[12:13] neg_lo:[0,1] neg_hi:[0,1]
	v_mov_b32_e32 v14, v31
	v_mov_b32_e32 v19, v26
	v_pk_add_f32 v[34:35], v[30:31], v[18:19] neg_lo:[0,1] neg_hi:[0,1]
	v_mov_b32_e32 v30, v13
	v_mov_b32_e32 v31, v26
	v_mov_b32_e32 v33, v15
	v_pk_add_f32 v[14:15], v[14:15], v[30:31] neg_lo:[0,1] neg_hi:[0,1]
	v_mov_b32_e32 v26, v29
	v_mov_b32_e32 v27, v12
	v_pk_add_f32 v[12:13], v[26:27], v[14:15] neg_lo:[0,1] neg_hi:[0,1]
	v_mov_b32_e32 v34, v32
	v_pk_add_f32 v[14:15], v[34:35], v[12:13]
	s_nop 0
	v_mov_b32_e32 v26, v15
	v_pk_add_f32 v[26:27], v[14:15], v[26:27]
	s_nop 0
	v_pk_add_f32 v[28:29], v[24:25], v[26:27]
	v_mov_b32_e32 v13, v26
	v_mov_b32_e32 v15, v28
	v_pk_add_f32 v[30:31], v[14:15], v[32:33] neg_lo:[0,1] neg_hi:[0,1]
	s_nop 0
	v_sub_f32_e32 v14, v14, v30
	v_pk_add_f32 v[12:13], v[12:13], v[30:31] neg_lo:[0,1] neg_hi:[0,1]
	v_sub_f32_e32 v14, v32, v14
	v_add_f32_e32 v12, v12, v14
	v_add_f32_e32 v12, v12, v13
	;; [unrolled: 1-line block ×3, first 2 shown]
	v_cndmask_b32_e32 v65, v12, v21, vcc
.LBB20_91:                              ;   in Loop: Header=BB20_13 Depth=1
	s_or_b64 exec, exec, s[54:55]
	s_waitcnt lgkmcnt(0)
	v_lshlrev_b32_e32 v12, 16, v8
	v_readlane_b32 s0, v95, 2
	s_nop 1
	v_add_f32_e32 v66, s0, v12
	v_cmp_ge_f32_e32 vcc, s4, v66
	s_and_b64 s[0:1], s[6:7], vcc
	s_and_saveexec_b64 s[54:55], s[0:1]
	s_cbranch_execz .LBB20_93
; %bb.92:                               ;   in Loop: Header=BB20_13 Depth=1
	v_mul_f32_e32 v12, 0x3fb8aa3b, v66
	v_rndne_f32_e32 v13, v12
	v_sub_f32_e32 v14, v12, v13
	v_fma_f32 v12, v66, s5, -v12
	v_fmac_f32_e32 v12, 0x32a5705f, v66
	v_add_f32_e32 v12, v14, v12
	v_cvt_i32_f32_e32 v13, v13
	v_exp_f32_e32 v12, v12
	v_cmp_ngt_f32_e32 vcc, s8, v66
	v_ldexp_f32 v12, v12, v13
	s_nop 0
	v_cndmask_b32_e32 v12, 0, v12, vcc
	v_cmp_nlt_f32_e32 vcc, s9, v66
	s_nop 1
	v_cndmask_b32_e32 v21, v39, v12, vcc
	v_add_f32_e32 v14, 1.0, v21
	v_add_f32_e32 v12, -1.0, v14
	v_sub_f32_e32 v13, v12, v14
	v_add_f32_e32 v13, 1.0, v13
	v_sub_f32_e32 v12, v21, v12
	v_add_f32_e32 v15, v12, v13
	v_frexp_mant_f32_e32 v19, v14
	v_cvt_f64_f32_e32 v[12:13], v14
	v_frexp_exp_i32_f64_e32 v12, v[12:13]
	v_cmp_gt_f32_e32 vcc, s11, v19
	v_cmp_gt_f32_e64 s[52:53], s57, v21
	s_nop 0
	v_subbrev_co_u32_e32 v19, vcc, 0, v12, vcc
	v_sub_u32_e32 v12, 0, v19
	v_ldexp_f32 v13, v14, v12
	v_add_f32_e32 v14, -1.0, v13
	v_add_f32_e32 v24, 1.0, v13
	v_ldexp_f32 v12, v15, v12
	v_add_f32_e32 v15, 1.0, v14
	v_add_f32_e32 v26, -1.0, v24
	v_sub_f32_e32 v15, v13, v15
	v_sub_f32_e32 v13, v13, v26
	v_add_f32_e32 v15, v12, v15
	v_add_f32_e32 v12, v12, v13
	;; [unrolled: 1-line block ×3, first 2 shown]
	v_rcp_f32_e32 v31, v30
	v_sub_f32_e32 v13, v24, v30
	v_add_f32_e32 v24, v12, v13
	v_add_f32_e32 v13, v14, v15
	v_mul_f32_e32 v33, v13, v31
	v_sub_f32_e32 v12, v14, v13
	v_mul_f32_e32 v14, v30, v33
	v_fma_f32 v26, v33, v30, -v14
	v_fmac_f32_e32 v26, v33, v24
	v_add_f32_e32 v32, v15, v12
	v_add_f32_e32 v12, v14, v26
	v_sub_f32_e32 v15, v13, v12
	v_pk_add_f32 v[28:29], v[12:13], v[14:15] neg_lo:[0,1] neg_hi:[0,1]
	v_mov_b32_e32 v27, v12
	v_pk_add_f32 v[12:13], v[28:29], v[26:27] neg_lo:[0,1] neg_hi:[0,1]
	v_cmp_eq_f32_e32 vcc, s10, v21
	v_add_f32_e32 v13, v32, v13
	v_add_f32_e32 v12, v12, v13
	;; [unrolled: 1-line block ×3, first 2 shown]
	v_mul_f32_e32 v32, v31, v13
	v_mul_f32_e32 v14, v30, v32
	v_fma_f32 v26, v32, v30, -v14
	v_fmac_f32_e32 v26, v32, v24
	v_sub_f32_e32 v15, v15, v13
	v_add_f32_e32 v24, v12, v15
	v_add_f32_e32 v12, v14, v26
	v_sub_f32_e32 v15, v13, v12
	v_pk_add_f32 v[28:29], v[12:13], v[14:15] neg_lo:[0,1] neg_hi:[0,1]
	v_mov_b32_e32 v27, v12
	v_pk_add_f32 v[12:13], v[28:29], v[26:27] neg_lo:[0,1] neg_hi:[0,1]
	scratch_load_dwordx2 v[28:29], off, off offset:168 ; 8-byte Folded Reload
	v_add_f32_e32 v13, v24, v13
	v_add_f32_e32 v12, v12, v13
	;; [unrolled: 1-line block ×4, first 2 shown]
	v_sub_f32_e32 v14, v13, v33
	v_mul_f32_e32 v12, v31, v12
	v_sub_f32_e32 v14, v32, v14
	v_add_f32_e32 v14, v14, v12
	v_add_f32_e32 v24, v13, v14
	v_mul_f32_e32 v26, v24, v24
	v_mov_b32_e32 v12, 0x3ecc95a3
	v_fmamk_f32 v12, v26, 0x3e9b6dac, v12
	s_waitcnt vmcnt(0)
	v_fmaak_f32 v29, v26, v12, 0x3f2aaada
	v_cvt_f32_i32_e32 v12, v19
	v_sub_f32_e32 v13, v24, v13
	v_sub_f32_e32 v13, v14, v13
	v_ldexp_f32 v19, v13, 1
	v_mul_f32_e32 v13, v24, v26
	v_ldexp_f32 v15, v24, 1
	s_or_b64 vcc, s[52:53], vcc
	v_mov_b32_e32 v14, v28
	v_pk_mul_f32 v[26:27], v[12:13], v[28:29]
	scratch_store_dwordx2 off, v[14:15], off offset:168 ; 8-byte Folded Spill
	v_fma_f32 v14, v12, s56, -v26
	v_fmac_f32_e32 v14, 0xb102e308, v12
	v_pk_add_f32 v[12:13], v[26:27], v[14:15]
	v_mov_b32_e32 v28, v26
	v_sub_f32_e32 v15, v13, v15
	v_sub_f32_e32 v15, v27, v15
	v_add_f32_e32 v29, v19, v15
	v_pk_add_f32 v[26:27], v[12:13], v[26:27] neg_lo:[0,1] neg_hi:[0,1]
	v_pk_add_f32 v[30:31], v[12:13], v[28:29]
	v_mov_b32_e32 v15, v12
	v_mov_b32_e32 v27, v31
	v_pk_add_f32 v[32:33], v[14:15], v[26:27] neg_lo:[0,1] neg_hi:[0,1]
	v_pk_add_f32 v[14:15], v[14:15], v[26:27]
	s_nop 0
	v_mov_b32_e32 v24, v15
	v_pk_add_f32 v[26:27], v[24:25], v[12:13] neg_lo:[0,1] neg_hi:[0,1]
	v_mov_b32_e32 v14, v31
	v_mov_b32_e32 v19, v26
	v_pk_add_f32 v[34:35], v[30:31], v[18:19] neg_lo:[0,1] neg_hi:[0,1]
	v_mov_b32_e32 v30, v13
	v_mov_b32_e32 v31, v26
	;; [unrolled: 1-line block ×3, first 2 shown]
	v_pk_add_f32 v[14:15], v[14:15], v[30:31] neg_lo:[0,1] neg_hi:[0,1]
	v_mov_b32_e32 v26, v29
	v_mov_b32_e32 v27, v12
	v_pk_add_f32 v[12:13], v[26:27], v[14:15] neg_lo:[0,1] neg_hi:[0,1]
	v_mov_b32_e32 v34, v32
	v_pk_add_f32 v[14:15], v[34:35], v[12:13]
	s_nop 0
	v_mov_b32_e32 v26, v15
	v_pk_add_f32 v[26:27], v[14:15], v[26:27]
	s_nop 0
	v_pk_add_f32 v[28:29], v[24:25], v[26:27]
	v_mov_b32_e32 v13, v26
	v_mov_b32_e32 v15, v28
	v_pk_add_f32 v[30:31], v[14:15], v[32:33] neg_lo:[0,1] neg_hi:[0,1]
	s_nop 0
	v_sub_f32_e32 v14, v14, v30
	v_pk_add_f32 v[12:13], v[12:13], v[30:31] neg_lo:[0,1] neg_hi:[0,1]
	v_sub_f32_e32 v14, v32, v14
	v_add_f32_e32 v12, v12, v14
	v_add_f32_e32 v12, v12, v13
	;; [unrolled: 1-line block ×3, first 2 shown]
	v_cndmask_b32_e32 v66, v12, v21, vcc
.LBB20_93:                              ;   in Loop: Header=BB20_13 Depth=1
	s_or_b64 exec, exec, s[54:55]
	v_and_b32_e32 v8, 0xffff0000, v8
	v_readlane_b32 s0, v95, 2
	s_nop 1
	v_add_f32_e32 v67, s0, v8
	v_cmp_ge_f32_e32 vcc, s4, v67
	s_and_b64 s[0:1], s[6:7], vcc
	s_and_saveexec_b64 s[54:55], s[0:1]
	s_cbranch_execz .LBB20_95
; %bb.94:                               ;   in Loop: Header=BB20_13 Depth=1
	v_mul_f32_e32 v8, 0x3fb8aa3b, v67
	v_rndne_f32_e32 v12, v8
	v_sub_f32_e32 v13, v8, v12
	v_fma_f32 v8, v67, s5, -v8
	v_fmac_f32_e32 v8, 0x32a5705f, v67
	v_add_f32_e32 v8, v13, v8
	v_cvt_i32_f32_e32 v12, v12
	v_exp_f32_e32 v8, v8
	v_cmp_ngt_f32_e32 vcc, s8, v67
	v_ldexp_f32 v8, v8, v12
	s_nop 0
	v_cndmask_b32_e32 v8, 0, v8, vcc
	v_cmp_nlt_f32_e32 vcc, s9, v67
	s_nop 1
	v_cndmask_b32_e32 v21, v39, v8, vcc
	v_add_f32_e32 v8, 1.0, v21
	v_add_f32_e32 v12, -1.0, v8
	v_sub_f32_e32 v13, v12, v8
	v_add_f32_e32 v13, 1.0, v13
	v_sub_f32_e32 v12, v21, v12
	v_add_f32_e32 v14, v12, v13
	v_frexp_mant_f32_e32 v15, v8
	v_cvt_f64_f32_e32 v[12:13], v8
	v_frexp_exp_i32_f64_e32 v12, v[12:13]
	v_cmp_gt_f32_e32 vcc, s11, v15
	v_cmp_gt_f32_e64 s[52:53], s57, v21
	s_nop 0
	v_subbrev_co_u32_e32 v19, vcc, 0, v12, vcc
	v_sub_u32_e32 v12, 0, v19
	v_ldexp_f32 v8, v8, v12
	v_ldexp_f32 v12, v14, v12
	v_add_f32_e32 v14, -1.0, v8
	v_add_f32_e32 v13, 1.0, v14
	v_sub_f32_e32 v13, v8, v13
	v_add_f32_e32 v15, v12, v13
	v_add_f32_e32 v13, 1.0, v8
	v_add_f32_e32 v24, -1.0, v13
	v_sub_f32_e32 v8, v8, v24
	v_add_f32_e32 v8, v12, v8
	v_add_f32_e32 v24, v13, v8
	v_rcp_f32_e32 v30, v24
	v_sub_f32_e32 v12, v13, v24
	v_add_f32_e32 v13, v14, v15
	v_add_f32_e32 v8, v8, v12
	v_mul_f32_e32 v32, v13, v30
	v_sub_f32_e32 v12, v14, v13
	v_mul_f32_e32 v14, v24, v32
	v_fma_f32 v26, v32, v24, -v14
	v_fmac_f32_e32 v26, v32, v8
	v_add_f32_e32 v31, v15, v12
	v_add_f32_e32 v12, v14, v26
	v_sub_f32_e32 v15, v13, v12
	v_pk_add_f32 v[28:29], v[12:13], v[14:15] neg_lo:[0,1] neg_hi:[0,1]
	v_mov_b32_e32 v27, v12
	v_pk_add_f32 v[12:13], v[28:29], v[26:27] neg_lo:[0,1] neg_hi:[0,1]
	v_cmp_eq_f32_e32 vcc, s10, v21
	v_add_f32_e32 v13, v31, v13
	v_add_f32_e32 v12, v12, v13
	;; [unrolled: 1-line block ×3, first 2 shown]
	v_mul_f32_e32 v31, v30, v13
	v_mul_f32_e32 v14, v24, v31
	v_fma_f32 v26, v31, v24, -v14
	v_fmac_f32_e32 v26, v31, v8
	v_sub_f32_e32 v8, v15, v13
	v_add_f32_e32 v8, v12, v8
	v_add_f32_e32 v12, v14, v26
	v_sub_f32_e32 v15, v13, v12
	v_pk_add_f32 v[28:29], v[12:13], v[14:15] neg_lo:[0,1] neg_hi:[0,1]
	v_mov_b32_e32 v27, v12
	v_pk_add_f32 v[12:13], v[28:29], v[26:27] neg_lo:[0,1] neg_hi:[0,1]
	scratch_load_dwordx2 v[26:27], off, off offset:168 ; 8-byte Folded Reload
	v_add_f32_e32 v8, v8, v13
	v_add_f32_e32 v8, v12, v8
	;; [unrolled: 1-line block ×4, first 2 shown]
	v_sub_f32_e32 v12, v13, v32
	v_mul_f32_e32 v8, v30, v8
	v_sub_f32_e32 v12, v31, v12
	v_add_f32_e32 v8, v12, v8
	v_add_f32_e32 v14, v13, v8
	v_mul_f32_e32 v24, v14, v14
	v_mov_b32_e32 v12, 0x3ecc95a3
	v_fmamk_f32 v12, v24, 0x3e9b6dac, v12
	s_waitcnt vmcnt(0)
	v_fmaak_f32 v27, v24, v12, 0x3f2aaada
	v_cvt_f32_i32_e32 v12, v19
	v_sub_f32_e32 v13, v14, v13
	v_sub_f32_e32 v8, v8, v13
	v_mul_f32_e32 v13, v14, v24
	v_ldexp_f32 v15, v14, 1
	v_ldexp_f32 v8, v8, 1
	s_or_b64 vcc, s[52:53], vcc
	v_mov_b32_e32 v14, v26
	v_pk_mul_f32 v[26:27], v[12:13], v[26:27]
	scratch_store_dwordx2 off, v[14:15], off offset:168 ; 8-byte Folded Spill
	v_fma_f32 v14, v12, s56, -v26
	v_fmac_f32_e32 v14, 0xb102e308, v12
	v_pk_add_f32 v[12:13], v[26:27], v[14:15]
	v_mov_b32_e32 v28, v26
	v_sub_f32_e32 v15, v13, v15
	v_sub_f32_e32 v15, v27, v15
	v_add_f32_e32 v29, v8, v15
	v_pk_add_f32 v[26:27], v[12:13], v[26:27] neg_lo:[0,1] neg_hi:[0,1]
	v_pk_add_f32 v[30:31], v[12:13], v[28:29]
	v_mov_b32_e32 v15, v12
	v_mov_b32_e32 v27, v31
	v_pk_add_f32 v[32:33], v[14:15], v[26:27] neg_lo:[0,1] neg_hi:[0,1]
	v_pk_add_f32 v[14:15], v[14:15], v[26:27]
	s_nop 0
	v_mov_b32_e32 v8, v15
	v_pk_add_f32 v[26:27], v[8:9], v[12:13] neg_lo:[0,1] neg_hi:[0,1]
	v_mov_b32_e32 v14, v31
	v_mov_b32_e32 v19, v26
	v_pk_add_f32 v[34:35], v[30:31], v[18:19] neg_lo:[0,1] neg_hi:[0,1]
	v_mov_b32_e32 v30, v13
	v_mov_b32_e32 v31, v26
	;; [unrolled: 1-line block ×3, first 2 shown]
	v_pk_add_f32 v[14:15], v[14:15], v[30:31] neg_lo:[0,1] neg_hi:[0,1]
	v_mov_b32_e32 v26, v29
	v_mov_b32_e32 v27, v12
	v_pk_add_f32 v[12:13], v[26:27], v[14:15] neg_lo:[0,1] neg_hi:[0,1]
	v_mov_b32_e32 v34, v32
	v_pk_add_f32 v[14:15], v[34:35], v[12:13]
	s_nop 0
	v_mov_b32_e32 v24, v15
	v_pk_add_f32 v[26:27], v[14:15], v[24:25]
	s_nop 0
	v_pk_add_f32 v[28:29], v[8:9], v[26:27]
	v_mov_b32_e32 v13, v26
	v_mov_b32_e32 v15, v28
	v_pk_add_f32 v[30:31], v[14:15], v[32:33] neg_lo:[0,1] neg_hi:[0,1]
	s_nop 0
	v_sub_f32_e32 v8, v14, v30
	v_pk_add_f32 v[12:13], v[12:13], v[30:31] neg_lo:[0,1] neg_hi:[0,1]
	v_sub_f32_e32 v8, v32, v8
	v_add_f32_e32 v8, v12, v8
	v_add_f32_e32 v8, v8, v13
	;; [unrolled: 1-line block ×3, first 2 shown]
	v_cndmask_b32_e32 v67, v8, v21, vcc
.LBB20_95:                              ;   in Loop: Header=BB20_13 Depth=1
	s_or_b64 exec, exec, s[54:55]
	v_lshlrev_b32_e32 v8, 16, v9
	v_readlane_b32 s0, v95, 2
	s_nop 1
	v_add_f32_e32 v68, s0, v8
	v_cmp_ge_f32_e32 vcc, s4, v68
	s_and_b64 s[0:1], s[6:7], vcc
	s_and_saveexec_b64 s[54:55], s[0:1]
	s_cbranch_execz .LBB20_97
; %bb.96:                               ;   in Loop: Header=BB20_13 Depth=1
	v_mul_f32_e32 v8, 0x3fb8aa3b, v68
	v_rndne_f32_e32 v12, v8
	v_sub_f32_e32 v13, v8, v12
	v_fma_f32 v8, v68, s5, -v8
	v_fmac_f32_e32 v8, 0x32a5705f, v68
	v_add_f32_e32 v8, v13, v8
	v_cvt_i32_f32_e32 v12, v12
	v_exp_f32_e32 v8, v8
	v_cmp_ngt_f32_e32 vcc, s8, v68
	v_ldexp_f32 v8, v8, v12
	s_nop 0
	v_cndmask_b32_e32 v8, 0, v8, vcc
	v_cmp_nlt_f32_e32 vcc, s9, v68
	s_nop 1
	v_cndmask_b32_e32 v21, v39, v8, vcc
	v_add_f32_e32 v8, 1.0, v21
	v_add_f32_e32 v12, -1.0, v8
	v_sub_f32_e32 v13, v12, v8
	v_add_f32_e32 v13, 1.0, v13
	v_sub_f32_e32 v12, v21, v12
	v_add_f32_e32 v14, v12, v13
	v_frexp_mant_f32_e32 v15, v8
	v_cvt_f64_f32_e32 v[12:13], v8
	v_frexp_exp_i32_f64_e32 v12, v[12:13]
	v_cmp_gt_f32_e32 vcc, s11, v15
	v_cmp_gt_f32_e64 s[52:53], s57, v21
	s_nop 0
	v_subbrev_co_u32_e32 v19, vcc, 0, v12, vcc
	v_sub_u32_e32 v12, 0, v19
	v_ldexp_f32 v8, v8, v12
	v_ldexp_f32 v12, v14, v12
	v_add_f32_e32 v14, -1.0, v8
	v_add_f32_e32 v13, 1.0, v14
	v_sub_f32_e32 v13, v8, v13
	v_add_f32_e32 v15, v12, v13
	v_add_f32_e32 v13, 1.0, v8
	v_add_f32_e32 v24, -1.0, v13
	v_sub_f32_e32 v8, v8, v24
	v_add_f32_e32 v8, v12, v8
	v_add_f32_e32 v24, v13, v8
	v_rcp_f32_e32 v30, v24
	v_sub_f32_e32 v12, v13, v24
	v_add_f32_e32 v13, v14, v15
	v_add_f32_e32 v8, v8, v12
	v_mul_f32_e32 v32, v13, v30
	v_sub_f32_e32 v12, v14, v13
	v_mul_f32_e32 v14, v24, v32
	v_fma_f32 v26, v32, v24, -v14
	v_fmac_f32_e32 v26, v32, v8
	v_add_f32_e32 v31, v15, v12
	v_add_f32_e32 v12, v14, v26
	v_sub_f32_e32 v15, v13, v12
	v_pk_add_f32 v[28:29], v[12:13], v[14:15] neg_lo:[0,1] neg_hi:[0,1]
	v_mov_b32_e32 v27, v12
	v_pk_add_f32 v[12:13], v[28:29], v[26:27] neg_lo:[0,1] neg_hi:[0,1]
	v_cmp_eq_f32_e32 vcc, s10, v21
	v_add_f32_e32 v13, v31, v13
	v_add_f32_e32 v12, v12, v13
	;; [unrolled: 1-line block ×3, first 2 shown]
	v_mul_f32_e32 v31, v30, v13
	v_mul_f32_e32 v14, v24, v31
	v_fma_f32 v26, v31, v24, -v14
	v_fmac_f32_e32 v26, v31, v8
	v_sub_f32_e32 v8, v15, v13
	v_add_f32_e32 v8, v12, v8
	v_add_f32_e32 v12, v14, v26
	v_sub_f32_e32 v15, v13, v12
	v_pk_add_f32 v[28:29], v[12:13], v[14:15] neg_lo:[0,1] neg_hi:[0,1]
	v_mov_b32_e32 v27, v12
	v_pk_add_f32 v[12:13], v[28:29], v[26:27] neg_lo:[0,1] neg_hi:[0,1]
	scratch_load_dwordx2 v[26:27], off, off offset:168 ; 8-byte Folded Reload
	v_add_f32_e32 v8, v8, v13
	v_add_f32_e32 v8, v12, v8
	;; [unrolled: 1-line block ×4, first 2 shown]
	v_sub_f32_e32 v12, v13, v32
	v_mul_f32_e32 v8, v30, v8
	v_sub_f32_e32 v12, v31, v12
	v_add_f32_e32 v8, v12, v8
	v_add_f32_e32 v14, v13, v8
	v_mul_f32_e32 v24, v14, v14
	v_mov_b32_e32 v12, 0x3ecc95a3
	v_fmamk_f32 v12, v24, 0x3e9b6dac, v12
	s_waitcnt vmcnt(0)
	v_fmaak_f32 v27, v24, v12, 0x3f2aaada
	v_cvt_f32_i32_e32 v12, v19
	v_sub_f32_e32 v13, v14, v13
	v_sub_f32_e32 v8, v8, v13
	v_mul_f32_e32 v13, v14, v24
	v_ldexp_f32 v15, v14, 1
	v_ldexp_f32 v8, v8, 1
	s_or_b64 vcc, s[52:53], vcc
	v_mov_b32_e32 v14, v26
	v_pk_mul_f32 v[26:27], v[12:13], v[26:27]
	scratch_store_dwordx2 off, v[14:15], off offset:168 ; 8-byte Folded Spill
	v_fma_f32 v14, v12, s56, -v26
	v_fmac_f32_e32 v14, 0xb102e308, v12
	v_pk_add_f32 v[12:13], v[26:27], v[14:15]
	v_mov_b32_e32 v28, v26
	v_sub_f32_e32 v15, v13, v15
	v_sub_f32_e32 v15, v27, v15
	v_add_f32_e32 v29, v8, v15
	v_pk_add_f32 v[26:27], v[12:13], v[26:27] neg_lo:[0,1] neg_hi:[0,1]
	v_pk_add_f32 v[30:31], v[12:13], v[28:29]
	v_mov_b32_e32 v15, v12
	v_mov_b32_e32 v27, v31
	v_pk_add_f32 v[32:33], v[14:15], v[26:27] neg_lo:[0,1] neg_hi:[0,1]
	v_pk_add_f32 v[14:15], v[14:15], v[26:27]
	s_nop 0
	v_mov_b32_e32 v8, v15
	v_pk_add_f32 v[26:27], v[8:9], v[12:13] neg_lo:[0,1] neg_hi:[0,1]
	v_mov_b32_e32 v14, v31
	v_mov_b32_e32 v19, v26
	v_pk_add_f32 v[34:35], v[30:31], v[18:19] neg_lo:[0,1] neg_hi:[0,1]
	v_mov_b32_e32 v30, v13
	v_mov_b32_e32 v31, v26
	;; [unrolled: 1-line block ×3, first 2 shown]
	v_pk_add_f32 v[14:15], v[14:15], v[30:31] neg_lo:[0,1] neg_hi:[0,1]
	v_mov_b32_e32 v26, v29
	v_mov_b32_e32 v27, v12
	v_pk_add_f32 v[12:13], v[26:27], v[14:15] neg_lo:[0,1] neg_hi:[0,1]
	v_mov_b32_e32 v34, v32
	v_pk_add_f32 v[14:15], v[34:35], v[12:13]
	s_nop 0
	v_mov_b32_e32 v24, v15
	v_pk_add_f32 v[26:27], v[14:15], v[24:25]
	s_nop 0
	v_pk_add_f32 v[28:29], v[8:9], v[26:27]
	v_mov_b32_e32 v13, v26
	v_mov_b32_e32 v15, v28
	v_pk_add_f32 v[30:31], v[14:15], v[32:33] neg_lo:[0,1] neg_hi:[0,1]
	s_nop 0
	v_sub_f32_e32 v8, v14, v30
	v_pk_add_f32 v[12:13], v[12:13], v[30:31] neg_lo:[0,1] neg_hi:[0,1]
	v_sub_f32_e32 v8, v32, v8
	v_add_f32_e32 v8, v12, v8
	v_add_f32_e32 v8, v8, v13
	;; [unrolled: 1-line block ×3, first 2 shown]
	v_cndmask_b32_e32 v68, v8, v21, vcc
.LBB20_97:                              ;   in Loop: Header=BB20_13 Depth=1
	s_or_b64 exec, exec, s[54:55]
	v_and_b32_e32 v8, 0xffff0000, v9
	v_readlane_b32 s0, v95, 2
	s_nop 1
	v_add_f32_e32 v69, s0, v8
	v_cmp_ge_f32_e32 vcc, s4, v69
	s_and_b64 s[0:1], s[6:7], vcc
	s_and_saveexec_b64 s[54:55], s[0:1]
	s_cbranch_execz .LBB20_99
; %bb.98:                               ;   in Loop: Header=BB20_13 Depth=1
	v_mul_f32_e32 v8, 0x3fb8aa3b, v69
	v_rndne_f32_e32 v9, v8
	v_sub_f32_e32 v12, v8, v9
	v_fma_f32 v8, v69, s5, -v8
	v_fmac_f32_e32 v8, 0x32a5705f, v69
	v_add_f32_e32 v8, v12, v8
	v_cvt_i32_f32_e32 v9, v9
	v_exp_f32_e32 v8, v8
	v_cmp_ngt_f32_e32 vcc, s8, v69
	v_ldexp_f32 v8, v8, v9
	s_nop 0
	v_cndmask_b32_e32 v8, 0, v8, vcc
	v_cmp_nlt_f32_e32 vcc, s9, v69
	s_nop 1
	v_cndmask_b32_e32 v19, v39, v8, vcc
	v_add_f32_e32 v12, 1.0, v19
	v_add_f32_e32 v8, -1.0, v12
	v_sub_f32_e32 v9, v8, v12
	v_add_f32_e32 v9, 1.0, v9
	v_sub_f32_e32 v8, v19, v8
	v_add_f32_e32 v13, v8, v9
	v_frexp_mant_f32_e32 v14, v12
	v_cvt_f64_f32_e32 v[8:9], v12
	v_frexp_exp_i32_f64_e32 v8, v[8:9]
	v_cmp_gt_f32_e32 vcc, s11, v14
	v_cmp_gt_f32_e64 s[52:53], s57, v19
	s_nop 0
	v_subbrev_co_u32_e32 v21, vcc, 0, v8, vcc
	v_sub_u32_e32 v8, 0, v21
	v_ldexp_f32 v9, v12, v8
	v_add_f32_e32 v12, -1.0, v9
	v_add_f32_e32 v14, 1.0, v9
	v_ldexp_f32 v8, v13, v8
	v_add_f32_e32 v13, 1.0, v12
	v_add_f32_e32 v15, -1.0, v14
	v_sub_f32_e32 v13, v9, v13
	v_sub_f32_e32 v9, v9, v15
	v_add_f32_e32 v13, v8, v13
	v_add_f32_e32 v8, v8, v9
	;; [unrolled: 1-line block ×3, first 2 shown]
	v_rcp_f32_e32 v29, v24
	v_sub_f32_e32 v9, v14, v24
	v_add_f32_e32 v28, v8, v9
	v_add_f32_e32 v9, v12, v13
	v_mul_f32_e32 v31, v9, v29
	v_sub_f32_e32 v8, v12, v9
	v_mul_f32_e32 v12, v24, v31
	v_fma_f32 v14, v31, v24, -v12
	v_fmac_f32_e32 v14, v31, v28
	v_add_f32_e32 v30, v13, v8
	v_add_f32_e32 v8, v12, v14
	v_sub_f32_e32 v13, v9, v8
	v_pk_add_f32 v[26:27], v[8:9], v[12:13] neg_lo:[0,1] neg_hi:[0,1]
	v_mov_b32_e32 v15, v8
	v_pk_add_f32 v[8:9], v[26:27], v[14:15] neg_lo:[0,1] neg_hi:[0,1]
	v_cmp_eq_f32_e32 vcc, s10, v19
	v_add_f32_e32 v9, v30, v9
	v_add_f32_e32 v8, v8, v9
	;; [unrolled: 1-line block ×3, first 2 shown]
	v_mul_f32_e32 v30, v29, v9
	v_mul_f32_e32 v12, v24, v30
	v_fma_f32 v14, v30, v24, -v12
	v_fmac_f32_e32 v14, v30, v28
	v_sub_f32_e32 v13, v13, v9
	v_add_f32_e32 v24, v8, v13
	v_add_f32_e32 v8, v12, v14
	v_sub_f32_e32 v13, v9, v8
	v_pk_add_f32 v[26:27], v[8:9], v[12:13] neg_lo:[0,1] neg_hi:[0,1]
	v_mov_b32_e32 v15, v8
	v_pk_add_f32 v[8:9], v[26:27], v[14:15] neg_lo:[0,1] neg_hi:[0,1]
	scratch_load_dwordx2 v[26:27], off, off offset:168 ; 8-byte Folded Reload
	v_add_f32_e32 v9, v24, v9
	v_add_f32_e32 v8, v8, v9
	;; [unrolled: 1-line block ×4, first 2 shown]
	v_sub_f32_e32 v12, v9, v31
	v_mul_f32_e32 v8, v29, v8
	v_sub_f32_e32 v12, v30, v12
	v_add_f32_e32 v12, v12, v8
	v_add_f32_e32 v14, v9, v12
	v_mul_f32_e32 v15, v14, v14
	v_mov_b32_e32 v8, 0x3ecc95a3
	v_fmamk_f32 v8, v15, 0x3e9b6dac, v8
	s_waitcnt vmcnt(0)
	v_fmaak_f32 v27, v15, v8, 0x3f2aaada
	v_cvt_f32_i32_e32 v8, v21
	v_sub_f32_e32 v9, v14, v9
	v_sub_f32_e32 v9, v12, v9
	v_ldexp_f32 v21, v9, 1
	v_mul_f32_e32 v9, v14, v15
	v_ldexp_f32 v13, v14, 1
	s_or_b64 vcc, s[52:53], vcc
	v_mov_b32_e32 v12, v26
	v_pk_mul_f32 v[14:15], v[8:9], v[26:27]
	scratch_store_dwordx2 off, v[12:13], off offset:168 ; 8-byte Folded Spill
	v_fma_f32 v12, v8, s56, -v14
	v_fmac_f32_e32 v12, 0xb102e308, v8
	v_pk_add_f32 v[8:9], v[14:15], v[12:13]
	v_mov_b32_e32 v26, v14
	v_sub_f32_e32 v13, v9, v13
	v_sub_f32_e32 v13, v15, v13
	v_add_f32_e32 v27, v21, v13
	v_pk_add_f32 v[14:15], v[8:9], v[14:15] neg_lo:[0,1] neg_hi:[0,1]
	v_pk_add_f32 v[28:29], v[8:9], v[26:27]
	v_mov_b32_e32 v13, v8
	v_mov_b32_e32 v15, v29
	v_pk_add_f32 v[30:31], v[12:13], v[14:15] neg_lo:[0,1] neg_hi:[0,1]
	v_pk_add_f32 v[12:13], v[12:13], v[14:15]
	v_mov_b32_e32 v26, v27
	v_mov_b32_e32 v14, v13
	v_pk_add_f32 v[32:33], v[14:15], v[8:9] neg_lo:[0,1] neg_hi:[0,1]
	v_mov_b32_e32 v12, v29
	v_mov_b32_e32 v15, v32
	v_pk_add_f32 v[34:35], v[28:29], v[14:15] neg_lo:[0,1] neg_hi:[0,1]
	v_mov_b32_e32 v28, v9
	v_mov_b32_e32 v29, v32
	;; [unrolled: 1-line block ×3, first 2 shown]
	v_pk_add_f32 v[12:13], v[12:13], v[28:29] neg_lo:[0,1] neg_hi:[0,1]
	v_mov_b32_e32 v27, v8
	v_pk_add_f32 v[8:9], v[26:27], v[12:13] neg_lo:[0,1] neg_hi:[0,1]
	v_mov_b32_e32 v34, v30
	v_pk_add_f32 v[12:13], v[34:35], v[8:9]
	s_nop 0
	v_mov_b32_e32 v24, v13
	v_pk_add_f32 v[26:27], v[12:13], v[24:25]
	s_nop 0
	v_pk_add_f32 v[14:15], v[14:15], v[26:27]
	v_mov_b32_e32 v9, v26
	v_mov_b32_e32 v13, v14
	v_pk_add_f32 v[28:29], v[12:13], v[30:31] neg_lo:[0,1] neg_hi:[0,1]
	s_nop 0
	v_sub_f32_e32 v12, v12, v28
	v_pk_add_f32 v[8:9], v[8:9], v[28:29] neg_lo:[0,1] neg_hi:[0,1]
	v_sub_f32_e32 v12, v30, v12
	v_add_f32_e32 v8, v8, v12
	v_add_f32_e32 v8, v8, v9
	;; [unrolled: 1-line block ×3, first 2 shown]
	v_cndmask_b32_e32 v69, v8, v19, vcc
.LBB20_99:                              ;   in Loop: Header=BB20_13 Depth=1
	s_or_b64 exec, exec, s[54:55]
	v_lshlrev_b32_e32 v8, 16, v10
	v_readlane_b32 s0, v95, 2
	s_nop 1
	v_add_f32_e32 v70, s0, v8
	v_cmp_ge_f32_e32 vcc, s4, v70
	s_and_b64 s[0:1], s[6:7], vcc
	s_and_saveexec_b64 s[54:55], s[0:1]
	s_cbranch_execz .LBB20_101
; %bb.100:                              ;   in Loop: Header=BB20_13 Depth=1
	v_mul_f32_e32 v8, 0x3fb8aa3b, v70
	v_rndne_f32_e32 v9, v8
	v_sub_f32_e32 v12, v8, v9
	v_fma_f32 v8, v70, s5, -v8
	v_fmac_f32_e32 v8, 0x32a5705f, v70
	v_add_f32_e32 v8, v12, v8
	v_cvt_i32_f32_e32 v9, v9
	v_exp_f32_e32 v8, v8
	v_cmp_ngt_f32_e32 vcc, s8, v70
	v_ldexp_f32 v8, v8, v9
	s_nop 0
	v_cndmask_b32_e32 v8, 0, v8, vcc
	v_cmp_nlt_f32_e32 vcc, s9, v70
	s_nop 1
	v_cndmask_b32_e32 v19, v39, v8, vcc
	v_add_f32_e32 v12, 1.0, v19
	v_add_f32_e32 v8, -1.0, v12
	v_sub_f32_e32 v9, v8, v12
	v_add_f32_e32 v9, 1.0, v9
	v_sub_f32_e32 v8, v19, v8
	v_add_f32_e32 v13, v8, v9
	v_frexp_mant_f32_e32 v14, v12
	v_cvt_f64_f32_e32 v[8:9], v12
	v_frexp_exp_i32_f64_e32 v8, v[8:9]
	v_cmp_gt_f32_e32 vcc, s11, v14
	v_cmp_gt_f32_e64 s[52:53], s57, v19
	s_nop 0
	v_subbrev_co_u32_e32 v21, vcc, 0, v8, vcc
	v_sub_u32_e32 v8, 0, v21
	v_ldexp_f32 v9, v12, v8
	v_add_f32_e32 v12, -1.0, v9
	v_add_f32_e32 v14, 1.0, v9
	v_ldexp_f32 v8, v13, v8
	v_add_f32_e32 v13, 1.0, v12
	v_add_f32_e32 v15, -1.0, v14
	v_sub_f32_e32 v13, v9, v13
	v_sub_f32_e32 v9, v9, v15
	v_add_f32_e32 v13, v8, v13
	v_add_f32_e32 v8, v8, v9
	;; [unrolled: 1-line block ×3, first 2 shown]
	v_rcp_f32_e32 v29, v24
	v_sub_f32_e32 v9, v14, v24
	v_add_f32_e32 v28, v8, v9
	v_add_f32_e32 v9, v12, v13
	v_mul_f32_e32 v31, v9, v29
	v_sub_f32_e32 v8, v12, v9
	v_mul_f32_e32 v12, v24, v31
	v_fma_f32 v14, v31, v24, -v12
	v_fmac_f32_e32 v14, v31, v28
	v_add_f32_e32 v30, v13, v8
	v_add_f32_e32 v8, v12, v14
	v_sub_f32_e32 v13, v9, v8
	v_pk_add_f32 v[26:27], v[8:9], v[12:13] neg_lo:[0,1] neg_hi:[0,1]
	v_mov_b32_e32 v15, v8
	v_pk_add_f32 v[8:9], v[26:27], v[14:15] neg_lo:[0,1] neg_hi:[0,1]
	v_cmp_eq_f32_e32 vcc, s10, v19
	v_add_f32_e32 v9, v30, v9
	v_add_f32_e32 v8, v8, v9
	;; [unrolled: 1-line block ×3, first 2 shown]
	v_mul_f32_e32 v30, v29, v9
	v_mul_f32_e32 v12, v24, v30
	v_fma_f32 v14, v30, v24, -v12
	v_fmac_f32_e32 v14, v30, v28
	v_sub_f32_e32 v13, v13, v9
	v_add_f32_e32 v24, v8, v13
	v_add_f32_e32 v8, v12, v14
	v_sub_f32_e32 v13, v9, v8
	v_pk_add_f32 v[26:27], v[8:9], v[12:13] neg_lo:[0,1] neg_hi:[0,1]
	v_mov_b32_e32 v15, v8
	v_pk_add_f32 v[8:9], v[26:27], v[14:15] neg_lo:[0,1] neg_hi:[0,1]
	scratch_load_dwordx2 v[26:27], off, off offset:168 ; 8-byte Folded Reload
	v_add_f32_e32 v9, v24, v9
	v_add_f32_e32 v8, v8, v9
	;; [unrolled: 1-line block ×4, first 2 shown]
	v_sub_f32_e32 v12, v9, v31
	v_mul_f32_e32 v8, v29, v8
	v_sub_f32_e32 v12, v30, v12
	v_add_f32_e32 v12, v12, v8
	v_add_f32_e32 v14, v9, v12
	v_mul_f32_e32 v15, v14, v14
	v_mov_b32_e32 v8, 0x3ecc95a3
	v_fmamk_f32 v8, v15, 0x3e9b6dac, v8
	s_waitcnt vmcnt(0)
	v_fmaak_f32 v27, v15, v8, 0x3f2aaada
	v_cvt_f32_i32_e32 v8, v21
	v_sub_f32_e32 v9, v14, v9
	v_sub_f32_e32 v9, v12, v9
	v_ldexp_f32 v21, v9, 1
	v_mul_f32_e32 v9, v14, v15
	v_ldexp_f32 v13, v14, 1
	s_or_b64 vcc, s[52:53], vcc
	v_mov_b32_e32 v12, v26
	v_pk_mul_f32 v[14:15], v[8:9], v[26:27]
	scratch_store_dwordx2 off, v[12:13], off offset:168 ; 8-byte Folded Spill
	v_fma_f32 v12, v8, s56, -v14
	v_fmac_f32_e32 v12, 0xb102e308, v8
	v_pk_add_f32 v[8:9], v[14:15], v[12:13]
	v_mov_b32_e32 v26, v14
	v_sub_f32_e32 v13, v9, v13
	v_sub_f32_e32 v13, v15, v13
	v_add_f32_e32 v27, v21, v13
	v_pk_add_f32 v[14:15], v[8:9], v[14:15] neg_lo:[0,1] neg_hi:[0,1]
	v_pk_add_f32 v[28:29], v[8:9], v[26:27]
	v_mov_b32_e32 v13, v8
	v_mov_b32_e32 v15, v29
	v_pk_add_f32 v[30:31], v[12:13], v[14:15] neg_lo:[0,1] neg_hi:[0,1]
	v_pk_add_f32 v[12:13], v[12:13], v[14:15]
	v_mov_b32_e32 v26, v27
	v_mov_b32_e32 v14, v13
	v_pk_add_f32 v[32:33], v[14:15], v[8:9] neg_lo:[0,1] neg_hi:[0,1]
	v_mov_b32_e32 v12, v29
	v_mov_b32_e32 v15, v32
	v_pk_add_f32 v[34:35], v[28:29], v[14:15] neg_lo:[0,1] neg_hi:[0,1]
	v_mov_b32_e32 v28, v9
	v_mov_b32_e32 v29, v32
	;; [unrolled: 1-line block ×3, first 2 shown]
	v_pk_add_f32 v[12:13], v[12:13], v[28:29] neg_lo:[0,1] neg_hi:[0,1]
	v_mov_b32_e32 v27, v8
	v_pk_add_f32 v[8:9], v[26:27], v[12:13] neg_lo:[0,1] neg_hi:[0,1]
	v_mov_b32_e32 v34, v30
	v_pk_add_f32 v[12:13], v[34:35], v[8:9]
	s_nop 0
	v_mov_b32_e32 v24, v13
	v_pk_add_f32 v[26:27], v[12:13], v[24:25]
	s_nop 0
	v_pk_add_f32 v[14:15], v[14:15], v[26:27]
	v_mov_b32_e32 v9, v26
	v_mov_b32_e32 v13, v14
	v_pk_add_f32 v[28:29], v[12:13], v[30:31] neg_lo:[0,1] neg_hi:[0,1]
	s_nop 0
	v_sub_f32_e32 v12, v12, v28
	v_pk_add_f32 v[8:9], v[8:9], v[28:29] neg_lo:[0,1] neg_hi:[0,1]
	v_sub_f32_e32 v12, v30, v12
	v_add_f32_e32 v8, v8, v12
	v_add_f32_e32 v8, v8, v9
	;; [unrolled: 1-line block ×3, first 2 shown]
	v_cndmask_b32_e32 v70, v8, v19, vcc
.LBB20_101:                             ;   in Loop: Header=BB20_13 Depth=1
	s_or_b64 exec, exec, s[54:55]
	v_and_b32_e32 v8, 0xffff0000, v10
	v_readlane_b32 s0, v95, 2
	s_nop 1
	v_add_f32_e32 v71, s0, v8
	v_cmp_ge_f32_e32 vcc, s4, v71
	s_and_b64 s[0:1], s[6:7], vcc
	s_and_saveexec_b64 s[54:55], s[0:1]
	s_cbranch_execz .LBB20_103
; %bb.102:                              ;   in Loop: Header=BB20_13 Depth=1
	v_mul_f32_e32 v8, 0x3fb8aa3b, v71
	v_rndne_f32_e32 v9, v8
	v_sub_f32_e32 v10, v8, v9
	v_fma_f32 v8, v71, s5, -v8
	v_fmac_f32_e32 v8, 0x32a5705f, v71
	v_add_f32_e32 v8, v10, v8
	v_cvt_i32_f32_e32 v9, v9
	v_exp_f32_e32 v8, v8
	v_cmp_ngt_f32_e32 vcc, s8, v71
	v_ldexp_f32 v8, v8, v9
	s_nop 0
	v_cndmask_b32_e32 v8, 0, v8, vcc
	v_cmp_nlt_f32_e32 vcc, s9, v71
	s_nop 1
	v_cndmask_b32_e32 v19, v39, v8, vcc
	v_add_f32_e32 v10, 1.0, v19
	v_add_f32_e32 v8, -1.0, v10
	v_sub_f32_e32 v9, v8, v10
	v_add_f32_e32 v9, 1.0, v9
	v_sub_f32_e32 v8, v19, v8
	v_add_f32_e32 v12, v8, v9
	v_frexp_mant_f32_e32 v13, v10
	v_cvt_f64_f32_e32 v[8:9], v10
	v_frexp_exp_i32_f64_e32 v8, v[8:9]
	v_cmp_gt_f32_e32 vcc, s11, v13
	v_cmp_gt_f32_e64 s[52:53], s57, v19
	s_nop 0
	v_subbrev_co_u32_e32 v21, vcc, 0, v8, vcc
	v_sub_u32_e32 v8, 0, v21
	v_ldexp_f32 v9, v10, v8
	v_add_f32_e32 v10, -1.0, v9
	v_add_f32_e32 v13, 1.0, v9
	v_ldexp_f32 v8, v12, v8
	v_add_f32_e32 v12, 1.0, v10
	v_add_f32_e32 v14, -1.0, v13
	v_sub_f32_e32 v12, v9, v12
	v_sub_f32_e32 v9, v9, v14
	v_add_f32_e32 v12, v8, v12
	v_add_f32_e32 v8, v8, v9
	v_add_f32_e32 v24, v13, v8
	v_rcp_f32_e32 v29, v24
	v_sub_f32_e32 v9, v13, v24
	v_add_f32_e32 v28, v8, v9
	v_add_f32_e32 v9, v10, v12
	v_sub_f32_e32 v8, v10, v9
	v_mul_f32_e32 v30, v9, v29
	v_add_f32_e32 v10, v12, v8
	v_mul_f32_e32 v12, v24, v30
	v_fma_f32 v14, v30, v24, -v12
	v_fmac_f32_e32 v14, v30, v28
	v_add_f32_e32 v8, v12, v14
	v_sub_f32_e32 v13, v9, v8
	v_pk_add_f32 v[26:27], v[8:9], v[12:13] neg_lo:[0,1] neg_hi:[0,1]
	v_mov_b32_e32 v15, v8
	v_pk_add_f32 v[8:9], v[26:27], v[14:15] neg_lo:[0,1] neg_hi:[0,1]
	v_cmp_eq_f32_e32 vcc, s10, v19
	v_add_f32_e32 v9, v10, v9
	v_add_f32_e32 v8, v8, v9
	;; [unrolled: 1-line block ×3, first 2 shown]
	v_mul_f32_e32 v10, v29, v9
	v_mul_f32_e32 v12, v24, v10
	v_fma_f32 v14, v10, v24, -v12
	v_fmac_f32_e32 v14, v10, v28
	v_sub_f32_e32 v13, v13, v9
	v_add_f32_e32 v24, v8, v13
	v_add_f32_e32 v8, v12, v14
	v_sub_f32_e32 v13, v9, v8
	v_pk_add_f32 v[26:27], v[8:9], v[12:13] neg_lo:[0,1] neg_hi:[0,1]
	v_mov_b32_e32 v15, v8
	v_pk_add_f32 v[8:9], v[26:27], v[14:15] neg_lo:[0,1] neg_hi:[0,1]
	scratch_load_dwordx2 v[26:27], off, off offset:168 ; 8-byte Folded Reload
	v_add_f32_e32 v9, v24, v9
	v_add_f32_e32 v8, v8, v9
	;; [unrolled: 1-line block ×4, first 2 shown]
	v_sub_f32_e32 v12, v9, v30
	v_mul_f32_e32 v8, v29, v8
	v_sub_f32_e32 v10, v10, v12
	v_add_f32_e32 v10, v10, v8
	v_add_f32_e32 v12, v9, v10
	v_mul_f32_e32 v14, v12, v12
	v_mov_b32_e32 v8, 0x3ecc95a3
	v_fmamk_f32 v8, v14, 0x3e9b6dac, v8
	s_waitcnt vmcnt(0)
	v_fmaak_f32 v27, v14, v8, 0x3f2aaada
	v_cvt_f32_i32_e32 v8, v21
	v_sub_f32_e32 v9, v12, v9
	v_sub_f32_e32 v9, v10, v9
	v_ldexp_f32 v10, v9, 1
	v_mul_f32_e32 v9, v12, v14
	v_ldexp_f32 v13, v12, 1
	s_or_b64 vcc, s[52:53], vcc
	v_mov_b32_e32 v12, v26
	v_pk_mul_f32 v[14:15], v[8:9], v[26:27]
	scratch_store_dwordx2 off, v[12:13], off offset:168 ; 8-byte Folded Spill
	v_fma_f32 v12, v8, s56, -v14
	v_fmac_f32_e32 v12, 0xb102e308, v8
	v_pk_add_f32 v[8:9], v[14:15], v[12:13]
	v_mov_b32_e32 v26, v14
	v_sub_f32_e32 v13, v9, v13
	v_sub_f32_e32 v13, v15, v13
	v_add_f32_e32 v27, v10, v13
	v_pk_add_f32 v[14:15], v[8:9], v[14:15] neg_lo:[0,1] neg_hi:[0,1]
	v_pk_add_f32 v[28:29], v[8:9], v[26:27]
	v_mov_b32_e32 v13, v8
	v_mov_b32_e32 v15, v29
	v_pk_add_f32 v[30:31], v[12:13], v[14:15] neg_lo:[0,1] neg_hi:[0,1]
	v_pk_add_f32 v[12:13], v[12:13], v[14:15]
	s_nop 0
	v_mov_b32_e32 v10, v13
	v_pk_add_f32 v[14:15], v[10:11], v[8:9] neg_lo:[0,1] neg_hi:[0,1]
	v_mov_b32_e32 v12, v29
	v_mov_b32_e32 v15, v14
	v_pk_add_f32 v[32:33], v[28:29], v[14:15] neg_lo:[0,1] neg_hi:[0,1]
	v_mov_b32_e32 v28, v9
	v_mov_b32_e32 v29, v14
	;; [unrolled: 1-line block ×3, first 2 shown]
	v_pk_add_f32 v[12:13], v[12:13], v[28:29] neg_lo:[0,1] neg_hi:[0,1]
	v_mov_b32_e32 v14, v27
	v_mov_b32_e32 v15, v8
	v_pk_add_f32 v[8:9], v[14:15], v[12:13] neg_lo:[0,1] neg_hi:[0,1]
	v_mov_b32_e32 v32, v30
	v_pk_add_f32 v[12:13], v[32:33], v[8:9]
	s_nop 0
	v_mov_b32_e32 v14, v13
	v_pk_add_f32 v[14:15], v[12:13], v[14:15]
	s_nop 0
	v_pk_add_f32 v[26:27], v[10:11], v[14:15]
	v_mov_b32_e32 v9, v14
	v_mov_b32_e32 v13, v26
	v_pk_add_f32 v[28:29], v[12:13], v[30:31] neg_lo:[0,1] neg_hi:[0,1]
	s_nop 0
	v_sub_f32_e32 v10, v12, v28
	v_pk_add_f32 v[8:9], v[8:9], v[28:29] neg_lo:[0,1] neg_hi:[0,1]
	v_sub_f32_e32 v10, v30, v10
	v_add_f32_e32 v8, v8, v10
	v_add_f32_e32 v8, v8, v9
	;; [unrolled: 1-line block ×3, first 2 shown]
	v_cndmask_b32_e32 v71, v8, v19, vcc
.LBB20_103:                             ;   in Loop: Header=BB20_13 Depth=1
	s_or_b64 exec, exec, s[54:55]
	v_lshlrev_b32_e32 v8, 16, v11
	v_readlane_b32 s0, v95, 2
	s_nop 1
	v_add_f32_e32 v72, s0, v8
	v_cmp_ge_f32_e32 vcc, s4, v72
	s_and_b64 s[0:1], s[6:7], vcc
	s_and_saveexec_b64 s[54:55], s[0:1]
	s_cbranch_execz .LBB20_105
; %bb.104:                              ;   in Loop: Header=BB20_13 Depth=1
	v_mul_f32_e32 v8, 0x3fb8aa3b, v72
	v_rndne_f32_e32 v9, v8
	v_sub_f32_e32 v10, v8, v9
	v_fma_f32 v8, v72, s5, -v8
	v_fmac_f32_e32 v8, 0x32a5705f, v72
	v_add_f32_e32 v8, v10, v8
	v_cvt_i32_f32_e32 v9, v9
	v_exp_f32_e32 v8, v8
	v_cmp_ngt_f32_e32 vcc, s8, v72
	v_ldexp_f32 v8, v8, v9
	s_nop 0
	v_cndmask_b32_e32 v8, 0, v8, vcc
	v_cmp_nlt_f32_e32 vcc, s9, v72
	s_nop 1
	v_cndmask_b32_e32 v19, v39, v8, vcc
	v_add_f32_e32 v10, 1.0, v19
	v_add_f32_e32 v8, -1.0, v10
	v_sub_f32_e32 v9, v8, v10
	v_add_f32_e32 v9, 1.0, v9
	v_sub_f32_e32 v8, v19, v8
	v_add_f32_e32 v12, v8, v9
	v_frexp_mant_f32_e32 v13, v10
	v_cvt_f64_f32_e32 v[8:9], v10
	v_frexp_exp_i32_f64_e32 v8, v[8:9]
	v_cmp_gt_f32_e32 vcc, s11, v13
	v_cmp_gt_f32_e64 s[52:53], s57, v19
	s_nop 0
	v_subbrev_co_u32_e32 v21, vcc, 0, v8, vcc
	v_sub_u32_e32 v8, 0, v21
	v_ldexp_f32 v9, v10, v8
	v_add_f32_e32 v10, -1.0, v9
	v_add_f32_e32 v13, 1.0, v9
	v_ldexp_f32 v8, v12, v8
	v_add_f32_e32 v12, 1.0, v10
	v_add_f32_e32 v14, -1.0, v13
	v_sub_f32_e32 v12, v9, v12
	v_sub_f32_e32 v9, v9, v14
	v_add_f32_e32 v12, v8, v12
	v_add_f32_e32 v8, v8, v9
	v_add_f32_e32 v24, v13, v8
	v_rcp_f32_e32 v29, v24
	v_sub_f32_e32 v9, v13, v24
	v_add_f32_e32 v28, v8, v9
	v_add_f32_e32 v9, v10, v12
	v_sub_f32_e32 v8, v10, v9
	v_mul_f32_e32 v30, v9, v29
	v_add_f32_e32 v10, v12, v8
	v_mul_f32_e32 v12, v24, v30
	v_fma_f32 v14, v30, v24, -v12
	v_fmac_f32_e32 v14, v30, v28
	v_add_f32_e32 v8, v12, v14
	v_sub_f32_e32 v13, v9, v8
	v_pk_add_f32 v[26:27], v[8:9], v[12:13] neg_lo:[0,1] neg_hi:[0,1]
	v_mov_b32_e32 v15, v8
	v_pk_add_f32 v[8:9], v[26:27], v[14:15] neg_lo:[0,1] neg_hi:[0,1]
	v_cmp_eq_f32_e32 vcc, s10, v19
	v_add_f32_e32 v9, v10, v9
	v_add_f32_e32 v8, v8, v9
	;; [unrolled: 1-line block ×3, first 2 shown]
	v_mul_f32_e32 v10, v29, v9
	v_mul_f32_e32 v12, v24, v10
	v_fma_f32 v14, v10, v24, -v12
	v_fmac_f32_e32 v14, v10, v28
	v_sub_f32_e32 v13, v13, v9
	v_add_f32_e32 v24, v8, v13
	v_add_f32_e32 v8, v12, v14
	v_sub_f32_e32 v13, v9, v8
	v_pk_add_f32 v[26:27], v[8:9], v[12:13] neg_lo:[0,1] neg_hi:[0,1]
	v_mov_b32_e32 v15, v8
	v_pk_add_f32 v[8:9], v[26:27], v[14:15] neg_lo:[0,1] neg_hi:[0,1]
	scratch_load_dwordx2 v[26:27], off, off offset:168 ; 8-byte Folded Reload
	v_add_f32_e32 v9, v24, v9
	v_add_f32_e32 v8, v8, v9
	;; [unrolled: 1-line block ×4, first 2 shown]
	v_sub_f32_e32 v12, v9, v30
	v_mul_f32_e32 v8, v29, v8
	v_sub_f32_e32 v10, v10, v12
	v_add_f32_e32 v10, v10, v8
	v_add_f32_e32 v12, v9, v10
	v_mul_f32_e32 v14, v12, v12
	v_mov_b32_e32 v8, 0x3ecc95a3
	v_fmamk_f32 v8, v14, 0x3e9b6dac, v8
	s_waitcnt vmcnt(0)
	v_fmaak_f32 v27, v14, v8, 0x3f2aaada
	v_cvt_f32_i32_e32 v8, v21
	v_sub_f32_e32 v9, v12, v9
	v_sub_f32_e32 v9, v10, v9
	v_ldexp_f32 v10, v9, 1
	v_mul_f32_e32 v9, v12, v14
	v_ldexp_f32 v13, v12, 1
	s_or_b64 vcc, s[52:53], vcc
	v_mov_b32_e32 v12, v26
	v_pk_mul_f32 v[14:15], v[8:9], v[26:27]
	scratch_store_dwordx2 off, v[12:13], off offset:168 ; 8-byte Folded Spill
	v_fma_f32 v12, v8, s56, -v14
	v_fmac_f32_e32 v12, 0xb102e308, v8
	v_pk_add_f32 v[8:9], v[14:15], v[12:13]
	v_mov_b32_e32 v26, v14
	v_sub_f32_e32 v13, v9, v13
	v_sub_f32_e32 v13, v15, v13
	v_add_f32_e32 v27, v10, v13
	v_pk_add_f32 v[14:15], v[8:9], v[14:15] neg_lo:[0,1] neg_hi:[0,1]
	v_pk_add_f32 v[28:29], v[8:9], v[26:27]
	v_mov_b32_e32 v13, v8
	v_mov_b32_e32 v15, v29
	v_pk_add_f32 v[30:31], v[12:13], v[14:15] neg_lo:[0,1] neg_hi:[0,1]
	v_pk_add_f32 v[12:13], v[12:13], v[14:15]
	s_nop 0
	v_mov_b32_e32 v10, v13
	v_pk_add_f32 v[14:15], v[10:11], v[8:9] neg_lo:[0,1] neg_hi:[0,1]
	v_mov_b32_e32 v12, v29
	v_mov_b32_e32 v15, v14
	v_pk_add_f32 v[32:33], v[28:29], v[14:15] neg_lo:[0,1] neg_hi:[0,1]
	v_mov_b32_e32 v28, v9
	v_mov_b32_e32 v29, v14
	;; [unrolled: 1-line block ×3, first 2 shown]
	v_pk_add_f32 v[12:13], v[12:13], v[28:29] neg_lo:[0,1] neg_hi:[0,1]
	v_mov_b32_e32 v14, v27
	v_mov_b32_e32 v15, v8
	v_pk_add_f32 v[8:9], v[14:15], v[12:13] neg_lo:[0,1] neg_hi:[0,1]
	v_mov_b32_e32 v32, v30
	v_pk_add_f32 v[12:13], v[32:33], v[8:9]
	s_nop 0
	v_mov_b32_e32 v14, v13
	v_pk_add_f32 v[14:15], v[12:13], v[14:15]
	s_nop 0
	v_pk_add_f32 v[26:27], v[10:11], v[14:15]
	v_mov_b32_e32 v9, v14
	v_mov_b32_e32 v13, v26
	v_pk_add_f32 v[28:29], v[12:13], v[30:31] neg_lo:[0,1] neg_hi:[0,1]
	s_nop 0
	v_sub_f32_e32 v10, v12, v28
	v_pk_add_f32 v[8:9], v[8:9], v[28:29] neg_lo:[0,1] neg_hi:[0,1]
	v_sub_f32_e32 v10, v30, v10
	v_add_f32_e32 v8, v8, v10
	v_add_f32_e32 v8, v8, v9
	;; [unrolled: 1-line block ×3, first 2 shown]
	v_cndmask_b32_e32 v72, v8, v19, vcc
.LBB20_105:                             ;   in Loop: Header=BB20_13 Depth=1
	s_or_b64 exec, exec, s[54:55]
	v_and_b32_e32 v8, 0xffff0000, v11
	v_readlane_b32 s0, v95, 2
	s_nop 1
	v_add_f32_e32 v27, s0, v8
	v_cmp_ge_f32_e32 vcc, s4, v27
	s_and_b64 s[0:1], s[6:7], vcc
	s_and_saveexec_b64 s[54:55], s[0:1]
	s_cbranch_execz .LBB20_107
; %bb.106:                              ;   in Loop: Header=BB20_13 Depth=1
	v_mul_f32_e32 v8, 0x3fb8aa3b, v27
	v_rndne_f32_e32 v9, v8
	v_sub_f32_e32 v10, v8, v9
	v_fma_f32 v8, v27, s5, -v8
	v_fmac_f32_e32 v8, 0x32a5705f, v27
	v_add_f32_e32 v8, v10, v8
	v_cvt_i32_f32_e32 v9, v9
	v_exp_f32_e32 v8, v8
	v_cmp_ngt_f32_e32 vcc, s8, v27
	v_ldexp_f32 v8, v8, v9
	s_nop 0
	v_cndmask_b32_e32 v8, 0, v8, vcc
	v_cmp_nlt_f32_e32 vcc, s9, v27
	s_nop 1
	v_cndmask_b32_e32 v19, v39, v8, vcc
	v_add_f32_e32 v10, 1.0, v19
	v_add_f32_e32 v8, -1.0, v10
	v_sub_f32_e32 v9, v8, v10
	v_add_f32_e32 v9, 1.0, v9
	v_sub_f32_e32 v8, v19, v8
	v_add_f32_e32 v11, v8, v9
	v_frexp_mant_f32_e32 v12, v10
	v_cvt_f64_f32_e32 v[8:9], v10
	v_frexp_exp_i32_f64_e32 v8, v[8:9]
	v_cmp_gt_f32_e32 vcc, s11, v12
	v_cmp_gt_f32_e64 s[52:53], s57, v19
	s_nop 0
	v_subbrev_co_u32_e32 v21, vcc, 0, v8, vcc
	v_sub_u32_e32 v8, 0, v21
	v_ldexp_f32 v9, v10, v8
	v_add_f32_e32 v10, -1.0, v9
	v_add_f32_e32 v12, 1.0, v9
	v_ldexp_f32 v8, v11, v8
	v_add_f32_e32 v11, 1.0, v10
	v_add_f32_e32 v13, -1.0, v12
	v_sub_f32_e32 v11, v9, v11
	v_sub_f32_e32 v9, v9, v13
	v_add_f32_e32 v11, v8, v11
	v_add_f32_e32 v8, v8, v9
	v_add_f32_e32 v24, v12, v8
	v_rcp_f32_e32 v27, v24
	v_sub_f32_e32 v9, v12, v24
	v_add_f32_e32 v26, v8, v9
	v_add_f32_e32 v9, v10, v11
	v_mul_f32_e32 v29, v9, v27
	v_sub_f32_e32 v8, v10, v9
	v_mul_f32_e32 v10, v24, v29
	v_fma_f32 v12, v29, v24, -v10
	v_fmac_f32_e32 v12, v29, v26
	v_add_f32_e32 v28, v11, v8
	v_add_f32_e32 v8, v10, v12
	v_sub_f32_e32 v11, v9, v8
	v_pk_add_f32 v[14:15], v[8:9], v[10:11] neg_lo:[0,1] neg_hi:[0,1]
	v_mov_b32_e32 v13, v8
	v_pk_add_f32 v[8:9], v[14:15], v[12:13] neg_lo:[0,1] neg_hi:[0,1]
	v_cmp_eq_f32_e32 vcc, s10, v19
	v_add_f32_e32 v9, v28, v9
	v_add_f32_e32 v8, v8, v9
	;; [unrolled: 1-line block ×3, first 2 shown]
	v_mul_f32_e32 v28, v27, v9
	v_mul_f32_e32 v10, v24, v28
	v_fma_f32 v12, v28, v24, -v10
	v_fmac_f32_e32 v12, v28, v26
	v_sub_f32_e32 v11, v11, v9
	v_add_f32_e32 v24, v8, v11
	v_add_f32_e32 v8, v10, v12
	v_sub_f32_e32 v11, v9, v8
	v_pk_add_f32 v[14:15], v[8:9], v[10:11] neg_lo:[0,1] neg_hi:[0,1]
	v_mov_b32_e32 v13, v8
	v_pk_add_f32 v[8:9], v[14:15], v[12:13] neg_lo:[0,1] neg_hi:[0,1]
	scratch_load_dwordx2 v[14:15], off, off offset:168 ; 8-byte Folded Reload
	v_add_f32_e32 v9, v24, v9
	v_add_f32_e32 v8, v8, v9
	;; [unrolled: 1-line block ×4, first 2 shown]
	v_sub_f32_e32 v10, v9, v29
	v_mul_f32_e32 v8, v27, v8
	v_sub_f32_e32 v10, v28, v10
	v_add_f32_e32 v10, v10, v8
	v_add_f32_e32 v12, v9, v10
	v_mul_f32_e32 v13, v12, v12
	v_mov_b32_e32 v8, 0x3ecc95a3
	v_fmamk_f32 v8, v13, 0x3e9b6dac, v8
	v_fmaak_f32 v27, v13, v8, 0x3f2aaada
	v_cvt_f32_i32_e32 v8, v21
	v_sub_f32_e32 v9, v12, v9
	v_sub_f32_e32 v9, v10, v9
	v_ldexp_f32 v11, v12, 1
	s_or_b64 vcc, s[52:53], vcc
	s_waitcnt vmcnt(0)
	v_mov_b32_e32 v26, v14
	v_ldexp_f32 v14, v9, 1
	v_mul_f32_e32 v9, v12, v13
	v_mov_b32_e32 v10, v26
	v_pk_mul_f32 v[12:13], v[8:9], v[26:27]
	scratch_store_dwordx2 off, v[10:11], off offset:168 ; 8-byte Folded Spill
	v_fma_f32 v10, v8, s56, -v12
	v_fmac_f32_e32 v10, 0xb102e308, v8
	v_pk_add_f32 v[8:9], v[12:13], v[10:11]
	s_nop 0
	v_sub_f32_e32 v11, v9, v11
	v_sub_f32_e32 v11, v13, v11
	v_add_f32_e32 v15, v14, v11
	v_mov_b32_e32 v14, v12
	v_pk_add_f32 v[12:13], v[8:9], v[12:13] neg_lo:[0,1] neg_hi:[0,1]
	v_pk_add_f32 v[26:27], v[8:9], v[14:15]
	v_mov_b32_e32 v11, v8
	v_mov_b32_e32 v13, v27
	v_pk_add_f32 v[28:29], v[10:11], v[12:13] neg_lo:[0,1] neg_hi:[0,1]
	v_pk_add_f32 v[10:11], v[10:11], v[12:13]
	v_mov_b32_e32 v14, v15
	v_mov_b32_e32 v12, v11
	v_pk_add_f32 v[30:31], v[12:13], v[8:9] neg_lo:[0,1] neg_hi:[0,1]
	v_mov_b32_e32 v10, v27
	v_mov_b32_e32 v13, v30
	v_pk_add_f32 v[32:33], v[26:27], v[12:13] neg_lo:[0,1] neg_hi:[0,1]
	v_mov_b32_e32 v26, v9
	v_mov_b32_e32 v27, v30
	v_mov_b32_e32 v29, v11
	v_pk_add_f32 v[10:11], v[10:11], v[26:27] neg_lo:[0,1] neg_hi:[0,1]
	v_mov_b32_e32 v15, v8
	v_pk_add_f32 v[8:9], v[14:15], v[10:11] neg_lo:[0,1] neg_hi:[0,1]
	v_mov_b32_e32 v32, v28
	v_pk_add_f32 v[10:11], v[32:33], v[8:9]
	s_nop 0
	v_mov_b32_e32 v14, v11
	v_pk_add_f32 v[14:15], v[10:11], v[14:15]
	s_nop 0
	v_pk_add_f32 v[12:13], v[12:13], v[14:15]
	v_mov_b32_e32 v9, v14
	v_mov_b32_e32 v11, v12
	v_pk_add_f32 v[26:27], v[10:11], v[28:29] neg_lo:[0,1] neg_hi:[0,1]
	s_nop 0
	v_sub_f32_e32 v10, v10, v26
	v_pk_add_f32 v[8:9], v[8:9], v[26:27] neg_lo:[0,1] neg_hi:[0,1]
	v_sub_f32_e32 v10, v28, v10
	v_add_f32_e32 v8, v8, v10
	v_add_f32_e32 v8, v8, v9
	;; [unrolled: 1-line block ×3, first 2 shown]
	v_cndmask_b32_e32 v27, v8, v19, vcc
.LBB20_107:                             ;   in Loop: Header=BB20_13 Depth=1
	s_or_b64 exec, exec, s[54:55]
	v_lshlrev_b32_e32 v8, 16, v7
	v_readlane_b32 s0, v95, 3
	v_and_b32_e32 v13, 0xffff0000, v7
	v_and_b32_e32 v7, 0xffff0000, v6
	v_lshlrev_b32_e32 v6, 16, v6
	v_and_b32_e32 v9, 0xffff0000, v5
	v_lshlrev_b32_e32 v5, 16, v5
	;; [unrolled: 2-line block ×7, first 2 shown]
	v_mul_f32_e32 v28, s0, v8
	v_mul_f32_e32 v31, s0, v7
	;; [unrolled: 1-line block ×16, first 2 shown]
	v_readlane_b32 s0, v95, 23
	v_readlane_b32 s1, v95, 24
	s_and_b64 vcc, exec, s[0:1]
	s_waitcnt lgkmcnt(0)
	; wave barrier
	s_cbranch_vccz .LBB20_200
; %bb.108:                              ;   in Loop: Header=BB20_13 Depth=1
	v_mul_f32_e32 v87, v25, v0
	scratch_load_dword v0, off, off offset:268 ; 4-byte Folded Reload
	v_readlane_b32 s0, v95, 8
	v_readlane_b32 s1, v95, 9
	v_mul_f32_e32 v6, v70, v6
	v_mul_f32_e32 v5, v68, v5
	v_lshl_add_u64 v[44:45], s[0:1], 0, v[16:17]
	v_readlane_b32 s0, v95, 18
	v_readlane_b32 s1, v95, 19
	s_mov_b32 s98, 0
	v_mul_f32_e32 v13, v27, v13
	v_lshl_add_u64 v[46:47], s[0:1], 0, v[16:17]
	v_readlane_b32 s1, v95, 52
	s_cmp_lg_u32 s1, 0
	v_readlane_b32 s0, v95, 29
	s_cselect_b64 s[86:87], -1, 0
	s_cmp_eq_u32 s1, s0
	v_readlane_b32 s0, v95, 26
	v_readlane_b32 s1, v95, 27
	s_cselect_b64 s[90:91], -1, 0
	v_mul_f32_e32 v8, v72, v8
	v_mul_f32_e32 v7, v71, v7
	scratch_store_dword off, v6, off offset:80 ; 4-byte Folded Spill
	v_mul_f32_e32 v6, v69, v9
	scratch_store_dword off, v5, off offset:88 ; 4-byte Folded Spill
	v_mul_f32_e32 v5, v67, v10
	v_mul_f32_e32 v4, v66, v4
	v_mul_f32_e32 v80, v65, v11
	v_mul_f32_e32 v81, v64, v3
	v_mul_f32_e32 v82, v63, v12
	v_mul_f32_e32 v83, v62, v2
	v_mul_f32_e32 v84, v94, v14
	v_mul_f32_e32 v85, v20, v1
	v_mul_f32_e32 v86, v18, v15
	s_mov_b32 s92, s98
	s_mov_b32 s94, s98
	;; [unrolled: 1-line block ×3, first 2 shown]
	scratch_store_dword off, v13, off offset:68 ; 4-byte Folded Spill
	scratch_store_dword off, v8, off offset:72 ; 4-byte Folded Spill
	scratch_store_dword off, v7, off offset:76 ; 4-byte Folded Spill
	scratch_store_dword off, v6, off offset:84 ; 4-byte Folded Spill
	scratch_store_dword off, v5, off offset:92 ; 4-byte Folded Spill
	scratch_store_dword off, v4, off offset:96 ; 4-byte Folded Spill
	s_waitcnt vmcnt(8)
	v_cmp_gt_u32_e32 vcc, s82, v0
	scratch_load_dword v0, off, off offset:272 ; 4-byte Folded Reload
	s_or_b64 s[52:53], s[0:1], vcc
	s_waitcnt vmcnt(0)
	v_cmp_gt_u32_e32 vcc, s82, v0
	scratch_load_dword v0, off, off offset:276 ; 4-byte Folded Reload
	s_or_b64 s[54:55], s[0:1], vcc
	;; [unrolled: 4-line block ×15, first 2 shown]
	s_waitcnt vmcnt(0)
	v_cmp_gt_u32_e32 vcc, s82, v0
	s_or_b64 s[82:83], s[0:1], vcc
	v_readlane_b32 s0, v95, 22
	v_readlane_b32 s1, v95, 48
	s_branch .LBB20_110
.LBB20_109:                             ;   in Loop: Header=BB20_110 Depth=2
	s_or_b64 exec, exec, s[84:85]
	v_mul_f32_e32 v49, v88, v78
	v_fma_f32 v50, v88, v79, v8
	v_cndmask_b32_e64 v8, v50, v8, s[16:17]
	v_cndmask_b32_e64 v49, v49, v88, s[16:17]
	s_waitcnt lgkmcnt(0)
	v_fmac_f32_e32 v8, v48, v49
	v_fmac_f32_e32 v9, v8, v89
	;; [unrolled: 1-line block ×12, first 2 shown]
	v_readlane_b32 s4, v95, 38
	v_fmac_f32_e32 v52, v57, v74
	v_readlane_b32 s5, v95, 39
	v_readlane_b32 s6, v95, 40
	;; [unrolled: 1-line block ×7, first 2 shown]
	v_fmac_f32_e32 v53, v52, v75
	s_add_i32 s94, s94, s4
	v_readlane_b32 s4, v95, 10
	v_fmac_f32_e32 v58, v53, v76
	v_readlane_b32 s5, v95, 11
	v_readlane_b32 s8, v95, 14
	v_fmac_f32_e32 v59, v58, v21
	v_and_b32_e32 v49, 0xffff0000, v4
	v_and_b32_e32 v51, 0xffff0000, v5
	v_lshlrev_b32_e32 v48, 16, v4
	v_lshlrev_b32_e32 v50, 16, v5
	v_and_b32_e32 v5, 0xffff0000, v6
	v_and_b32_e32 v61, 0xffff0000, v7
	v_lshlrev_b32_e32 v4, 16, v6
	v_lshlrev_b32_e32 v60, 16, v7
	;; [unrolled: 4-line block ×4, first 2 shown]
	s_add_i32 s1, s1, 8
	s_add_i32 s0, s0, -1
	s_add_i32 s96, s96, s97
	s_add_i32 s92, s92, s8
	;; [unrolled: 1-line block ×3, first 2 shown]
	v_pk_fma_f32 v[40:41], v[10:11], v[50:51], v[40:41]
	v_pk_fma_f32 v[42:43], v[8:9], v[48:49], v[42:43]
	;; [unrolled: 1-line block ×7, first 2 shown]
	s_cmp_eq_u32 s0, 0
	v_pk_fma_f32 v[30:31], v[52:53], v[0:1], v[30:31]
	v_readlane_b32 s6, v95, 12
	v_readlane_b32 s7, v95, 13
	v_readlane_b32 s9, v95, 15
	v_readlane_b32 s10, v95, 16
	v_readlane_b32 s11, v95, 17
	s_cbranch_scc1 .LBB20_199
.LBB20_110:                             ;   Parent Loop BB20_13 Depth=1
                                        ; =>  This Inner Loop Header: Depth=2
	s_lshl_b64 s[84:85], s[98:99], 2
	v_readlane_b32 s4, v95, 6
	s_add_u32 s84, s4, s84
	v_readlane_b32 s4, v95, 7
	s_addc_u32 s85, s4, s85
	global_load_dword v48, v17, s[84:85]
	s_mov_b32 s93, s99
	v_lshl_add_u64 v[0:1], s[92:93], 1, v[44:45]
	v_mov_b32_e32 v2, 0
	v_mov_b32_e32 v3, 0
	s_and_saveexec_b64 s[84:85], s[18:19]
	s_cbranch_execz .LBB20_112
; %bb.111:                              ;   in Loop: Header=BB20_110 Depth=2
	global_load_ushort v3, v[0:1], off
.LBB20_112:                             ;   in Loop: Header=BB20_110 Depth=2
	s_or_b64 exec, exec, s[84:85]
	s_and_saveexec_b64 s[84:85], s[20:21]
	s_cbranch_execz .LBB20_114
; %bb.113:                              ;   in Loop: Header=BB20_110 Depth=2
	global_load_ushort v2, v[0:1], off offset:128
.LBB20_114:                             ;   in Loop: Header=BB20_110 Depth=2
	s_or_b64 exec, exec, s[84:85]
	v_mov_b32_e32 v4, 0
	v_mov_b32_e32 v5, 0
	s_and_saveexec_b64 s[84:85], s[22:23]
	s_cbranch_execz .LBB20_116
; %bb.115:                              ;   in Loop: Header=BB20_110 Depth=2
	global_load_ushort v5, v[0:1], off offset:256
.LBB20_116:                             ;   in Loop: Header=BB20_110 Depth=2
	s_or_b64 exec, exec, s[84:85]
	s_and_saveexec_b64 s[84:85], s[24:25]
	s_cbranch_execz .LBB20_118
; %bb.117:                              ;   in Loop: Header=BB20_110 Depth=2
	global_load_ushort v4, v[0:1], off offset:384
.LBB20_118:                             ;   in Loop: Header=BB20_110 Depth=2
	s_or_b64 exec, exec, s[84:85]
	v_mov_b32_e32 v6, 0
	v_mov_b32_e32 v7, 0
	s_and_saveexec_b64 s[84:85], s[26:27]
	s_cbranch_execz .LBB20_120
; %bb.119:                              ;   in Loop: Header=BB20_110 Depth=2
	global_load_ushort v7, v[0:1], off offset:512
.LBB20_120:                             ;   in Loop: Header=BB20_110 Depth=2
	;; [unrolled: 14-line block ×7, first 2 shown]
	s_or_b64 exec, exec, s[84:85]
	s_and_saveexec_b64 s[84:85], s[50:51]
	s_cbranch_execz .LBB20_142
; %bb.141:                              ;   in Loop: Header=BB20_110 Depth=2
	global_load_ushort v16, v[0:1], off offset:1920
.LBB20_142:                             ;   in Loop: Header=BB20_110 Depth=2
	s_or_b64 exec, exec, s[84:85]
	scratch_load_dword v0, off, off         ; 4-byte Folded Reload
	s_mov_b32 s95, s99
	s_waitcnt vmcnt(0)
	ds_write_b16 v0, v3
	scratch_load_dword v0, off, off offset:8 ; 4-byte Folded Reload
	v_mov_b32_e32 v3, 0
	s_waitcnt vmcnt(0)
	ds_write_b16 v0, v2 offset:128
	scratch_load_dword v0, off, off offset:12 ; 4-byte Folded Reload
	v_mov_b32_e32 v2, 0
	s_waitcnt vmcnt(0)
	ds_write_b16 v0, v5 offset:256
	scratch_load_dword v0, off, off offset:16 ; 4-byte Folded Reload
	s_waitcnt vmcnt(0)
	ds_write_b16 v0, v4 offset:384
	scratch_load_dword v0, off, off offset:20 ; 4-byte Folded Reload
	;; [unrolled: 3-line block ×13, first 2 shown]
	s_waitcnt vmcnt(0)
	ds_write_b16 v0, v16 offset:1920
	; wave barrier
	scratch_load_dword v0, off, off offset:4 ; 4-byte Folded Reload
	s_waitcnt vmcnt(0)
	ds_read_b128 v[12:15], v0
	ds_read_b128 v[8:11], v0 offset:16
	v_lshl_add_u64 v[0:1], s[94:95], 1, v[46:47]
	s_and_saveexec_b64 s[84:85], s[18:19]
	s_cbranch_execz .LBB20_144
; %bb.143:                              ;   in Loop: Header=BB20_110 Depth=2
	global_load_ushort v3, v[0:1], off
.LBB20_144:                             ;   in Loop: Header=BB20_110 Depth=2
	s_or_b64 exec, exec, s[84:85]
	s_and_saveexec_b64 s[84:85], s[20:21]
	s_cbranch_execz .LBB20_146
; %bb.145:                              ;   in Loop: Header=BB20_110 Depth=2
	global_load_ushort v2, v[0:1], off offset:128
.LBB20_146:                             ;   in Loop: Header=BB20_110 Depth=2
	s_or_b64 exec, exec, s[84:85]
	v_mov_b32_e32 v4, 0
	v_mov_b32_e32 v5, 0
	s_and_saveexec_b64 s[84:85], s[22:23]
	s_cbranch_execz .LBB20_148
; %bb.147:                              ;   in Loop: Header=BB20_110 Depth=2
	global_load_ushort v5, v[0:1], off offset:256
.LBB20_148:                             ;   in Loop: Header=BB20_110 Depth=2
	s_or_b64 exec, exec, s[84:85]
	s_and_saveexec_b64 s[84:85], s[24:25]
	s_cbranch_execz .LBB20_150
; %bb.149:                              ;   in Loop: Header=BB20_110 Depth=2
	global_load_ushort v4, v[0:1], off offset:384
.LBB20_150:                             ;   in Loop: Header=BB20_110 Depth=2
	s_or_b64 exec, exec, s[84:85]
	v_mov_b32_e32 v6, 0
	v_mov_b32_e32 v7, 0
	s_and_saveexec_b64 s[84:85], s[26:27]
	s_cbranch_execz .LBB20_152
; %bb.151:                              ;   in Loop: Header=BB20_110 Depth=2
	global_load_ushort v7, v[0:1], off offset:512
.LBB20_152:                             ;   in Loop: Header=BB20_110 Depth=2
	;; [unrolled: 14-line block ×7, first 2 shown]
	s_or_b64 exec, exec, s[84:85]
	s_and_saveexec_b64 s[84:85], s[50:51]
	s_cbranch_execz .LBB20_174
; %bb.173:                              ;   in Loop: Header=BB20_110 Depth=2
	global_load_ushort v52, v[0:1], off offset:1920
.LBB20_174:                             ;   in Loop: Header=BB20_110 Depth=2
	s_or_b64 exec, exec, s[84:85]
	scratch_load_dword v0, off, off         ; 4-byte Folded Reload
	s_andn2_b64 vcc, exec, s[86:87]
	s_waitcnt vmcnt(0)
	ds_write_b16 v0, v3 offset:2112
	scratch_load_dword v0, off, off offset:100 ; 4-byte Folded Reload
	s_waitcnt vmcnt(0)
	ds_write_b16 v0, v2 offset:128
	scratch_load_dword v0, off, off offset:104 ; 4-byte Folded Reload
	;; [unrolled: 3-line block ×15, first 2 shown]
	s_waitcnt vmcnt(0)
	ds_write_b16 v0, v52 offset:1920
	; wave barrier
	scratch_load_dword v0, off, off offset:4 ; 4-byte Folded Reload
	s_waitcnt vmcnt(0)
	ds_read_b128 v[4:7], v0 offset:2112
	scratch_load_dword v0, off, off offset:160 ; 4-byte Folded Reload
	s_waitcnt vmcnt(0)
	ds_read_b128 v[0:3], v0 offset:16
	s_cbranch_vccnz .LBB20_176
; %bb.175:                              ;   in Loop: Header=BB20_110 Depth=2
	v_mov_b32_e32 v16, s1
	ds_read_b64 v[50:51], v16
	s_waitcnt lgkmcnt(0)
	v_mov_b32_e32 v49, v51
	s_cbranch_execz .LBB20_177
	s_branch .LBB20_180
.LBB20_176:                             ;   in Loop: Header=BB20_110 Depth=2
                                        ; implicit-def: $vgpr50
                                        ; implicit-def: $vgpr49
.LBB20_177:                             ;   in Loop: Header=BB20_110 Depth=2
	v_readlane_b32 s84, v95, 0
	v_readlane_b32 s85, v95, 1
	s_andn2_b64 vcc, exec, s[84:85]
	v_mov_b32_e32 v49, 0
	s_cbranch_vccnz .LBB20_179
; %bb.178:                              ;   in Loop: Header=BB20_110 Depth=2
	s_mov_b32 s97, s99
	s_lshl_b64 s[84:85], s[96:97], 1
	v_readlane_b32 s4, v95, 20
	s_add_u32 s84, s4, s84
	v_readlane_b32 s4, v95, 21
	s_addc_u32 s85, s4, s85
	global_load_ushort v16, v17, s[84:85]
	v_readlane_b32 s97, v95, 49
	s_waitcnt vmcnt(0)
	v_lshlrev_b32_e32 v49, 16, v16
.LBB20_179:                             ;   in Loop: Header=BB20_110 Depth=2
	v_mov_b32_e32 v50, 1.0
.LBB20_180:                             ;   in Loop: Header=BB20_110 Depth=2
	v_mul_f32_e32 v21, 0x3fb8aa3b, v48
	s_waitcnt lgkmcnt(14)
	v_lshlrev_b32_e32 v51, 16, v8
	v_and_b32_e32 v52, 0xffff0000, v8
	v_mul_f32_e32 v8, v21, v25
	v_cmp_gt_f32_e32 vcc, s33, v8
	v_lshlrev_b32_e32 v58, 16, v10
	v_and_b32_e32 v59, 0xffff0000, v10
	v_cndmask_b32_e32 v8, 0, v22, vcc
	v_mul_f32_e32 v10, v21, v18
	v_lshlrev_b32_e32 v53, 16, v9
	v_and_b32_e32 v57, 0xffff0000, v9
	v_fmac_f32_e32 v8, v21, v25
	v_cndmask_b32_e32 v9, 1.0, v23, vcc
	v_cmp_gt_f32_e32 vcc, s33, v10
	v_exp_f32_e32 v8, v8
	v_lshlrev_b32_e32 v60, 16, v11
	v_cndmask_b32_e32 v10, 0, v22, vcc
	v_fmac_f32_e32 v10, v21, v18
	v_exp_f32_e32 v10, v10
	v_and_b32_e32 v48, 0xffff0000, v11
	v_mul_f32_e32 v9, v8, v9
	v_mul_f32_e32 v11, v21, v20
	v_lshlrev_b32_e32 v16, 16, v12
	v_and_b32_e32 v12, 0xffff0000, v12
	v_cndmask_b32_e64 v88, 1.0, v9, s[52:53]
	v_cndmask_b32_e32 v9, 1.0, v23, vcc
	v_cmp_gt_f32_e32 vcc, s33, v11
	v_mul_f32_e32 v10, v10, v9
	v_mul_f32_e32 v9, v86, v12
	v_cndmask_b32_e32 v11, 0, v22, vcc
	v_mul_f32_e32 v12, v21, v94
	v_fmac_f32_e32 v11, v21, v20
	v_cndmask_b32_e64 v89, 1.0, v10, s[54:55]
	v_cndmask_b32_e32 v10, 1.0, v23, vcc
	v_cmp_gt_f32_e32 vcc, s33, v12
	v_exp_f32_e32 v11, v11
	v_lshlrev_b32_e32 v19, 16, v13
	v_cndmask_b32_e32 v12, 0, v22, vcc
	v_fmac_f32_e32 v12, v21, v94
	v_exp_f32_e32 v12, v12
	v_mul_f32_e32 v11, v11, v10
	v_and_b32_e32 v13, 0xffff0000, v13
	v_cndmask_b32_e64 v90, 1.0, v11, s[56:57]
	v_cndmask_b32_e32 v11, 1.0, v23, vcc
	v_mul_f32_e32 v12, v12, v11
	v_mul_f32_e32 v11, v84, v13
	;; [unrolled: 1-line block ×3, first 2 shown]
	v_cmp_gt_f32_e32 vcc, s33, v13
	v_mul_f32_e32 v8, v87, v16
	v_mul_f32_e32 v16, v21, v63
	v_cndmask_b32_e32 v13, 0, v22, vcc
	v_fmac_f32_e32 v13, v21, v62
	v_cndmask_b32_e64 v91, 1.0, v12, s[58:59]
	v_cndmask_b32_e32 v12, 1.0, v23, vcc
	v_cmp_gt_f32_e32 vcc, s33, v16
	v_exp_f32_e32 v13, v13
	v_lshlrev_b32_e32 v24, 16, v14
	v_cndmask_b32_e32 v16, 0, v22, vcc
	v_fmac_f32_e32 v16, v21, v63
	v_exp_f32_e32 v16, v16
	v_mul_f32_e32 v13, v13, v12
	v_and_b32_e32 v14, 0xffff0000, v14
	v_cndmask_b32_e64 v92, 1.0, v13, s[60:61]
	v_cndmask_b32_e32 v13, 1.0, v23, vcc
	v_mul_f32_e32 v16, v16, v13
	v_mul_f32_e32 v13, v82, v14
	;; [unrolled: 1-line block ×3, first 2 shown]
	v_cmp_gt_f32_e32 vcc, s33, v14
	v_mul_f32_e32 v10, v85, v19
	v_mul_f32_e32 v19, v21, v65
	v_cndmask_b32_e32 v14, 0, v22, vcc
	v_fmac_f32_e32 v14, v21, v64
	v_exp_f32_e32 v14, v14
	v_mul_f32_e32 v12, v83, v24
	v_cndmask_b32_e64 v24, 1.0, v16, s[62:63]
	v_cndmask_b32_e32 v16, 1.0, v23, vcc
	v_cmp_gt_f32_e32 vcc, s33, v19
	v_lshlrev_b32_e32 v26, 16, v15
	v_mul_f32_e32 v16, v14, v16
	v_cndmask_b32_e32 v19, 0, v22, vcc
	v_fmac_f32_e32 v19, v21, v65
	v_mul_f32_e32 v14, v81, v26
	v_exp_f32_e32 v26, v19
	v_cndmask_b32_e64 v19, 1.0, v16, s[64:65]
	v_cndmask_b32_e32 v16, 1.0, v23, vcc
	v_cndmask_b32_e64 v8, 0, v8, s[52:53]
	v_mul_f32_e32 v16, v26, v16
	v_mul_f32_e32 v26, v21, v66
	v_cmp_gt_f32_e32 vcc, s33, v26
	v_cndmask_b32_e64 v77, 1.0, v16, s[66:67]
	v_cndmask_b32_e64 v9, 0, v9, s[54:55]
	v_cndmask_b32_e32 v26, 0, v22, vcc
	v_fmac_f32_e32 v26, v21, v66
	v_exp_f32_e32 v26, v26
	v_cndmask_b32_e32 v16, 1.0, v23, vcc
	v_cndmask_b32_e64 v10, 0, v10, s[56:57]
	v_cndmask_b32_e64 v11, 0, v11, s[58:59]
	v_mul_f32_e32 v16, v26, v16
	scratch_load_dword v26, off, off offset:96 ; 4-byte Folded Reload
	v_cndmask_b32_e64 v12, 0, v12, s[60:61]
	v_and_b32_e32 v15, 0xffff0000, v15
	v_cndmask_b32_e64 v13, 0, v13, s[62:63]
	v_cndmask_b32_e64 v14, 0, v14, s[64:65]
	v_mul_f32_e32 v15, v80, v15
	v_cndmask_b32_e64 v15, 0, v15, s[66:67]
	v_readlane_b32 s4, v95, 30
	v_readlane_b32 s5, v95, 31
	s_waitcnt vmcnt(0)
	v_mul_f32_e32 v26, v26, v51
	v_mul_f32_e32 v51, v21, v67
	v_cmp_gt_f32_e32 vcc, s33, v51
	v_cndmask_b32_e64 v54, 0, v26, s[68:69]
	v_cndmask_b32_e64 v26, 1.0, v16, s[68:69]
	v_cndmask_b32_e32 v51, 0, v22, vcc
	v_fmac_f32_e32 v51, v21, v67
	v_exp_f32_e32 v51, v51
	v_cndmask_b32_e32 v16, 1.0, v23, vcc
	v_mul_f32_e32 v16, v51, v16
	scratch_load_dword v51, off, off offset:92 ; 4-byte Folded Reload
	v_cndmask_b32_e64 v93, 1.0, v16, s[70:71]
	s_waitcnt vmcnt(0)
	v_mul_f32_e32 v51, v51, v52
	v_cndmask_b32_e64 v55, 0, v51, s[70:71]
	scratch_load_dword v51, off, off offset:88 ; 4-byte Folded Reload
	v_mul_f32_e32 v52, v21, v68
	v_cmp_gt_f32_e32 vcc, s33, v52
	s_waitcnt vmcnt(0)
	v_mul_f32_e32 v51, v51, v53
	v_cndmask_b32_e64 v56, 0, v51, s[72:73]
	scratch_load_dword v51, off, off offset:84 ; 4-byte Folded Reload
	v_cndmask_b32_e32 v52, 0, v22, vcc
	v_fmac_f32_e32 v52, v21, v68
	v_exp_f32_e32 v52, v52
	v_cndmask_b32_e32 v16, 1.0, v23, vcc
	v_mul_f32_e32 v53, v21, v71
	v_mul_f32_e32 v16, v52, v16
	v_mul_f32_e32 v52, v21, v69
	v_cmp_gt_f32_e32 vcc, s33, v52
	v_cndmask_b32_e64 v73, 1.0, v16, s[72:73]
	s_waitcnt vmcnt(0)
	v_mul_f32_e32 v51, v51, v57
	v_cndmask_b32_e32 v52, 0, v22, vcc
	v_fmac_f32_e32 v52, v21, v69
	v_exp_f32_e32 v52, v52
	v_cndmask_b32_e32 v16, 1.0, v23, vcc
	v_cndmask_b32_e64 v57, 0, v51, s[74:75]
	v_mul_f32_e32 v16, v52, v16
	v_mul_f32_e32 v52, v21, v70
	v_cmp_gt_f32_e32 vcc, s33, v52
	v_cndmask_b32_e64 v16, 1.0, v16, s[74:75]
	s_nop 0
	v_cndmask_b32_e32 v52, 0, v22, vcc
	v_fmac_f32_e32 v52, v21, v70
	v_exp_f32_e32 v52, v52
	v_cndmask_b32_e32 v51, 1.0, v23, vcc
	v_cmp_gt_f32_e32 vcc, s33, v53
	v_mul_f32_e32 v51, v52, v51
	scratch_load_dword v52, off, off offset:80 ; 4-byte Folded Reload
	v_cndmask_b32_e32 v53, 0, v22, vcc
	v_fmac_f32_e32 v53, v21, v71
	v_exp_f32_e32 v53, v53
	v_cndmask_b32_e64 v74, 1.0, v51, s[76:77]
	v_cndmask_b32_e32 v51, 1.0, v23, vcc
	v_mul_f32_e32 v51, v53, v51
	scratch_load_dword v53, off, off offset:76 ; 4-byte Folded Reload
	v_cndmask_b32_e64 v75, 1.0, v51, s[78:79]
	s_waitcnt vmcnt(1)
	v_mul_f32_e32 v52, v52, v58
	v_mul_f32_e32 v58, v21, v72
	v_cmp_gt_f32_e32 vcc, s33, v58
	v_cndmask_b32_e64 v52, 0, v52, s[76:77]
	s_nop 0
	v_cndmask_b32_e32 v58, 0, v22, vcc
	v_fmac_f32_e32 v58, v21, v72
	v_exp_f32_e32 v58, v58
	v_cndmask_b32_e32 v51, 1.0, v23, vcc
	v_mul_f32_e32 v51, v58, v51
	scratch_load_dword v58, off, off offset:72 ; 4-byte Folded Reload
	s_waitcnt vmcnt(1)
	v_mul_f32_e32 v53, v53, v59
	v_mul_f32_e32 v59, v21, v27
	v_cmp_gt_f32_e32 vcc, s33, v59
	v_cndmask_b32_e64 v76, 1.0, v51, s[80:81]
	v_cndmask_b32_e64 v53, 0, v53, s[78:79]
	v_cndmask_b32_e32 v59, 0, v22, vcc
	v_fmac_f32_e32 v59, v21, v27
	v_exp_f32_e32 v21, v59
	v_cndmask_b32_e32 v51, 1.0, v23, vcc
	v_mul_f32_e32 v21, v21, v51
	scratch_load_dword v51, off, off offset:68 ; 4-byte Folded Reload
	v_cndmask_b32_e64 v21, 1.0, v21, s[82:83]
	s_waitcnt vmcnt(1)
	v_mul_f32_e32 v58, v58, v60
	v_cndmask_b32_e64 v58, 0, v58, s[80:81]
	s_waitcnt vmcnt(0)
	v_mul_f32_e32 v48, v51, v48
	v_cndmask_b32_e64 v59, 0, v48, s[82:83]
	v_mul_f32_e32 v48, v89, v88
	v_fma_f32 v51, v89, v8, v9
	v_mul_f32_e32 v48, v48, v90
	v_fma_f32 v51, v51, v90, v10
	;; [unrolled: 2-line block ×15, first 2 shown]
	s_nop 0
	v_mov_b32_dpp v61, v51 row_shr:1 row_mask:0xf bank_mask:0xf
	v_mov_b32_dpp v60, v48 row_shr:1 row_mask:0xf bank_mask:0xf
	s_and_saveexec_b64 s[84:85], s[4:5]
; %bb.181:                              ;   in Loop: Header=BB20_110 Depth=2
	v_mul_f32_e32 v61, v51, v61
	v_fmac_f32_e32 v48, v51, v60
	v_mov_b32_e32 v51, v61
; %bb.182:                              ;   in Loop: Header=BB20_110 Depth=2
	s_or_b64 exec, exec, s[84:85]
	v_readlane_b32 s4, v95, 32
	v_mov_b32_dpp v60, v51 row_shr:2 row_mask:0xf bank_mask:0xf
	v_mov_b32_dpp v61, v48 row_shr:2 row_mask:0xf bank_mask:0xf
	v_readlane_b32 s5, v95, 33
	s_and_saveexec_b64 s[84:85], s[4:5]
; %bb.183:                              ;   in Loop: Header=BB20_110 Depth=2
	v_fmac_f32_e32 v48, v51, v61
	v_mul_f32_e32 v51, v51, v60
; %bb.184:                              ;   in Loop: Header=BB20_110 Depth=2
	s_or_b64 exec, exec, s[84:85]
	s_nop 0
	v_mov_b32_dpp v60, v51 row_shr:4 row_mask:0xf bank_mask:0xf
	v_mov_b32_dpp v61, v48 row_shr:4 row_mask:0xf bank_mask:0xf
	s_and_saveexec_b64 s[84:85], s[2:3]
; %bb.185:                              ;   in Loop: Header=BB20_110 Depth=2
	v_fmac_f32_e32 v48, v51, v61
	v_mul_f32_e32 v51, v51, v60
; %bb.186:                              ;   in Loop: Header=BB20_110 Depth=2
	s_or_b64 exec, exec, s[84:85]
	v_readlane_b32 s4, v95, 34
	v_mov_b32_dpp v60, v51 row_shr:8 row_mask:0xf bank_mask:0xf
	v_mov_b32_dpp v61, v48 row_shr:8 row_mask:0xf bank_mask:0xf
	v_readlane_b32 s5, v95, 35
	s_and_saveexec_b64 s[84:85], s[4:5]
; %bb.187:                              ;   in Loop: Header=BB20_110 Depth=2
	v_fmac_f32_e32 v48, v51, v61
	v_mul_f32_e32 v51, v51, v60
; %bb.188:                              ;   in Loop: Header=BB20_110 Depth=2
	s_or_b64 exec, exec, s[84:85]
	v_readlane_b32 s4, v95, 36
	v_mov_b32_dpp v60, v51 row_bcast:15 row_mask:0xf bank_mask:0xf
	v_mov_b32_dpp v61, v48 row_bcast:15 row_mask:0xf bank_mask:0xf
	v_readlane_b32 s5, v95, 37
	s_and_saveexec_b64 s[84:85], s[4:5]
; %bb.189:                              ;   in Loop: Header=BB20_110 Depth=2
	v_fmac_f32_e32 v48, v51, v61
	v_mul_f32_e32 v51, v51, v60
; %bb.190:                              ;   in Loop: Header=BB20_110 Depth=2
	s_or_b64 exec, exec, s[84:85]
	s_nop 0
	v_mov_b32_dpp v60, v51 row_bcast:31 row_mask:0xf bank_mask:0xf
	v_mov_b32_dpp v61, v48 row_bcast:31 row_mask:0xf bank_mask:0xf
	v_mov_b32_e32 v78, v48
	v_mul_f32_e32 v60, v51, v60
	v_fmac_f32_e32 v78, v51, v61
	v_readlane_b32 s4, v95, 46
	v_cndmask_b32_e64 v60, v51, v60, s[12:13]
	v_cndmask_b32_e64 v61, v48, v78, s[12:13]
	v_readlane_b32 s5, v95, 47
	s_and_saveexec_b64 s[84:85], s[4:5]
	s_cbranch_execz .LBB20_192
; %bb.191:                              ;   in Loop: Header=BB20_110 Depth=2
	ds_write_b64 v17, v[60:61] offset:4224
.LBB20_192:                             ;   in Loop: Header=BB20_110 Depth=2
	s_or_b64 exec, exec, s[84:85]
	scratch_load_dword v48, off, off offset:164 ; 4-byte Folded Reload
	s_waitcnt lgkmcnt(0)
	; wave barrier
	s_waitcnt vmcnt(0) lgkmcnt(0)
	ds_bpermute_b32 v78, v48, v60
	ds_bpermute_b32 v79, v48, v61
	s_and_saveexec_b64 s[84:85], s[14:15]
	s_cbranch_execz .LBB20_196
; %bb.193:                              ;   in Loop: Header=BB20_110 Depth=2
	ds_read_b64 v[60:61], v17 offset:4224
	s_and_saveexec_b64 s[88:89], s[16:17]
	s_cbranch_execz .LBB20_195
; %bb.194:                              ;   in Loop: Header=BB20_110 Depth=2
	v_mov_b32_e32 v51, v49
	ds_write_b64 v17, v[50:51] offset:4224
.LBB20_195:                             ;   in Loop: Header=BB20_110 Depth=2
	s_or_b64 exec, exec, s[88:89]
	s_waitcnt lgkmcnt(0)
	v_mul_f32_e32 v51, v60, v49
	v_pk_add_f32 v[48:49], v[50:51], v[60:61]
	v_mul_f32_e32 v50, v50, v60
.LBB20_196:                             ;   in Loop: Header=BB20_110 Depth=2
	s_or_b64 exec, exec, s[84:85]
	s_waitcnt lgkmcnt(0)
	; wave barrier
	s_waitcnt lgkmcnt(0)
	ds_read_b32 v48, v17 offset:4228
	s_and_saveexec_b64 s[84:85], s[16:17]
	s_cbranch_execz .LBB20_109
; %bb.197:                              ;   in Loop: Header=BB20_110 Depth=2
	v_mov_b32_e32 v51, v49
	v_mov_b32_e32 v60, s1
	s_andn2_b64 vcc, exec, s[90:91]
	ds_write_b64 v60, v[50:51]
	s_cbranch_vccnz .LBB20_109
; %bb.198:                              ;   in Loop: Header=BB20_110 Depth=2
	v_bfe_u32 v50, v49, 16, 1
	s_movk_i32 s4, 0x7fff
	s_mov_b32 s97, s99
	v_add3_u32 v50, v49, v50, s4
	s_lshl_b64 s[88:89], s[96:97], 1
	v_readlane_b32 s4, v95, 20
	v_lshrrev_b32_e32 v50, 16, v50
	v_cmp_o_f32_e32 vcc, v49, v49
	v_mov_b32_e32 v49, 0x7fc0
	s_add_u32 s88, s4, s88
	v_readlane_b32 s4, v95, 21
	v_cndmask_b32_e32 v49, v49, v50, vcc
	v_readlane_b32 s97, v95, 49
	s_addc_u32 s89, s4, s89
	global_store_short v17, v49, s[88:89]
	s_branch .LBB20_109
.LBB20_199:                             ;   in Loop: Header=BB20_13 Depth=1
	v_readlane_b32 s6, v95, 50
	v_readlane_b32 s7, v95, 51
	s_mov_b32 s4, 0x41a00000
	s_mov_b32 s5, 0x3fb8aa3b
	;; [unrolled: 1-line block ×8, first 2 shown]
.LBB20_200:                             ;   in Loop: Header=BB20_13 Depth=1
	s_waitcnt lgkmcnt(0)
	; wave barrier
	scratch_load_dword v9, off, off offset:4 ; 4-byte Folded Reload
	v_bfe_u32 v0, v42, 16, 1
	s_movk_i32 s0, 0x7fff
	v_bfe_u32 v1, v43, 16, 1
	v_add3_u32 v0, v42, v0, s0
	v_bfe_u32 v2, v40, 16, 1
	v_add3_u32 v1, v43, v1, s0
	v_lshrrev_b32_e32 v0, 16, v0
	v_cmp_o_f32_e32 vcc, v42, v42
	v_mov_b32_e32 v10, 0x7fc0
	v_bfe_u32 v3, v41, 16, 1
	v_add3_u32 v2, v40, v2, s0
	v_lshrrev_b32_e32 v1, 16, v1
	v_cndmask_b32_e32 v0, v10, v0, vcc
	v_cmp_o_f32_e32 vcc, v43, v43
	v_add3_u32 v3, v41, v3, s0
	v_lshrrev_b32_e32 v2, 16, v2
	v_cndmask_b32_e32 v4, v10, v1, vcc
	v_cmp_o_f32_e32 vcc, v40, v40
	v_lshrrev_b32_e32 v3, 16, v3
	v_bfe_u32 v6, v36, 16, 1
	v_cndmask_b32_e32 v1, v10, v2, vcc
	v_cmp_o_f32_e32 vcc, v41, v41
	v_bfe_u32 v2, v38, 16, 1
	v_add3_u32 v2, v38, v2, s0
	v_cndmask_b32_e32 v5, v10, v3, vcc
	v_bfe_u32 v3, v39, 16, 1
	v_add3_u32 v3, v39, v3, s0
	v_lshrrev_b32_e32 v2, 16, v2
	v_cmp_o_f32_e32 vcc, v38, v38
	v_bfe_u32 v7, v37, 16, 1
	v_add3_u32 v6, v36, v6, s0
	v_lshrrev_b32_e32 v3, 16, v3
	v_cndmask_b32_e32 v2, v10, v2, vcc
	v_cmp_o_f32_e32 vcc, v39, v39
	v_add3_u32 v7, v37, v7, s0
	v_lshrrev_b32_e32 v6, 16, v6
	v_cndmask_b32_e32 v8, v10, v3, vcc
	v_cmp_o_f32_e32 vcc, v36, v36
	v_lshrrev_b32_e32 v7, 16, v7
	s_mov_b32 s1, 0x5040100
	v_cndmask_b32_e32 v3, v10, v6, vcc
	v_cmp_o_f32_e32 vcc, v37, v37
	v_perm_b32 v2, v8, v2, s1
	v_perm_b32 v1, v5, v1, s1
	v_cndmask_b32_e32 v6, v10, v7, vcc
	v_perm_b32 v3, v6, v3, s1
	v_perm_b32 v0, v4, v0, s1
	v_cmp_o_f32_e32 vcc, v34, v34
	v_bfe_u32 v6, v28, 16, 1
	v_bfe_u32 v7, v29, 16, 1
	v_add3_u32 v6, v28, v6, s0
	v_add3_u32 v7, v29, v7, s0
	v_lshrrev_b32_e32 v6, 16, v6
	v_lshrrev_b32_e32 v7, 16, v7
	v_readlane_b32 s52, v95, 53
	v_readlane_b32 s53, v95, 54
	s_mov_b32 s53, s99
	s_mov_b64 s[58:59], s[52:53]
	s_waitcnt vmcnt(0)
	ds_write_b128 v9, v[0:3]
	v_bfe_u32 v0, v34, 16, 1
	v_bfe_u32 v1, v35, 16, 1
	v_add3_u32 v0, v34, v0, s0
	v_bfe_u32 v2, v32, 16, 1
	v_add3_u32 v1, v35, v1, s0
	v_lshrrev_b32_e32 v0, 16, v0
	v_bfe_u32 v3, v33, 16, 1
	v_add3_u32 v2, v32, v2, s0
	v_lshrrev_b32_e32 v1, 16, v1
	v_cndmask_b32_e32 v0, v10, v0, vcc
	v_cmp_o_f32_e32 vcc, v35, v35
	v_add3_u32 v3, v33, v3, s0
	v_lshrrev_b32_e32 v2, 16, v2
	v_cndmask_b32_e32 v4, v10, v1, vcc
	v_cmp_o_f32_e32 vcc, v32, v32
	v_lshrrev_b32_e32 v3, 16, v3
	v_perm_b32 v0, v4, v0, s1
	v_cndmask_b32_e32 v1, v10, v2, vcc
	v_cmp_o_f32_e32 vcc, v33, v33
	v_bfe_u32 v2, v30, 16, 1
	v_add3_u32 v2, v30, v2, s0
	v_cndmask_b32_e32 v5, v10, v3, vcc
	v_bfe_u32 v3, v31, 16, 1
	v_add3_u32 v3, v31, v3, s0
	v_lshrrev_b32_e32 v2, 16, v2
	v_cmp_o_f32_e32 vcc, v30, v30
	v_lshrrev_b32_e32 v3, 16, v3
	v_perm_b32 v1, v5, v1, s1
	v_cndmask_b32_e32 v2, v10, v2, vcc
	v_cmp_o_f32_e32 vcc, v31, v31
	s_nop 1
	v_cndmask_b32_e32 v8, v10, v3, vcc
	v_cmp_o_f32_e32 vcc, v28, v28
	v_perm_b32 v2, v8, v2, s1
	s_nop 0
	v_cndmask_b32_e32 v3, v10, v6, vcc
	v_cmp_o_f32_e32 vcc, v29, v29
	s_nop 1
	v_cndmask_b32_e32 v6, v10, v7, vcc
	v_perm_b32 v3, v6, v3, s1
	ds_write_b128 v9, v[0:3] offset:16
	; wave barrier
	scratch_load_dword v0, off, off offset:8 ; 4-byte Folded Reload
	s_waitcnt vmcnt(0)
	ds_read_u16 v16, v0 offset:128
	scratch_load_dword v0, off, off offset:12 ; 4-byte Folded Reload
	s_waitcnt vmcnt(0)
	ds_read_u16 v15, v0 offset:256
	;; [unrolled: 3-line block ×15, first 2 shown]
	scratch_load_dwordx2 v[0:1], off, off offset:244 ; 8-byte Folded Reload
	s_waitcnt vmcnt(0)
	v_lshl_add_u64 v[0:1], s[52:53], 1, v[0:1]
	s_and_saveexec_b64 s[52:53], s[18:19]
	s_cbranch_execnz .LBB20_269
; %bb.201:                              ;   in Loop: Header=BB20_13 Depth=1
	s_or_b64 exec, exec, s[52:53]
	s_and_saveexec_b64 s[52:53], s[20:21]
	s_cbranch_execnz .LBB20_270
.LBB20_202:                             ;   in Loop: Header=BB20_13 Depth=1
	s_or_b64 exec, exec, s[52:53]
	s_and_saveexec_b64 s[52:53], s[22:23]
	s_cbranch_execnz .LBB20_271
.LBB20_203:                             ;   in Loop: Header=BB20_13 Depth=1
	s_or_b64 exec, exec, s[52:53]
	s_and_saveexec_b64 s[52:53], s[24:25]
	s_cbranch_execnz .LBB20_272
.LBB20_204:                             ;   in Loop: Header=BB20_13 Depth=1
	s_or_b64 exec, exec, s[52:53]
	s_and_saveexec_b64 s[52:53], s[26:27]
	s_cbranch_execnz .LBB20_273
.LBB20_205:                             ;   in Loop: Header=BB20_13 Depth=1
	s_or_b64 exec, exec, s[52:53]
	s_and_saveexec_b64 s[52:53], s[28:29]
	s_cbranch_execnz .LBB20_274
.LBB20_206:                             ;   in Loop: Header=BB20_13 Depth=1
	s_or_b64 exec, exec, s[52:53]
	s_and_saveexec_b64 s[52:53], s[30:31]
	s_cbranch_execnz .LBB20_275
.LBB20_207:                             ;   in Loop: Header=BB20_13 Depth=1
	s_or_b64 exec, exec, s[52:53]
	s_and_saveexec_b64 s[52:53], s[34:35]
	s_cbranch_execnz .LBB20_276
.LBB20_208:                             ;   in Loop: Header=BB20_13 Depth=1
	s_or_b64 exec, exec, s[52:53]
	s_and_saveexec_b64 s[52:53], s[36:37]
	s_cbranch_execnz .LBB20_277
.LBB20_209:                             ;   in Loop: Header=BB20_13 Depth=1
	s_or_b64 exec, exec, s[52:53]
	s_and_saveexec_b64 s[52:53], s[38:39]
	s_cbranch_execnz .LBB20_278
.LBB20_210:                             ;   in Loop: Header=BB20_13 Depth=1
	s_or_b64 exec, exec, s[52:53]
	s_and_saveexec_b64 s[52:53], s[40:41]
	s_cbranch_execnz .LBB20_279
.LBB20_211:                             ;   in Loop: Header=BB20_13 Depth=1
	s_or_b64 exec, exec, s[52:53]
	s_and_saveexec_b64 s[52:53], s[42:43]
	s_cbranch_execnz .LBB20_280
.LBB20_212:                             ;   in Loop: Header=BB20_13 Depth=1
	s_or_b64 exec, exec, s[52:53]
	s_and_saveexec_b64 s[52:53], s[44:45]
	s_cbranch_execnz .LBB20_281
.LBB20_213:                             ;   in Loop: Header=BB20_13 Depth=1
	s_or_b64 exec, exec, s[52:53]
	s_and_saveexec_b64 s[52:53], s[46:47]
	s_cbranch_execnz .LBB20_282
.LBB20_214:                             ;   in Loop: Header=BB20_13 Depth=1
	s_or_b64 exec, exec, s[52:53]
	s_and_saveexec_b64 s[52:53], s[48:49]
	s_cbranch_execnz .LBB20_283
.LBB20_215:                             ;   in Loop: Header=BB20_13 Depth=1
	s_or_b64 exec, exec, s[52:53]
	s_and_saveexec_b64 s[52:53], s[50:51]
	s_cbranch_execz .LBB20_217
.LBB20_216:                             ;   in Loop: Header=BB20_13 Depth=1
	s_waitcnt lgkmcnt(0)
	global_store_short v[0:1], v2, off offset:1920
.LBB20_217:                             ;   in Loop: Header=BB20_13 Depth=1
	s_or_b64 exec, exec, s[52:53]
	s_waitcnt lgkmcnt(0)
	; wave barrier
	s_waitcnt lgkmcnt(0)
	scratch_load_dwordx2 v[0:1], off, off offset:252 ; 8-byte Folded Reload
	v_mov_b32_e32 v2, 0
	v_mov_b32_e32 v3, 0
	s_waitcnt vmcnt(0)
	v_lshl_add_u64 v[0:1], s[58:59], 1, v[0:1]
	s_and_saveexec_b64 s[52:53], s[18:19]
	s_cbranch_execz .LBB20_219
; %bb.218:                              ;   in Loop: Header=BB20_13 Depth=1
	global_load_ushort v3, v[0:1], off
.LBB20_219:                             ;   in Loop: Header=BB20_13 Depth=1
	s_or_b64 exec, exec, s[52:53]
	s_and_saveexec_b64 s[52:53], s[20:21]
	s_cbranch_execz .LBB20_221
; %bb.220:                              ;   in Loop: Header=BB20_13 Depth=1
	global_load_ushort v2, v[0:1], off offset:128
.LBB20_221:                             ;   in Loop: Header=BB20_13 Depth=1
	s_or_b64 exec, exec, s[52:53]
	v_mov_b32_e32 v4, 0
	v_mov_b32_e32 v5, 0
	s_and_saveexec_b64 s[52:53], s[22:23]
	s_cbranch_execz .LBB20_223
; %bb.222:                              ;   in Loop: Header=BB20_13 Depth=1
	global_load_ushort v5, v[0:1], off offset:256
.LBB20_223:                             ;   in Loop: Header=BB20_13 Depth=1
	s_or_b64 exec, exec, s[52:53]
	s_and_saveexec_b64 s[52:53], s[24:25]
	s_cbranch_execz .LBB20_225
; %bb.224:                              ;   in Loop: Header=BB20_13 Depth=1
	global_load_ushort v4, v[0:1], off offset:384
.LBB20_225:                             ;   in Loop: Header=BB20_13 Depth=1
	s_or_b64 exec, exec, s[52:53]
	v_mov_b32_e32 v6, 0
	v_mov_b32_e32 v7, 0
	s_and_saveexec_b64 s[52:53], s[26:27]
	s_cbranch_execz .LBB20_227
; %bb.226:                              ;   in Loop: Header=BB20_13 Depth=1
	global_load_ushort v7, v[0:1], off offset:512
.LBB20_227:                             ;   in Loop: Header=BB20_13 Depth=1
	;; [unrolled: 14-line block ×7, first 2 shown]
	s_or_b64 exec, exec, s[52:53]
	s_and_saveexec_b64 s[52:53], s[50:51]
	s_cbranch_execz .LBB20_249
; %bb.248:                              ;   in Loop: Header=BB20_13 Depth=1
	global_load_ushort v16, v[0:1], off offset:1920
.LBB20_249:                             ;   in Loop: Header=BB20_13 Depth=1
	s_or_b64 exec, exec, s[52:53]
	scratch_load_dword v0, off, off         ; 4-byte Folded Reload
	scratch_load_dword v44, off, off offset:8 ; 4-byte Folded Reload
	scratch_load_dword v45, off, off offset:12 ; 4-byte Folded Reload
	;; [unrolled: 1-line block ×15, first 2 shown]
	s_mov_b32 s53, 0xbfb8aa3b
	s_mov_b32 s54, 0x42ce8ed0
	;; [unrolled: 1-line block ×3, first 2 shown]
	v_mov_b32_e32 v26, 0x7f800000
	s_movk_i32 s52, 0x7fff
	s_waitcnt vmcnt(15)
	ds_write_b16 v0, v3
	s_waitcnt vmcnt(14)
	ds_write_b16 v44, v2 offset:128
	s_waitcnt vmcnt(13)
	ds_write_b16 v45, v5 offset:256
	;; [unrolled: 2-line block ×15, first 2 shown]
	; wave barrier
	scratch_load_dword v59, off, off offset:4 ; 4-byte Folded Reload
	s_waitcnt vmcnt(0)
	ds_read_b128 v[4:7], v59
	ds_read_b128 v[0:3], v59 offset:16
	s_waitcnt lgkmcnt(0)
	; wave barrier
	s_waitcnt lgkmcnt(0)
	v_and_b32_e32 v13, 0xffff0000, v5
	v_and_b32_e32 v11, 0xffff0000, v4
	v_lshlrev_b32_e32 v10, 16, v4
	v_mul_f32_e32 v4, 0xbfb8aa3b, v13
	v_lshlrev_b32_e32 v12, 16, v5
	v_fma_f32 v5, v13, s53, -v4
	v_rndne_f32_e32 v8, v4
	v_fmac_f32_e32 v5, 0xb2a5705f, v13
	v_sub_f32_e32 v4, v4, v8
	v_add_f32_e32 v4, v4, v5
	v_exp_f32_e32 v4, v4
	v_cvt_i32_f32_e32 v5, v8
	v_cmp_nlt_f32_e32 vcc, s54, v13
	v_ldexp_f32 v4, v4, v5
	s_nop 0
	v_cndmask_b32_e32 v4, 0, v4, vcc
	v_cmp_ngt_f32_e32 vcc, s55, v13
	s_nop 1
	v_cndmask_b32_e32 v9, v26, v4, vcc
	v_mul_f32_e32 v4, 0xbfb8aa3b, v11
	v_fma_f32 v5, v11, s53, -v4
	v_rndne_f32_e32 v8, v4
	v_fmac_f32_e32 v5, 0xb2a5705f, v11
	v_sub_f32_e32 v4, v4, v8
	v_add_f32_e32 v4, v4, v5
	v_exp_f32_e32 v4, v4
	v_cvt_i32_f32_e32 v5, v8
	v_cmp_nlt_f32_e32 vcc, s54, v11
	v_ldexp_f32 v4, v4, v5
	s_nop 0
	v_cndmask_b32_e32 v4, 0, v4, vcc
	v_cmp_ngt_f32_e32 vcc, s55, v11
	s_nop 1
	v_cndmask_b32_e32 v5, v26, v4, vcc
	v_mul_f32_e32 v4, 0xbfb8aa3b, v12
	v_rndne_f32_e32 v8, v4
	v_sub_f32_e32 v14, v4, v8
	v_fma_f32 v4, v12, s53, -v4
	v_fmac_f32_e32 v4, 0xb2a5705f, v12
	v_add_f32_e32 v4, v14, v4
	v_exp_f32_e32 v4, v4
	v_cvt_i32_f32_e32 v8, v8
	v_cmp_nlt_f32_e32 vcc, s54, v12
	v_ldexp_f32 v4, v4, v8
	s_nop 0
	v_cndmask_b32_e32 v4, 0, v4, vcc
	v_cmp_ngt_f32_e32 vcc, s55, v12
	s_nop 1
	v_cndmask_b32_e32 v8, v26, v4, vcc
	v_mul_f32_e32 v4, 0xbfb8aa3b, v10
	v_rndne_f32_e32 v14, v4
	v_sub_f32_e32 v15, v4, v14
	v_fma_f32 v4, v10, s53, -v4
	v_fmac_f32_e32 v4, 0xb2a5705f, v10
	v_add_f32_e32 v4, v15, v4
	v_exp_f32_e32 v4, v4
	v_cvt_i32_f32_e32 v14, v14
	v_pk_add_f32 v[8:9], v[8:9], 1.0 op_sel_hi:[1,0]
	v_cmp_nlt_f32_e32 vcc, s54, v10
	v_ldexp_f32 v4, v4, v14
	v_div_scale_f32 v14, s[0:1], v9, v9, v13
	v_rcp_f32_e32 v15, v14
	v_cndmask_b32_e32 v4, 0, v4, vcc
	v_cmp_ngt_f32_e32 vcc, s55, v10
	v_fma_f32 v16, -v14, v15, 1.0
	s_nop 0
	v_cndmask_b32_e32 v4, v26, v4, vcc
	v_fmac_f32_e32 v15, v16, v15
	v_div_scale_f32 v16, vcc, v13, v9, v13
	v_mul_f32_e32 v18, v16, v15
	v_fma_f32 v19, -v14, v18, v16
	v_fmac_f32_e32 v18, v19, v15
	v_fma_f32 v14, -v14, v18, v16
	v_div_fmas_f32 v14, v14, v15, v18
	v_div_fixup_f32 v9, v14, v9, v13
	v_div_scale_f32 v13, s[0:1], v8, v8, v12
	v_rcp_f32_e32 v14, v13
	v_pk_add_f32 v[4:5], v[4:5], 1.0 op_sel_hi:[1,0]
	v_fma_f32 v15, -v13, v14, 1.0
	v_fmac_f32_e32 v14, v15, v14
	v_div_scale_f32 v15, vcc, v12, v8, v12
	v_mul_f32_e32 v16, v15, v14
	v_fma_f32 v18, -v13, v16, v15
	v_fmac_f32_e32 v16, v18, v14
	v_fma_f32 v13, -v13, v16, v15
	v_div_fmas_f32 v13, v13, v14, v16
	v_div_fixup_f32 v8, v13, v8, v12
	v_div_scale_f32 v12, s[0:1], v5, v5, v11
	v_rcp_f32_e32 v13, v12
	s_nop 0
	v_fma_f32 v14, -v12, v13, 1.0
	v_fmac_f32_e32 v13, v14, v13
	v_div_scale_f32 v14, vcc, v11, v5, v11
	v_mul_f32_e32 v15, v14, v13
	v_fma_f32 v16, -v12, v15, v14
	v_fmac_f32_e32 v15, v16, v13
	v_fma_f32 v12, -v12, v15, v14
	v_div_fmas_f32 v12, v12, v13, v15
	v_div_fixup_f32 v5, v12, v5, v11
	v_div_scale_f32 v11, s[0:1], v4, v4, v10
	v_rcp_f32_e32 v12, v11
	s_nop 0
	v_fma_f32 v13, -v11, v12, 1.0
	v_fmac_f32_e32 v12, v13, v12
	v_div_scale_f32 v13, vcc, v10, v4, v10
	v_mul_f32_e32 v14, v13, v12
	v_fma_f32 v15, -v11, v14, v13
	v_fmac_f32_e32 v14, v15, v12
	v_fma_f32 v11, -v11, v14, v13
	v_div_fmas_f32 v11, v11, v12, v14
	v_div_fixup_f32 v4, v11, v4, v10
	v_pk_mul_f32 v[4:5], v[42:43], v[4:5]
	v_pk_mul_f32 v[10:11], v[40:41], v[8:9]
	v_bfe_u32 v8, v4, 16, 1
	v_bfe_u32 v9, v5, 16, 1
	v_add3_u32 v8, v4, v8, s52
	v_bfe_u32 v12, v10, 16, 1
	v_add3_u32 v9, v5, v9, s52
	v_lshrrev_b32_e32 v8, 16, v8
	v_cmp_o_f32_e32 vcc, v4, v4
	v_mov_b32_e32 v40, 0x7fc0
	v_bfe_u32 v13, v11, 16, 1
	v_add3_u32 v12, v10, v12, s52
	v_lshrrev_b32_e32 v9, 16, v9
	v_cndmask_b32_e32 v8, v40, v8, vcc
	v_cmp_o_f32_e32 vcc, v5, v5
	v_add3_u32 v13, v11, v13, s52
	v_lshrrev_b32_e32 v12, 16, v12
	v_cndmask_b32_e32 v9, v40, v9, vcc
	v_cmp_o_f32_e32 vcc, v10, v10
	v_and_b32_e32 v15, 0xffff0000, v7
	v_lshrrev_b32_e32 v13, 16, v13
	v_cndmask_b32_e32 v10, v40, v12, vcc
	v_cmp_o_f32_e32 vcc, v11, v11
	v_mul_f32_e32 v4, 0xbfb8aa3b, v15
	v_lshlrev_b32_e32 v12, 16, v6
	v_cndmask_b32_e32 v11, v40, v13, vcc
	v_and_b32_e32 v13, 0xffff0000, v6
	v_fma_f32 v5, v15, s53, -v4
	v_rndne_f32_e32 v6, v4
	v_fmac_f32_e32 v5, 0xb2a5705f, v15
	v_sub_f32_e32 v4, v4, v6
	v_add_f32_e32 v4, v4, v5
	v_exp_f32_e32 v4, v4
	v_cvt_i32_f32_e32 v5, v6
	v_cmp_nlt_f32_e32 vcc, s54, v15
	v_lshlrev_b32_e32 v14, 16, v7
	v_ldexp_f32 v4, v4, v5
	v_cndmask_b32_e32 v4, 0, v4, vcc
	v_cmp_ngt_f32_e32 vcc, s55, v15
	s_nop 1
	v_cndmask_b32_e32 v7, v26, v4, vcc
	v_mul_f32_e32 v4, 0xbfb8aa3b, v13
	v_fma_f32 v5, v13, s53, -v4
	v_rndne_f32_e32 v6, v4
	v_fmac_f32_e32 v5, 0xb2a5705f, v13
	v_sub_f32_e32 v4, v4, v6
	v_add_f32_e32 v4, v4, v5
	v_exp_f32_e32 v4, v4
	v_cvt_i32_f32_e32 v5, v6
	v_cmp_nlt_f32_e32 vcc, s54, v13
	v_ldexp_f32 v4, v4, v5
	s_nop 0
	v_cndmask_b32_e32 v4, 0, v4, vcc
	v_cmp_ngt_f32_e32 vcc, s55, v13
	s_nop 1
	v_cndmask_b32_e32 v5, v26, v4, vcc
	v_mul_f32_e32 v4, 0xbfb8aa3b, v14
	v_rndne_f32_e32 v6, v4
	v_sub_f32_e32 v16, v4, v6
	v_fma_f32 v4, v14, s53, -v4
	v_fmac_f32_e32 v4, 0xb2a5705f, v14
	v_add_f32_e32 v4, v16, v4
	v_exp_f32_e32 v4, v4
	v_cvt_i32_f32_e32 v6, v6
	v_cmp_nlt_f32_e32 vcc, s54, v14
	v_ldexp_f32 v4, v4, v6
	s_nop 0
	v_cndmask_b32_e32 v4, 0, v4, vcc
	v_cmp_ngt_f32_e32 vcc, s55, v14
	s_nop 1
	v_cndmask_b32_e32 v6, v26, v4, vcc
	v_mul_f32_e32 v4, 0xbfb8aa3b, v12
	v_rndne_f32_e32 v16, v4
	v_sub_f32_e32 v18, v4, v16
	v_fma_f32 v4, v12, s53, -v4
	v_fmac_f32_e32 v4, 0xb2a5705f, v12
	v_add_f32_e32 v4, v18, v4
	v_exp_f32_e32 v4, v4
	v_cvt_i32_f32_e32 v16, v16
	v_pk_add_f32 v[6:7], v[6:7], 1.0 op_sel_hi:[1,0]
	v_cmp_nlt_f32_e32 vcc, s54, v12
	v_ldexp_f32 v4, v4, v16
	v_div_scale_f32 v16, s[0:1], v7, v7, v15
	v_rcp_f32_e32 v18, v16
	v_cndmask_b32_e32 v4, 0, v4, vcc
	v_cmp_ngt_f32_e32 vcc, s55, v12
	v_fma_f32 v19, -v16, v18, 1.0
	s_nop 0
	v_cndmask_b32_e32 v4, v26, v4, vcc
	v_fmac_f32_e32 v18, v19, v18
	v_div_scale_f32 v19, vcc, v15, v7, v15
	v_mul_f32_e32 v20, v19, v18
	v_fma_f32 v21, -v16, v20, v19
	v_fmac_f32_e32 v20, v21, v18
	v_fma_f32 v16, -v16, v20, v19
	v_div_fmas_f32 v16, v16, v18, v20
	v_div_fixup_f32 v7, v16, v7, v15
	v_div_scale_f32 v15, s[0:1], v6, v6, v14
	v_rcp_f32_e32 v16, v15
	v_pk_add_f32 v[4:5], v[4:5], 1.0 op_sel_hi:[1,0]
	v_fma_f32 v18, -v15, v16, 1.0
	v_fmac_f32_e32 v16, v18, v16
	v_div_scale_f32 v18, vcc, v14, v6, v14
	v_mul_f32_e32 v19, v18, v16
	v_fma_f32 v20, -v15, v19, v18
	v_fmac_f32_e32 v19, v20, v16
	v_fma_f32 v15, -v15, v19, v18
	v_div_fmas_f32 v15, v15, v16, v19
	v_div_fixup_f32 v6, v15, v6, v14
	v_div_scale_f32 v14, s[0:1], v5, v5, v13
	v_rcp_f32_e32 v15, v14
	s_nop 0
	v_fma_f32 v16, -v14, v15, 1.0
	v_fmac_f32_e32 v15, v16, v15
	v_div_scale_f32 v16, vcc, v13, v5, v13
	v_mul_f32_e32 v18, v16, v15
	v_fma_f32 v19, -v14, v18, v16
	v_fmac_f32_e32 v18, v19, v15
	v_fma_f32 v14, -v14, v18, v16
	v_div_fmas_f32 v14, v14, v15, v18
	v_div_fixup_f32 v5, v14, v5, v13
	v_div_scale_f32 v13, s[0:1], v4, v4, v12
	v_rcp_f32_e32 v14, v13
	s_nop 0
	v_fma_f32 v15, -v13, v14, 1.0
	v_fmac_f32_e32 v14, v15, v14
	v_div_scale_f32 v15, vcc, v12, v4, v12
	v_mul_f32_e32 v16, v15, v14
	v_fma_f32 v18, -v13, v16, v15
	v_fmac_f32_e32 v16, v18, v14
	v_fma_f32 v13, -v13, v16, v15
	v_div_fmas_f32 v13, v13, v14, v16
	v_div_fixup_f32 v4, v13, v4, v12
	v_pk_mul_f32 v[4:5], v[38:39], v[4:5]
	v_pk_mul_f32 v[12:13], v[36:37], v[6:7]
	v_bfe_u32 v6, v4, 16, 1
	v_bfe_u32 v7, v5, 16, 1
	v_add3_u32 v6, v4, v6, s52
	v_bfe_u32 v14, v12, 16, 1
	v_add3_u32 v7, v5, v7, s52
	v_lshrrev_b32_e32 v6, 16, v6
	v_cmp_o_f32_e32 vcc, v4, v4
	v_bfe_u32 v15, v13, 16, 1
	v_add3_u32 v14, v12, v14, s52
	v_lshrrev_b32_e32 v7, 16, v7
	v_cndmask_b32_e32 v6, v40, v6, vcc
	v_cmp_o_f32_e32 vcc, v5, v5
	v_add3_u32 v15, v13, v15, s52
	v_lshrrev_b32_e32 v14, 16, v14
	v_cndmask_b32_e32 v7, v40, v7, vcc
	v_cmp_o_f32_e32 vcc, v12, v12
	v_lshrrev_b32_e32 v15, 16, v15
	v_and_b32_e32 v18, 0xffff0000, v1
	v_cndmask_b32_e32 v12, v40, v14, vcc
	v_cmp_o_f32_e32 vcc, v13, v13
	v_lshlrev_b32_e32 v14, 16, v0
	v_lshlrev_b32_e32 v16, 16, v1
	v_cndmask_b32_e32 v13, v40, v15, vcc
	v_and_b32_e32 v15, 0xffff0000, v0
	v_mul_f32_e32 v0, 0xbfb8aa3b, v18
	v_fma_f32 v1, v18, s53, -v0
	v_rndne_f32_e32 v4, v0
	v_fmac_f32_e32 v1, 0xb2a5705f, v18
	v_sub_f32_e32 v0, v0, v4
	v_add_f32_e32 v0, v0, v1
	v_exp_f32_e32 v0, v0
	v_cvt_i32_f32_e32 v1, v4
	v_cmp_nlt_f32_e32 vcc, s54, v18
	v_ldexp_f32 v0, v0, v1
	s_nop 0
	v_cndmask_b32_e32 v0, 0, v0, vcc
	v_cmp_ngt_f32_e32 vcc, s55, v18
	s_nop 1
	v_cndmask_b32_e32 v5, v26, v0, vcc
	v_mul_f32_e32 v0, 0xbfb8aa3b, v15
	v_fma_f32 v1, v15, s53, -v0
	v_rndne_f32_e32 v4, v0
	v_fmac_f32_e32 v1, 0xb2a5705f, v15
	v_sub_f32_e32 v0, v0, v4
	v_add_f32_e32 v0, v0, v1
	v_exp_f32_e32 v0, v0
	v_cvt_i32_f32_e32 v1, v4
	v_cmp_nlt_f32_e32 vcc, s54, v15
	v_ldexp_f32 v0, v0, v1
	s_nop 0
	v_cndmask_b32_e32 v0, 0, v0, vcc
	v_cmp_ngt_f32_e32 vcc, s55, v15
	s_nop 1
	v_cndmask_b32_e32 v1, v26, v0, vcc
	v_mul_f32_e32 v0, 0xbfb8aa3b, v16
	v_rndne_f32_e32 v4, v0
	v_sub_f32_e32 v19, v0, v4
	v_fma_f32 v0, v16, s53, -v0
	v_fmac_f32_e32 v0, 0xb2a5705f, v16
	v_add_f32_e32 v0, v19, v0
	v_exp_f32_e32 v0, v0
	v_cvt_i32_f32_e32 v4, v4
	v_cmp_nlt_f32_e32 vcc, s54, v16
	v_ldexp_f32 v0, v0, v4
	s_nop 0
	v_cndmask_b32_e32 v0, 0, v0, vcc
	v_cmp_ngt_f32_e32 vcc, s55, v16
	s_nop 1
	v_cndmask_b32_e32 v4, v26, v0, vcc
	v_mul_f32_e32 v0, 0xbfb8aa3b, v14
	v_rndne_f32_e32 v19, v0
	v_sub_f32_e32 v20, v0, v19
	v_fma_f32 v0, v14, s53, -v0
	v_fmac_f32_e32 v0, 0xb2a5705f, v14
	v_add_f32_e32 v0, v20, v0
	v_exp_f32_e32 v0, v0
	v_cvt_i32_f32_e32 v19, v19
	v_pk_add_f32 v[4:5], v[4:5], 1.0 op_sel_hi:[1,0]
	v_cmp_nlt_f32_e32 vcc, s54, v14
	v_ldexp_f32 v0, v0, v19
	v_div_scale_f32 v19, s[0:1], v5, v5, v18
	v_rcp_f32_e32 v20, v19
	v_cndmask_b32_e32 v0, 0, v0, vcc
	v_cmp_ngt_f32_e32 vcc, s55, v14
	v_fma_f32 v21, -v19, v20, 1.0
	s_nop 0
	v_cndmask_b32_e32 v0, v26, v0, vcc
	v_fmac_f32_e32 v20, v21, v20
	v_div_scale_f32 v21, vcc, v18, v5, v18
	v_mul_f32_e32 v24, v21, v20
	v_fma_f32 v25, -v19, v24, v21
	v_fmac_f32_e32 v24, v25, v20
	v_fma_f32 v19, -v19, v24, v21
	v_div_fmas_f32 v19, v19, v20, v24
	v_div_fixup_f32 v5, v19, v5, v18
	v_div_scale_f32 v18, s[0:1], v4, v4, v16
	v_rcp_f32_e32 v19, v18
	v_pk_add_f32 v[0:1], v[0:1], 1.0 op_sel_hi:[1,0]
	v_fma_f32 v20, -v18, v19, 1.0
	v_fmac_f32_e32 v19, v20, v19
	v_div_scale_f32 v20, vcc, v16, v4, v16
	v_mul_f32_e32 v21, v20, v19
	v_fma_f32 v24, -v18, v21, v20
	v_fmac_f32_e32 v21, v24, v19
	v_fma_f32 v18, -v18, v21, v20
	v_div_fmas_f32 v18, v18, v19, v21
	v_div_fixup_f32 v4, v18, v4, v16
	v_div_scale_f32 v16, s[0:1], v1, v1, v15
	v_rcp_f32_e32 v18, v16
	s_nop 0
	v_fma_f32 v19, -v16, v18, 1.0
	v_fmac_f32_e32 v18, v19, v18
	v_div_scale_f32 v19, vcc, v15, v1, v15
	v_mul_f32_e32 v20, v19, v18
	v_fma_f32 v21, -v16, v20, v19
	v_fmac_f32_e32 v20, v21, v18
	v_fma_f32 v16, -v16, v20, v19
	v_div_fmas_f32 v16, v16, v18, v20
	v_div_fixup_f32 v1, v16, v1, v15
	v_div_scale_f32 v15, s[0:1], v0, v0, v14
	v_rcp_f32_e32 v16, v15
	s_nop 0
	v_fma_f32 v18, -v15, v16, 1.0
	v_fmac_f32_e32 v16, v18, v16
	v_div_scale_f32 v18, vcc, v14, v0, v14
	v_mul_f32_e32 v19, v18, v16
	v_fma_f32 v20, -v15, v19, v18
	v_fmac_f32_e32 v19, v20, v16
	v_fma_f32 v15, -v15, v19, v18
	v_div_fmas_f32 v15, v15, v16, v19
	v_div_fixup_f32 v0, v15, v0, v14
	v_pk_mul_f32 v[0:1], v[34:35], v[0:1]
	v_pk_mul_f32 v[14:15], v[32:33], v[4:5]
	v_bfe_u32 v4, v0, 16, 1
	v_bfe_u32 v5, v1, 16, 1
	v_add3_u32 v4, v0, v4, s52
	v_bfe_u32 v16, v14, 16, 1
	v_add3_u32 v5, v1, v5, s52
	v_lshrrev_b32_e32 v4, 16, v4
	v_cmp_o_f32_e32 vcc, v0, v0
	v_bfe_u32 v18, v15, 16, 1
	v_add3_u32 v16, v14, v16, s52
	v_lshrrev_b32_e32 v5, 16, v5
	v_cndmask_b32_e32 v4, v40, v4, vcc
	v_cmp_o_f32_e32 vcc, v1, v1
	v_add3_u32 v18, v15, v18, s52
	v_lshrrev_b32_e32 v16, 16, v16
	v_cndmask_b32_e32 v5, v40, v5, vcc
	v_cmp_o_f32_e32 vcc, v14, v14
	v_and_b32_e32 v20, 0xffff0000, v3
	v_lshrrev_b32_e32 v18, 16, v18
	v_cndmask_b32_e32 v14, v40, v16, vcc
	v_cmp_o_f32_e32 vcc, v15, v15
	v_mul_f32_e32 v0, 0xbfb8aa3b, v20
	v_lshlrev_b32_e32 v16, 16, v2
	v_cndmask_b32_e32 v15, v40, v18, vcc
	v_and_b32_e32 v18, 0xffff0000, v2
	v_fma_f32 v1, v20, s53, -v0
	v_rndne_f32_e32 v2, v0
	v_fmac_f32_e32 v1, 0xb2a5705f, v20
	v_sub_f32_e32 v0, v0, v2
	v_add_f32_e32 v0, v0, v1
	v_exp_f32_e32 v0, v0
	v_cvt_i32_f32_e32 v1, v2
	v_cmp_nlt_f32_e32 vcc, s54, v20
	v_lshlrev_b32_e32 v19, 16, v3
	v_ldexp_f32 v0, v0, v1
	v_cndmask_b32_e32 v0, 0, v0, vcc
	v_cmp_ngt_f32_e32 vcc, s55, v20
	s_nop 1
	v_cndmask_b32_e32 v3, v26, v0, vcc
	v_mul_f32_e32 v0, 0xbfb8aa3b, v18
	v_fma_f32 v1, v18, s53, -v0
	v_rndne_f32_e32 v2, v0
	v_fmac_f32_e32 v1, 0xb2a5705f, v18
	v_sub_f32_e32 v0, v0, v2
	v_add_f32_e32 v0, v0, v1
	v_exp_f32_e32 v0, v0
	v_cvt_i32_f32_e32 v1, v2
	v_cmp_nlt_f32_e32 vcc, s54, v18
	v_ldexp_f32 v0, v0, v1
	s_nop 0
	v_cndmask_b32_e32 v0, 0, v0, vcc
	v_cmp_ngt_f32_e32 vcc, s55, v18
	s_nop 1
	v_cndmask_b32_e32 v1, v26, v0, vcc
	v_mul_f32_e32 v0, 0xbfb8aa3b, v19
	v_rndne_f32_e32 v2, v0
	v_sub_f32_e32 v21, v0, v2
	v_fma_f32 v0, v19, s53, -v0
	v_fmac_f32_e32 v0, 0xb2a5705f, v19
	v_add_f32_e32 v0, v21, v0
	v_exp_f32_e32 v0, v0
	v_cvt_i32_f32_e32 v2, v2
	v_cmp_nlt_f32_e32 vcc, s54, v19
	v_ldexp_f32 v0, v0, v2
	s_nop 0
	v_cndmask_b32_e32 v0, 0, v0, vcc
	v_cmp_ngt_f32_e32 vcc, s55, v19
	s_nop 1
	v_cndmask_b32_e32 v2, v26, v0, vcc
	v_mul_f32_e32 v0, 0xbfb8aa3b, v16
	v_rndne_f32_e32 v21, v0
	v_sub_f32_e32 v24, v0, v21
	v_fma_f32 v0, v16, s53, -v0
	v_fmac_f32_e32 v0, 0xb2a5705f, v16
	v_add_f32_e32 v0, v24, v0
	v_exp_f32_e32 v0, v0
	v_cvt_i32_f32_e32 v21, v21
	v_pk_add_f32 v[2:3], v[2:3], 1.0 op_sel_hi:[1,0]
	v_cmp_nlt_f32_e32 vcc, s54, v16
	v_ldexp_f32 v0, v0, v21
	v_div_scale_f32 v21, s[0:1], v3, v3, v20
	v_rcp_f32_e32 v24, v21
	v_cndmask_b32_e32 v0, 0, v0, vcc
	v_cmp_ngt_f32_e32 vcc, s55, v16
	v_fma_f32 v25, -v21, v24, 1.0
	s_nop 0
	v_cndmask_b32_e32 v0, v26, v0, vcc
	v_fmac_f32_e32 v24, v25, v24
	v_div_scale_f32 v25, vcc, v20, v3, v20
	v_mul_f32_e32 v26, v25, v24
	v_fma_f32 v27, -v21, v26, v25
	v_fmac_f32_e32 v26, v27, v24
	v_fma_f32 v21, -v21, v26, v25
	v_div_fmas_f32 v21, v21, v24, v26
	v_div_fixup_f32 v3, v21, v3, v20
	v_div_scale_f32 v20, s[0:1], v2, v2, v19
	v_rcp_f32_e32 v21, v20
	v_pk_add_f32 v[0:1], v[0:1], 1.0 op_sel_hi:[1,0]
	v_fma_f32 v24, -v20, v21, 1.0
	v_fmac_f32_e32 v21, v24, v21
	v_div_scale_f32 v24, vcc, v19, v2, v19
	v_mul_f32_e32 v25, v24, v21
	v_fma_f32 v26, -v20, v25, v24
	v_fmac_f32_e32 v25, v26, v21
	v_fma_f32 v20, -v20, v25, v24
	v_div_fmas_f32 v20, v20, v21, v25
	v_div_fixup_f32 v2, v20, v2, v19
	v_div_scale_f32 v19, s[0:1], v1, v1, v18
	v_rcp_f32_e32 v20, v19
	v_pk_mul_f32 v[2:3], v[28:29], v[2:3]
	v_fma_f32 v21, -v19, v20, 1.0
	v_fmac_f32_e32 v20, v21, v20
	v_div_scale_f32 v21, vcc, v18, v1, v18
	v_mul_f32_e32 v24, v21, v20
	v_fma_f32 v25, -v19, v24, v21
	v_fmac_f32_e32 v24, v25, v20
	v_fma_f32 v19, -v19, v24, v21
	v_div_fmas_f32 v19, v19, v20, v24
	v_div_fixup_f32 v1, v19, v1, v18
	v_div_scale_f32 v18, s[0:1], v0, v0, v16
	v_rcp_f32_e32 v19, v18
	s_mov_b32 s0, 0x5040100
	v_fma_f32 v20, -v18, v19, 1.0
	v_fmac_f32_e32 v19, v20, v19
	v_div_scale_f32 v20, vcc, v16, v0, v16
	v_mul_f32_e32 v21, v20, v19
	v_fma_f32 v24, -v18, v21, v20
	v_fmac_f32_e32 v21, v24, v19
	v_fma_f32 v18, -v18, v21, v20
	v_div_fmas_f32 v18, v18, v19, v21
	v_div_fixup_f32 v0, v18, v0, v16
	v_pk_mul_f32 v[0:1], v[30:31], v[0:1]
	v_bfe_u32 v19, v2, 16, 1
	v_bfe_u32 v16, v0, 16, 1
	;; [unrolled: 1-line block ×3, first 2 shown]
	v_add3_u32 v16, v0, v16, s52
	v_add3_u32 v18, v1, v18, s52
	v_lshrrev_b32_e32 v16, 16, v16
	v_cmp_o_f32_e32 vcc, v0, v0
	v_bfe_u32 v20, v3, 16, 1
	v_add3_u32 v19, v2, v19, s52
	v_lshrrev_b32_e32 v18, 16, v18
	v_cndmask_b32_e32 v16, v40, v16, vcc
	v_cmp_o_f32_e32 vcc, v1, v1
	v_add3_u32 v20, v3, v20, s52
	v_lshrrev_b32_e32 v19, 16, v19
	v_cndmask_b32_e32 v18, v40, v18, vcc
	v_cmp_o_f32_e32 vcc, v2, v2
	v_lshrrev_b32_e32 v20, 16, v20
	v_perm_b32 v2, v7, v6, s0
	v_cndmask_b32_e32 v19, v40, v19, vcc
	v_cmp_o_f32_e32 vcc, v3, v3
	v_perm_b32 v3, v13, v12, s0
	v_perm_b32 v1, v11, v10, s0
	v_cndmask_b32_e32 v20, v40, v20, vcc
	v_perm_b32 v0, v9, v8, s0
	ds_write_b128 v59, v[0:3]
	v_perm_b32 v3, v20, v19, s0
	v_perm_b32 v2, v18, v16, s0
	;; [unrolled: 1-line block ×4, first 2 shown]
	ds_write_b128 v59, v[0:3] offset:16
	; wave barrier
	ds_read_u16 v16, v44 offset:128
	ds_read_u16 v15, v45 offset:256
	;; [unrolled: 1-line block ×15, first 2 shown]
	scratch_load_dwordx2 v[0:1], off, off offset:260 ; 8-byte Folded Reload
	s_waitcnt vmcnt(0)
	v_lshl_add_u64 v[0:1], s[58:59], 1, v[0:1]
	s_and_saveexec_b64 s[52:53], s[18:19]
	s_cbranch_execz .LBB20_251
; %bb.250:                              ;   in Loop: Header=BB20_13 Depth=1
	scratch_load_dword v18, off, off        ; 4-byte Folded Reload
	s_waitcnt vmcnt(0)
	ds_read_u16 v18, v18
	s_waitcnt lgkmcnt(0)
	global_store_short v[0:1], v18, off
.LBB20_251:                             ;   in Loop: Header=BB20_13 Depth=1
	s_or_b64 exec, exec, s[52:53]
	s_and_saveexec_b64 s[18:19], s[20:21]
	s_cbranch_execz .LBB20_253
; %bb.252:                              ;   in Loop: Header=BB20_13 Depth=1
	s_waitcnt lgkmcnt(14)
	global_store_short v[0:1], v16, off offset:128
.LBB20_253:                             ;   in Loop: Header=BB20_13 Depth=1
	s_or_b64 exec, exec, s[18:19]
	s_mov_b64 s[18:19], exec
	s_and_b64 s[0:1], s[18:19], s[22:23]
	v_mov_b32_e32 v39, 0x7f800000
	s_mov_b64 exec, s[0:1]
	s_cbranch_execnz .LBB20_284
; %bb.254:                              ;   in Loop: Header=BB20_13 Depth=1
	s_or_b64 exec, exec, s[18:19]
	s_and_saveexec_b64 s[18:19], s[24:25]
	s_cbranch_execnz .LBB20_285
.LBB20_255:                             ;   in Loop: Header=BB20_13 Depth=1
	s_or_b64 exec, exec, s[18:19]
	s_and_saveexec_b64 s[18:19], s[26:27]
	s_cbranch_execnz .LBB20_286
.LBB20_256:                             ;   in Loop: Header=BB20_13 Depth=1
	s_or_b64 exec, exec, s[18:19]
	s_and_saveexec_b64 s[18:19], s[28:29]
	s_cbranch_execnz .LBB20_287
.LBB20_257:                             ;   in Loop: Header=BB20_13 Depth=1
	s_or_b64 exec, exec, s[18:19]
	s_and_saveexec_b64 s[18:19], s[30:31]
	s_cbranch_execnz .LBB20_288
.LBB20_258:                             ;   in Loop: Header=BB20_13 Depth=1
	s_or_b64 exec, exec, s[18:19]
	s_and_saveexec_b64 s[18:19], s[34:35]
	s_cbranch_execnz .LBB20_289
.LBB20_259:                             ;   in Loop: Header=BB20_13 Depth=1
	s_or_b64 exec, exec, s[18:19]
	s_and_saveexec_b64 s[18:19], s[36:37]
	s_cbranch_execnz .LBB20_290
.LBB20_260:                             ;   in Loop: Header=BB20_13 Depth=1
	s_or_b64 exec, exec, s[18:19]
	s_and_saveexec_b64 s[18:19], s[38:39]
	s_cbranch_execnz .LBB20_291
.LBB20_261:                             ;   in Loop: Header=BB20_13 Depth=1
	s_or_b64 exec, exec, s[18:19]
	s_and_saveexec_b64 s[18:19], s[40:41]
	s_cbranch_execnz .LBB20_292
.LBB20_262:                             ;   in Loop: Header=BB20_13 Depth=1
	s_or_b64 exec, exec, s[18:19]
	s_and_saveexec_b64 s[18:19], s[42:43]
	s_cbranch_execnz .LBB20_293
.LBB20_263:                             ;   in Loop: Header=BB20_13 Depth=1
	s_or_b64 exec, exec, s[18:19]
	s_and_saveexec_b64 s[18:19], s[44:45]
	s_cbranch_execnz .LBB20_294
.LBB20_264:                             ;   in Loop: Header=BB20_13 Depth=1
	s_or_b64 exec, exec, s[18:19]
	s_and_saveexec_b64 s[18:19], s[46:47]
	s_cbranch_execnz .LBB20_295
.LBB20_265:                             ;   in Loop: Header=BB20_13 Depth=1
	s_or_b64 exec, exec, s[18:19]
	s_and_saveexec_b64 s[18:19], s[48:49]
	s_cbranch_execnz .LBB20_296
.LBB20_266:                             ;   in Loop: Header=BB20_13 Depth=1
	s_or_b64 exec, exec, s[18:19]
	s_and_saveexec_b64 s[18:19], s[50:51]
	s_cbranch_execz .LBB20_12
	s_branch .LBB20_297
.LBB20_267:                             ;   in Loop: Header=BB20_13 Depth=1
	global_load_ushort v28, v[8:9], off offset:1664
	s_or_b64 exec, exec, s[52:53]
	s_and_saveexec_b64 s[52:53], s[48:49]
	s_cbranch_execz .LBB20_73
.LBB20_268:                             ;   in Loop: Header=BB20_13 Depth=1
	global_load_ushort v27, v[8:9], off offset:1792
	s_or_b64 exec, exec, s[52:53]
	v_mov_b32_e32 v29, 0
	s_and_saveexec_b64 s[52:53], s[50:51]
	s_cbranch_execnz .LBB20_74
	s_branch .LBB20_75
.LBB20_269:                             ;   in Loop: Header=BB20_13 Depth=1
	scratch_load_dword v18, off, off        ; 4-byte Folded Reload
	s_waitcnt vmcnt(0)
	ds_read_u16 v18, v18
	s_waitcnt lgkmcnt(0)
	global_store_short v[0:1], v18, off
	s_or_b64 exec, exec, s[52:53]
	s_and_saveexec_b64 s[52:53], s[20:21]
	s_cbranch_execz .LBB20_202
.LBB20_270:                             ;   in Loop: Header=BB20_13 Depth=1
	s_waitcnt lgkmcnt(14)
	global_store_short v[0:1], v16, off offset:128
	s_or_b64 exec, exec, s[52:53]
	s_and_saveexec_b64 s[52:53], s[22:23]
	s_cbranch_execz .LBB20_203
.LBB20_271:                             ;   in Loop: Header=BB20_13 Depth=1
	s_waitcnt lgkmcnt(13)
	global_store_short v[0:1], v15, off offset:256
	s_or_b64 exec, exec, s[52:53]
	s_and_saveexec_b64 s[52:53], s[24:25]
	s_cbranch_execz .LBB20_204
.LBB20_272:                             ;   in Loop: Header=BB20_13 Depth=1
	s_waitcnt lgkmcnt(12)
	global_store_short v[0:1], v14, off offset:384
	s_or_b64 exec, exec, s[52:53]
	s_and_saveexec_b64 s[52:53], s[26:27]
	s_cbranch_execz .LBB20_205
.LBB20_273:                             ;   in Loop: Header=BB20_13 Depth=1
	s_waitcnt lgkmcnt(11)
	global_store_short v[0:1], v13, off offset:512
	s_or_b64 exec, exec, s[52:53]
	s_and_saveexec_b64 s[52:53], s[28:29]
	s_cbranch_execz .LBB20_206
.LBB20_274:                             ;   in Loop: Header=BB20_13 Depth=1
	s_waitcnt lgkmcnt(10)
	global_store_short v[0:1], v12, off offset:640
	s_or_b64 exec, exec, s[52:53]
	s_and_saveexec_b64 s[52:53], s[30:31]
	s_cbranch_execz .LBB20_207
.LBB20_275:                             ;   in Loop: Header=BB20_13 Depth=1
	s_waitcnt lgkmcnt(9)
	global_store_short v[0:1], v11, off offset:768
	s_or_b64 exec, exec, s[52:53]
	s_and_saveexec_b64 s[52:53], s[34:35]
	s_cbranch_execz .LBB20_208
.LBB20_276:                             ;   in Loop: Header=BB20_13 Depth=1
	s_waitcnt lgkmcnt(8)
	global_store_short v[0:1], v10, off offset:896
	s_or_b64 exec, exec, s[52:53]
	s_and_saveexec_b64 s[52:53], s[36:37]
	s_cbranch_execz .LBB20_209
.LBB20_277:                             ;   in Loop: Header=BB20_13 Depth=1
	s_waitcnt lgkmcnt(7)
	global_store_short v[0:1], v9, off offset:1024
	s_or_b64 exec, exec, s[52:53]
	s_and_saveexec_b64 s[52:53], s[38:39]
	s_cbranch_execz .LBB20_210
.LBB20_278:                             ;   in Loop: Header=BB20_13 Depth=1
	s_waitcnt lgkmcnt(6)
	global_store_short v[0:1], v8, off offset:1152
	s_or_b64 exec, exec, s[52:53]
	s_and_saveexec_b64 s[52:53], s[40:41]
	s_cbranch_execz .LBB20_211
.LBB20_279:                             ;   in Loop: Header=BB20_13 Depth=1
	s_waitcnt lgkmcnt(5)
	global_store_short v[0:1], v7, off offset:1280
	s_or_b64 exec, exec, s[52:53]
	s_and_saveexec_b64 s[52:53], s[42:43]
	s_cbranch_execz .LBB20_212
.LBB20_280:                             ;   in Loop: Header=BB20_13 Depth=1
	s_waitcnt lgkmcnt(4)
	global_store_short v[0:1], v6, off offset:1408
	s_or_b64 exec, exec, s[52:53]
	s_and_saveexec_b64 s[52:53], s[44:45]
	s_cbranch_execz .LBB20_213
.LBB20_281:                             ;   in Loop: Header=BB20_13 Depth=1
	s_waitcnt lgkmcnt(3)
	global_store_short v[0:1], v5, off offset:1536
	s_or_b64 exec, exec, s[52:53]
	s_and_saveexec_b64 s[52:53], s[46:47]
	s_cbranch_execz .LBB20_214
.LBB20_282:                             ;   in Loop: Header=BB20_13 Depth=1
	s_waitcnt lgkmcnt(2)
	global_store_short v[0:1], v4, off offset:1664
	s_or_b64 exec, exec, s[52:53]
	s_and_saveexec_b64 s[52:53], s[48:49]
	s_cbranch_execz .LBB20_215
.LBB20_283:                             ;   in Loop: Header=BB20_13 Depth=1
	s_waitcnt lgkmcnt(1)
	global_store_short v[0:1], v3, off offset:1792
	s_or_b64 exec, exec, s[52:53]
	s_and_saveexec_b64 s[52:53], s[50:51]
	s_cbranch_execnz .LBB20_216
	s_branch .LBB20_217
.LBB20_284:                             ;   in Loop: Header=BB20_13 Depth=1
	s_waitcnt lgkmcnt(13)
	global_store_short v[0:1], v15, off offset:256
	s_or_b64 exec, exec, s[18:19]
	s_and_saveexec_b64 s[18:19], s[24:25]
	s_cbranch_execz .LBB20_255
.LBB20_285:                             ;   in Loop: Header=BB20_13 Depth=1
	s_waitcnt lgkmcnt(12)
	global_store_short v[0:1], v14, off offset:384
	s_or_b64 exec, exec, s[18:19]
	s_and_saveexec_b64 s[18:19], s[26:27]
	s_cbranch_execz .LBB20_256
.LBB20_286:                             ;   in Loop: Header=BB20_13 Depth=1
	s_waitcnt lgkmcnt(11)
	global_store_short v[0:1], v13, off offset:512
	s_or_b64 exec, exec, s[18:19]
	s_and_saveexec_b64 s[18:19], s[28:29]
	s_cbranch_execz .LBB20_257
.LBB20_287:                             ;   in Loop: Header=BB20_13 Depth=1
	s_waitcnt lgkmcnt(10)
	global_store_short v[0:1], v12, off offset:640
	s_or_b64 exec, exec, s[18:19]
	s_and_saveexec_b64 s[18:19], s[30:31]
	s_cbranch_execz .LBB20_258
.LBB20_288:                             ;   in Loop: Header=BB20_13 Depth=1
	s_waitcnt lgkmcnt(9)
	global_store_short v[0:1], v11, off offset:768
	s_or_b64 exec, exec, s[18:19]
	s_and_saveexec_b64 s[18:19], s[34:35]
	s_cbranch_execz .LBB20_259
.LBB20_289:                             ;   in Loop: Header=BB20_13 Depth=1
	s_waitcnt lgkmcnt(8)
	global_store_short v[0:1], v10, off offset:896
	s_or_b64 exec, exec, s[18:19]
	s_and_saveexec_b64 s[18:19], s[36:37]
	s_cbranch_execz .LBB20_260
.LBB20_290:                             ;   in Loop: Header=BB20_13 Depth=1
	s_waitcnt lgkmcnt(7)
	global_store_short v[0:1], v9, off offset:1024
	s_or_b64 exec, exec, s[18:19]
	s_and_saveexec_b64 s[18:19], s[38:39]
	s_cbranch_execz .LBB20_261
.LBB20_291:                             ;   in Loop: Header=BB20_13 Depth=1
	s_waitcnt lgkmcnt(6)
	global_store_short v[0:1], v8, off offset:1152
	s_or_b64 exec, exec, s[18:19]
	s_and_saveexec_b64 s[18:19], s[40:41]
	s_cbranch_execz .LBB20_262
.LBB20_292:                             ;   in Loop: Header=BB20_13 Depth=1
	s_waitcnt lgkmcnt(5)
	global_store_short v[0:1], v7, off offset:1280
	s_or_b64 exec, exec, s[18:19]
	s_and_saveexec_b64 s[18:19], s[42:43]
	s_cbranch_execz .LBB20_263
.LBB20_293:                             ;   in Loop: Header=BB20_13 Depth=1
	s_waitcnt lgkmcnt(4)
	global_store_short v[0:1], v6, off offset:1408
	s_or_b64 exec, exec, s[18:19]
	s_and_saveexec_b64 s[18:19], s[44:45]
	s_cbranch_execz .LBB20_264
.LBB20_294:                             ;   in Loop: Header=BB20_13 Depth=1
	s_waitcnt lgkmcnt(3)
	global_store_short v[0:1], v5, off offset:1536
	s_or_b64 exec, exec, s[18:19]
	s_and_saveexec_b64 s[18:19], s[46:47]
	s_cbranch_execz .LBB20_265
.LBB20_295:                             ;   in Loop: Header=BB20_13 Depth=1
	s_waitcnt lgkmcnt(2)
	global_store_short v[0:1], v4, off offset:1664
	s_or_b64 exec, exec, s[18:19]
	s_and_saveexec_b64 s[18:19], s[48:49]
	s_cbranch_execz .LBB20_266
.LBB20_296:                             ;   in Loop: Header=BB20_13 Depth=1
	s_waitcnt lgkmcnt(1)
	global_store_short v[0:1], v3, off offset:1792
	s_or_b64 exec, exec, s[18:19]
	s_and_saveexec_b64 s[18:19], s[50:51]
	s_cbranch_execz .LBB20_12
.LBB20_297:                             ;   in Loop: Header=BB20_13 Depth=1
	s_waitcnt lgkmcnt(0)
	global_store_short v[0:1], v2, off offset:1920
	s_branch .LBB20_12
.LBB20_298:
	s_endpgm
	.section	.rodata,"a",@progbits
	.p2align	6, 0x0
	.amdhsa_kernel _Z25selective_scan_fwd_kernelI32Selective_Scan_fwd_kernel_traitsILi64ELi16ELi1ELb0ELb1ELb1ELb1ELb1EN3c108BFloat16EfS2_EEv13SSMParamsBase
		.amdhsa_group_segment_fixed_size 0
		.amdhsa_private_segment_fixed_size 336
		.amdhsa_kernarg_size 248
		.amdhsa_user_sgpr_count 2
		.amdhsa_user_sgpr_dispatch_ptr 0
		.amdhsa_user_sgpr_queue_ptr 0
		.amdhsa_user_sgpr_kernarg_segment_ptr 1
		.amdhsa_user_sgpr_dispatch_id 0
		.amdhsa_user_sgpr_kernarg_preload_length 0
		.amdhsa_user_sgpr_kernarg_preload_offset 0
		.amdhsa_user_sgpr_private_segment_size 0
		.amdhsa_uses_dynamic_stack 0
		.amdhsa_enable_private_segment 1
		.amdhsa_system_sgpr_workgroup_id_x 1
		.amdhsa_system_sgpr_workgroup_id_y 1
		.amdhsa_system_sgpr_workgroup_id_z 0
		.amdhsa_system_sgpr_workgroup_info 0
		.amdhsa_system_vgpr_workitem_id 0
		.amdhsa_next_free_vgpr 96
		.amdhsa_next_free_sgpr 100
		.amdhsa_accum_offset 96
		.amdhsa_reserve_vcc 1
		.amdhsa_float_round_mode_32 0
		.amdhsa_float_round_mode_16_64 0
		.amdhsa_float_denorm_mode_32 3
		.amdhsa_float_denorm_mode_16_64 3
		.amdhsa_dx10_clamp 1
		.amdhsa_ieee_mode 1
		.amdhsa_fp16_overflow 0
		.amdhsa_tg_split 0
		.amdhsa_exception_fp_ieee_invalid_op 0
		.amdhsa_exception_fp_denorm_src 0
		.amdhsa_exception_fp_ieee_div_zero 0
		.amdhsa_exception_fp_ieee_overflow 0
		.amdhsa_exception_fp_ieee_underflow 0
		.amdhsa_exception_fp_ieee_inexact 0
		.amdhsa_exception_int_div_zero 0
	.end_amdhsa_kernel
	.section	.text._Z25selective_scan_fwd_kernelI32Selective_Scan_fwd_kernel_traitsILi64ELi16ELi1ELb0ELb1ELb1ELb1ELb1EN3c108BFloat16EfS2_EEv13SSMParamsBase,"axG",@progbits,_Z25selective_scan_fwd_kernelI32Selective_Scan_fwd_kernel_traitsILi64ELi16ELi1ELb0ELb1ELb1ELb1ELb1EN3c108BFloat16EfS2_EEv13SSMParamsBase,comdat
.Lfunc_end20:
	.size	_Z25selective_scan_fwd_kernelI32Selective_Scan_fwd_kernel_traitsILi64ELi16ELi1ELb0ELb1ELb1ELb1ELb1EN3c108BFloat16EfS2_EEv13SSMParamsBase, .Lfunc_end20-_Z25selective_scan_fwd_kernelI32Selective_Scan_fwd_kernel_traitsILi64ELi16ELi1ELb0ELb1ELb1ELb1ELb1EN3c108BFloat16EfS2_EEv13SSMParamsBase
                                        ; -- End function
	.section	.AMDGPU.csdata,"",@progbits
; Kernel info:
; codeLenInByte = 27544
; NumSgprs: 106
; NumVgprs: 96
; NumAgprs: 0
; TotalNumVgprs: 96
; ScratchSize: 336
; MemoryBound: 0
; FloatMode: 240
; IeeeMode: 1
; LDSByteSize: 0 bytes/workgroup (compile time only)
; SGPRBlocks: 13
; VGPRBlocks: 11
; NumSGPRsForWavesPerEU: 106
; NumVGPRsForWavesPerEU: 96
; AccumOffset: 96
; Occupancy: 5
; WaveLimiterHint : 1
; COMPUTE_PGM_RSRC2:SCRATCH_EN: 1
; COMPUTE_PGM_RSRC2:USER_SGPR: 2
; COMPUTE_PGM_RSRC2:TRAP_HANDLER: 0
; COMPUTE_PGM_RSRC2:TGID_X_EN: 1
; COMPUTE_PGM_RSRC2:TGID_Y_EN: 1
; COMPUTE_PGM_RSRC2:TGID_Z_EN: 0
; COMPUTE_PGM_RSRC2:TIDIG_COMP_CNT: 0
; COMPUTE_PGM_RSRC3_GFX90A:ACCUM_OFFSET: 23
; COMPUTE_PGM_RSRC3_GFX90A:TG_SPLIT: 0
	.section	.text._Z25selective_scan_fwd_kernelI32Selective_Scan_fwd_kernel_traitsILi64ELi16ELi1ELb0ELb1ELb1ELb1ELb0EN3c108BFloat16EfS2_EEv13SSMParamsBase,"axG",@progbits,_Z25selective_scan_fwd_kernelI32Selective_Scan_fwd_kernel_traitsILi64ELi16ELi1ELb0ELb1ELb1ELb1ELb0EN3c108BFloat16EfS2_EEv13SSMParamsBase,comdat
	.protected	_Z25selective_scan_fwd_kernelI32Selective_Scan_fwd_kernel_traitsILi64ELi16ELi1ELb0ELb1ELb1ELb1ELb0EN3c108BFloat16EfS2_EEv13SSMParamsBase ; -- Begin function _Z25selective_scan_fwd_kernelI32Selective_Scan_fwd_kernel_traitsILi64ELi16ELi1ELb0ELb1ELb1ELb1ELb0EN3c108BFloat16EfS2_EEv13SSMParamsBase
	.globl	_Z25selective_scan_fwd_kernelI32Selective_Scan_fwd_kernel_traitsILi64ELi16ELi1ELb0ELb1ELb1ELb1ELb0EN3c108BFloat16EfS2_EEv13SSMParamsBase
	.p2align	8
	.type	_Z25selective_scan_fwd_kernelI32Selective_Scan_fwd_kernel_traitsILi64ELi16ELi1ELb0ELb1ELb1ELb1ELb0EN3c108BFloat16EfS2_EEv13SSMParamsBase,@function
_Z25selective_scan_fwd_kernelI32Selective_Scan_fwd_kernel_traitsILi64ELi16ELi1ELb0ELb1ELb1ELb1ELb0EN3c108BFloat16EfS2_EEv13SSMParamsBase: ; @_Z25selective_scan_fwd_kernelI32Selective_Scan_fwd_kernel_traitsILi64ELi16ELi1ELb0ELb1ELb1ELb1ELb0EN3c108BFloat16EfS2_EEv13SSMParamsBase
; %bb.0:
	s_load_dword s36, s[0:1], 0x18
	s_load_dwordx4 s[4:7], s[0:1], 0xe8
	s_mov_b32 s28, s3
                                        ; implicit-def: $vgpr95 : SGPR spill to VGPR lane
	s_waitcnt lgkmcnt(0)
	s_abs_i32 s33, s36
	v_cvt_f32_u32_e32 v1, s33
	s_cmp_eq_u64 s[6:7], 0
	v_rcp_iflag_f32_e32 v1, v1
	s_nop 0
	v_mul_f32_e32 v1, 0x4f7ffffe, v1
	v_cvt_u32_f32_e32 v1, v1
	s_nop 0
	v_readfirstlane_b32 s24, v1
	s_cbranch_scc1 .LBB21_2
; %bb.1:
	s_ashr_i32 s3, s2, 31
	s_add_u32 s6, s6, s2
	s_addc_u32 s7, s7, s3
	v_mov_b32_e32 v1, 0
	global_load_ubyte v1, v1, s[6:7]
	s_waitcnt vmcnt(0)
	v_and_b32_e32 v1, 1, v1
	v_cmp_eq_u32_e64 s[6:7], 1, v1
	s_branch .LBB21_3
.LBB21_2:
	s_mov_b64 s[6:7], 0
.LBB21_3:
	s_nop 0
	v_writelane_b32 v95, s6, 0
	s_cmp_eq_u64 s[4:5], 0
	s_nop 0
	v_writelane_b32 v95, s7, 1
	s_load_dwordx2 s[6:7], s[0:1], 0x20
	s_cbranch_scc1 .LBB21_5
; %bb.4:
	s_ashr_i32 s3, s2, 31
	s_lshl_b64 s[8:9], s[2:3], 2
	s_add_u32 s4, s4, s8
	s_addc_u32 s5, s5, s9
	s_load_dword s34, s[4:5], 0x0
	s_waitcnt lgkmcnt(0)
	s_ashr_i32 s35, s34, 31
	s_cmp_eq_u64 s[6:7], s[34:35]
	s_cbranch_scc0 .LBB21_6
	s_branch .LBB21_298
.LBB21_5:
	s_mov_b32 s34, s2
	s_ashr_i32 s35, s34, 31
	s_waitcnt lgkmcnt(0)
	s_cmp_eq_u64 s[6:7], s[34:35]
	s_cbranch_scc1 .LBB21_298
.LBB21_6:
	s_load_dwordx16 s[4:19], s[0:1], 0x88
	s_load_dwordx2 s[38:39], s[0:1], 0x8
	s_mov_b32 s3, 0
	v_writelane_b32 v95, s3, 2
	v_writelane_b32 v95, s3, 3
	s_waitcnt lgkmcnt(0)
	s_cmp_eq_u64 s[10:11], 0
	s_cbranch_scc1 .LBB21_8
; %bb.7:
	s_ashr_i32 s29, s28, 31
	s_lshl_b64 s[20:21], s[28:29], 2
	s_add_u32 s10, s10, s20
	s_addc_u32 s11, s11, s21
	s_load_dword s3, s[10:11], 0x0
	s_waitcnt lgkmcnt(0)
	v_writelane_b32 v95, s3, 3
.LBB21_8:
	s_cmp_eq_u64 s[16:17], 0
	s_cbranch_scc1 .LBB21_10
; %bb.9:
	s_ashr_i32 s29, s28, 31
	s_lshl_b64 s[10:11], s[28:29], 2
	s_add_u32 s10, s16, s10
	s_addc_u32 s11, s17, s11
	s_load_dword s3, s[10:11], 0x0
	s_waitcnt lgkmcnt(0)
	v_writelane_b32 v95, s3, 2
.LBB21_10:
	s_cmp_lt_i32 s38, 1
	s_cbranch_scc1 .LBB21_298
; %bb.11:
	v_mbcnt_lo_u32_b32 v1, -1, 0
	v_mbcnt_hi_u32_b32 v20, -1, v1
	v_lshrrev_b32_e32 v1, 5, v20
	s_sub_i32 s3, 0, s33
	v_and_b32_e32 v1, 2, v1
	s_mul_i32 s3, s3, s24
	v_add_u32_e32 v1, v1, v20
	s_mul_hi_u32 s3, s24, s3
	v_add_u32_e32 v2, 64, v20
	v_lshl_add_u32 v1, v1, 1, 0
	s_load_dwordx8 s[40:47], s[0:1], 0x2c
	s_load_dwordx2 s[10:11], s[0:1], 0x7c
	s_load_dwordx4 s[20:23], s[0:1], 0x6c
	s_load_dwordx8 s[48:55], s[0:1], 0x4c
	s_load_dwordx2 s[30:31], s[0:1], 0xd8
	s_add_i32 s3, s24, s3
	s_load_dwordx4 s[24:27], s[0:1], 0xc8
	s_load_dword s87, s[0:1], 0x84
	scratch_store_dword off, v1, off        ; 4-byte Folded Spill
	scratch_store_dword off, v2, off offset:184 ; 4-byte Folded Spill
	v_lshrrev_b32_e32 v1, 5, v2
	v_and_b32_e32 v1, 6, v1
	v_add_lshl_u32 v1, v1, v20, 1
	v_or_b32_e32 v3, 0x80, v20
	v_add_u32_e32 v2, 0, v1
	scratch_store_dword off, v2, off offset:8 ; 4-byte Folded Spill
	scratch_store_dword off, v3, off offset:188 ; 4-byte Folded Spill
	v_lshrrev_b32_e32 v2, 5, v3
	s_abs_i32 s16, s28
	v_and_b32_e32 v2, 6, v2
	s_mul_hi_u32 s3, s16, s3
	s_load_dword s17, s[0:1], 0x28
	s_ashr_i32 s0, s28, 31
	s_ashr_i32 s1, s36, 31
	v_add_lshl_u32 v2, v2, v20, 1
	s_xor_b32 s0, s0, s1
	s_mul_i32 s1, s3, s33
	v_add_u32_e32 v4, 0xc0, v20
	v_add_u32_e32 v3, 0, v2
	s_sub_i32 s1, s16, s1
	scratch_store_dword off, v3, off offset:12 ; 4-byte Folded Spill
	scratch_store_dword off, v4, off offset:192 ; 4-byte Folded Spill
	v_lshrrev_b32_e32 v3, 5, v4
	s_add_i32 s16, s3, 1
	s_sub_i32 s29, s1, s33
	v_and_b32_e32 v3, 14, v3
	s_cmp_ge_u32 s1, s33
	v_add_lshl_u32 v3, v3, v20, 1
	s_cselect_b32 s3, s16, s3
	v_or_b32_e32 v5, 0x100, v20
	v_add_u32_e32 v4, 0, v3
	s_cselect_b32 s1, s29, s1
	s_add_i32 s16, s3, 1
	scratch_store_dword off, v4, off offset:16 ; 4-byte Folded Spill
	scratch_store_dword off, v5, off offset:196 ; 4-byte Folded Spill
	v_lshrrev_b32_e32 v4, 5, v5
	s_cmp_ge_u32 s1, s33
	v_and_b32_e32 v4, 10, v4
	s_cselect_b32 s1, s16, s3
	v_add_lshl_u32 v4, v4, v20, 1
	s_xor_b32 s1, s1, s0
	s_waitcnt lgkmcnt(0)
	s_mul_i32 s88, s50, s2
	s_mov_b32 s89, 0
	v_add_u32_e32 v6, 0x140, v20
	v_add_u32_e32 v5, 0, v4
	s_sub_i32 s3, s1, s0
	s_lshl_b64 s[0:1], s[88:89], 1
	scratch_store_dword off, v5, off offset:20 ; 4-byte Folded Spill
	scratch_store_dword off, v6, off offset:200 ; 4-byte Folded Spill
	v_lshrrev_b32_e32 v5, 5, v6
	s_add_u32 s12, s12, s0
	s_mul_i32 s88, s51, s28
	v_and_b32_e32 v5, 14, v5
	s_addc_u32 s13, s13, s1
	s_lshl_b64 s[0:1], s[88:89], 1
	v_add_lshl_u32 v5, v5, v20, 1
	s_add_u32 s36, s12, s0
	s_mul_i32 s88, s52, s2
	v_or_b32_e32 v7, 0x180, v20
	v_add_u32_e32 v6, 0, v5
	s_addc_u32 s37, s13, s1
	s_lshl_b64 s[0:1], s[88:89], 1
	scratch_store_dword off, v6, off offset:24 ; 4-byte Folded Spill
	scratch_store_dword off, v7, off offset:204 ; 4-byte Folded Spill
	v_lshrrev_b32_e32 v6, 5, v7
	s_add_u32 s12, s14, s0
	s_mul_i32 s88, s53, s28
	v_and_b32_e32 v6, 14, v6
	s_addc_u32 s13, s15, s1
	s_lshl_b64 s[0:1], s[88:89], 1
	v_add_lshl_u32 v6, v6, v20, 1
	s_add_u32 s0, s12, s0
	v_add_u32_e32 v8, 0x1c0, v20
	v_add_u32_e32 v7, 0, v6
	s_addc_u32 s1, s13, s1
	scratch_store_dword off, v7, off offset:28 ; 4-byte Folded Spill
	scratch_store_dword off, v8, off offset:208 ; 4-byte Folded Spill
	v_lshrrev_b32_e32 v7, 5, v8
	v_writelane_b32 v95, s0, 4
	s_mul_i32 s88, s40, s28
	v_and_b32_e32 v7, 30, v7
	v_writelane_b32 v95, s1, 5
	s_lshl_b64 s[0:1], s[88:89], 2
	v_add_lshl_u32 v7, v7, v20, 1
	s_add_u32 s0, s4, s0
	v_or_b32_e32 v9, 0x200, v20
	v_add_u32_e32 v8, 0, v7
	v_writelane_b32 v95, s0, 6
	s_addc_u32 s0, s5, s1
	s_mul_i32 s88, s42, s2
	scratch_store_dword off, v8, off offset:32 ; 4-byte Folded Spill
	scratch_store_dword off, v9, off offset:212 ; 4-byte Folded Spill
	v_lshrrev_b32_e32 v8, 5, v9
	v_writelane_b32 v95, s0, 7
	s_lshl_b64 s[0:1], s[88:89], 1
	v_and_b32_e32 v8, 18, v8
	s_add_u32 s4, s6, s0
	s_mul_i32 s88, s3, s45
	v_add_lshl_u32 v8, v8, v20, 1
	s_addc_u32 s5, s7, s1
	s_lshl_b64 s[0:1], s[88:89], 1
	v_add_u32_e32 v10, 0x240, v20
	v_add_u32_e32 v9, 0, v8
	s_add_u32 s0, s4, s0
	scratch_store_dword off, v9, off offset:36 ; 4-byte Folded Spill
	scratch_store_dword off, v10, off offset:216 ; 4-byte Folded Spill
	v_lshrrev_b32_e32 v9, 5, v10
	s_addc_u32 s1, s5, s1
	v_and_b32_e32 v9, 22, v9
	v_writelane_b32 v95, s0, 8
	v_add_lshl_u32 v9, v9, v20, 1
	v_or_b32_e32 v11, 0x280, v20
	v_writelane_b32 v95, s1, 9
	v_add_u32_e32 v10, 0, v9
	v_writelane_b32 v95, s40, 10
	scratch_store_dword off, v10, off offset:40 ; 4-byte Folded Spill
	scratch_store_dword off, v11, off offset:220 ; 4-byte Folded Spill
	v_lshrrev_b32_e32 v10, 5, v11
	v_writelane_b32 v95, s41, 11
	v_and_b32_e32 v10, 22, v10
	v_writelane_b32 v95, s42, 12
	s_mul_i32 s88, s46, s2
	v_add_lshl_u32 v10, v10, v20, 1
	v_writelane_b32 v95, s43, 13
	s_lshl_b64 s[0:1], s[88:89], 1
	v_add_u32_e32 v12, 0x2c0, v20
	v_add_u32_e32 v11, 0, v10
	v_writelane_b32 v95, s44, 14
	s_add_u32 s4, s8, s0
	s_mul_i32 s88, s3, s49
	scratch_store_dword off, v11, off offset:44 ; 4-byte Folded Spill
	scratch_store_dword off, v12, off offset:224 ; 4-byte Folded Spill
	v_lshrrev_b32_e32 v11, 5, v12
	v_writelane_b32 v95, s45, 15
	s_addc_u32 s5, s9, s1
	s_lshl_b64 s[0:1], s[88:89], 1
	v_and_b32_e32 v11, 30, v11
	v_writelane_b32 v95, s46, 16
	s_add_u32 s0, s4, s0
	v_add_lshl_u32 v11, v11, v20, 1
	v_writelane_b32 v95, s47, 17
	s_addc_u32 s1, s5, s1
	v_or_b32_e32 v13, 0x300, v20
	v_add_u32_e32 v12, 0, v11
	v_writelane_b32 v95, s0, 18
	s_mul_i32 s88, s34, s10
	scratch_store_dword off, v12, off offset:48 ; 4-byte Folded Spill
	scratch_store_dword off, v13, off offset:228 ; 4-byte Folded Spill
	v_lshrrev_b32_e32 v12, 5, v13
	v_writelane_b32 v95, s1, 19
	s_lshl_b64 s[0:1], s[88:89], 1
	v_and_b32_e32 v12, 26, v12
	s_add_u32 s3, s24, s0
	s_mul_i32 s88, s11, s28
	v_add_lshl_u32 v12, v12, v20, 1
	s_addc_u32 s4, s25, s1
	s_lshl_b64 s[0:1], s[88:89], 1
	v_add_u32_e32 v14, 0x340, v20
	v_add_u32_e32 v13, 0, v12
	s_add_u32 s0, s3, s0
	scratch_store_dword off, v13, off offset:52 ; 4-byte Folded Spill
	scratch_store_dword off, v14, off offset:232 ; 4-byte Folded Spill
	v_lshrrev_b32_e32 v13, 5, v14
	v_writelane_b32 v95, s0, 20
	s_addc_u32 s0, s4, s1
	v_and_b32_e32 v13, 30, v13
	v_writelane_b32 v95, s0, 21
	s_add_i32 s0, s38, 0x7ff
	v_add_lshl_u32 v13, v13, v20, 1
	s_lshr_b32 s1, s0, 11
	v_or_b32_e32 v15, 0x380, v20
	v_add_u32_e32 v14, 0, v13
	scratch_store_dword off, v14, off offset:56 ; 4-byte Folded Spill
	scratch_store_dword off, v15, off offset:236 ; 4-byte Folded Spill
	v_lshrrev_b32_e32 v14, 5, v15
	s_bitcmp1_b32 s17, 0
	v_and_b32_e32 v14, 30, v14
	s_cselect_b64 s[6:7], -1, 0
	s_cmp_gt_i32 s39, 0
	v_add_lshl_u32 v14, v14, v20, 1
	s_cselect_b64 s[4:5], -1, 0
	s_add_i32 s0, 0, 0x840
	v_add_u32_e32 v15, 0, v14
	v_add_u32_e32 v1, s0, v1
	;; [unrolled: 1-line block ×3, first 2 shown]
	scratch_store_dword off, v15, off offset:60 ; 4-byte Folded Spill
	scratch_store_dword off, v16, off offset:240 ; 4-byte Folded Spill
	;; [unrolled: 1-line block ×3, first 2 shown]
	v_add_u32_e32 v1, s0, v2
	scratch_store_dword off, v1, off offset:104 ; 4-byte Folded Spill
	v_add_u32_e32 v1, s0, v3
	scratch_store_dword off, v1, off offset:108 ; 4-byte Folded Spill
	;; [unrolled: 2-line block ×7, first 2 shown]
	v_add_u32_e32 v1, s0, v9
	v_lshrrev_b32_e32 v15, 5, v16
	scratch_store_dword off, v1, off offset:132 ; 4-byte Folded Spill
	v_add_u32_e32 v1, s0, v10
	v_and_b32_e32 v15, 62, v15
	scratch_store_dword off, v1, off offset:136 ; 4-byte Folded Spill
	v_add_u32_e32 v1, s0, v11
	v_add_lshl_u32 v15, v15, v20, 1
	scratch_store_dword off, v1, off offset:140 ; 4-byte Folded Spill
	v_add_u32_e32 v1, s0, v12
	v_add_u32_e32 v16, 0, v15
	v_lshrrev_b32_e32 v18, 1, v20
	scratch_store_dword off, v1, off offset:144 ; 4-byte Folded Spill
	v_add_u32_e32 v1, s0, v13
	scratch_store_dword off, v16, off offset:64 ; 4-byte Folded Spill
	v_lshlrev_b32_e32 v16, 4, v20
	v_and_b32_e32 v18, 62, v18
	v_writelane_b32 v95, s4, 22
	scratch_store_dword off, v1, off offset:148 ; 4-byte Folded Spill
	v_add_u32_e32 v1, s0, v14
	v_add_lshl_u32 v16, v18, v16, 1
	v_writelane_b32 v95, s5, 23
	scratch_store_dword off, v1, off offset:152 ; 4-byte Folded Spill
	v_add_u32_e32 v1, s0, v15
	scratch_store_dword off, v1, off offset:156 ; 4-byte Folded Spill
	v_add_u32_e32 v1, s0, v16
	v_writelane_b32 v95, s38, 24
	s_and_b32 s0, s38, 0x3ff
	s_cmp_eq_u32 s0, 0
	v_writelane_b32 v95, s39, 25
	s_cselect_b64 s[4:5], -1, 0
	scratch_store_dword off, v1, off offset:160 ; 4-byte Folded Spill
	v_writelane_b32 v95, s4, 26
	v_and_b32_e32 v1, 15, v20
	s_mul_i32 s88, s20, s2
	v_writelane_b32 v95, s5, 27
	v_cmp_ne_u32_e64 s[4:5], 0, v1
	s_add_i32 s0, s1, -1
	v_cmp_lt_u32_e64 s[84:85], 3, v1
	v_writelane_b32 v95, s4, 28
	v_and_b32_e32 v2, 64, v20
	v_lshlrev_b32_e32 v19, 4, v0
	v_writelane_b32 v95, s5, 29
	v_writelane_b32 v95, s1, 30
	s_lshl_b64 s[4:5], s[88:89], 1
	v_writelane_b32 v95, s0, 31
	s_add_u32 s0, s18, s4
	s_addc_u32 s1, s19, s5
	v_cmp_lt_u32_e64 s[4:5], 1, v1
	s_mul_i32 s88, s21, s28
	s_lshl_b64 s[16:17], s[88:89], 1
	v_writelane_b32 v95, s4, 32
	s_add_u32 s18, s0, s16
	s_mul_i32 s88, s54, s2
	v_writelane_b32 v95, s5, 33
	v_cmp_lt_u32_e64 s[4:5], 7, v1
	v_and_b32_e32 v1, 16, v20
	s_addc_u32 s19, s1, s17
	v_writelane_b32 v95, s4, 34
	s_lshl_b64 s[16:17], s[88:89], 1
	s_add_u32 s0, s26, s16
	v_writelane_b32 v95, s5, 35
	v_cmp_ne_u32_e64 s[4:5], 0, v1
	v_add_u32_e32 v1, -1, v20
	v_cmp_lt_i32_e32 vcc, v1, v2
	v_writelane_b32 v95, s4, 36
	v_cmp_gt_u32_e64 s[14:15], 64, v0
	v_cndmask_b32_e32 v1, v1, v20, vcc
	v_writelane_b32 v95, s5, 37
	v_cmp_eq_u32_e64 s[4:5], 63, v0
	v_lshlrev_b32_e32 v1, 2, v1
	s_addc_u32 s1, s27, s17
	v_cmp_eq_u32_e64 s[16:17], 0, v0
	v_mov_b32_e32 v0, v20
	scratch_store_dwordx2 off, v[0:1], off offset:176 ; 8-byte Folded Spill
	v_or_b32_e32 v0, 1, v19
	scratch_store_dword off, v0, off offset:272 ; 4-byte Folded Spill
	v_or_b32_e32 v0, 2, v19
	scratch_store_dword off, v0, off offset:276 ; 4-byte Folded Spill
	v_or_b32_e32 v0, 3, v19
	scratch_store_dword off, v0, off offset:280 ; 4-byte Folded Spill
	v_or_b32_e32 v0, 4, v19
	scratch_store_dword off, v0, off offset:284 ; 4-byte Folded Spill
	v_or_b32_e32 v0, 5, v19
	scratch_store_dword off, v0, off offset:288 ; 4-byte Folded Spill
	v_or_b32_e32 v0, 6, v19
	v_writelane_b32 v95, s4, 38
	scratch_store_dword off, v0, off offset:292 ; 4-byte Folded Spill
                                        ; implicit-def: $vgpr0
	v_add_u32_e32 v18, 0, v16
	v_writelane_b32 v95, s5, 39
	v_or_b32_e32 v0, 7, v19
	v_writelane_b32 v95, s48, 40
	s_mul_i32 s88, s55, s28
	scratch_store_dword off, v0, off offset:296 ; 4-byte Folded Spill
	v_or_b32_e32 v0, 8, v19
	v_writelane_b32 v95, s49, 41
	s_lshl_b64 s[20:21], s[88:89], 1
	scratch_store_dword off, v0, off offset:300 ; 4-byte Folded Spill
	v_or_b32_e32 v0, 9, v19
	v_writelane_b32 v95, s50, 42
	s_add_u32 s20, s0, s20
	s_mul_i32 s88, s22, s2
	scratch_store_dword off, v0, off offset:304 ; 4-byte Folded Spill
	v_or_b32_e32 v0, 10, v19
	v_writelane_b32 v95, s51, 43
	s_addc_u32 s21, s1, s21
	s_lshl_b64 s[2:3], s[88:89], 1
	scratch_store_dword off, v0, off offset:308 ; 4-byte Folded Spill
	v_or_b32_e32 v0, 11, v19
	v_writelane_b32 v95, s52, 44
	s_add_u32 s0, s30, s2
	s_mul_i32 s88, s23, s28
	scratch_store_dword off, v0, off offset:312 ; 4-byte Folded Spill
	v_or_b32_e32 v0, 12, v19
	v_writelane_b32 v95, s53, 45
	s_addc_u32 s1, s31, s3
	s_lshl_b64 s[2:3], s[88:89], 1
	scratch_store_dword off, v0, off offset:316 ; 4-byte Folded Spill
	v_or_b32_e32 v0, 13, v19
	v_writelane_b32 v95, s54, 46
	s_add_u32 s2, s0, s2
	scratch_store_dword off, v0, off offset:320 ; 4-byte Folded Spill
	v_or_b32_e32 v0, 14, v19
	v_mov_b32_e32 v17, 0
	scratch_store_dword off, v18, off offset:4 ; 4-byte Folded Spill
	scratch_store_dword off, v1, off offset:164 ; 4-byte Folded Spill
	v_lshlrev_b32_e32 v16, 1, v20
	v_writelane_b32 v95, s55, 47
	s_addc_u32 s3, s1, s3
	s_add_i32 s0, 0, 0x1088
	scratch_store_dword off, v0, off offset:324 ; 4-byte Folded Spill
	scratch_store_dword off, v19, off offset:268 ; 4-byte Folded Spill
	v_or_b32_e32 v0, 15, v19
	v_writelane_b32 v95, s0, 48
	scratch_store_dword off, v0, off offset:328 ; 4-byte Folded Spill
	v_lshl_add_u64 v[0:1], s[18:19], 0, v[16:17]
	scratch_store_dwordx2 off, v[0:1], off offset:244 ; 8-byte Folded Spill
	v_lshl_add_u64 v[0:1], s[20:21], 0, v[16:17]
	v_writelane_b32 v95, s87, 49
	scratch_store_dwordx2 off, v[0:1], off offset:252 ; 8-byte Folded Spill
	v_lshl_add_u64 v[0:1], s[2:3], 0, v[16:17]
	v_writelane_b32 v95, s6, 50
	v_cmp_lt_u32_e64 s[12:13], 31, v20
	s_mov_b32 s4, 0x41a00000
	s_mov_b32 s5, 0x3fb8aa3b
	;; [unrolled: 1-line block ×10, first 2 shown]
	v_mov_b32_e32 v39, 0x7f800000
	v_mov_b32_e32 v22, 0x42800000
	;; [unrolled: 1-line block ×3, first 2 shown]
	scratch_store_dwordx2 off, v[0:1], off offset:260 ; 8-byte Folded Spill
	v_mov_b32_e32 v0, 0x3f317218
	v_writelane_b32 v95, s7, 51
	scratch_store_dwordx2 off, v[0:1], off offset:168 ; 8-byte Folded Spill
	s_branch .LBB21_13
.LBB21_12:                              ;   in Loop: Header=BB21_13 Depth=1
	s_or_b64 exec, exec, s[2:3]
	v_readlane_b32 s0, v95, 4
	v_readlane_b32 s1, v95, 5
	s_add_u32 s0, s0, 0x800
	s_addc_u32 s1, s1, 0
	v_writelane_b32 v95, s0, 4
	s_nop 1
	v_writelane_b32 v95, s1, 5
	s_nop 0
	v_readlane_b32 s36, v95, 55
	v_readlane_b32 s37, v95, 56
	s_add_u32 s36, s36, 0x800
	s_addc_u32 s37, s37, 0
	v_readlane_b32 s0, v95, 8
	v_readlane_b32 s1, v95, 9
	s_add_u32 s0, s0, 0x800
	s_addc_u32 s1, s1, 0
	v_writelane_b32 v95, s0, 8
	s_nop 1
	v_writelane_b32 v95, s1, 9
	s_nop 0
	v_readlane_b32 s0, v95, 18
	v_readlane_b32 s1, v95, 19
	s_add_u32 s0, s0, 0x800
	s_addc_u32 s1, s1, 0
	v_writelane_b32 v95, s0, 18
	s_nop 1
	v_writelane_b32 v95, s1, 19
	s_nop 0
	v_readlane_b32 s1, v95, 52
	s_add_i32 s1, s1, 1
	v_readlane_b32 s0, v95, 30
	s_cmp_lg_u32 s1, s0
	s_cbranch_scc0 .LBB21_298
.LBB21_13:                              ; =>This Loop Header: Depth=1
                                        ;     Child Loop BB21_110 Depth 2
	s_waitcnt lgkmcnt(0)
	; wave barrier
	s_waitcnt vmcnt(63) expcnt(7) lgkmcnt(15)
	scratch_load_dwordx2 v[0:1], off, off offset:176 ; 8-byte Folded Reload
	v_writelane_b32 v95, s1, 52
	s_lshl_b32 s18, s1, 10
	v_readlane_b32 s0, v95, 24
	s_mov_b32 s2, s18
	v_readlane_b32 s1, v95, 25
	v_writelane_b32 v95, s2, 53
	s_sub_i32 s82, s0, s18
	s_waitcnt vmcnt(0) lgkmcnt(0)
	v_mov_b32_e32 v2, v0
	v_writelane_b32 v95, s3, 54
	v_lshlrev_b32_e32 v16, 1, v2
	v_writelane_b32 v95, s36, 55
	v_cmp_gt_u32_e64 s[18:19], s82, v2
	v_mov_b32_e32 v2, 0
	v_writelane_b32 v95, s37, 56
	v_lshl_add_u64 v[0:1], s[36:37], 0, v[16:17]
	s_and_saveexec_b64 s[2:3], s[18:19]
	s_cbranch_execz .LBB21_15
; %bb.14:                               ;   in Loop: Header=BB21_13 Depth=1
	global_load_ushort v2, v[0:1], off
.LBB21_15:                              ;   in Loop: Header=BB21_13 Depth=1
	s_or_b64 exec, exec, s[2:3]
	scratch_load_dword v3, off, off offset:184 ; 4-byte Folded Reload
	v_mov_b32_e32 v4, 0
	s_waitcnt vmcnt(0)
	v_cmp_gt_u32_e64 s[20:21], s82, v3
	v_mov_b32_e32 v3, 0
	s_and_saveexec_b64 s[2:3], s[20:21]
	s_cbranch_execz .LBB21_17
; %bb.16:                               ;   in Loop: Header=BB21_13 Depth=1
	global_load_ushort v4, v[0:1], off offset:128
.LBB21_17:                              ;   in Loop: Header=BB21_13 Depth=1
	s_or_b64 exec, exec, s[2:3]
	scratch_load_dword v5, off, off offset:188 ; 4-byte Folded Reload
	s_waitcnt vmcnt(0)
	v_cmp_gt_u32_e64 s[22:23], s82, v5
	s_and_saveexec_b64 s[2:3], s[22:23]
	s_cbranch_execz .LBB21_19
; %bb.18:                               ;   in Loop: Header=BB21_13 Depth=1
	global_load_ushort v3, v[0:1], off offset:256
.LBB21_19:                              ;   in Loop: Header=BB21_13 Depth=1
	s_or_b64 exec, exec, s[2:3]
	scratch_load_dword v5, off, off offset:192 ; 4-byte Folded Reload
	v_mov_b32_e32 v6, 0
	s_waitcnt vmcnt(0)
	v_cmp_gt_u32_e64 s[24:25], s82, v5
	v_mov_b32_e32 v5, 0
	s_and_saveexec_b64 s[2:3], s[24:25]
	s_cbranch_execz .LBB21_21
; %bb.20:                               ;   in Loop: Header=BB21_13 Depth=1
	global_load_ushort v6, v[0:1], off offset:384
.LBB21_21:                              ;   in Loop: Header=BB21_13 Depth=1
	s_or_b64 exec, exec, s[2:3]
	scratch_load_dword v7, off, off offset:196 ; 4-byte Folded Reload
	s_waitcnt vmcnt(0)
	v_cmp_gt_u32_e64 s[26:27], s82, v7
	s_and_saveexec_b64 s[2:3], s[26:27]
	s_cbranch_execz .LBB21_23
; %bb.22:                               ;   in Loop: Header=BB21_13 Depth=1
	global_load_ushort v5, v[0:1], off offset:512
.LBB21_23:                              ;   in Loop: Header=BB21_13 Depth=1
	;; [unrolled: 20-line block ×4, first 2 shown]
	s_or_b64 exec, exec, s[2:3]
	scratch_load_dword v10, off, off offset:216 ; 4-byte Folded Reload
	v_mov_b32_e32 v12, 0
	v_mov_b32_e32 v13, 0
	s_waitcnt vmcnt(0)
	v_cmp_gt_u32_e64 s[38:39], s82, v10
	s_and_saveexec_b64 s[2:3], s[38:39]
	s_cbranch_execz .LBB21_33
; %bb.32:                               ;   in Loop: Header=BB21_13 Depth=1
	global_load_ushort v13, v[0:1], off offset:1152
.LBB21_33:                              ;   in Loop: Header=BB21_13 Depth=1
	s_or_b64 exec, exec, s[2:3]
	scratch_load_dword v10, off, off offset:220 ; 4-byte Folded Reload
	s_waitcnt vmcnt(0)
	v_cmp_gt_u32_e64 s[40:41], s82, v10
	s_and_saveexec_b64 s[2:3], s[40:41]
	s_cbranch_execz .LBB21_35
; %bb.34:                               ;   in Loop: Header=BB21_13 Depth=1
	global_load_ushort v12, v[0:1], off offset:1280
.LBB21_35:                              ;   in Loop: Header=BB21_13 Depth=1
	s_or_b64 exec, exec, s[2:3]
	scratch_load_dword v10, off, off offset:224 ; 4-byte Folded Reload
	v_mov_b32_e32 v14, 0
	v_mov_b32_e32 v15, 0
	s_waitcnt vmcnt(0)
	v_cmp_gt_u32_e64 s[42:43], s82, v10
	s_and_saveexec_b64 s[2:3], s[42:43]
	s_cbranch_execz .LBB21_37
; %bb.36:                               ;   in Loop: Header=BB21_13 Depth=1
	global_load_ushort v15, v[0:1], off offset:1408
.LBB21_37:                              ;   in Loop: Header=BB21_13 Depth=1
	s_or_b64 exec, exec, s[2:3]
	scratch_load_dword v10, off, off offset:228 ; 4-byte Folded Reload
	s_waitcnt vmcnt(0)
	v_cmp_gt_u32_e64 s[44:45], s82, v10
	s_and_saveexec_b64 s[2:3], s[44:45]
	s_cbranch_execz .LBB21_39
; %bb.38:                               ;   in Loop: Header=BB21_13 Depth=1
	global_load_ushort v14, v[0:1], off offset:1536
.LBB21_39:                              ;   in Loop: Header=BB21_13 Depth=1
	;; [unrolled: 20-line block ×3, first 2 shown]
	s_or_b64 exec, exec, s[2:3]
	scratch_load_dword v10, off, off offset:240 ; 4-byte Folded Reload
	v_mov_b32_e32 v20, 0
	s_waitcnt vmcnt(0)
	v_cmp_gt_u32_e64 s[50:51], s82, v10
	v_mov_b32_e32 v10, 0
	s_and_saveexec_b64 s[2:3], s[50:51]
	s_cbranch_execz .LBB21_45
; %bb.44:                               ;   in Loop: Header=BB21_13 Depth=1
	global_load_ushort v20, v[0:1], off offset:1920
.LBB21_45:                              ;   in Loop: Header=BB21_13 Depth=1
	s_or_b64 exec, exec, s[2:3]
	scratch_load_dword v0, off, off         ; 4-byte Folded Reload
	v_readlane_b32 s0, v95, 4
	v_readlane_b32 s1, v95, 5
	s_waitcnt vmcnt(0)
	ds_write_b16 v0, v2
	scratch_load_dword v0, off, off offset:8 ; 4-byte Folded Reload
	s_waitcnt vmcnt(0)
	ds_write_b16 v0, v4 offset:128
	scratch_load_dword v0, off, off offset:12 ; 4-byte Folded Reload
	s_waitcnt vmcnt(0)
	ds_write_b16 v0, v3 offset:256
	;; [unrolled: 3-line block ×8, first 2 shown]
	scratch_load_dword v0, off, off offset:40 ; 4-byte Folded Reload
	v_lshl_add_u64 v[8:9], s[0:1], 0, v[16:17]
	s_waitcnt vmcnt(0)
	ds_write_b16 v0, v13 offset:1152
	scratch_load_dword v0, off, off offset:44 ; 4-byte Folded Reload
	s_waitcnt vmcnt(0)
	ds_write_b16 v0, v12 offset:1280
	scratch_load_dword v0, off, off offset:48 ; 4-byte Folded Reload
	;; [unrolled: 3-line block ×6, first 2 shown]
	s_waitcnt vmcnt(0)
	ds_write_b16 v0, v20 offset:1920
	; wave barrier
	scratch_load_dword v4, off, off offset:4 ; 4-byte Folded Reload
	s_waitcnt vmcnt(0)
	ds_read_b128 v[0:3], v4
	ds_read_b128 v[4:7], v4 offset:16
	s_waitcnt lgkmcnt(0)
	; wave barrier
	s_waitcnt lgkmcnt(0)
	s_and_saveexec_b64 s[2:3], s[18:19]
	s_cbranch_execz .LBB21_47
; %bb.46:                               ;   in Loop: Header=BB21_13 Depth=1
	global_load_ushort v10, v[8:9], off
.LBB21_47:                              ;   in Loop: Header=BB21_13 Depth=1
	s_or_b64 exec, exec, s[2:3]
	v_mov_b32_e32 v11, 0
	v_mov_b32_e32 v12, 0
	s_and_saveexec_b64 s[2:3], s[20:21]
	s_cbranch_execz .LBB21_49
; %bb.48:                               ;   in Loop: Header=BB21_13 Depth=1
	global_load_ushort v12, v[8:9], off offset:128
.LBB21_49:                              ;   in Loop: Header=BB21_13 Depth=1
	s_or_b64 exec, exec, s[2:3]
	s_and_saveexec_b64 s[2:3], s[22:23]
	s_cbranch_execz .LBB21_51
; %bb.50:                               ;   in Loop: Header=BB21_13 Depth=1
	global_load_ushort v11, v[8:9], off offset:256
.LBB21_51:                              ;   in Loop: Header=BB21_13 Depth=1
	s_or_b64 exec, exec, s[2:3]
	v_mov_b32_e32 v13, 0
	v_mov_b32_e32 v14, 0
	s_and_saveexec_b64 s[2:3], s[24:25]
	s_cbranch_execz .LBB21_53
; %bb.52:                               ;   in Loop: Header=BB21_13 Depth=1
	global_load_ushort v14, v[8:9], off offset:384
.LBB21_53:                              ;   in Loop: Header=BB21_13 Depth=1
	s_or_b64 exec, exec, s[2:3]
	s_and_saveexec_b64 s[2:3], s[26:27]
	s_cbranch_execz .LBB21_55
; %bb.54:                               ;   in Loop: Header=BB21_13 Depth=1
	global_load_ushort v13, v[8:9], off offset:512
.LBB21_55:                              ;   in Loop: Header=BB21_13 Depth=1
	;; [unrolled: 14-line block ×6, first 2 shown]
	s_or_b64 exec, exec, s[2:3]
	v_mov_b32_e32 v27, 0
	v_mov_b32_e32 v28, 0
	s_and_saveexec_b64 s[2:3], s[46:47]
	s_cbranch_execnz .LBB21_267
; %bb.72:                               ;   in Loop: Header=BB21_13 Depth=1
	s_or_b64 exec, exec, s[2:3]
	s_and_saveexec_b64 s[2:3], s[48:49]
	s_cbranch_execnz .LBB21_268
.LBB21_73:                              ;   in Loop: Header=BB21_13 Depth=1
	s_or_b64 exec, exec, s[2:3]
	v_mov_b32_e32 v29, 0
	s_and_saveexec_b64 s[2:3], s[50:51]
	s_cbranch_execz .LBB21_75
.LBB21_74:                              ;   in Loop: Header=BB21_13 Depth=1
	global_load_ushort v29, v[8:9], off offset:1920
.LBB21_75:                              ;   in Loop: Header=BB21_13 Depth=1
	s_or_b64 exec, exec, s[2:3]
	scratch_load_dword v8, off, off         ; 4-byte Folded Reload
	v_readlane_b32 s0, v95, 2
	s_waitcnt vmcnt(0)
	ds_write_b16 v8, v10
	scratch_load_dword v8, off, off offset:8 ; 4-byte Folded Reload
	s_waitcnt vmcnt(0)
	ds_write_b16 v8, v12 offset:128
	scratch_load_dword v8, off, off offset:12 ; 4-byte Folded Reload
	s_waitcnt vmcnt(0)
	ds_write_b16 v8, v11 offset:256
	;; [unrolled: 3-line block ×15, first 2 shown]
	; wave barrier
	scratch_load_dword v8, off, off offset:4 ; 4-byte Folded Reload
	s_waitcnt vmcnt(0)
	ds_read_b128 v[12:15], v8
	ds_read_b128 v[8:11], v8 offset:16
	s_waitcnt lgkmcnt(1)
	v_lshlrev_b32_e32 v18, 16, v12
	v_add_f32_e32 v25, s0, v18
	v_cmp_ge_f32_e32 vcc, s4, v25
	s_and_b64 s[2:3], s[6:7], vcc
	s_and_saveexec_b64 s[52:53], s[2:3]
	s_cbranch_execz .LBB21_77
; %bb.76:                               ;   in Loop: Header=BB21_13 Depth=1
	v_mul_f32_e32 v18, 0x3fb8aa3b, v25
	v_rndne_f32_e32 v19, v18
	v_sub_f32_e32 v20, v18, v19
	v_fma_f32 v18, v25, s5, -v18
	v_fmac_f32_e32 v18, 0x32a5705f, v25
	v_add_f32_e32 v18, v20, v18
	v_cvt_i32_f32_e32 v19, v19
	v_exp_f32_e32 v18, v18
	v_cmp_ngt_f32_e32 vcc, s8, v25
	v_ldexp_f32 v18, v18, v19
	s_nop 0
	v_cndmask_b32_e32 v18, 0, v18, vcc
	v_cmp_nlt_f32_e32 vcc, s9, v25
	s_nop 1
	v_cndmask_b32_e32 v36, v39, v18, vcc
	v_add_f32_e32 v20, 1.0, v36
	v_add_f32_e32 v18, -1.0, v20
	v_sub_f32_e32 v19, v18, v20
	v_add_f32_e32 v19, 1.0, v19
	v_sub_f32_e32 v18, v36, v18
	v_add_f32_e32 v21, v18, v19
	v_frexp_mant_f32_e32 v24, v20
	v_cvt_f64_f32_e32 v[18:19], v20
	v_frexp_exp_i32_f64_e32 v18, v[18:19]
	v_cmp_gt_f32_e32 vcc, s11, v24
	v_cmp_gt_f32_e64 s[2:3], s54, v36
	s_nop 0
	v_subbrev_co_u32_e32 v28, vcc, 0, v18, vcc
	v_sub_u32_e32 v18, 0, v28
	v_ldexp_f32 v19, v20, v18
	v_add_f32_e32 v20, -1.0, v19
	v_add_f32_e32 v24, 1.0, v19
	v_ldexp_f32 v18, v21, v18
	v_add_f32_e32 v21, 1.0, v20
	v_add_f32_e32 v25, -1.0, v24
	v_sub_f32_e32 v21, v19, v21
	v_sub_f32_e32 v19, v19, v25
	v_add_f32_e32 v21, v18, v21
	v_add_f32_e32 v18, v18, v19
	;; [unrolled: 1-line block ×3, first 2 shown]
	v_rcp_f32_e32 v31, v29
	v_sub_f32_e32 v19, v24, v29
	v_add_f32_e32 v30, v18, v19
	v_add_f32_e32 v19, v20, v21
	v_mul_f32_e32 v33, v19, v31
	v_sub_f32_e32 v18, v20, v19
	v_mul_f32_e32 v20, v29, v33
	v_fma_f32 v24, v33, v29, -v20
	v_fmac_f32_e32 v24, v33, v30
	v_add_f32_e32 v32, v21, v18
	v_add_f32_e32 v18, v20, v24
	v_sub_f32_e32 v21, v19, v18
	v_pk_add_f32 v[26:27], v[18:19], v[20:21] neg_lo:[0,1] neg_hi:[0,1]
	v_mov_b32_e32 v25, v18
	v_pk_add_f32 v[18:19], v[26:27], v[24:25] neg_lo:[0,1] neg_hi:[0,1]
	v_cmp_eq_f32_e32 vcc, s10, v36
	v_add_f32_e32 v19, v32, v19
	v_add_f32_e32 v18, v18, v19
	v_add_f32_e32 v19, v21, v18
	v_mul_f32_e32 v32, v31, v19
	v_mul_f32_e32 v20, v29, v32
	v_fma_f32 v24, v32, v29, -v20
	v_fmac_f32_e32 v24, v32, v30
	v_sub_f32_e32 v21, v21, v19
	v_add_f32_e32 v29, v18, v21
	v_add_f32_e32 v18, v20, v24
	v_sub_f32_e32 v21, v19, v18
	v_pk_add_f32 v[26:27], v[18:19], v[20:21] neg_lo:[0,1] neg_hi:[0,1]
	v_mov_b32_e32 v25, v18
	v_pk_add_f32 v[18:19], v[26:27], v[24:25] neg_lo:[0,1] neg_hi:[0,1]
	scratch_load_dwordx2 v[26:27], off, off offset:168 ; 8-byte Folded Reload
	v_add_f32_e32 v19, v29, v19
	v_add_f32_e32 v18, v18, v19
	;; [unrolled: 1-line block ×4, first 2 shown]
	v_sub_f32_e32 v20, v19, v33
	v_mul_f32_e32 v18, v31, v18
	v_sub_f32_e32 v20, v32, v20
	v_add_f32_e32 v20, v20, v18
	v_add_f32_e32 v24, v19, v20
	v_mul_f32_e32 v25, v24, v24
	v_mov_b32_e32 v18, 0x3ecc95a3
	v_fmamk_f32 v18, v25, 0x3e9b6dac, v18
	v_fmaak_f32 v31, v25, v18, 0x3f2aaada
	v_cvt_f32_i32_e32 v18, v28
	v_sub_f32_e32 v19, v24, v19
	v_sub_f32_e32 v19, v20, v19
	v_ldexp_f32 v21, v24, 1
	s_or_b64 vcc, s[2:3], vcc
	s_waitcnt vmcnt(0)
	v_mov_b32_e32 v30, v26
	v_ldexp_f32 v26, v19, 1
	v_mul_f32_e32 v19, v24, v25
	v_mov_b32_e32 v20, v30
	v_pk_mul_f32 v[24:25], v[18:19], v[30:31]
	scratch_store_dwordx2 off, v[20:21], off offset:168 ; 8-byte Folded Spill
	v_fma_f32 v20, v18, s33, -v24
	v_fmac_f32_e32 v20, 0xb102e308, v18
	v_pk_add_f32 v[18:19], v[24:25], v[20:21]
	s_nop 0
	v_sub_f32_e32 v21, v19, v21
	v_sub_f32_e32 v21, v25, v21
	v_add_f32_e32 v27, v26, v21
	v_mov_b32_e32 v26, v24
	v_pk_add_f32 v[24:25], v[18:19], v[24:25] neg_lo:[0,1] neg_hi:[0,1]
	v_pk_add_f32 v[28:29], v[18:19], v[26:27]
	v_mov_b32_e32 v21, v18
	v_mov_b32_e32 v25, v29
	v_pk_add_f32 v[30:31], v[20:21], v[24:25] neg_lo:[0,1] neg_hi:[0,1]
	v_pk_add_f32 v[20:21], v[20:21], v[24:25]
	v_mov_b32_e32 v26, v27
	v_mov_b32_e32 v24, v21
	v_pk_add_f32 v[32:33], v[24:25], v[18:19] neg_lo:[0,1] neg_hi:[0,1]
	v_mov_b32_e32 v20, v29
	v_mov_b32_e32 v25, v32
	v_pk_add_f32 v[34:35], v[28:29], v[24:25] neg_lo:[0,1] neg_hi:[0,1]
	v_mov_b32_e32 v28, v19
	v_mov_b32_e32 v29, v32
	;; [unrolled: 1-line block ×3, first 2 shown]
	v_pk_add_f32 v[20:21], v[20:21], v[28:29] neg_lo:[0,1] neg_hi:[0,1]
	v_mov_b32_e32 v27, v18
	v_pk_add_f32 v[18:19], v[26:27], v[20:21] neg_lo:[0,1] neg_hi:[0,1]
	v_mov_b32_e32 v34, v30
	v_pk_add_f32 v[20:21], v[34:35], v[18:19]
	s_nop 0
	v_mov_b32_e32 v26, v21
	v_pk_add_f32 v[26:27], v[20:21], v[26:27]
	s_nop 0
	v_pk_add_f32 v[24:25], v[24:25], v[26:27]
	v_mov_b32_e32 v19, v26
	v_mov_b32_e32 v21, v24
	v_pk_add_f32 v[28:29], v[20:21], v[30:31] neg_lo:[0,1] neg_hi:[0,1]
	s_nop 0
	v_sub_f32_e32 v20, v20, v28
	v_pk_add_f32 v[18:19], v[18:19], v[28:29] neg_lo:[0,1] neg_hi:[0,1]
	v_sub_f32_e32 v20, v30, v20
	v_add_f32_e32 v18, v18, v20
	v_add_f32_e32 v18, v18, v19
	;; [unrolled: 1-line block ×3, first 2 shown]
	v_cndmask_b32_e32 v25, v18, v36, vcc
.LBB21_77:                              ;   in Loop: Header=BB21_13 Depth=1
	s_or_b64 exec, exec, s[52:53]
	v_and_b32_e32 v12, 0xffff0000, v12
	v_readlane_b32 s0, v95, 2
	s_nop 1
	v_add_f32_e32 v18, s0, v12
	v_cmp_ge_f32_e32 vcc, s4, v18
	s_and_b64 s[2:3], s[6:7], vcc
	s_and_saveexec_b64 s[52:53], s[2:3]
	s_cbranch_execz .LBB21_79
; %bb.78:                               ;   in Loop: Header=BB21_13 Depth=1
	v_mul_f32_e32 v12, 0x3fb8aa3b, v18
	v_rndne_f32_e32 v19, v12
	v_sub_f32_e32 v20, v12, v19
	v_fma_f32 v12, v18, s5, -v12
	v_fmac_f32_e32 v12, 0x32a5705f, v18
	v_add_f32_e32 v12, v20, v12
	v_cvt_i32_f32_e32 v19, v19
	v_exp_f32_e32 v12, v12
	v_cmp_ngt_f32_e32 vcc, s8, v18
	v_ldexp_f32 v12, v12, v19
	s_nop 0
	v_cndmask_b32_e32 v12, 0, v12, vcc
	v_cmp_nlt_f32_e32 vcc, s9, v18
	s_nop 1
	v_cndmask_b32_e32 v36, v39, v12, vcc
	v_add_f32_e32 v12, 1.0, v36
	v_add_f32_e32 v18, -1.0, v12
	v_sub_f32_e32 v19, v18, v12
	v_add_f32_e32 v19, 1.0, v19
	v_sub_f32_e32 v18, v36, v18
	v_add_f32_e32 v20, v18, v19
	v_frexp_mant_f32_e32 v21, v12
	v_cvt_f64_f32_e32 v[18:19], v12
	v_frexp_exp_i32_f64_e32 v18, v[18:19]
	v_cmp_gt_f32_e32 vcc, s11, v21
	v_cmp_gt_f32_e64 s[2:3], s54, v36
	s_nop 0
	v_subbrev_co_u32_e32 v24, vcc, 0, v18, vcc
	v_sub_u32_e32 v18, 0, v24
	v_ldexp_f32 v12, v12, v18
	v_ldexp_f32 v18, v20, v18
	v_add_f32_e32 v20, -1.0, v12
	v_add_f32_e32 v19, 1.0, v20
	v_sub_f32_e32 v19, v12, v19
	v_add_f32_e32 v21, v18, v19
	v_add_f32_e32 v19, 1.0, v12
	v_add_f32_e32 v26, -1.0, v19
	v_sub_f32_e32 v12, v12, v26
	v_add_f32_e32 v12, v18, v12
	v_add_f32_e32 v30, v19, v12
	v_rcp_f32_e32 v31, v30
	v_sub_f32_e32 v18, v19, v30
	v_add_f32_e32 v19, v20, v21
	v_add_f32_e32 v12, v12, v18
	v_mul_f32_e32 v33, v19, v31
	v_sub_f32_e32 v18, v20, v19
	v_mul_f32_e32 v20, v30, v33
	v_fma_f32 v26, v33, v30, -v20
	v_fmac_f32_e32 v26, v33, v12
	v_add_f32_e32 v32, v21, v18
	v_add_f32_e32 v18, v20, v26
	v_sub_f32_e32 v21, v19, v18
	v_pk_add_f32 v[28:29], v[18:19], v[20:21] neg_lo:[0,1] neg_hi:[0,1]
	v_mov_b32_e32 v27, v18
	v_pk_add_f32 v[18:19], v[28:29], v[26:27] neg_lo:[0,1] neg_hi:[0,1]
	v_cmp_eq_f32_e32 vcc, s10, v36
	v_add_f32_e32 v19, v32, v19
	v_add_f32_e32 v18, v18, v19
	;; [unrolled: 1-line block ×3, first 2 shown]
	v_mul_f32_e32 v32, v31, v19
	v_mul_f32_e32 v20, v30, v32
	v_fma_f32 v26, v32, v30, -v20
	v_fmac_f32_e32 v26, v32, v12
	v_sub_f32_e32 v12, v21, v19
	v_add_f32_e32 v12, v18, v12
	v_add_f32_e32 v18, v20, v26
	v_sub_f32_e32 v21, v19, v18
	v_pk_add_f32 v[28:29], v[18:19], v[20:21] neg_lo:[0,1] neg_hi:[0,1]
	v_mov_b32_e32 v27, v18
	v_pk_add_f32 v[18:19], v[28:29], v[26:27] neg_lo:[0,1] neg_hi:[0,1]
	scratch_load_dwordx2 v[28:29], off, off offset:168 ; 8-byte Folded Reload
	v_add_f32_e32 v12, v12, v19
	v_add_f32_e32 v12, v18, v12
	;; [unrolled: 1-line block ×4, first 2 shown]
	v_sub_f32_e32 v18, v19, v33
	v_mul_f32_e32 v12, v31, v12
	v_sub_f32_e32 v18, v32, v18
	v_add_f32_e32 v12, v18, v12
	v_add_f32_e32 v20, v19, v12
	v_mul_f32_e32 v26, v20, v20
	v_mov_b32_e32 v18, 0x3ecc95a3
	v_fmamk_f32 v18, v26, 0x3e9b6dac, v18
	s_waitcnt vmcnt(0)
	v_fmaak_f32 v29, v26, v18, 0x3f2aaada
	v_cvt_f32_i32_e32 v18, v24
	v_sub_f32_e32 v19, v20, v19
	v_sub_f32_e32 v12, v12, v19
	v_mul_f32_e32 v19, v20, v26
	v_ldexp_f32 v21, v20, 1
	v_ldexp_f32 v12, v12, 1
	s_or_b64 vcc, s[2:3], vcc
	v_mov_b32_e32 v20, v28
	v_pk_mul_f32 v[26:27], v[18:19], v[28:29]
	scratch_store_dwordx2 off, v[20:21], off offset:168 ; 8-byte Folded Spill
	v_fma_f32 v20, v18, s33, -v26
	v_fmac_f32_e32 v20, 0xb102e308, v18
	v_pk_add_f32 v[18:19], v[26:27], v[20:21]
	v_mov_b32_e32 v28, v26
	v_sub_f32_e32 v21, v19, v21
	v_sub_f32_e32 v21, v27, v21
	v_add_f32_e32 v29, v12, v21
	v_pk_add_f32 v[26:27], v[18:19], v[26:27] neg_lo:[0,1] neg_hi:[0,1]
	v_pk_add_f32 v[30:31], v[18:19], v[28:29]
	v_mov_b32_e32 v21, v18
	v_mov_b32_e32 v27, v31
	v_pk_add_f32 v[32:33], v[20:21], v[26:27] neg_lo:[0,1] neg_hi:[0,1]
	v_pk_add_f32 v[20:21], v[20:21], v[26:27]
	s_nop 0
	v_mov_b32_e32 v12, v21
	v_pk_add_f32 v[26:27], v[12:13], v[18:19] neg_lo:[0,1] neg_hi:[0,1]
	v_mov_b32_e32 v20, v31
	v_mov_b32_e32 v27, v26
	v_pk_add_f32 v[34:35], v[30:31], v[26:27] neg_lo:[0,1] neg_hi:[0,1]
	v_mov_b32_e32 v30, v19
	v_mov_b32_e32 v31, v26
	;; [unrolled: 1-line block ×3, first 2 shown]
	v_pk_add_f32 v[20:21], v[20:21], v[30:31] neg_lo:[0,1] neg_hi:[0,1]
	v_mov_b32_e32 v26, v29
	v_mov_b32_e32 v27, v18
	v_pk_add_f32 v[18:19], v[26:27], v[20:21] neg_lo:[0,1] neg_hi:[0,1]
	v_mov_b32_e32 v34, v32
	v_pk_add_f32 v[20:21], v[34:35], v[18:19]
	s_nop 0
	v_mov_b32_e32 v24, v21
	v_pk_add_f32 v[26:27], v[20:21], v[24:25]
	s_nop 0
	v_pk_add_f32 v[28:29], v[12:13], v[26:27]
	v_mov_b32_e32 v19, v26
	v_mov_b32_e32 v21, v28
	v_pk_add_f32 v[30:31], v[20:21], v[32:33] neg_lo:[0,1] neg_hi:[0,1]
	s_nop 0
	v_sub_f32_e32 v12, v20, v30
	v_pk_add_f32 v[18:19], v[18:19], v[30:31] neg_lo:[0,1] neg_hi:[0,1]
	v_sub_f32_e32 v12, v32, v12
	v_add_f32_e32 v12, v18, v12
	v_add_f32_e32 v12, v12, v19
	;; [unrolled: 1-line block ×3, first 2 shown]
	v_cndmask_b32_e32 v18, v12, v36, vcc
.LBB21_79:                              ;   in Loop: Header=BB21_13 Depth=1
	s_or_b64 exec, exec, s[52:53]
	v_lshlrev_b32_e32 v12, 16, v13
	v_readlane_b32 s0, v95, 2
	s_nop 1
	v_add_f32_e32 v20, s0, v12
	v_cmp_ge_f32_e32 vcc, s4, v20
	s_and_b64 s[2:3], s[6:7], vcc
	s_and_saveexec_b64 s[52:53], s[2:3]
	s_cbranch_execz .LBB21_81
; %bb.80:                               ;   in Loop: Header=BB21_13 Depth=1
	v_mul_f32_e32 v12, 0x3fb8aa3b, v20
	v_rndne_f32_e32 v19, v12
	v_sub_f32_e32 v21, v12, v19
	v_fma_f32 v12, v20, s5, -v12
	v_fmac_f32_e32 v12, 0x32a5705f, v20
	v_add_f32_e32 v12, v21, v12
	v_cvt_i32_f32_e32 v19, v19
	v_exp_f32_e32 v12, v12
	v_cmp_ngt_f32_e32 vcc, s8, v20
	v_ldexp_f32 v12, v12, v19
	s_nop 0
	v_cndmask_b32_e32 v12, 0, v12, vcc
	v_cmp_nlt_f32_e32 vcc, s9, v20
	s_nop 1
	v_cndmask_b32_e32 v38, v39, v12, vcc
	v_add_f32_e32 v12, 1.0, v38
	v_add_f32_e32 v19, -1.0, v12
	v_sub_f32_e32 v20, v19, v12
	v_add_f32_e32 v20, 1.0, v20
	v_sub_f32_e32 v19, v38, v19
	v_add_f32_e32 v19, v19, v20
	v_frexp_mant_f32_e32 v24, v12
	v_cvt_f64_f32_e32 v[20:21], v12
	v_frexp_exp_i32_f64_e32 v20, v[20:21]
	v_cmp_gt_f32_e32 vcc, s11, v24
	v_cmp_gt_f32_e64 s[2:3], s54, v38
	s_nop 0
	v_subbrev_co_u32_e32 v24, vcc, 0, v20, vcc
	v_sub_u32_e32 v20, 0, v24
	v_ldexp_f32 v12, v12, v20
	v_ldexp_f32 v19, v19, v20
	v_add_f32_e32 v20, -1.0, v12
	v_add_f32_e32 v21, 1.0, v20
	v_sub_f32_e32 v21, v12, v21
	v_add_f32_e32 v26, v19, v21
	v_add_f32_e32 v21, 1.0, v12
	v_add_f32_e32 v27, -1.0, v21
	v_sub_f32_e32 v12, v12, v27
	v_add_f32_e32 v12, v19, v12
	v_add_f32_e32 v19, v21, v12
	v_rcp_f32_e32 v32, v19
	v_sub_f32_e32 v21, v21, v19
	v_add_f32_e32 v12, v12, v21
	v_add_f32_e32 v21, v20, v26
	v_sub_f32_e32 v20, v20, v21
	v_mul_f32_e32 v34, v21, v32
	v_add_f32_e32 v33, v26, v20
	v_mul_f32_e32 v26, v19, v34
	v_fma_f32 v28, v34, v19, -v26
	v_fmac_f32_e32 v28, v34, v12
	v_add_f32_e32 v20, v26, v28
	v_sub_f32_e32 v27, v21, v20
	v_pk_add_f32 v[30:31], v[20:21], v[26:27] neg_lo:[0,1] neg_hi:[0,1]
	v_mov_b32_e32 v29, v20
	v_pk_add_f32 v[20:21], v[30:31], v[28:29] neg_lo:[0,1] neg_hi:[0,1]
	v_cmp_eq_f32_e32 vcc, s10, v38
	v_add_f32_e32 v21, v33, v21
	v_add_f32_e32 v20, v20, v21
	;; [unrolled: 1-line block ×3, first 2 shown]
	v_mul_f32_e32 v33, v32, v21
	v_mul_f32_e32 v26, v19, v33
	v_fma_f32 v28, v33, v19, -v26
	v_fmac_f32_e32 v28, v33, v12
	v_sub_f32_e32 v12, v27, v21
	v_add_f32_e32 v12, v20, v12
	v_add_f32_e32 v20, v26, v28
	v_sub_f32_e32 v27, v21, v20
	v_pk_add_f32 v[30:31], v[20:21], v[26:27] neg_lo:[0,1] neg_hi:[0,1]
	v_mov_b32_e32 v29, v20
	v_pk_add_f32 v[20:21], v[30:31], v[28:29] neg_lo:[0,1] neg_hi:[0,1]
	scratch_load_dwordx2 v[28:29], off, off offset:168 ; 8-byte Folded Reload
	v_add_f32_e32 v12, v12, v21
	v_add_f32_e32 v12, v20, v12
	;; [unrolled: 1-line block ×4, first 2 shown]
	v_sub_f32_e32 v20, v19, v34
	v_mul_f32_e32 v12, v32, v12
	v_sub_f32_e32 v20, v33, v20
	v_add_f32_e32 v12, v20, v12
	v_add_f32_e32 v21, v19, v12
	v_mul_f32_e32 v26, v21, v21
	v_mov_b32_e32 v20, 0x3ecc95a3
	v_fmamk_f32 v20, v26, 0x3e9b6dac, v20
	s_waitcnt vmcnt(0)
	v_fmaak_f32 v29, v26, v20, 0x3f2aaada
	v_cvt_f32_i32_e32 v20, v24
	v_sub_f32_e32 v19, v21, v19
	v_ldexp_f32 v27, v21, 1
	v_mul_f32_e32 v21, v21, v26
	v_sub_f32_e32 v12, v12, v19
	v_ldexp_f32 v12, v12, 1
	s_or_b64 vcc, s[2:3], vcc
	v_mov_b32_e32 v24, v28
	v_pk_mul_f32 v[28:29], v[20:21], v[28:29]
	scratch_store_dwordx2 off, v[24:25], off offset:168 ; 8-byte Folded Spill
	v_fma_f32 v26, v20, s33, -v28
	v_fmac_f32_e32 v26, 0xb102e308, v20
	v_pk_add_f32 v[20:21], v[28:29], v[26:27]
	v_mov_b32_e32 v30, v28
	v_sub_f32_e32 v19, v21, v27
	v_sub_f32_e32 v19, v29, v19
	v_add_f32_e32 v31, v12, v19
	v_pk_add_f32 v[28:29], v[20:21], v[28:29] neg_lo:[0,1] neg_hi:[0,1]
	v_pk_add_f32 v[32:33], v[20:21], v[30:31]
	v_mov_b32_e32 v27, v20
	v_mov_b32_e32 v29, v33
	v_pk_add_f32 v[34:35], v[26:27], v[28:29] neg_lo:[0,1] neg_hi:[0,1]
	v_pk_add_f32 v[26:27], v[26:27], v[28:29]
	s_nop 0
	v_mov_b32_e32 v12, v27
	v_pk_add_f32 v[28:29], v[12:13], v[20:21] neg_lo:[0,1] neg_hi:[0,1]
	v_mov_b32_e32 v26, v33
	v_mov_b32_e32 v19, v28
	v_pk_add_f32 v[36:37], v[32:33], v[18:19] neg_lo:[0,1] neg_hi:[0,1]
	v_mov_b32_e32 v32, v21
	v_mov_b32_e32 v33, v28
	;; [unrolled: 1-line block ×3, first 2 shown]
	v_pk_add_f32 v[26:27], v[26:27], v[32:33] neg_lo:[0,1] neg_hi:[0,1]
	v_mov_b32_e32 v28, v31
	v_mov_b32_e32 v29, v20
	v_pk_add_f32 v[20:21], v[28:29], v[26:27] neg_lo:[0,1] neg_hi:[0,1]
	v_mov_b32_e32 v36, v34
	v_pk_add_f32 v[26:27], v[36:37], v[20:21]
	s_nop 0
	v_mov_b32_e32 v24, v27
	v_pk_add_f32 v[28:29], v[26:27], v[24:25]
	s_nop 0
	v_pk_add_f32 v[30:31], v[12:13], v[28:29]
	v_mov_b32_e32 v21, v28
	v_mov_b32_e32 v27, v30
	v_pk_add_f32 v[32:33], v[26:27], v[34:35] neg_lo:[0,1] neg_hi:[0,1]
	s_nop 0
	v_sub_f32_e32 v12, v26, v32
	v_pk_add_f32 v[20:21], v[20:21], v[32:33] neg_lo:[0,1] neg_hi:[0,1]
	v_sub_f32_e32 v12, v34, v12
	v_add_f32_e32 v12, v20, v12
	v_add_f32_e32 v12, v12, v21
	;; [unrolled: 1-line block ×3, first 2 shown]
	v_cndmask_b32_e32 v20, v12, v38, vcc
.LBB21_81:                              ;   in Loop: Header=BB21_13 Depth=1
	s_or_b64 exec, exec, s[52:53]
	v_and_b32_e32 v12, 0xffff0000, v13
	v_readlane_b32 s0, v95, 2
	s_nop 1
	v_add_f32_e32 v94, s0, v12
	v_cmp_ge_f32_e32 vcc, s4, v94
	s_and_b64 s[2:3], s[6:7], vcc
	s_and_saveexec_b64 s[52:53], s[2:3]
	s_cbranch_execz .LBB21_83
; %bb.82:                               ;   in Loop: Header=BB21_13 Depth=1
	v_mul_f32_e32 v12, 0x3fb8aa3b, v94
	v_rndne_f32_e32 v13, v12
	v_sub_f32_e32 v19, v12, v13
	v_fma_f32 v12, v94, s5, -v12
	v_fmac_f32_e32 v12, 0x32a5705f, v94
	v_add_f32_e32 v12, v19, v12
	v_cvt_i32_f32_e32 v13, v13
	v_exp_f32_e32 v12, v12
	v_cmp_ngt_f32_e32 vcc, s8, v94
	v_ldexp_f32 v12, v12, v13
	s_nop 0
	v_cndmask_b32_e32 v12, 0, v12, vcc
	v_cmp_nlt_f32_e32 vcc, s9, v94
	s_nop 1
	v_cndmask_b32_e32 v21, v39, v12, vcc
	v_add_f32_e32 v19, 1.0, v21
	v_add_f32_e32 v12, -1.0, v19
	v_sub_f32_e32 v13, v12, v19
	v_add_f32_e32 v13, 1.0, v13
	v_sub_f32_e32 v12, v21, v12
	v_add_f32_e32 v24, v12, v13
	v_frexp_mant_f32_e32 v26, v19
	v_cvt_f64_f32_e32 v[12:13], v19
	v_frexp_exp_i32_f64_e32 v12, v[12:13]
	v_cmp_gt_f32_e32 vcc, s11, v26
	v_cmp_gt_f32_e64 s[2:3], s54, v21
	s_nop 0
	v_subbrev_co_u32_e32 v32, vcc, 0, v12, vcc
	v_sub_u32_e32 v12, 0, v32
	v_ldexp_f32 v13, v19, v12
	v_add_f32_e32 v19, -1.0, v13
	v_add_f32_e32 v26, 1.0, v13
	v_ldexp_f32 v12, v24, v12
	v_add_f32_e32 v24, 1.0, v19
	v_add_f32_e32 v27, -1.0, v26
	v_sub_f32_e32 v24, v13, v24
	v_sub_f32_e32 v13, v13, v27
	v_add_f32_e32 v24, v12, v24
	v_add_f32_e32 v12, v12, v13
	;; [unrolled: 1-line block ×3, first 2 shown]
	v_rcp_f32_e32 v35, v33
	v_sub_f32_e32 v13, v26, v33
	v_add_f32_e32 v34, v12, v13
	v_add_f32_e32 v13, v19, v24
	v_sub_f32_e32 v12, v19, v13
	v_add_f32_e32 v19, v24, v12
	v_mul_f32_e32 v24, v13, v35
	v_mul_f32_e32 v26, v33, v24
	v_fma_f32 v28, v24, v33, -v26
	v_fmac_f32_e32 v28, v24, v34
	v_add_f32_e32 v12, v26, v28
	v_sub_f32_e32 v27, v13, v12
	v_pk_add_f32 v[30:31], v[12:13], v[26:27] neg_lo:[0,1] neg_hi:[0,1]
	v_mov_b32_e32 v29, v12
	v_pk_add_f32 v[12:13], v[30:31], v[28:29] neg_lo:[0,1] neg_hi:[0,1]
	v_cmp_eq_f32_e32 vcc, s10, v21
	v_add_f32_e32 v13, v19, v13
	v_add_f32_e32 v12, v12, v13
	;; [unrolled: 1-line block ×3, first 2 shown]
	v_mul_f32_e32 v19, v35, v13
	v_mul_f32_e32 v26, v33, v19
	v_fma_f32 v28, v19, v33, -v26
	v_fmac_f32_e32 v28, v19, v34
	v_sub_f32_e32 v27, v27, v13
	v_add_f32_e32 v33, v12, v27
	v_add_f32_e32 v12, v26, v28
	v_sub_f32_e32 v27, v13, v12
	v_pk_add_f32 v[30:31], v[12:13], v[26:27] neg_lo:[0,1] neg_hi:[0,1]
	v_mov_b32_e32 v29, v12
	v_pk_add_f32 v[12:13], v[30:31], v[28:29] neg_lo:[0,1] neg_hi:[0,1]
	scratch_load_dwordx2 v[28:29], off, off offset:168 ; 8-byte Folded Reload
	v_add_f32_e32 v13, v33, v13
	v_add_f32_e32 v12, v12, v13
	;; [unrolled: 1-line block ×4, first 2 shown]
	v_sub_f32_e32 v24, v13, v24
	v_mul_f32_e32 v12, v35, v12
	v_sub_f32_e32 v19, v19, v24
	v_add_f32_e32 v19, v19, v12
	v_add_f32_e32 v24, v13, v19
	v_mul_f32_e32 v26, v24, v24
	v_mov_b32_e32 v12, 0x3ecc95a3
	v_fmamk_f32 v12, v26, 0x3e9b6dac, v12
	s_waitcnt vmcnt(0)
	v_fmaak_f32 v29, v26, v12, 0x3f2aaada
	v_cvt_f32_i32_e32 v12, v32
	v_sub_f32_e32 v13, v24, v13
	v_sub_f32_e32 v13, v19, v13
	v_ldexp_f32 v19, v13, 1
	v_mul_f32_e32 v13, v24, v26
	v_ldexp_f32 v27, v24, 1
	s_or_b64 vcc, s[2:3], vcc
	v_mov_b32_e32 v24, v28
	v_pk_mul_f32 v[28:29], v[12:13], v[28:29]
	scratch_store_dwordx2 off, v[24:25], off offset:168 ; 8-byte Folded Spill
	v_fma_f32 v26, v12, s33, -v28
	v_fmac_f32_e32 v26, 0xb102e308, v12
	v_pk_add_f32 v[12:13], v[28:29], v[26:27]
	v_mov_b32_e32 v30, v28
	v_sub_f32_e32 v24, v13, v27
	v_sub_f32_e32 v24, v29, v24
	v_add_f32_e32 v31, v19, v24
	v_pk_add_f32 v[28:29], v[12:13], v[28:29] neg_lo:[0,1] neg_hi:[0,1]
	v_pk_add_f32 v[32:33], v[12:13], v[30:31]
	v_mov_b32_e32 v27, v12
	v_mov_b32_e32 v29, v33
	v_pk_add_f32 v[34:35], v[26:27], v[28:29] neg_lo:[0,1] neg_hi:[0,1]
	v_pk_add_f32 v[26:27], v[26:27], v[28:29]
	s_nop 0
	v_mov_b32_e32 v24, v27
	v_pk_add_f32 v[28:29], v[24:25], v[12:13] neg_lo:[0,1] neg_hi:[0,1]
	v_mov_b32_e32 v26, v33
	v_mov_b32_e32 v19, v28
	v_pk_add_f32 v[36:37], v[32:33], v[18:19] neg_lo:[0,1] neg_hi:[0,1]
	v_mov_b32_e32 v32, v13
	v_mov_b32_e32 v33, v28
	;; [unrolled: 1-line block ×3, first 2 shown]
	v_pk_add_f32 v[26:27], v[26:27], v[32:33] neg_lo:[0,1] neg_hi:[0,1]
	v_mov_b32_e32 v28, v31
	v_mov_b32_e32 v29, v12
	v_pk_add_f32 v[12:13], v[28:29], v[26:27] neg_lo:[0,1] neg_hi:[0,1]
	v_mov_b32_e32 v36, v34
	v_pk_add_f32 v[26:27], v[36:37], v[12:13]
	s_nop 0
	v_mov_b32_e32 v28, v27
	v_pk_add_f32 v[28:29], v[26:27], v[28:29]
	s_nop 0
	v_pk_add_f32 v[30:31], v[24:25], v[28:29]
	v_mov_b32_e32 v13, v28
	v_mov_b32_e32 v27, v30
	v_pk_add_f32 v[32:33], v[26:27], v[34:35] neg_lo:[0,1] neg_hi:[0,1]
	s_nop 0
	v_sub_f32_e32 v19, v26, v32
	v_pk_add_f32 v[12:13], v[12:13], v[32:33] neg_lo:[0,1] neg_hi:[0,1]
	v_sub_f32_e32 v19, v34, v19
	v_add_f32_e32 v12, v12, v19
	v_add_f32_e32 v12, v12, v13
	;; [unrolled: 1-line block ×3, first 2 shown]
	v_cndmask_b32_e32 v94, v12, v21, vcc
.LBB21_83:                              ;   in Loop: Header=BB21_13 Depth=1
	s_or_b64 exec, exec, s[52:53]
	v_lshlrev_b32_e32 v12, 16, v14
	v_readlane_b32 s0, v95, 2
	s_nop 1
	v_add_f32_e32 v62, s0, v12
	v_cmp_ge_f32_e32 vcc, s4, v62
	s_and_b64 s[2:3], s[6:7], vcc
	s_and_saveexec_b64 s[52:53], s[2:3]
	s_cbranch_execz .LBB21_85
; %bb.84:                               ;   in Loop: Header=BB21_13 Depth=1
	v_mul_f32_e32 v12, 0x3fb8aa3b, v62
	v_rndne_f32_e32 v13, v12
	v_sub_f32_e32 v19, v12, v13
	v_fma_f32 v12, v62, s5, -v12
	v_fmac_f32_e32 v12, 0x32a5705f, v62
	v_add_f32_e32 v12, v19, v12
	v_cvt_i32_f32_e32 v13, v13
	v_exp_f32_e32 v12, v12
	v_cmp_ngt_f32_e32 vcc, s8, v62
	v_ldexp_f32 v12, v12, v13
	s_nop 0
	v_cndmask_b32_e32 v12, 0, v12, vcc
	v_cmp_nlt_f32_e32 vcc, s9, v62
	s_nop 1
	v_cndmask_b32_e32 v21, v39, v12, vcc
	v_add_f32_e32 v19, 1.0, v21
	v_add_f32_e32 v12, -1.0, v19
	v_sub_f32_e32 v13, v12, v19
	v_add_f32_e32 v13, 1.0, v13
	v_sub_f32_e32 v12, v21, v12
	v_add_f32_e32 v24, v12, v13
	v_frexp_mant_f32_e32 v26, v19
	v_cvt_f64_f32_e32 v[12:13], v19
	v_frexp_exp_i32_f64_e32 v12, v[12:13]
	v_cmp_gt_f32_e32 vcc, s11, v26
	v_cmp_gt_f32_e64 s[2:3], s54, v21
	s_nop 0
	v_subbrev_co_u32_e32 v32, vcc, 0, v12, vcc
	v_sub_u32_e32 v12, 0, v32
	v_ldexp_f32 v13, v19, v12
	v_add_f32_e32 v19, -1.0, v13
	v_add_f32_e32 v26, 1.0, v13
	v_ldexp_f32 v12, v24, v12
	v_add_f32_e32 v24, 1.0, v19
	v_add_f32_e32 v27, -1.0, v26
	v_sub_f32_e32 v24, v13, v24
	v_sub_f32_e32 v13, v13, v27
	v_add_f32_e32 v24, v12, v24
	v_add_f32_e32 v12, v12, v13
	;; [unrolled: 1-line block ×3, first 2 shown]
	v_rcp_f32_e32 v35, v33
	v_sub_f32_e32 v13, v26, v33
	v_add_f32_e32 v34, v12, v13
	v_add_f32_e32 v13, v19, v24
	v_sub_f32_e32 v12, v19, v13
	v_add_f32_e32 v19, v24, v12
	v_mul_f32_e32 v24, v13, v35
	v_mul_f32_e32 v26, v33, v24
	v_fma_f32 v28, v24, v33, -v26
	v_fmac_f32_e32 v28, v24, v34
	v_add_f32_e32 v12, v26, v28
	v_sub_f32_e32 v27, v13, v12
	v_pk_add_f32 v[30:31], v[12:13], v[26:27] neg_lo:[0,1] neg_hi:[0,1]
	v_mov_b32_e32 v29, v12
	v_pk_add_f32 v[12:13], v[30:31], v[28:29] neg_lo:[0,1] neg_hi:[0,1]
	v_cmp_eq_f32_e32 vcc, s10, v21
	v_add_f32_e32 v13, v19, v13
	v_add_f32_e32 v12, v12, v13
	;; [unrolled: 1-line block ×3, first 2 shown]
	v_mul_f32_e32 v19, v35, v13
	v_mul_f32_e32 v26, v33, v19
	v_fma_f32 v28, v19, v33, -v26
	v_fmac_f32_e32 v28, v19, v34
	v_sub_f32_e32 v27, v27, v13
	v_add_f32_e32 v33, v12, v27
	v_add_f32_e32 v12, v26, v28
	v_sub_f32_e32 v27, v13, v12
	v_pk_add_f32 v[30:31], v[12:13], v[26:27] neg_lo:[0,1] neg_hi:[0,1]
	v_mov_b32_e32 v29, v12
	v_pk_add_f32 v[12:13], v[30:31], v[28:29] neg_lo:[0,1] neg_hi:[0,1]
	scratch_load_dwordx2 v[28:29], off, off offset:168 ; 8-byte Folded Reload
	v_add_f32_e32 v13, v33, v13
	v_add_f32_e32 v12, v12, v13
	;; [unrolled: 1-line block ×4, first 2 shown]
	v_sub_f32_e32 v24, v13, v24
	v_mul_f32_e32 v12, v35, v12
	v_sub_f32_e32 v19, v19, v24
	v_add_f32_e32 v19, v19, v12
	v_add_f32_e32 v24, v13, v19
	v_mul_f32_e32 v26, v24, v24
	v_mov_b32_e32 v12, 0x3ecc95a3
	v_fmamk_f32 v12, v26, 0x3e9b6dac, v12
	s_waitcnt vmcnt(0)
	v_fmaak_f32 v29, v26, v12, 0x3f2aaada
	v_cvt_f32_i32_e32 v12, v32
	v_sub_f32_e32 v13, v24, v13
	v_sub_f32_e32 v13, v19, v13
	v_ldexp_f32 v19, v13, 1
	v_mul_f32_e32 v13, v24, v26
	v_ldexp_f32 v27, v24, 1
	s_or_b64 vcc, s[2:3], vcc
	v_mov_b32_e32 v24, v28
	v_pk_mul_f32 v[28:29], v[12:13], v[28:29]
	scratch_store_dwordx2 off, v[24:25], off offset:168 ; 8-byte Folded Spill
	v_fma_f32 v26, v12, s33, -v28
	v_fmac_f32_e32 v26, 0xb102e308, v12
	v_pk_add_f32 v[12:13], v[28:29], v[26:27]
	v_mov_b32_e32 v30, v28
	v_sub_f32_e32 v24, v13, v27
	v_sub_f32_e32 v24, v29, v24
	v_add_f32_e32 v31, v19, v24
	v_pk_add_f32 v[28:29], v[12:13], v[28:29] neg_lo:[0,1] neg_hi:[0,1]
	v_pk_add_f32 v[32:33], v[12:13], v[30:31]
	v_mov_b32_e32 v27, v12
	v_mov_b32_e32 v29, v33
	v_pk_add_f32 v[34:35], v[26:27], v[28:29] neg_lo:[0,1] neg_hi:[0,1]
	v_pk_add_f32 v[26:27], v[26:27], v[28:29]
	s_nop 0
	v_mov_b32_e32 v24, v27
	v_pk_add_f32 v[28:29], v[24:25], v[12:13] neg_lo:[0,1] neg_hi:[0,1]
	v_mov_b32_e32 v26, v33
	v_mov_b32_e32 v19, v28
	v_pk_add_f32 v[36:37], v[32:33], v[18:19] neg_lo:[0,1] neg_hi:[0,1]
	v_mov_b32_e32 v32, v13
	v_mov_b32_e32 v33, v28
	;; [unrolled: 1-line block ×3, first 2 shown]
	v_pk_add_f32 v[26:27], v[26:27], v[32:33] neg_lo:[0,1] neg_hi:[0,1]
	v_mov_b32_e32 v28, v31
	v_mov_b32_e32 v29, v12
	v_pk_add_f32 v[12:13], v[28:29], v[26:27] neg_lo:[0,1] neg_hi:[0,1]
	v_mov_b32_e32 v36, v34
	v_pk_add_f32 v[26:27], v[36:37], v[12:13]
	s_nop 0
	v_mov_b32_e32 v28, v27
	v_pk_add_f32 v[28:29], v[26:27], v[28:29]
	s_nop 0
	v_pk_add_f32 v[30:31], v[24:25], v[28:29]
	v_mov_b32_e32 v13, v28
	v_mov_b32_e32 v27, v30
	v_pk_add_f32 v[32:33], v[26:27], v[34:35] neg_lo:[0,1] neg_hi:[0,1]
	s_nop 0
	v_sub_f32_e32 v19, v26, v32
	v_pk_add_f32 v[12:13], v[12:13], v[32:33] neg_lo:[0,1] neg_hi:[0,1]
	v_sub_f32_e32 v19, v34, v19
	v_add_f32_e32 v12, v12, v19
	v_add_f32_e32 v12, v12, v13
	;; [unrolled: 1-line block ×3, first 2 shown]
	v_cndmask_b32_e32 v62, v12, v21, vcc
.LBB21_85:                              ;   in Loop: Header=BB21_13 Depth=1
	s_or_b64 exec, exec, s[52:53]
	v_and_b32_e32 v12, 0xffff0000, v14
	v_readlane_b32 s0, v95, 2
	s_nop 1
	v_add_f32_e32 v63, s0, v12
	v_cmp_ge_f32_e32 vcc, s4, v63
	s_and_b64 s[2:3], s[6:7], vcc
	s_and_saveexec_b64 s[52:53], s[2:3]
	s_cbranch_execz .LBB21_87
; %bb.86:                               ;   in Loop: Header=BB21_13 Depth=1
	v_mul_f32_e32 v12, 0x3fb8aa3b, v63
	v_rndne_f32_e32 v13, v12
	v_sub_f32_e32 v14, v12, v13
	v_fma_f32 v12, v63, s5, -v12
	v_fmac_f32_e32 v12, 0x32a5705f, v63
	v_add_f32_e32 v12, v14, v12
	v_cvt_i32_f32_e32 v13, v13
	v_exp_f32_e32 v12, v12
	v_cmp_ngt_f32_e32 vcc, s8, v63
	v_ldexp_f32 v12, v12, v13
	s_nop 0
	v_cndmask_b32_e32 v12, 0, v12, vcc
	v_cmp_nlt_f32_e32 vcc, s9, v63
	s_nop 1
	v_cndmask_b32_e32 v21, v39, v12, vcc
	v_add_f32_e32 v14, 1.0, v21
	v_add_f32_e32 v12, -1.0, v14
	v_sub_f32_e32 v13, v12, v14
	v_add_f32_e32 v13, 1.0, v13
	v_sub_f32_e32 v12, v21, v12
	v_add_f32_e32 v19, v12, v13
	v_frexp_mant_f32_e32 v24, v14
	v_cvt_f64_f32_e32 v[12:13], v14
	v_frexp_exp_i32_f64_e32 v12, v[12:13]
	v_cmp_gt_f32_e32 vcc, s11, v24
	v_cmp_gt_f32_e64 s[2:3], s54, v21
	s_nop 0
	v_subbrev_co_u32_e32 v24, vcc, 0, v12, vcc
	v_sub_u32_e32 v12, 0, v24
	v_ldexp_f32 v13, v14, v12
	v_add_f32_e32 v14, -1.0, v13
	v_add_f32_e32 v26, 1.0, v13
	v_ldexp_f32 v12, v19, v12
	v_add_f32_e32 v19, 1.0, v14
	v_add_f32_e32 v27, -1.0, v26
	v_sub_f32_e32 v19, v13, v19
	v_sub_f32_e32 v13, v13, v27
	v_add_f32_e32 v19, v12, v19
	v_add_f32_e32 v12, v12, v13
	v_add_f32_e32 v32, v26, v12
	v_rcp_f32_e32 v34, v32
	v_sub_f32_e32 v13, v26, v32
	v_add_f32_e32 v33, v12, v13
	v_add_f32_e32 v13, v14, v19
	v_sub_f32_e32 v12, v14, v13
	v_add_f32_e32 v14, v19, v12
	v_mul_f32_e32 v19, v13, v34
	v_mul_f32_e32 v26, v32, v19
	v_fma_f32 v28, v19, v32, -v26
	v_fmac_f32_e32 v28, v19, v33
	v_add_f32_e32 v12, v26, v28
	v_sub_f32_e32 v27, v13, v12
	v_pk_add_f32 v[30:31], v[12:13], v[26:27] neg_lo:[0,1] neg_hi:[0,1]
	v_mov_b32_e32 v29, v12
	v_pk_add_f32 v[12:13], v[30:31], v[28:29] neg_lo:[0,1] neg_hi:[0,1]
	v_cmp_eq_f32_e32 vcc, s10, v21
	v_add_f32_e32 v13, v14, v13
	v_add_f32_e32 v12, v12, v13
	;; [unrolled: 1-line block ×3, first 2 shown]
	v_mul_f32_e32 v14, v34, v13
	v_mul_f32_e32 v26, v32, v14
	v_fma_f32 v28, v14, v32, -v26
	v_fmac_f32_e32 v28, v14, v33
	v_sub_f32_e32 v27, v27, v13
	v_add_f32_e32 v32, v12, v27
	v_add_f32_e32 v12, v26, v28
	v_sub_f32_e32 v27, v13, v12
	v_pk_add_f32 v[30:31], v[12:13], v[26:27] neg_lo:[0,1] neg_hi:[0,1]
	v_mov_b32_e32 v29, v12
	v_pk_add_f32 v[12:13], v[30:31], v[28:29] neg_lo:[0,1] neg_hi:[0,1]
	scratch_load_dwordx2 v[28:29], off, off offset:168 ; 8-byte Folded Reload
	v_add_f32_e32 v13, v32, v13
	v_add_f32_e32 v12, v12, v13
	v_add_f32_e32 v13, v19, v14
	v_add_f32_e32 v12, v27, v12
	v_sub_f32_e32 v19, v13, v19
	v_mul_f32_e32 v12, v34, v12
	v_sub_f32_e32 v14, v14, v19
	v_add_f32_e32 v14, v14, v12
	v_add_f32_e32 v19, v13, v14
	v_mul_f32_e32 v26, v19, v19
	v_mov_b32_e32 v12, 0x3ecc95a3
	v_fmamk_f32 v12, v26, 0x3e9b6dac, v12
	s_waitcnt vmcnt(0)
	v_fmaak_f32 v29, v26, v12, 0x3f2aaada
	v_cvt_f32_i32_e32 v12, v24
	v_sub_f32_e32 v13, v19, v13
	v_sub_f32_e32 v13, v14, v13
	v_ldexp_f32 v14, v13, 1
	v_mul_f32_e32 v13, v19, v26
	v_ldexp_f32 v27, v19, 1
	s_or_b64 vcc, s[2:3], vcc
	v_mov_b32_e32 v24, v28
	v_pk_mul_f32 v[28:29], v[12:13], v[28:29]
	scratch_store_dwordx2 off, v[24:25], off offset:168 ; 8-byte Folded Spill
	v_fma_f32 v26, v12, s33, -v28
	v_fmac_f32_e32 v26, 0xb102e308, v12
	v_pk_add_f32 v[12:13], v[28:29], v[26:27]
	v_mov_b32_e32 v30, v28
	v_sub_f32_e32 v19, v13, v27
	v_sub_f32_e32 v19, v29, v19
	v_add_f32_e32 v31, v14, v19
	v_pk_add_f32 v[28:29], v[12:13], v[28:29] neg_lo:[0,1] neg_hi:[0,1]
	v_pk_add_f32 v[32:33], v[12:13], v[30:31]
	v_mov_b32_e32 v27, v12
	v_mov_b32_e32 v29, v33
	v_pk_add_f32 v[34:35], v[26:27], v[28:29] neg_lo:[0,1] neg_hi:[0,1]
	v_pk_add_f32 v[26:27], v[26:27], v[28:29]
	s_nop 0
	v_mov_b32_e32 v14, v27
	v_pk_add_f32 v[28:29], v[14:15], v[12:13] neg_lo:[0,1] neg_hi:[0,1]
	v_mov_b32_e32 v26, v33
	v_mov_b32_e32 v19, v28
	v_pk_add_f32 v[36:37], v[32:33], v[18:19] neg_lo:[0,1] neg_hi:[0,1]
	v_mov_b32_e32 v32, v13
	v_mov_b32_e32 v33, v28
	;; [unrolled: 1-line block ×3, first 2 shown]
	v_pk_add_f32 v[26:27], v[26:27], v[32:33] neg_lo:[0,1] neg_hi:[0,1]
	v_mov_b32_e32 v28, v31
	v_mov_b32_e32 v29, v12
	v_pk_add_f32 v[12:13], v[28:29], v[26:27] neg_lo:[0,1] neg_hi:[0,1]
	v_mov_b32_e32 v36, v34
	v_pk_add_f32 v[26:27], v[36:37], v[12:13]
	s_nop 0
	v_mov_b32_e32 v24, v27
	v_pk_add_f32 v[28:29], v[26:27], v[24:25]
	s_nop 0
	v_pk_add_f32 v[30:31], v[14:15], v[28:29]
	v_mov_b32_e32 v13, v28
	v_mov_b32_e32 v27, v30
	v_pk_add_f32 v[32:33], v[26:27], v[34:35] neg_lo:[0,1] neg_hi:[0,1]
	s_nop 0
	v_sub_f32_e32 v14, v26, v32
	v_pk_add_f32 v[12:13], v[12:13], v[32:33] neg_lo:[0,1] neg_hi:[0,1]
	v_sub_f32_e32 v14, v34, v14
	v_add_f32_e32 v12, v12, v14
	v_add_f32_e32 v12, v12, v13
	;; [unrolled: 1-line block ×3, first 2 shown]
	v_cndmask_b32_e32 v63, v12, v21, vcc
.LBB21_87:                              ;   in Loop: Header=BB21_13 Depth=1
	s_or_b64 exec, exec, s[52:53]
	v_lshlrev_b32_e32 v12, 16, v15
	v_readlane_b32 s0, v95, 2
	s_nop 1
	v_add_f32_e32 v64, s0, v12
	v_cmp_ge_f32_e32 vcc, s4, v64
	s_and_b64 s[2:3], s[6:7], vcc
	s_and_saveexec_b64 s[52:53], s[2:3]
	s_cbranch_execz .LBB21_89
; %bb.88:                               ;   in Loop: Header=BB21_13 Depth=1
	v_mul_f32_e32 v12, 0x3fb8aa3b, v64
	v_rndne_f32_e32 v13, v12
	v_sub_f32_e32 v14, v12, v13
	v_fma_f32 v12, v64, s5, -v12
	v_fmac_f32_e32 v12, 0x32a5705f, v64
	v_add_f32_e32 v12, v14, v12
	v_cvt_i32_f32_e32 v13, v13
	v_exp_f32_e32 v12, v12
	v_cmp_ngt_f32_e32 vcc, s8, v64
	v_ldexp_f32 v12, v12, v13
	s_nop 0
	v_cndmask_b32_e32 v12, 0, v12, vcc
	v_cmp_nlt_f32_e32 vcc, s9, v64
	s_nop 1
	v_cndmask_b32_e32 v21, v39, v12, vcc
	v_add_f32_e32 v14, 1.0, v21
	v_add_f32_e32 v12, -1.0, v14
	v_sub_f32_e32 v13, v12, v14
	v_add_f32_e32 v13, 1.0, v13
	v_sub_f32_e32 v12, v21, v12
	v_add_f32_e32 v19, v12, v13
	v_frexp_mant_f32_e32 v24, v14
	v_cvt_f64_f32_e32 v[12:13], v14
	v_frexp_exp_i32_f64_e32 v12, v[12:13]
	v_cmp_gt_f32_e32 vcc, s11, v24
	v_cmp_gt_f32_e64 s[2:3], s54, v21
	s_nop 0
	v_subbrev_co_u32_e32 v24, vcc, 0, v12, vcc
	v_sub_u32_e32 v12, 0, v24
	v_ldexp_f32 v13, v14, v12
	v_add_f32_e32 v14, -1.0, v13
	v_add_f32_e32 v26, 1.0, v13
	v_ldexp_f32 v12, v19, v12
	v_add_f32_e32 v19, 1.0, v14
	v_add_f32_e32 v27, -1.0, v26
	v_sub_f32_e32 v19, v13, v19
	v_sub_f32_e32 v13, v13, v27
	v_add_f32_e32 v19, v12, v19
	v_add_f32_e32 v12, v12, v13
	;; [unrolled: 1-line block ×3, first 2 shown]
	v_rcp_f32_e32 v34, v32
	v_sub_f32_e32 v13, v26, v32
	v_add_f32_e32 v33, v12, v13
	v_add_f32_e32 v13, v14, v19
	v_sub_f32_e32 v12, v14, v13
	v_add_f32_e32 v14, v19, v12
	v_mul_f32_e32 v19, v13, v34
	v_mul_f32_e32 v26, v32, v19
	v_fma_f32 v28, v19, v32, -v26
	v_fmac_f32_e32 v28, v19, v33
	v_add_f32_e32 v12, v26, v28
	v_sub_f32_e32 v27, v13, v12
	v_pk_add_f32 v[30:31], v[12:13], v[26:27] neg_lo:[0,1] neg_hi:[0,1]
	v_mov_b32_e32 v29, v12
	v_pk_add_f32 v[12:13], v[30:31], v[28:29] neg_lo:[0,1] neg_hi:[0,1]
	v_cmp_eq_f32_e32 vcc, s10, v21
	v_add_f32_e32 v13, v14, v13
	v_add_f32_e32 v12, v12, v13
	;; [unrolled: 1-line block ×3, first 2 shown]
	v_mul_f32_e32 v14, v34, v13
	v_mul_f32_e32 v26, v32, v14
	v_fma_f32 v28, v14, v32, -v26
	v_fmac_f32_e32 v28, v14, v33
	v_sub_f32_e32 v27, v27, v13
	v_add_f32_e32 v32, v12, v27
	v_add_f32_e32 v12, v26, v28
	v_sub_f32_e32 v27, v13, v12
	v_pk_add_f32 v[30:31], v[12:13], v[26:27] neg_lo:[0,1] neg_hi:[0,1]
	v_mov_b32_e32 v29, v12
	v_pk_add_f32 v[12:13], v[30:31], v[28:29] neg_lo:[0,1] neg_hi:[0,1]
	scratch_load_dwordx2 v[28:29], off, off offset:168 ; 8-byte Folded Reload
	v_add_f32_e32 v13, v32, v13
	v_add_f32_e32 v12, v12, v13
	;; [unrolled: 1-line block ×4, first 2 shown]
	v_sub_f32_e32 v19, v13, v19
	v_mul_f32_e32 v12, v34, v12
	v_sub_f32_e32 v14, v14, v19
	v_add_f32_e32 v14, v14, v12
	v_add_f32_e32 v19, v13, v14
	v_mul_f32_e32 v26, v19, v19
	v_mov_b32_e32 v12, 0x3ecc95a3
	v_fmamk_f32 v12, v26, 0x3e9b6dac, v12
	s_waitcnt vmcnt(0)
	v_fmaak_f32 v29, v26, v12, 0x3f2aaada
	v_cvt_f32_i32_e32 v12, v24
	v_sub_f32_e32 v13, v19, v13
	v_sub_f32_e32 v13, v14, v13
	v_ldexp_f32 v14, v13, 1
	v_mul_f32_e32 v13, v19, v26
	v_ldexp_f32 v27, v19, 1
	s_or_b64 vcc, s[2:3], vcc
	v_mov_b32_e32 v24, v28
	v_pk_mul_f32 v[28:29], v[12:13], v[28:29]
	scratch_store_dwordx2 off, v[24:25], off offset:168 ; 8-byte Folded Spill
	v_fma_f32 v26, v12, s33, -v28
	v_fmac_f32_e32 v26, 0xb102e308, v12
	v_pk_add_f32 v[12:13], v[28:29], v[26:27]
	v_mov_b32_e32 v30, v28
	v_sub_f32_e32 v19, v13, v27
	v_sub_f32_e32 v19, v29, v19
	v_add_f32_e32 v31, v14, v19
	v_pk_add_f32 v[28:29], v[12:13], v[28:29] neg_lo:[0,1] neg_hi:[0,1]
	v_pk_add_f32 v[32:33], v[12:13], v[30:31]
	v_mov_b32_e32 v27, v12
	v_mov_b32_e32 v29, v33
	v_pk_add_f32 v[34:35], v[26:27], v[28:29] neg_lo:[0,1] neg_hi:[0,1]
	v_pk_add_f32 v[26:27], v[26:27], v[28:29]
	s_nop 0
	v_mov_b32_e32 v14, v27
	v_pk_add_f32 v[28:29], v[14:15], v[12:13] neg_lo:[0,1] neg_hi:[0,1]
	v_mov_b32_e32 v26, v33
	v_mov_b32_e32 v19, v28
	v_pk_add_f32 v[36:37], v[32:33], v[18:19] neg_lo:[0,1] neg_hi:[0,1]
	v_mov_b32_e32 v32, v13
	v_mov_b32_e32 v33, v28
	;; [unrolled: 1-line block ×3, first 2 shown]
	v_pk_add_f32 v[26:27], v[26:27], v[32:33] neg_lo:[0,1] neg_hi:[0,1]
	v_mov_b32_e32 v28, v31
	v_mov_b32_e32 v29, v12
	v_pk_add_f32 v[12:13], v[28:29], v[26:27] neg_lo:[0,1] neg_hi:[0,1]
	v_mov_b32_e32 v36, v34
	v_pk_add_f32 v[26:27], v[36:37], v[12:13]
	s_nop 0
	v_mov_b32_e32 v24, v27
	v_pk_add_f32 v[28:29], v[26:27], v[24:25]
	s_nop 0
	v_pk_add_f32 v[30:31], v[14:15], v[28:29]
	v_mov_b32_e32 v13, v28
	v_mov_b32_e32 v27, v30
	v_pk_add_f32 v[32:33], v[26:27], v[34:35] neg_lo:[0,1] neg_hi:[0,1]
	s_nop 0
	v_sub_f32_e32 v14, v26, v32
	v_pk_add_f32 v[12:13], v[12:13], v[32:33] neg_lo:[0,1] neg_hi:[0,1]
	v_sub_f32_e32 v14, v34, v14
	v_add_f32_e32 v12, v12, v14
	v_add_f32_e32 v12, v12, v13
	;; [unrolled: 1-line block ×3, first 2 shown]
	v_cndmask_b32_e32 v64, v12, v21, vcc
.LBB21_89:                              ;   in Loop: Header=BB21_13 Depth=1
	s_or_b64 exec, exec, s[52:53]
	v_and_b32_e32 v12, 0xffff0000, v15
	v_readlane_b32 s0, v95, 2
	s_nop 1
	v_add_f32_e32 v65, s0, v12
	v_cmp_ge_f32_e32 vcc, s4, v65
	s_and_b64 s[2:3], s[6:7], vcc
	s_and_saveexec_b64 s[52:53], s[2:3]
	s_cbranch_execz .LBB21_91
; %bb.90:                               ;   in Loop: Header=BB21_13 Depth=1
	v_mul_f32_e32 v12, 0x3fb8aa3b, v65
	v_rndne_f32_e32 v13, v12
	v_sub_f32_e32 v14, v12, v13
	v_fma_f32 v12, v65, s5, -v12
	v_fmac_f32_e32 v12, 0x32a5705f, v65
	v_add_f32_e32 v12, v14, v12
	v_cvt_i32_f32_e32 v13, v13
	v_exp_f32_e32 v12, v12
	v_cmp_ngt_f32_e32 vcc, s8, v65
	v_ldexp_f32 v12, v12, v13
	s_nop 0
	v_cndmask_b32_e32 v12, 0, v12, vcc
	v_cmp_nlt_f32_e32 vcc, s9, v65
	s_nop 1
	v_cndmask_b32_e32 v21, v39, v12, vcc
	v_add_f32_e32 v14, 1.0, v21
	v_add_f32_e32 v12, -1.0, v14
	v_sub_f32_e32 v13, v12, v14
	v_add_f32_e32 v13, 1.0, v13
	v_sub_f32_e32 v12, v21, v12
	v_add_f32_e32 v15, v12, v13
	v_frexp_mant_f32_e32 v19, v14
	v_cvt_f64_f32_e32 v[12:13], v14
	v_frexp_exp_i32_f64_e32 v12, v[12:13]
	v_cmp_gt_f32_e32 vcc, s11, v19
	v_cmp_gt_f32_e64 s[2:3], s54, v21
	s_nop 0
	v_subbrev_co_u32_e32 v19, vcc, 0, v12, vcc
	v_sub_u32_e32 v12, 0, v19
	v_ldexp_f32 v13, v14, v12
	v_add_f32_e32 v14, -1.0, v13
	v_add_f32_e32 v24, 1.0, v13
	v_ldexp_f32 v12, v15, v12
	v_add_f32_e32 v15, 1.0, v14
	v_add_f32_e32 v26, -1.0, v24
	v_sub_f32_e32 v15, v13, v15
	v_sub_f32_e32 v13, v13, v26
	v_add_f32_e32 v15, v12, v15
	v_add_f32_e32 v12, v12, v13
	;; [unrolled: 1-line block ×3, first 2 shown]
	v_rcp_f32_e32 v31, v30
	v_sub_f32_e32 v13, v24, v30
	v_add_f32_e32 v24, v12, v13
	v_add_f32_e32 v13, v14, v15
	v_mul_f32_e32 v33, v13, v31
	v_sub_f32_e32 v12, v14, v13
	v_mul_f32_e32 v14, v30, v33
	v_fma_f32 v26, v33, v30, -v14
	v_fmac_f32_e32 v26, v33, v24
	v_add_f32_e32 v32, v15, v12
	v_add_f32_e32 v12, v14, v26
	v_sub_f32_e32 v15, v13, v12
	v_pk_add_f32 v[28:29], v[12:13], v[14:15] neg_lo:[0,1] neg_hi:[0,1]
	v_mov_b32_e32 v27, v12
	v_pk_add_f32 v[12:13], v[28:29], v[26:27] neg_lo:[0,1] neg_hi:[0,1]
	v_cmp_eq_f32_e32 vcc, s10, v21
	v_add_f32_e32 v13, v32, v13
	v_add_f32_e32 v12, v12, v13
	;; [unrolled: 1-line block ×3, first 2 shown]
	v_mul_f32_e32 v32, v31, v13
	v_mul_f32_e32 v14, v30, v32
	v_fma_f32 v26, v32, v30, -v14
	v_fmac_f32_e32 v26, v32, v24
	v_sub_f32_e32 v15, v15, v13
	v_add_f32_e32 v24, v12, v15
	v_add_f32_e32 v12, v14, v26
	v_sub_f32_e32 v15, v13, v12
	v_pk_add_f32 v[28:29], v[12:13], v[14:15] neg_lo:[0,1] neg_hi:[0,1]
	v_mov_b32_e32 v27, v12
	v_pk_add_f32 v[12:13], v[28:29], v[26:27] neg_lo:[0,1] neg_hi:[0,1]
	scratch_load_dwordx2 v[28:29], off, off offset:168 ; 8-byte Folded Reload
	v_add_f32_e32 v13, v24, v13
	v_add_f32_e32 v12, v12, v13
	;; [unrolled: 1-line block ×4, first 2 shown]
	v_sub_f32_e32 v14, v13, v33
	v_mul_f32_e32 v12, v31, v12
	v_sub_f32_e32 v14, v32, v14
	v_add_f32_e32 v14, v14, v12
	v_add_f32_e32 v24, v13, v14
	v_mul_f32_e32 v26, v24, v24
	v_mov_b32_e32 v12, 0x3ecc95a3
	v_fmamk_f32 v12, v26, 0x3e9b6dac, v12
	s_waitcnt vmcnt(0)
	v_fmaak_f32 v29, v26, v12, 0x3f2aaada
	v_cvt_f32_i32_e32 v12, v19
	v_sub_f32_e32 v13, v24, v13
	v_sub_f32_e32 v13, v14, v13
	v_ldexp_f32 v19, v13, 1
	v_mul_f32_e32 v13, v24, v26
	v_ldexp_f32 v15, v24, 1
	s_or_b64 vcc, s[2:3], vcc
	v_mov_b32_e32 v14, v28
	v_pk_mul_f32 v[26:27], v[12:13], v[28:29]
	scratch_store_dwordx2 off, v[14:15], off offset:168 ; 8-byte Folded Spill
	v_fma_f32 v14, v12, s33, -v26
	v_fmac_f32_e32 v14, 0xb102e308, v12
	v_pk_add_f32 v[12:13], v[26:27], v[14:15]
	v_mov_b32_e32 v28, v26
	v_sub_f32_e32 v15, v13, v15
	v_sub_f32_e32 v15, v27, v15
	v_add_f32_e32 v29, v19, v15
	v_pk_add_f32 v[26:27], v[12:13], v[26:27] neg_lo:[0,1] neg_hi:[0,1]
	v_pk_add_f32 v[30:31], v[12:13], v[28:29]
	v_mov_b32_e32 v15, v12
	v_mov_b32_e32 v27, v31
	v_pk_add_f32 v[32:33], v[14:15], v[26:27] neg_lo:[0,1] neg_hi:[0,1]
	v_pk_add_f32 v[14:15], v[14:15], v[26:27]
	s_nop 0
	v_mov_b32_e32 v24, v15
	v_pk_add_f32 v[26:27], v[24:25], v[12:13] neg_lo:[0,1] neg_hi:[0,1]
	v_mov_b32_e32 v14, v31
	v_mov_b32_e32 v19, v26
	v_pk_add_f32 v[34:35], v[30:31], v[18:19] neg_lo:[0,1] neg_hi:[0,1]
	v_mov_b32_e32 v30, v13
	v_mov_b32_e32 v31, v26
	;; [unrolled: 1-line block ×3, first 2 shown]
	v_pk_add_f32 v[14:15], v[14:15], v[30:31] neg_lo:[0,1] neg_hi:[0,1]
	v_mov_b32_e32 v26, v29
	v_mov_b32_e32 v27, v12
	v_pk_add_f32 v[12:13], v[26:27], v[14:15] neg_lo:[0,1] neg_hi:[0,1]
	v_mov_b32_e32 v34, v32
	v_pk_add_f32 v[14:15], v[34:35], v[12:13]
	s_nop 0
	v_mov_b32_e32 v26, v15
	v_pk_add_f32 v[26:27], v[14:15], v[26:27]
	s_nop 0
	v_pk_add_f32 v[28:29], v[24:25], v[26:27]
	v_mov_b32_e32 v13, v26
	v_mov_b32_e32 v15, v28
	v_pk_add_f32 v[30:31], v[14:15], v[32:33] neg_lo:[0,1] neg_hi:[0,1]
	s_nop 0
	v_sub_f32_e32 v14, v14, v30
	v_pk_add_f32 v[12:13], v[12:13], v[30:31] neg_lo:[0,1] neg_hi:[0,1]
	v_sub_f32_e32 v14, v32, v14
	v_add_f32_e32 v12, v12, v14
	v_add_f32_e32 v12, v12, v13
	;; [unrolled: 1-line block ×3, first 2 shown]
	v_cndmask_b32_e32 v65, v12, v21, vcc
.LBB21_91:                              ;   in Loop: Header=BB21_13 Depth=1
	s_or_b64 exec, exec, s[52:53]
	s_waitcnt lgkmcnt(0)
	v_lshlrev_b32_e32 v12, 16, v8
	v_readlane_b32 s0, v95, 2
	s_nop 1
	v_add_f32_e32 v66, s0, v12
	v_cmp_ge_f32_e32 vcc, s4, v66
	s_and_b64 s[2:3], s[6:7], vcc
	s_and_saveexec_b64 s[52:53], s[2:3]
	s_cbranch_execz .LBB21_93
; %bb.92:                               ;   in Loop: Header=BB21_13 Depth=1
	v_mul_f32_e32 v12, 0x3fb8aa3b, v66
	v_rndne_f32_e32 v13, v12
	v_sub_f32_e32 v14, v12, v13
	v_fma_f32 v12, v66, s5, -v12
	v_fmac_f32_e32 v12, 0x32a5705f, v66
	v_add_f32_e32 v12, v14, v12
	v_cvt_i32_f32_e32 v13, v13
	v_exp_f32_e32 v12, v12
	v_cmp_ngt_f32_e32 vcc, s8, v66
	v_ldexp_f32 v12, v12, v13
	s_nop 0
	v_cndmask_b32_e32 v12, 0, v12, vcc
	v_cmp_nlt_f32_e32 vcc, s9, v66
	s_nop 1
	v_cndmask_b32_e32 v21, v39, v12, vcc
	v_add_f32_e32 v14, 1.0, v21
	v_add_f32_e32 v12, -1.0, v14
	v_sub_f32_e32 v13, v12, v14
	v_add_f32_e32 v13, 1.0, v13
	v_sub_f32_e32 v12, v21, v12
	v_add_f32_e32 v15, v12, v13
	v_frexp_mant_f32_e32 v19, v14
	v_cvt_f64_f32_e32 v[12:13], v14
	v_frexp_exp_i32_f64_e32 v12, v[12:13]
	v_cmp_gt_f32_e32 vcc, s11, v19
	v_cmp_gt_f32_e64 s[2:3], s54, v21
	s_nop 0
	v_subbrev_co_u32_e32 v19, vcc, 0, v12, vcc
	v_sub_u32_e32 v12, 0, v19
	v_ldexp_f32 v13, v14, v12
	v_add_f32_e32 v14, -1.0, v13
	v_add_f32_e32 v24, 1.0, v13
	v_ldexp_f32 v12, v15, v12
	v_add_f32_e32 v15, 1.0, v14
	v_add_f32_e32 v26, -1.0, v24
	v_sub_f32_e32 v15, v13, v15
	v_sub_f32_e32 v13, v13, v26
	v_add_f32_e32 v15, v12, v15
	v_add_f32_e32 v12, v12, v13
	;; [unrolled: 1-line block ×3, first 2 shown]
	v_rcp_f32_e32 v31, v30
	v_sub_f32_e32 v13, v24, v30
	v_add_f32_e32 v24, v12, v13
	v_add_f32_e32 v13, v14, v15
	v_mul_f32_e32 v33, v13, v31
	v_sub_f32_e32 v12, v14, v13
	v_mul_f32_e32 v14, v30, v33
	v_fma_f32 v26, v33, v30, -v14
	v_fmac_f32_e32 v26, v33, v24
	v_add_f32_e32 v32, v15, v12
	v_add_f32_e32 v12, v14, v26
	v_sub_f32_e32 v15, v13, v12
	v_pk_add_f32 v[28:29], v[12:13], v[14:15] neg_lo:[0,1] neg_hi:[0,1]
	v_mov_b32_e32 v27, v12
	v_pk_add_f32 v[12:13], v[28:29], v[26:27] neg_lo:[0,1] neg_hi:[0,1]
	v_cmp_eq_f32_e32 vcc, s10, v21
	v_add_f32_e32 v13, v32, v13
	v_add_f32_e32 v12, v12, v13
	;; [unrolled: 1-line block ×3, first 2 shown]
	v_mul_f32_e32 v32, v31, v13
	v_mul_f32_e32 v14, v30, v32
	v_fma_f32 v26, v32, v30, -v14
	v_fmac_f32_e32 v26, v32, v24
	v_sub_f32_e32 v15, v15, v13
	v_add_f32_e32 v24, v12, v15
	v_add_f32_e32 v12, v14, v26
	v_sub_f32_e32 v15, v13, v12
	v_pk_add_f32 v[28:29], v[12:13], v[14:15] neg_lo:[0,1] neg_hi:[0,1]
	v_mov_b32_e32 v27, v12
	v_pk_add_f32 v[12:13], v[28:29], v[26:27] neg_lo:[0,1] neg_hi:[0,1]
	scratch_load_dwordx2 v[28:29], off, off offset:168 ; 8-byte Folded Reload
	v_add_f32_e32 v13, v24, v13
	v_add_f32_e32 v12, v12, v13
	;; [unrolled: 1-line block ×4, first 2 shown]
	v_sub_f32_e32 v14, v13, v33
	v_mul_f32_e32 v12, v31, v12
	v_sub_f32_e32 v14, v32, v14
	v_add_f32_e32 v14, v14, v12
	v_add_f32_e32 v24, v13, v14
	v_mul_f32_e32 v26, v24, v24
	v_mov_b32_e32 v12, 0x3ecc95a3
	v_fmamk_f32 v12, v26, 0x3e9b6dac, v12
	s_waitcnt vmcnt(0)
	v_fmaak_f32 v29, v26, v12, 0x3f2aaada
	v_cvt_f32_i32_e32 v12, v19
	v_sub_f32_e32 v13, v24, v13
	v_sub_f32_e32 v13, v14, v13
	v_ldexp_f32 v19, v13, 1
	v_mul_f32_e32 v13, v24, v26
	v_ldexp_f32 v15, v24, 1
	s_or_b64 vcc, s[2:3], vcc
	v_mov_b32_e32 v14, v28
	v_pk_mul_f32 v[26:27], v[12:13], v[28:29]
	scratch_store_dwordx2 off, v[14:15], off offset:168 ; 8-byte Folded Spill
	v_fma_f32 v14, v12, s33, -v26
	v_fmac_f32_e32 v14, 0xb102e308, v12
	v_pk_add_f32 v[12:13], v[26:27], v[14:15]
	v_mov_b32_e32 v28, v26
	v_sub_f32_e32 v15, v13, v15
	v_sub_f32_e32 v15, v27, v15
	v_add_f32_e32 v29, v19, v15
	v_pk_add_f32 v[26:27], v[12:13], v[26:27] neg_lo:[0,1] neg_hi:[0,1]
	v_pk_add_f32 v[30:31], v[12:13], v[28:29]
	v_mov_b32_e32 v15, v12
	v_mov_b32_e32 v27, v31
	v_pk_add_f32 v[32:33], v[14:15], v[26:27] neg_lo:[0,1] neg_hi:[0,1]
	v_pk_add_f32 v[14:15], v[14:15], v[26:27]
	s_nop 0
	v_mov_b32_e32 v24, v15
	v_pk_add_f32 v[26:27], v[24:25], v[12:13] neg_lo:[0,1] neg_hi:[0,1]
	v_mov_b32_e32 v14, v31
	v_mov_b32_e32 v19, v26
	v_pk_add_f32 v[34:35], v[30:31], v[18:19] neg_lo:[0,1] neg_hi:[0,1]
	v_mov_b32_e32 v30, v13
	v_mov_b32_e32 v31, v26
	;; [unrolled: 1-line block ×3, first 2 shown]
	v_pk_add_f32 v[14:15], v[14:15], v[30:31] neg_lo:[0,1] neg_hi:[0,1]
	v_mov_b32_e32 v26, v29
	v_mov_b32_e32 v27, v12
	v_pk_add_f32 v[12:13], v[26:27], v[14:15] neg_lo:[0,1] neg_hi:[0,1]
	v_mov_b32_e32 v34, v32
	v_pk_add_f32 v[14:15], v[34:35], v[12:13]
	s_nop 0
	v_mov_b32_e32 v26, v15
	v_pk_add_f32 v[26:27], v[14:15], v[26:27]
	s_nop 0
	v_pk_add_f32 v[28:29], v[24:25], v[26:27]
	v_mov_b32_e32 v13, v26
	v_mov_b32_e32 v15, v28
	v_pk_add_f32 v[30:31], v[14:15], v[32:33] neg_lo:[0,1] neg_hi:[0,1]
	s_nop 0
	v_sub_f32_e32 v14, v14, v30
	v_pk_add_f32 v[12:13], v[12:13], v[30:31] neg_lo:[0,1] neg_hi:[0,1]
	v_sub_f32_e32 v14, v32, v14
	v_add_f32_e32 v12, v12, v14
	v_add_f32_e32 v12, v12, v13
	v_add_f32_e32 v12, v28, v12
	v_cndmask_b32_e32 v66, v12, v21, vcc
.LBB21_93:                              ;   in Loop: Header=BB21_13 Depth=1
	s_or_b64 exec, exec, s[52:53]
	v_and_b32_e32 v8, 0xffff0000, v8
	v_readlane_b32 s0, v95, 2
	s_nop 1
	v_add_f32_e32 v67, s0, v8
	v_cmp_ge_f32_e32 vcc, s4, v67
	s_and_b64 s[2:3], s[6:7], vcc
	s_and_saveexec_b64 s[52:53], s[2:3]
	s_cbranch_execz .LBB21_95
; %bb.94:                               ;   in Loop: Header=BB21_13 Depth=1
	v_mul_f32_e32 v8, 0x3fb8aa3b, v67
	v_rndne_f32_e32 v12, v8
	v_sub_f32_e32 v13, v8, v12
	v_fma_f32 v8, v67, s5, -v8
	v_fmac_f32_e32 v8, 0x32a5705f, v67
	v_add_f32_e32 v8, v13, v8
	v_cvt_i32_f32_e32 v12, v12
	v_exp_f32_e32 v8, v8
	v_cmp_ngt_f32_e32 vcc, s8, v67
	v_ldexp_f32 v8, v8, v12
	s_nop 0
	v_cndmask_b32_e32 v8, 0, v8, vcc
	v_cmp_nlt_f32_e32 vcc, s9, v67
	s_nop 1
	v_cndmask_b32_e32 v21, v39, v8, vcc
	v_add_f32_e32 v8, 1.0, v21
	v_add_f32_e32 v12, -1.0, v8
	v_sub_f32_e32 v13, v12, v8
	v_add_f32_e32 v13, 1.0, v13
	v_sub_f32_e32 v12, v21, v12
	v_add_f32_e32 v14, v12, v13
	v_frexp_mant_f32_e32 v15, v8
	v_cvt_f64_f32_e32 v[12:13], v8
	v_frexp_exp_i32_f64_e32 v12, v[12:13]
	v_cmp_gt_f32_e32 vcc, s11, v15
	v_cmp_gt_f32_e64 s[2:3], s54, v21
	s_nop 0
	v_subbrev_co_u32_e32 v19, vcc, 0, v12, vcc
	v_sub_u32_e32 v12, 0, v19
	v_ldexp_f32 v8, v8, v12
	v_ldexp_f32 v12, v14, v12
	v_add_f32_e32 v14, -1.0, v8
	v_add_f32_e32 v13, 1.0, v14
	v_sub_f32_e32 v13, v8, v13
	v_add_f32_e32 v15, v12, v13
	v_add_f32_e32 v13, 1.0, v8
	v_add_f32_e32 v24, -1.0, v13
	v_sub_f32_e32 v8, v8, v24
	v_add_f32_e32 v8, v12, v8
	v_add_f32_e32 v24, v13, v8
	v_rcp_f32_e32 v30, v24
	v_sub_f32_e32 v12, v13, v24
	v_add_f32_e32 v13, v14, v15
	v_add_f32_e32 v8, v8, v12
	v_mul_f32_e32 v32, v13, v30
	v_sub_f32_e32 v12, v14, v13
	v_mul_f32_e32 v14, v24, v32
	v_fma_f32 v26, v32, v24, -v14
	v_fmac_f32_e32 v26, v32, v8
	v_add_f32_e32 v31, v15, v12
	v_add_f32_e32 v12, v14, v26
	v_sub_f32_e32 v15, v13, v12
	v_pk_add_f32 v[28:29], v[12:13], v[14:15] neg_lo:[0,1] neg_hi:[0,1]
	v_mov_b32_e32 v27, v12
	v_pk_add_f32 v[12:13], v[28:29], v[26:27] neg_lo:[0,1] neg_hi:[0,1]
	v_cmp_eq_f32_e32 vcc, s10, v21
	v_add_f32_e32 v13, v31, v13
	v_add_f32_e32 v12, v12, v13
	;; [unrolled: 1-line block ×3, first 2 shown]
	v_mul_f32_e32 v31, v30, v13
	v_mul_f32_e32 v14, v24, v31
	v_fma_f32 v26, v31, v24, -v14
	v_fmac_f32_e32 v26, v31, v8
	v_sub_f32_e32 v8, v15, v13
	v_add_f32_e32 v8, v12, v8
	v_add_f32_e32 v12, v14, v26
	v_sub_f32_e32 v15, v13, v12
	v_pk_add_f32 v[28:29], v[12:13], v[14:15] neg_lo:[0,1] neg_hi:[0,1]
	v_mov_b32_e32 v27, v12
	v_pk_add_f32 v[12:13], v[28:29], v[26:27] neg_lo:[0,1] neg_hi:[0,1]
	scratch_load_dwordx2 v[26:27], off, off offset:168 ; 8-byte Folded Reload
	v_add_f32_e32 v8, v8, v13
	v_add_f32_e32 v8, v12, v8
	;; [unrolled: 1-line block ×4, first 2 shown]
	v_sub_f32_e32 v12, v13, v32
	v_mul_f32_e32 v8, v30, v8
	v_sub_f32_e32 v12, v31, v12
	v_add_f32_e32 v8, v12, v8
	v_add_f32_e32 v14, v13, v8
	v_mul_f32_e32 v24, v14, v14
	v_mov_b32_e32 v12, 0x3ecc95a3
	v_fmamk_f32 v12, v24, 0x3e9b6dac, v12
	s_waitcnt vmcnt(0)
	v_fmaak_f32 v27, v24, v12, 0x3f2aaada
	v_cvt_f32_i32_e32 v12, v19
	v_sub_f32_e32 v13, v14, v13
	v_sub_f32_e32 v8, v8, v13
	v_mul_f32_e32 v13, v14, v24
	v_ldexp_f32 v15, v14, 1
	v_ldexp_f32 v8, v8, 1
	s_or_b64 vcc, s[2:3], vcc
	v_mov_b32_e32 v14, v26
	v_pk_mul_f32 v[26:27], v[12:13], v[26:27]
	scratch_store_dwordx2 off, v[14:15], off offset:168 ; 8-byte Folded Spill
	v_fma_f32 v14, v12, s33, -v26
	v_fmac_f32_e32 v14, 0xb102e308, v12
	v_pk_add_f32 v[12:13], v[26:27], v[14:15]
	v_mov_b32_e32 v28, v26
	v_sub_f32_e32 v15, v13, v15
	v_sub_f32_e32 v15, v27, v15
	v_add_f32_e32 v29, v8, v15
	v_pk_add_f32 v[26:27], v[12:13], v[26:27] neg_lo:[0,1] neg_hi:[0,1]
	v_pk_add_f32 v[30:31], v[12:13], v[28:29]
	v_mov_b32_e32 v15, v12
	v_mov_b32_e32 v27, v31
	v_pk_add_f32 v[32:33], v[14:15], v[26:27] neg_lo:[0,1] neg_hi:[0,1]
	v_pk_add_f32 v[14:15], v[14:15], v[26:27]
	s_nop 0
	v_mov_b32_e32 v8, v15
	v_pk_add_f32 v[26:27], v[8:9], v[12:13] neg_lo:[0,1] neg_hi:[0,1]
	v_mov_b32_e32 v14, v31
	v_mov_b32_e32 v19, v26
	v_pk_add_f32 v[34:35], v[30:31], v[18:19] neg_lo:[0,1] neg_hi:[0,1]
	v_mov_b32_e32 v30, v13
	v_mov_b32_e32 v31, v26
	;; [unrolled: 1-line block ×3, first 2 shown]
	v_pk_add_f32 v[14:15], v[14:15], v[30:31] neg_lo:[0,1] neg_hi:[0,1]
	v_mov_b32_e32 v26, v29
	v_mov_b32_e32 v27, v12
	v_pk_add_f32 v[12:13], v[26:27], v[14:15] neg_lo:[0,1] neg_hi:[0,1]
	v_mov_b32_e32 v34, v32
	v_pk_add_f32 v[14:15], v[34:35], v[12:13]
	s_nop 0
	v_mov_b32_e32 v24, v15
	v_pk_add_f32 v[26:27], v[14:15], v[24:25]
	s_nop 0
	v_pk_add_f32 v[28:29], v[8:9], v[26:27]
	v_mov_b32_e32 v13, v26
	v_mov_b32_e32 v15, v28
	v_pk_add_f32 v[30:31], v[14:15], v[32:33] neg_lo:[0,1] neg_hi:[0,1]
	s_nop 0
	v_sub_f32_e32 v8, v14, v30
	v_pk_add_f32 v[12:13], v[12:13], v[30:31] neg_lo:[0,1] neg_hi:[0,1]
	v_sub_f32_e32 v8, v32, v8
	v_add_f32_e32 v8, v12, v8
	v_add_f32_e32 v8, v8, v13
	;; [unrolled: 1-line block ×3, first 2 shown]
	v_cndmask_b32_e32 v67, v8, v21, vcc
.LBB21_95:                              ;   in Loop: Header=BB21_13 Depth=1
	s_or_b64 exec, exec, s[52:53]
	v_lshlrev_b32_e32 v8, 16, v9
	v_readlane_b32 s0, v95, 2
	s_nop 1
	v_add_f32_e32 v68, s0, v8
	v_cmp_ge_f32_e32 vcc, s4, v68
	s_and_b64 s[2:3], s[6:7], vcc
	s_and_saveexec_b64 s[52:53], s[2:3]
	s_cbranch_execz .LBB21_97
; %bb.96:                               ;   in Loop: Header=BB21_13 Depth=1
	v_mul_f32_e32 v8, 0x3fb8aa3b, v68
	v_rndne_f32_e32 v12, v8
	v_sub_f32_e32 v13, v8, v12
	v_fma_f32 v8, v68, s5, -v8
	v_fmac_f32_e32 v8, 0x32a5705f, v68
	v_add_f32_e32 v8, v13, v8
	v_cvt_i32_f32_e32 v12, v12
	v_exp_f32_e32 v8, v8
	v_cmp_ngt_f32_e32 vcc, s8, v68
	v_ldexp_f32 v8, v8, v12
	s_nop 0
	v_cndmask_b32_e32 v8, 0, v8, vcc
	v_cmp_nlt_f32_e32 vcc, s9, v68
	s_nop 1
	v_cndmask_b32_e32 v21, v39, v8, vcc
	v_add_f32_e32 v8, 1.0, v21
	v_add_f32_e32 v12, -1.0, v8
	v_sub_f32_e32 v13, v12, v8
	v_add_f32_e32 v13, 1.0, v13
	v_sub_f32_e32 v12, v21, v12
	v_add_f32_e32 v14, v12, v13
	v_frexp_mant_f32_e32 v15, v8
	v_cvt_f64_f32_e32 v[12:13], v8
	v_frexp_exp_i32_f64_e32 v12, v[12:13]
	v_cmp_gt_f32_e32 vcc, s11, v15
	v_cmp_gt_f32_e64 s[2:3], s54, v21
	s_nop 0
	v_subbrev_co_u32_e32 v19, vcc, 0, v12, vcc
	v_sub_u32_e32 v12, 0, v19
	v_ldexp_f32 v8, v8, v12
	v_ldexp_f32 v12, v14, v12
	v_add_f32_e32 v14, -1.0, v8
	v_add_f32_e32 v13, 1.0, v14
	v_sub_f32_e32 v13, v8, v13
	v_add_f32_e32 v15, v12, v13
	v_add_f32_e32 v13, 1.0, v8
	v_add_f32_e32 v24, -1.0, v13
	v_sub_f32_e32 v8, v8, v24
	v_add_f32_e32 v8, v12, v8
	v_add_f32_e32 v24, v13, v8
	v_rcp_f32_e32 v30, v24
	v_sub_f32_e32 v12, v13, v24
	v_add_f32_e32 v13, v14, v15
	v_add_f32_e32 v8, v8, v12
	v_mul_f32_e32 v32, v13, v30
	v_sub_f32_e32 v12, v14, v13
	v_mul_f32_e32 v14, v24, v32
	v_fma_f32 v26, v32, v24, -v14
	v_fmac_f32_e32 v26, v32, v8
	v_add_f32_e32 v31, v15, v12
	v_add_f32_e32 v12, v14, v26
	v_sub_f32_e32 v15, v13, v12
	v_pk_add_f32 v[28:29], v[12:13], v[14:15] neg_lo:[0,1] neg_hi:[0,1]
	v_mov_b32_e32 v27, v12
	v_pk_add_f32 v[12:13], v[28:29], v[26:27] neg_lo:[0,1] neg_hi:[0,1]
	v_cmp_eq_f32_e32 vcc, s10, v21
	v_add_f32_e32 v13, v31, v13
	v_add_f32_e32 v12, v12, v13
	;; [unrolled: 1-line block ×3, first 2 shown]
	v_mul_f32_e32 v31, v30, v13
	v_mul_f32_e32 v14, v24, v31
	v_fma_f32 v26, v31, v24, -v14
	v_fmac_f32_e32 v26, v31, v8
	v_sub_f32_e32 v8, v15, v13
	v_add_f32_e32 v8, v12, v8
	v_add_f32_e32 v12, v14, v26
	v_sub_f32_e32 v15, v13, v12
	v_pk_add_f32 v[28:29], v[12:13], v[14:15] neg_lo:[0,1] neg_hi:[0,1]
	v_mov_b32_e32 v27, v12
	v_pk_add_f32 v[12:13], v[28:29], v[26:27] neg_lo:[0,1] neg_hi:[0,1]
	scratch_load_dwordx2 v[26:27], off, off offset:168 ; 8-byte Folded Reload
	v_add_f32_e32 v8, v8, v13
	v_add_f32_e32 v8, v12, v8
	;; [unrolled: 1-line block ×4, first 2 shown]
	v_sub_f32_e32 v12, v13, v32
	v_mul_f32_e32 v8, v30, v8
	v_sub_f32_e32 v12, v31, v12
	v_add_f32_e32 v8, v12, v8
	v_add_f32_e32 v14, v13, v8
	v_mul_f32_e32 v24, v14, v14
	v_mov_b32_e32 v12, 0x3ecc95a3
	v_fmamk_f32 v12, v24, 0x3e9b6dac, v12
	s_waitcnt vmcnt(0)
	v_fmaak_f32 v27, v24, v12, 0x3f2aaada
	v_cvt_f32_i32_e32 v12, v19
	v_sub_f32_e32 v13, v14, v13
	v_sub_f32_e32 v8, v8, v13
	v_mul_f32_e32 v13, v14, v24
	v_ldexp_f32 v15, v14, 1
	v_ldexp_f32 v8, v8, 1
	s_or_b64 vcc, s[2:3], vcc
	v_mov_b32_e32 v14, v26
	v_pk_mul_f32 v[26:27], v[12:13], v[26:27]
	scratch_store_dwordx2 off, v[14:15], off offset:168 ; 8-byte Folded Spill
	v_fma_f32 v14, v12, s33, -v26
	v_fmac_f32_e32 v14, 0xb102e308, v12
	v_pk_add_f32 v[12:13], v[26:27], v[14:15]
	v_mov_b32_e32 v28, v26
	v_sub_f32_e32 v15, v13, v15
	v_sub_f32_e32 v15, v27, v15
	v_add_f32_e32 v29, v8, v15
	v_pk_add_f32 v[26:27], v[12:13], v[26:27] neg_lo:[0,1] neg_hi:[0,1]
	v_pk_add_f32 v[30:31], v[12:13], v[28:29]
	v_mov_b32_e32 v15, v12
	v_mov_b32_e32 v27, v31
	v_pk_add_f32 v[32:33], v[14:15], v[26:27] neg_lo:[0,1] neg_hi:[0,1]
	v_pk_add_f32 v[14:15], v[14:15], v[26:27]
	s_nop 0
	v_mov_b32_e32 v8, v15
	v_pk_add_f32 v[26:27], v[8:9], v[12:13] neg_lo:[0,1] neg_hi:[0,1]
	v_mov_b32_e32 v14, v31
	v_mov_b32_e32 v19, v26
	v_pk_add_f32 v[34:35], v[30:31], v[18:19] neg_lo:[0,1] neg_hi:[0,1]
	v_mov_b32_e32 v30, v13
	v_mov_b32_e32 v31, v26
	v_mov_b32_e32 v33, v15
	v_pk_add_f32 v[14:15], v[14:15], v[30:31] neg_lo:[0,1] neg_hi:[0,1]
	v_mov_b32_e32 v26, v29
	v_mov_b32_e32 v27, v12
	v_pk_add_f32 v[12:13], v[26:27], v[14:15] neg_lo:[0,1] neg_hi:[0,1]
	v_mov_b32_e32 v34, v32
	v_pk_add_f32 v[14:15], v[34:35], v[12:13]
	s_nop 0
	v_mov_b32_e32 v24, v15
	v_pk_add_f32 v[26:27], v[14:15], v[24:25]
	s_nop 0
	v_pk_add_f32 v[28:29], v[8:9], v[26:27]
	v_mov_b32_e32 v13, v26
	v_mov_b32_e32 v15, v28
	v_pk_add_f32 v[30:31], v[14:15], v[32:33] neg_lo:[0,1] neg_hi:[0,1]
	s_nop 0
	v_sub_f32_e32 v8, v14, v30
	v_pk_add_f32 v[12:13], v[12:13], v[30:31] neg_lo:[0,1] neg_hi:[0,1]
	v_sub_f32_e32 v8, v32, v8
	v_add_f32_e32 v8, v12, v8
	v_add_f32_e32 v8, v8, v13
	;; [unrolled: 1-line block ×3, first 2 shown]
	v_cndmask_b32_e32 v68, v8, v21, vcc
.LBB21_97:                              ;   in Loop: Header=BB21_13 Depth=1
	s_or_b64 exec, exec, s[52:53]
	v_and_b32_e32 v8, 0xffff0000, v9
	v_readlane_b32 s0, v95, 2
	s_nop 1
	v_add_f32_e32 v69, s0, v8
	v_cmp_ge_f32_e32 vcc, s4, v69
	s_and_b64 s[2:3], s[6:7], vcc
	s_and_saveexec_b64 s[52:53], s[2:3]
	s_cbranch_execz .LBB21_99
; %bb.98:                               ;   in Loop: Header=BB21_13 Depth=1
	v_mul_f32_e32 v8, 0x3fb8aa3b, v69
	v_rndne_f32_e32 v9, v8
	v_sub_f32_e32 v12, v8, v9
	v_fma_f32 v8, v69, s5, -v8
	v_fmac_f32_e32 v8, 0x32a5705f, v69
	v_add_f32_e32 v8, v12, v8
	v_cvt_i32_f32_e32 v9, v9
	v_exp_f32_e32 v8, v8
	v_cmp_ngt_f32_e32 vcc, s8, v69
	v_ldexp_f32 v8, v8, v9
	s_nop 0
	v_cndmask_b32_e32 v8, 0, v8, vcc
	v_cmp_nlt_f32_e32 vcc, s9, v69
	s_nop 1
	v_cndmask_b32_e32 v19, v39, v8, vcc
	v_add_f32_e32 v12, 1.0, v19
	v_add_f32_e32 v8, -1.0, v12
	v_sub_f32_e32 v9, v8, v12
	v_add_f32_e32 v9, 1.0, v9
	v_sub_f32_e32 v8, v19, v8
	v_add_f32_e32 v13, v8, v9
	v_frexp_mant_f32_e32 v14, v12
	v_cvt_f64_f32_e32 v[8:9], v12
	v_frexp_exp_i32_f64_e32 v8, v[8:9]
	v_cmp_gt_f32_e32 vcc, s11, v14
	v_cmp_gt_f32_e64 s[2:3], s54, v19
	s_nop 0
	v_subbrev_co_u32_e32 v21, vcc, 0, v8, vcc
	v_sub_u32_e32 v8, 0, v21
	v_ldexp_f32 v9, v12, v8
	v_add_f32_e32 v12, -1.0, v9
	v_add_f32_e32 v14, 1.0, v9
	v_ldexp_f32 v8, v13, v8
	v_add_f32_e32 v13, 1.0, v12
	v_add_f32_e32 v15, -1.0, v14
	v_sub_f32_e32 v13, v9, v13
	v_sub_f32_e32 v9, v9, v15
	v_add_f32_e32 v13, v8, v13
	v_add_f32_e32 v8, v8, v9
	;; [unrolled: 1-line block ×3, first 2 shown]
	v_rcp_f32_e32 v29, v24
	v_sub_f32_e32 v9, v14, v24
	v_add_f32_e32 v28, v8, v9
	v_add_f32_e32 v9, v12, v13
	v_mul_f32_e32 v31, v9, v29
	v_sub_f32_e32 v8, v12, v9
	v_mul_f32_e32 v12, v24, v31
	v_fma_f32 v14, v31, v24, -v12
	v_fmac_f32_e32 v14, v31, v28
	v_add_f32_e32 v30, v13, v8
	v_add_f32_e32 v8, v12, v14
	v_sub_f32_e32 v13, v9, v8
	v_pk_add_f32 v[26:27], v[8:9], v[12:13] neg_lo:[0,1] neg_hi:[0,1]
	v_mov_b32_e32 v15, v8
	v_pk_add_f32 v[8:9], v[26:27], v[14:15] neg_lo:[0,1] neg_hi:[0,1]
	v_cmp_eq_f32_e32 vcc, s10, v19
	v_add_f32_e32 v9, v30, v9
	v_add_f32_e32 v8, v8, v9
	;; [unrolled: 1-line block ×3, first 2 shown]
	v_mul_f32_e32 v30, v29, v9
	v_mul_f32_e32 v12, v24, v30
	v_fma_f32 v14, v30, v24, -v12
	v_fmac_f32_e32 v14, v30, v28
	v_sub_f32_e32 v13, v13, v9
	v_add_f32_e32 v24, v8, v13
	v_add_f32_e32 v8, v12, v14
	v_sub_f32_e32 v13, v9, v8
	v_pk_add_f32 v[26:27], v[8:9], v[12:13] neg_lo:[0,1] neg_hi:[0,1]
	v_mov_b32_e32 v15, v8
	v_pk_add_f32 v[8:9], v[26:27], v[14:15] neg_lo:[0,1] neg_hi:[0,1]
	scratch_load_dwordx2 v[26:27], off, off offset:168 ; 8-byte Folded Reload
	v_add_f32_e32 v9, v24, v9
	v_add_f32_e32 v8, v8, v9
	v_add_f32_e32 v9, v31, v30
	v_add_f32_e32 v8, v13, v8
	v_sub_f32_e32 v12, v9, v31
	v_mul_f32_e32 v8, v29, v8
	v_sub_f32_e32 v12, v30, v12
	v_add_f32_e32 v12, v12, v8
	v_add_f32_e32 v14, v9, v12
	v_mul_f32_e32 v15, v14, v14
	v_mov_b32_e32 v8, 0x3ecc95a3
	v_fmamk_f32 v8, v15, 0x3e9b6dac, v8
	s_waitcnt vmcnt(0)
	v_fmaak_f32 v27, v15, v8, 0x3f2aaada
	v_cvt_f32_i32_e32 v8, v21
	v_sub_f32_e32 v9, v14, v9
	v_sub_f32_e32 v9, v12, v9
	v_ldexp_f32 v21, v9, 1
	v_mul_f32_e32 v9, v14, v15
	v_ldexp_f32 v13, v14, 1
	s_or_b64 vcc, s[2:3], vcc
	v_mov_b32_e32 v12, v26
	v_pk_mul_f32 v[14:15], v[8:9], v[26:27]
	scratch_store_dwordx2 off, v[12:13], off offset:168 ; 8-byte Folded Spill
	v_fma_f32 v12, v8, s33, -v14
	v_fmac_f32_e32 v12, 0xb102e308, v8
	v_pk_add_f32 v[8:9], v[14:15], v[12:13]
	v_mov_b32_e32 v26, v14
	v_sub_f32_e32 v13, v9, v13
	v_sub_f32_e32 v13, v15, v13
	v_add_f32_e32 v27, v21, v13
	v_pk_add_f32 v[14:15], v[8:9], v[14:15] neg_lo:[0,1] neg_hi:[0,1]
	v_pk_add_f32 v[28:29], v[8:9], v[26:27]
	v_mov_b32_e32 v13, v8
	v_mov_b32_e32 v15, v29
	v_pk_add_f32 v[30:31], v[12:13], v[14:15] neg_lo:[0,1] neg_hi:[0,1]
	v_pk_add_f32 v[12:13], v[12:13], v[14:15]
	v_mov_b32_e32 v26, v27
	v_mov_b32_e32 v14, v13
	v_pk_add_f32 v[32:33], v[14:15], v[8:9] neg_lo:[0,1] neg_hi:[0,1]
	v_mov_b32_e32 v12, v29
	v_mov_b32_e32 v15, v32
	v_pk_add_f32 v[34:35], v[28:29], v[14:15] neg_lo:[0,1] neg_hi:[0,1]
	v_mov_b32_e32 v28, v9
	v_mov_b32_e32 v29, v32
	v_mov_b32_e32 v31, v13
	v_pk_add_f32 v[12:13], v[12:13], v[28:29] neg_lo:[0,1] neg_hi:[0,1]
	v_mov_b32_e32 v27, v8
	v_pk_add_f32 v[8:9], v[26:27], v[12:13] neg_lo:[0,1] neg_hi:[0,1]
	v_mov_b32_e32 v34, v30
	v_pk_add_f32 v[12:13], v[34:35], v[8:9]
	s_nop 0
	v_mov_b32_e32 v24, v13
	v_pk_add_f32 v[26:27], v[12:13], v[24:25]
	s_nop 0
	v_pk_add_f32 v[14:15], v[14:15], v[26:27]
	v_mov_b32_e32 v9, v26
	v_mov_b32_e32 v13, v14
	v_pk_add_f32 v[28:29], v[12:13], v[30:31] neg_lo:[0,1] neg_hi:[0,1]
	s_nop 0
	v_sub_f32_e32 v12, v12, v28
	v_pk_add_f32 v[8:9], v[8:9], v[28:29] neg_lo:[0,1] neg_hi:[0,1]
	v_sub_f32_e32 v12, v30, v12
	v_add_f32_e32 v8, v8, v12
	v_add_f32_e32 v8, v8, v9
	;; [unrolled: 1-line block ×3, first 2 shown]
	v_cndmask_b32_e32 v69, v8, v19, vcc
.LBB21_99:                              ;   in Loop: Header=BB21_13 Depth=1
	s_or_b64 exec, exec, s[52:53]
	v_lshlrev_b32_e32 v8, 16, v10
	v_readlane_b32 s0, v95, 2
	s_nop 1
	v_add_f32_e32 v70, s0, v8
	v_cmp_ge_f32_e32 vcc, s4, v70
	s_and_b64 s[2:3], s[6:7], vcc
	s_and_saveexec_b64 s[52:53], s[2:3]
	s_cbranch_execz .LBB21_101
; %bb.100:                              ;   in Loop: Header=BB21_13 Depth=1
	v_mul_f32_e32 v8, 0x3fb8aa3b, v70
	v_rndne_f32_e32 v9, v8
	v_sub_f32_e32 v12, v8, v9
	v_fma_f32 v8, v70, s5, -v8
	v_fmac_f32_e32 v8, 0x32a5705f, v70
	v_add_f32_e32 v8, v12, v8
	v_cvt_i32_f32_e32 v9, v9
	v_exp_f32_e32 v8, v8
	v_cmp_ngt_f32_e32 vcc, s8, v70
	v_ldexp_f32 v8, v8, v9
	s_nop 0
	v_cndmask_b32_e32 v8, 0, v8, vcc
	v_cmp_nlt_f32_e32 vcc, s9, v70
	s_nop 1
	v_cndmask_b32_e32 v19, v39, v8, vcc
	v_add_f32_e32 v12, 1.0, v19
	v_add_f32_e32 v8, -1.0, v12
	v_sub_f32_e32 v9, v8, v12
	v_add_f32_e32 v9, 1.0, v9
	v_sub_f32_e32 v8, v19, v8
	v_add_f32_e32 v13, v8, v9
	v_frexp_mant_f32_e32 v14, v12
	v_cvt_f64_f32_e32 v[8:9], v12
	v_frexp_exp_i32_f64_e32 v8, v[8:9]
	v_cmp_gt_f32_e32 vcc, s11, v14
	v_cmp_gt_f32_e64 s[2:3], s54, v19
	s_nop 0
	v_subbrev_co_u32_e32 v21, vcc, 0, v8, vcc
	v_sub_u32_e32 v8, 0, v21
	v_ldexp_f32 v9, v12, v8
	v_add_f32_e32 v12, -1.0, v9
	v_add_f32_e32 v14, 1.0, v9
	v_ldexp_f32 v8, v13, v8
	v_add_f32_e32 v13, 1.0, v12
	v_add_f32_e32 v15, -1.0, v14
	v_sub_f32_e32 v13, v9, v13
	v_sub_f32_e32 v9, v9, v15
	v_add_f32_e32 v13, v8, v13
	v_add_f32_e32 v8, v8, v9
	;; [unrolled: 1-line block ×3, first 2 shown]
	v_rcp_f32_e32 v29, v24
	v_sub_f32_e32 v9, v14, v24
	v_add_f32_e32 v28, v8, v9
	v_add_f32_e32 v9, v12, v13
	v_mul_f32_e32 v31, v9, v29
	v_sub_f32_e32 v8, v12, v9
	v_mul_f32_e32 v12, v24, v31
	v_fma_f32 v14, v31, v24, -v12
	v_fmac_f32_e32 v14, v31, v28
	v_add_f32_e32 v30, v13, v8
	v_add_f32_e32 v8, v12, v14
	v_sub_f32_e32 v13, v9, v8
	v_pk_add_f32 v[26:27], v[8:9], v[12:13] neg_lo:[0,1] neg_hi:[0,1]
	v_mov_b32_e32 v15, v8
	v_pk_add_f32 v[8:9], v[26:27], v[14:15] neg_lo:[0,1] neg_hi:[0,1]
	v_cmp_eq_f32_e32 vcc, s10, v19
	v_add_f32_e32 v9, v30, v9
	v_add_f32_e32 v8, v8, v9
	;; [unrolled: 1-line block ×3, first 2 shown]
	v_mul_f32_e32 v30, v29, v9
	v_mul_f32_e32 v12, v24, v30
	v_fma_f32 v14, v30, v24, -v12
	v_fmac_f32_e32 v14, v30, v28
	v_sub_f32_e32 v13, v13, v9
	v_add_f32_e32 v24, v8, v13
	v_add_f32_e32 v8, v12, v14
	v_sub_f32_e32 v13, v9, v8
	v_pk_add_f32 v[26:27], v[8:9], v[12:13] neg_lo:[0,1] neg_hi:[0,1]
	v_mov_b32_e32 v15, v8
	v_pk_add_f32 v[8:9], v[26:27], v[14:15] neg_lo:[0,1] neg_hi:[0,1]
	scratch_load_dwordx2 v[26:27], off, off offset:168 ; 8-byte Folded Reload
	v_add_f32_e32 v9, v24, v9
	v_add_f32_e32 v8, v8, v9
	;; [unrolled: 1-line block ×4, first 2 shown]
	v_sub_f32_e32 v12, v9, v31
	v_mul_f32_e32 v8, v29, v8
	v_sub_f32_e32 v12, v30, v12
	v_add_f32_e32 v12, v12, v8
	v_add_f32_e32 v14, v9, v12
	v_mul_f32_e32 v15, v14, v14
	v_mov_b32_e32 v8, 0x3ecc95a3
	v_fmamk_f32 v8, v15, 0x3e9b6dac, v8
	s_waitcnt vmcnt(0)
	v_fmaak_f32 v27, v15, v8, 0x3f2aaada
	v_cvt_f32_i32_e32 v8, v21
	v_sub_f32_e32 v9, v14, v9
	v_sub_f32_e32 v9, v12, v9
	v_ldexp_f32 v21, v9, 1
	v_mul_f32_e32 v9, v14, v15
	v_ldexp_f32 v13, v14, 1
	s_or_b64 vcc, s[2:3], vcc
	v_mov_b32_e32 v12, v26
	v_pk_mul_f32 v[14:15], v[8:9], v[26:27]
	scratch_store_dwordx2 off, v[12:13], off offset:168 ; 8-byte Folded Spill
	v_fma_f32 v12, v8, s33, -v14
	v_fmac_f32_e32 v12, 0xb102e308, v8
	v_pk_add_f32 v[8:9], v[14:15], v[12:13]
	v_mov_b32_e32 v26, v14
	v_sub_f32_e32 v13, v9, v13
	v_sub_f32_e32 v13, v15, v13
	v_add_f32_e32 v27, v21, v13
	v_pk_add_f32 v[14:15], v[8:9], v[14:15] neg_lo:[0,1] neg_hi:[0,1]
	v_pk_add_f32 v[28:29], v[8:9], v[26:27]
	v_mov_b32_e32 v13, v8
	v_mov_b32_e32 v15, v29
	v_pk_add_f32 v[30:31], v[12:13], v[14:15] neg_lo:[0,1] neg_hi:[0,1]
	v_pk_add_f32 v[12:13], v[12:13], v[14:15]
	v_mov_b32_e32 v26, v27
	v_mov_b32_e32 v14, v13
	v_pk_add_f32 v[32:33], v[14:15], v[8:9] neg_lo:[0,1] neg_hi:[0,1]
	v_mov_b32_e32 v12, v29
	v_mov_b32_e32 v15, v32
	v_pk_add_f32 v[34:35], v[28:29], v[14:15] neg_lo:[0,1] neg_hi:[0,1]
	v_mov_b32_e32 v28, v9
	v_mov_b32_e32 v29, v32
	;; [unrolled: 1-line block ×3, first 2 shown]
	v_pk_add_f32 v[12:13], v[12:13], v[28:29] neg_lo:[0,1] neg_hi:[0,1]
	v_mov_b32_e32 v27, v8
	v_pk_add_f32 v[8:9], v[26:27], v[12:13] neg_lo:[0,1] neg_hi:[0,1]
	v_mov_b32_e32 v34, v30
	v_pk_add_f32 v[12:13], v[34:35], v[8:9]
	s_nop 0
	v_mov_b32_e32 v24, v13
	v_pk_add_f32 v[26:27], v[12:13], v[24:25]
	s_nop 0
	v_pk_add_f32 v[14:15], v[14:15], v[26:27]
	v_mov_b32_e32 v9, v26
	v_mov_b32_e32 v13, v14
	v_pk_add_f32 v[28:29], v[12:13], v[30:31] neg_lo:[0,1] neg_hi:[0,1]
	s_nop 0
	v_sub_f32_e32 v12, v12, v28
	v_pk_add_f32 v[8:9], v[8:9], v[28:29] neg_lo:[0,1] neg_hi:[0,1]
	v_sub_f32_e32 v12, v30, v12
	v_add_f32_e32 v8, v8, v12
	v_add_f32_e32 v8, v8, v9
	v_add_f32_e32 v8, v14, v8
	v_cndmask_b32_e32 v70, v8, v19, vcc
.LBB21_101:                             ;   in Loop: Header=BB21_13 Depth=1
	s_or_b64 exec, exec, s[52:53]
	v_and_b32_e32 v8, 0xffff0000, v10
	v_readlane_b32 s0, v95, 2
	s_nop 1
	v_add_f32_e32 v71, s0, v8
	v_cmp_ge_f32_e32 vcc, s4, v71
	s_and_b64 s[2:3], s[6:7], vcc
	s_and_saveexec_b64 s[52:53], s[2:3]
	s_cbranch_execz .LBB21_103
; %bb.102:                              ;   in Loop: Header=BB21_13 Depth=1
	v_mul_f32_e32 v8, 0x3fb8aa3b, v71
	v_rndne_f32_e32 v9, v8
	v_sub_f32_e32 v10, v8, v9
	v_fma_f32 v8, v71, s5, -v8
	v_fmac_f32_e32 v8, 0x32a5705f, v71
	v_add_f32_e32 v8, v10, v8
	v_cvt_i32_f32_e32 v9, v9
	v_exp_f32_e32 v8, v8
	v_cmp_ngt_f32_e32 vcc, s8, v71
	v_ldexp_f32 v8, v8, v9
	s_nop 0
	v_cndmask_b32_e32 v8, 0, v8, vcc
	v_cmp_nlt_f32_e32 vcc, s9, v71
	s_nop 1
	v_cndmask_b32_e32 v19, v39, v8, vcc
	v_add_f32_e32 v10, 1.0, v19
	v_add_f32_e32 v8, -1.0, v10
	v_sub_f32_e32 v9, v8, v10
	v_add_f32_e32 v9, 1.0, v9
	v_sub_f32_e32 v8, v19, v8
	v_add_f32_e32 v12, v8, v9
	v_frexp_mant_f32_e32 v13, v10
	v_cvt_f64_f32_e32 v[8:9], v10
	v_frexp_exp_i32_f64_e32 v8, v[8:9]
	v_cmp_gt_f32_e32 vcc, s11, v13
	v_cmp_gt_f32_e64 s[2:3], s54, v19
	s_nop 0
	v_subbrev_co_u32_e32 v21, vcc, 0, v8, vcc
	v_sub_u32_e32 v8, 0, v21
	v_ldexp_f32 v9, v10, v8
	v_add_f32_e32 v10, -1.0, v9
	v_add_f32_e32 v13, 1.0, v9
	v_ldexp_f32 v8, v12, v8
	v_add_f32_e32 v12, 1.0, v10
	v_add_f32_e32 v14, -1.0, v13
	v_sub_f32_e32 v12, v9, v12
	v_sub_f32_e32 v9, v9, v14
	v_add_f32_e32 v12, v8, v12
	v_add_f32_e32 v8, v8, v9
	;; [unrolled: 1-line block ×3, first 2 shown]
	v_rcp_f32_e32 v29, v24
	v_sub_f32_e32 v9, v13, v24
	v_add_f32_e32 v28, v8, v9
	v_add_f32_e32 v9, v10, v12
	v_sub_f32_e32 v8, v10, v9
	v_mul_f32_e32 v30, v9, v29
	v_add_f32_e32 v10, v12, v8
	v_mul_f32_e32 v12, v24, v30
	v_fma_f32 v14, v30, v24, -v12
	v_fmac_f32_e32 v14, v30, v28
	v_add_f32_e32 v8, v12, v14
	v_sub_f32_e32 v13, v9, v8
	v_pk_add_f32 v[26:27], v[8:9], v[12:13] neg_lo:[0,1] neg_hi:[0,1]
	v_mov_b32_e32 v15, v8
	v_pk_add_f32 v[8:9], v[26:27], v[14:15] neg_lo:[0,1] neg_hi:[0,1]
	v_cmp_eq_f32_e32 vcc, s10, v19
	v_add_f32_e32 v9, v10, v9
	v_add_f32_e32 v8, v8, v9
	;; [unrolled: 1-line block ×3, first 2 shown]
	v_mul_f32_e32 v10, v29, v9
	v_mul_f32_e32 v12, v24, v10
	v_fma_f32 v14, v10, v24, -v12
	v_fmac_f32_e32 v14, v10, v28
	v_sub_f32_e32 v13, v13, v9
	v_add_f32_e32 v24, v8, v13
	v_add_f32_e32 v8, v12, v14
	v_sub_f32_e32 v13, v9, v8
	v_pk_add_f32 v[26:27], v[8:9], v[12:13] neg_lo:[0,1] neg_hi:[0,1]
	v_mov_b32_e32 v15, v8
	v_pk_add_f32 v[8:9], v[26:27], v[14:15] neg_lo:[0,1] neg_hi:[0,1]
	scratch_load_dwordx2 v[26:27], off, off offset:168 ; 8-byte Folded Reload
	v_add_f32_e32 v9, v24, v9
	v_add_f32_e32 v8, v8, v9
	;; [unrolled: 1-line block ×4, first 2 shown]
	v_sub_f32_e32 v12, v9, v30
	v_mul_f32_e32 v8, v29, v8
	v_sub_f32_e32 v10, v10, v12
	v_add_f32_e32 v10, v10, v8
	v_add_f32_e32 v12, v9, v10
	v_mul_f32_e32 v14, v12, v12
	v_mov_b32_e32 v8, 0x3ecc95a3
	v_fmamk_f32 v8, v14, 0x3e9b6dac, v8
	s_waitcnt vmcnt(0)
	v_fmaak_f32 v27, v14, v8, 0x3f2aaada
	v_cvt_f32_i32_e32 v8, v21
	v_sub_f32_e32 v9, v12, v9
	v_sub_f32_e32 v9, v10, v9
	v_ldexp_f32 v10, v9, 1
	v_mul_f32_e32 v9, v12, v14
	v_ldexp_f32 v13, v12, 1
	s_or_b64 vcc, s[2:3], vcc
	v_mov_b32_e32 v12, v26
	v_pk_mul_f32 v[14:15], v[8:9], v[26:27]
	scratch_store_dwordx2 off, v[12:13], off offset:168 ; 8-byte Folded Spill
	v_fma_f32 v12, v8, s33, -v14
	v_fmac_f32_e32 v12, 0xb102e308, v8
	v_pk_add_f32 v[8:9], v[14:15], v[12:13]
	v_mov_b32_e32 v26, v14
	v_sub_f32_e32 v13, v9, v13
	v_sub_f32_e32 v13, v15, v13
	v_add_f32_e32 v27, v10, v13
	v_pk_add_f32 v[14:15], v[8:9], v[14:15] neg_lo:[0,1] neg_hi:[0,1]
	v_pk_add_f32 v[28:29], v[8:9], v[26:27]
	v_mov_b32_e32 v13, v8
	v_mov_b32_e32 v15, v29
	v_pk_add_f32 v[30:31], v[12:13], v[14:15] neg_lo:[0,1] neg_hi:[0,1]
	v_pk_add_f32 v[12:13], v[12:13], v[14:15]
	s_nop 0
	v_mov_b32_e32 v10, v13
	v_pk_add_f32 v[14:15], v[10:11], v[8:9] neg_lo:[0,1] neg_hi:[0,1]
	v_mov_b32_e32 v12, v29
	v_mov_b32_e32 v15, v14
	v_pk_add_f32 v[32:33], v[28:29], v[14:15] neg_lo:[0,1] neg_hi:[0,1]
	v_mov_b32_e32 v28, v9
	v_mov_b32_e32 v29, v14
	;; [unrolled: 1-line block ×3, first 2 shown]
	v_pk_add_f32 v[12:13], v[12:13], v[28:29] neg_lo:[0,1] neg_hi:[0,1]
	v_mov_b32_e32 v14, v27
	v_mov_b32_e32 v15, v8
	v_pk_add_f32 v[8:9], v[14:15], v[12:13] neg_lo:[0,1] neg_hi:[0,1]
	v_mov_b32_e32 v32, v30
	v_pk_add_f32 v[12:13], v[32:33], v[8:9]
	s_nop 0
	v_mov_b32_e32 v14, v13
	v_pk_add_f32 v[14:15], v[12:13], v[14:15]
	s_nop 0
	v_pk_add_f32 v[26:27], v[10:11], v[14:15]
	v_mov_b32_e32 v9, v14
	v_mov_b32_e32 v13, v26
	v_pk_add_f32 v[28:29], v[12:13], v[30:31] neg_lo:[0,1] neg_hi:[0,1]
	s_nop 0
	v_sub_f32_e32 v10, v12, v28
	v_pk_add_f32 v[8:9], v[8:9], v[28:29] neg_lo:[0,1] neg_hi:[0,1]
	v_sub_f32_e32 v10, v30, v10
	v_add_f32_e32 v8, v8, v10
	v_add_f32_e32 v8, v8, v9
	;; [unrolled: 1-line block ×3, first 2 shown]
	v_cndmask_b32_e32 v71, v8, v19, vcc
.LBB21_103:                             ;   in Loop: Header=BB21_13 Depth=1
	s_or_b64 exec, exec, s[52:53]
	v_lshlrev_b32_e32 v8, 16, v11
	v_readlane_b32 s0, v95, 2
	s_nop 1
	v_add_f32_e32 v72, s0, v8
	v_cmp_ge_f32_e32 vcc, s4, v72
	s_and_b64 s[2:3], s[6:7], vcc
	s_and_saveexec_b64 s[52:53], s[2:3]
	s_cbranch_execz .LBB21_105
; %bb.104:                              ;   in Loop: Header=BB21_13 Depth=1
	v_mul_f32_e32 v8, 0x3fb8aa3b, v72
	v_rndne_f32_e32 v9, v8
	v_sub_f32_e32 v10, v8, v9
	v_fma_f32 v8, v72, s5, -v8
	v_fmac_f32_e32 v8, 0x32a5705f, v72
	v_add_f32_e32 v8, v10, v8
	v_cvt_i32_f32_e32 v9, v9
	v_exp_f32_e32 v8, v8
	v_cmp_ngt_f32_e32 vcc, s8, v72
	v_ldexp_f32 v8, v8, v9
	s_nop 0
	v_cndmask_b32_e32 v8, 0, v8, vcc
	v_cmp_nlt_f32_e32 vcc, s9, v72
	s_nop 1
	v_cndmask_b32_e32 v19, v39, v8, vcc
	v_add_f32_e32 v10, 1.0, v19
	v_add_f32_e32 v8, -1.0, v10
	v_sub_f32_e32 v9, v8, v10
	v_add_f32_e32 v9, 1.0, v9
	v_sub_f32_e32 v8, v19, v8
	v_add_f32_e32 v12, v8, v9
	v_frexp_mant_f32_e32 v13, v10
	v_cvt_f64_f32_e32 v[8:9], v10
	v_frexp_exp_i32_f64_e32 v8, v[8:9]
	v_cmp_gt_f32_e32 vcc, s11, v13
	v_cmp_gt_f32_e64 s[2:3], s54, v19
	s_nop 0
	v_subbrev_co_u32_e32 v21, vcc, 0, v8, vcc
	v_sub_u32_e32 v8, 0, v21
	v_ldexp_f32 v9, v10, v8
	v_add_f32_e32 v10, -1.0, v9
	v_add_f32_e32 v13, 1.0, v9
	v_ldexp_f32 v8, v12, v8
	v_add_f32_e32 v12, 1.0, v10
	v_add_f32_e32 v14, -1.0, v13
	v_sub_f32_e32 v12, v9, v12
	v_sub_f32_e32 v9, v9, v14
	v_add_f32_e32 v12, v8, v12
	v_add_f32_e32 v8, v8, v9
	;; [unrolled: 1-line block ×3, first 2 shown]
	v_rcp_f32_e32 v29, v24
	v_sub_f32_e32 v9, v13, v24
	v_add_f32_e32 v28, v8, v9
	v_add_f32_e32 v9, v10, v12
	v_sub_f32_e32 v8, v10, v9
	v_mul_f32_e32 v30, v9, v29
	v_add_f32_e32 v10, v12, v8
	v_mul_f32_e32 v12, v24, v30
	v_fma_f32 v14, v30, v24, -v12
	v_fmac_f32_e32 v14, v30, v28
	v_add_f32_e32 v8, v12, v14
	v_sub_f32_e32 v13, v9, v8
	v_pk_add_f32 v[26:27], v[8:9], v[12:13] neg_lo:[0,1] neg_hi:[0,1]
	v_mov_b32_e32 v15, v8
	v_pk_add_f32 v[8:9], v[26:27], v[14:15] neg_lo:[0,1] neg_hi:[0,1]
	v_cmp_eq_f32_e32 vcc, s10, v19
	v_add_f32_e32 v9, v10, v9
	v_add_f32_e32 v8, v8, v9
	;; [unrolled: 1-line block ×3, first 2 shown]
	v_mul_f32_e32 v10, v29, v9
	v_mul_f32_e32 v12, v24, v10
	v_fma_f32 v14, v10, v24, -v12
	v_fmac_f32_e32 v14, v10, v28
	v_sub_f32_e32 v13, v13, v9
	v_add_f32_e32 v24, v8, v13
	v_add_f32_e32 v8, v12, v14
	v_sub_f32_e32 v13, v9, v8
	v_pk_add_f32 v[26:27], v[8:9], v[12:13] neg_lo:[0,1] neg_hi:[0,1]
	v_mov_b32_e32 v15, v8
	v_pk_add_f32 v[8:9], v[26:27], v[14:15] neg_lo:[0,1] neg_hi:[0,1]
	scratch_load_dwordx2 v[26:27], off, off offset:168 ; 8-byte Folded Reload
	v_add_f32_e32 v9, v24, v9
	v_add_f32_e32 v8, v8, v9
	;; [unrolled: 1-line block ×4, first 2 shown]
	v_sub_f32_e32 v12, v9, v30
	v_mul_f32_e32 v8, v29, v8
	v_sub_f32_e32 v10, v10, v12
	v_add_f32_e32 v10, v10, v8
	v_add_f32_e32 v12, v9, v10
	v_mul_f32_e32 v14, v12, v12
	v_mov_b32_e32 v8, 0x3ecc95a3
	v_fmamk_f32 v8, v14, 0x3e9b6dac, v8
	s_waitcnt vmcnt(0)
	v_fmaak_f32 v27, v14, v8, 0x3f2aaada
	v_cvt_f32_i32_e32 v8, v21
	v_sub_f32_e32 v9, v12, v9
	v_sub_f32_e32 v9, v10, v9
	v_ldexp_f32 v10, v9, 1
	v_mul_f32_e32 v9, v12, v14
	v_ldexp_f32 v13, v12, 1
	s_or_b64 vcc, s[2:3], vcc
	v_mov_b32_e32 v12, v26
	v_pk_mul_f32 v[14:15], v[8:9], v[26:27]
	scratch_store_dwordx2 off, v[12:13], off offset:168 ; 8-byte Folded Spill
	v_fma_f32 v12, v8, s33, -v14
	v_fmac_f32_e32 v12, 0xb102e308, v8
	v_pk_add_f32 v[8:9], v[14:15], v[12:13]
	v_mov_b32_e32 v26, v14
	v_sub_f32_e32 v13, v9, v13
	v_sub_f32_e32 v13, v15, v13
	v_add_f32_e32 v27, v10, v13
	v_pk_add_f32 v[14:15], v[8:9], v[14:15] neg_lo:[0,1] neg_hi:[0,1]
	v_pk_add_f32 v[28:29], v[8:9], v[26:27]
	v_mov_b32_e32 v13, v8
	v_mov_b32_e32 v15, v29
	v_pk_add_f32 v[30:31], v[12:13], v[14:15] neg_lo:[0,1] neg_hi:[0,1]
	v_pk_add_f32 v[12:13], v[12:13], v[14:15]
	s_nop 0
	v_mov_b32_e32 v10, v13
	v_pk_add_f32 v[14:15], v[10:11], v[8:9] neg_lo:[0,1] neg_hi:[0,1]
	v_mov_b32_e32 v12, v29
	v_mov_b32_e32 v15, v14
	v_pk_add_f32 v[32:33], v[28:29], v[14:15] neg_lo:[0,1] neg_hi:[0,1]
	v_mov_b32_e32 v28, v9
	v_mov_b32_e32 v29, v14
	;; [unrolled: 1-line block ×3, first 2 shown]
	v_pk_add_f32 v[12:13], v[12:13], v[28:29] neg_lo:[0,1] neg_hi:[0,1]
	v_mov_b32_e32 v14, v27
	v_mov_b32_e32 v15, v8
	v_pk_add_f32 v[8:9], v[14:15], v[12:13] neg_lo:[0,1] neg_hi:[0,1]
	v_mov_b32_e32 v32, v30
	v_pk_add_f32 v[12:13], v[32:33], v[8:9]
	s_nop 0
	v_mov_b32_e32 v14, v13
	v_pk_add_f32 v[14:15], v[12:13], v[14:15]
	s_nop 0
	v_pk_add_f32 v[26:27], v[10:11], v[14:15]
	v_mov_b32_e32 v9, v14
	v_mov_b32_e32 v13, v26
	v_pk_add_f32 v[28:29], v[12:13], v[30:31] neg_lo:[0,1] neg_hi:[0,1]
	s_nop 0
	v_sub_f32_e32 v10, v12, v28
	v_pk_add_f32 v[8:9], v[8:9], v[28:29] neg_lo:[0,1] neg_hi:[0,1]
	v_sub_f32_e32 v10, v30, v10
	v_add_f32_e32 v8, v8, v10
	v_add_f32_e32 v8, v8, v9
	v_add_f32_e32 v8, v26, v8
	v_cndmask_b32_e32 v72, v8, v19, vcc
.LBB21_105:                             ;   in Loop: Header=BB21_13 Depth=1
	s_or_b64 exec, exec, s[52:53]
	v_and_b32_e32 v8, 0xffff0000, v11
	v_readlane_b32 s0, v95, 2
	s_nop 1
	v_add_f32_e32 v27, s0, v8
	v_cmp_ge_f32_e32 vcc, s4, v27
	s_and_b64 s[2:3], s[6:7], vcc
	s_and_saveexec_b64 s[52:53], s[2:3]
	s_cbranch_execz .LBB21_107
; %bb.106:                              ;   in Loop: Header=BB21_13 Depth=1
	v_mul_f32_e32 v8, 0x3fb8aa3b, v27
	v_rndne_f32_e32 v9, v8
	v_sub_f32_e32 v10, v8, v9
	v_fma_f32 v8, v27, s5, -v8
	v_fmac_f32_e32 v8, 0x32a5705f, v27
	v_add_f32_e32 v8, v10, v8
	v_cvt_i32_f32_e32 v9, v9
	v_exp_f32_e32 v8, v8
	v_cmp_ngt_f32_e32 vcc, s8, v27
	v_ldexp_f32 v8, v8, v9
	s_nop 0
	v_cndmask_b32_e32 v8, 0, v8, vcc
	v_cmp_nlt_f32_e32 vcc, s9, v27
	s_nop 1
	v_cndmask_b32_e32 v19, v39, v8, vcc
	v_add_f32_e32 v10, 1.0, v19
	v_add_f32_e32 v8, -1.0, v10
	v_sub_f32_e32 v9, v8, v10
	v_add_f32_e32 v9, 1.0, v9
	v_sub_f32_e32 v8, v19, v8
	v_add_f32_e32 v11, v8, v9
	v_frexp_mant_f32_e32 v12, v10
	v_cvt_f64_f32_e32 v[8:9], v10
	v_frexp_exp_i32_f64_e32 v8, v[8:9]
	v_cmp_gt_f32_e32 vcc, s11, v12
	v_cmp_gt_f32_e64 s[2:3], s54, v19
	s_nop 0
	v_subbrev_co_u32_e32 v21, vcc, 0, v8, vcc
	v_sub_u32_e32 v8, 0, v21
	v_ldexp_f32 v9, v10, v8
	v_add_f32_e32 v10, -1.0, v9
	v_add_f32_e32 v12, 1.0, v9
	v_ldexp_f32 v8, v11, v8
	v_add_f32_e32 v11, 1.0, v10
	v_add_f32_e32 v13, -1.0, v12
	v_sub_f32_e32 v11, v9, v11
	v_sub_f32_e32 v9, v9, v13
	v_add_f32_e32 v11, v8, v11
	v_add_f32_e32 v8, v8, v9
	;; [unrolled: 1-line block ×3, first 2 shown]
	v_rcp_f32_e32 v27, v24
	v_sub_f32_e32 v9, v12, v24
	v_add_f32_e32 v26, v8, v9
	v_add_f32_e32 v9, v10, v11
	v_mul_f32_e32 v29, v9, v27
	v_sub_f32_e32 v8, v10, v9
	v_mul_f32_e32 v10, v24, v29
	v_fma_f32 v12, v29, v24, -v10
	v_fmac_f32_e32 v12, v29, v26
	v_add_f32_e32 v28, v11, v8
	v_add_f32_e32 v8, v10, v12
	v_sub_f32_e32 v11, v9, v8
	v_pk_add_f32 v[14:15], v[8:9], v[10:11] neg_lo:[0,1] neg_hi:[0,1]
	v_mov_b32_e32 v13, v8
	v_pk_add_f32 v[8:9], v[14:15], v[12:13] neg_lo:[0,1] neg_hi:[0,1]
	v_cmp_eq_f32_e32 vcc, s10, v19
	v_add_f32_e32 v9, v28, v9
	v_add_f32_e32 v8, v8, v9
	;; [unrolled: 1-line block ×3, first 2 shown]
	v_mul_f32_e32 v28, v27, v9
	v_mul_f32_e32 v10, v24, v28
	v_fma_f32 v12, v28, v24, -v10
	v_fmac_f32_e32 v12, v28, v26
	v_sub_f32_e32 v11, v11, v9
	v_add_f32_e32 v24, v8, v11
	v_add_f32_e32 v8, v10, v12
	v_sub_f32_e32 v11, v9, v8
	v_pk_add_f32 v[14:15], v[8:9], v[10:11] neg_lo:[0,1] neg_hi:[0,1]
	v_mov_b32_e32 v13, v8
	v_pk_add_f32 v[8:9], v[14:15], v[12:13] neg_lo:[0,1] neg_hi:[0,1]
	scratch_load_dwordx2 v[14:15], off, off offset:168 ; 8-byte Folded Reload
	v_add_f32_e32 v9, v24, v9
	v_add_f32_e32 v8, v8, v9
	;; [unrolled: 1-line block ×4, first 2 shown]
	v_sub_f32_e32 v10, v9, v29
	v_mul_f32_e32 v8, v27, v8
	v_sub_f32_e32 v10, v28, v10
	v_add_f32_e32 v10, v10, v8
	v_add_f32_e32 v12, v9, v10
	v_mul_f32_e32 v13, v12, v12
	v_mov_b32_e32 v8, 0x3ecc95a3
	v_fmamk_f32 v8, v13, 0x3e9b6dac, v8
	v_fmaak_f32 v27, v13, v8, 0x3f2aaada
	v_cvt_f32_i32_e32 v8, v21
	v_sub_f32_e32 v9, v12, v9
	v_sub_f32_e32 v9, v10, v9
	v_ldexp_f32 v11, v12, 1
	s_or_b64 vcc, s[2:3], vcc
	s_waitcnt vmcnt(0)
	v_mov_b32_e32 v26, v14
	v_ldexp_f32 v14, v9, 1
	v_mul_f32_e32 v9, v12, v13
	v_mov_b32_e32 v10, v26
	v_pk_mul_f32 v[12:13], v[8:9], v[26:27]
	scratch_store_dwordx2 off, v[10:11], off offset:168 ; 8-byte Folded Spill
	v_fma_f32 v10, v8, s33, -v12
	v_fmac_f32_e32 v10, 0xb102e308, v8
	v_pk_add_f32 v[8:9], v[12:13], v[10:11]
	s_nop 0
	v_sub_f32_e32 v11, v9, v11
	v_sub_f32_e32 v11, v13, v11
	v_add_f32_e32 v15, v14, v11
	v_mov_b32_e32 v14, v12
	v_pk_add_f32 v[12:13], v[8:9], v[12:13] neg_lo:[0,1] neg_hi:[0,1]
	v_pk_add_f32 v[26:27], v[8:9], v[14:15]
	v_mov_b32_e32 v11, v8
	v_mov_b32_e32 v13, v27
	v_pk_add_f32 v[28:29], v[10:11], v[12:13] neg_lo:[0,1] neg_hi:[0,1]
	v_pk_add_f32 v[10:11], v[10:11], v[12:13]
	v_mov_b32_e32 v14, v15
	v_mov_b32_e32 v12, v11
	v_pk_add_f32 v[30:31], v[12:13], v[8:9] neg_lo:[0,1] neg_hi:[0,1]
	v_mov_b32_e32 v10, v27
	v_mov_b32_e32 v13, v30
	v_pk_add_f32 v[32:33], v[26:27], v[12:13] neg_lo:[0,1] neg_hi:[0,1]
	v_mov_b32_e32 v26, v9
	v_mov_b32_e32 v27, v30
	;; [unrolled: 1-line block ×3, first 2 shown]
	v_pk_add_f32 v[10:11], v[10:11], v[26:27] neg_lo:[0,1] neg_hi:[0,1]
	v_mov_b32_e32 v15, v8
	v_pk_add_f32 v[8:9], v[14:15], v[10:11] neg_lo:[0,1] neg_hi:[0,1]
	v_mov_b32_e32 v32, v28
	v_pk_add_f32 v[10:11], v[32:33], v[8:9]
	s_nop 0
	v_mov_b32_e32 v14, v11
	v_pk_add_f32 v[14:15], v[10:11], v[14:15]
	s_nop 0
	v_pk_add_f32 v[12:13], v[12:13], v[14:15]
	v_mov_b32_e32 v9, v14
	v_mov_b32_e32 v11, v12
	v_pk_add_f32 v[26:27], v[10:11], v[28:29] neg_lo:[0,1] neg_hi:[0,1]
	s_nop 0
	v_sub_f32_e32 v10, v10, v26
	v_pk_add_f32 v[8:9], v[8:9], v[26:27] neg_lo:[0,1] neg_hi:[0,1]
	v_sub_f32_e32 v10, v28, v10
	v_add_f32_e32 v8, v8, v10
	v_add_f32_e32 v8, v8, v9
	;; [unrolled: 1-line block ×3, first 2 shown]
	v_cndmask_b32_e32 v27, v8, v19, vcc
.LBB21_107:                             ;   in Loop: Header=BB21_13 Depth=1
	s_or_b64 exec, exec, s[52:53]
	v_lshlrev_b32_e32 v8, 16, v7
	v_readlane_b32 s0, v95, 3
	v_and_b32_e32 v13, 0xffff0000, v7
	v_and_b32_e32 v7, 0xffff0000, v6
	v_lshlrev_b32_e32 v6, 16, v6
	v_and_b32_e32 v9, 0xffff0000, v5
	v_lshlrev_b32_e32 v5, 16, v5
	;; [unrolled: 2-line block ×7, first 2 shown]
	v_mul_f32_e32 v28, s0, v8
	v_mul_f32_e32 v31, s0, v7
	;; [unrolled: 1-line block ×16, first 2 shown]
	v_readlane_b32 s0, v95, 22
	v_readlane_b32 s1, v95, 23
	s_and_b64 vcc, exec, s[0:1]
	s_waitcnt lgkmcnt(0)
	; wave barrier
	s_cbranch_vccz .LBB21_200
; %bb.108:                              ;   in Loop: Header=BB21_13 Depth=1
	v_mul_f32_e32 v87, v25, v0
	scratch_load_dword v0, off, off offset:268 ; 4-byte Folded Reload
	v_readlane_b32 s0, v95, 8
	v_readlane_b32 s1, v95, 9
	v_mul_f32_e32 v6, v70, v6
	v_mul_f32_e32 v5, v68, v5
	v_lshl_add_u64 v[44:45], s[0:1], 0, v[16:17]
	v_readlane_b32 s0, v95, 18
	v_readlane_b32 s1, v95, 19
	s_mov_b32 s88, 0
	v_mul_f32_e32 v13, v27, v13
	v_lshl_add_u64 v[46:47], s[0:1], 0, v[16:17]
	v_readlane_b32 s1, v95, 52
	s_cmp_lg_u32 s1, 0
	v_readlane_b32 s0, v95, 31
	s_cselect_b64 s[2:3], -1, 0
	s_cmp_eq_u32 s1, s0
	v_readlane_b32 s0, v95, 26
	v_readlane_b32 s1, v95, 27
	s_cselect_b64 s[94:95], -1, 0
	v_mul_f32_e32 v8, v72, v8
	v_mul_f32_e32 v7, v71, v7
	scratch_store_dword off, v6, off offset:80 ; 4-byte Folded Spill
	v_mul_f32_e32 v6, v69, v9
	scratch_store_dword off, v5, off offset:88 ; 4-byte Folded Spill
	v_mul_f32_e32 v5, v67, v10
	v_mul_f32_e32 v4, v66, v4
	;; [unrolled: 1-line block ×9, first 2 shown]
	s_mov_b32 s98, s88
	s_mov_b32 s96, s88
	;; [unrolled: 1-line block ×3, first 2 shown]
	v_readlane_b32 s90, v95, 48
	scratch_store_dword off, v13, off offset:68 ; 4-byte Folded Spill
	scratch_store_dword off, v8, off offset:72 ; 4-byte Folded Spill
	;; [unrolled: 1-line block ×6, first 2 shown]
	s_waitcnt vmcnt(8)
	v_cmp_gt_u32_e32 vcc, s82, v0
	scratch_load_dword v0, off, off offset:272 ; 4-byte Folded Reload
	s_or_b64 s[52:53], s[0:1], vcc
	s_waitcnt vmcnt(0)
	v_cmp_gt_u32_e32 vcc, s82, v0
	scratch_load_dword v0, off, off offset:276 ; 4-byte Folded Reload
	s_or_b64 s[54:55], s[0:1], vcc
	;; [unrolled: 4-line block ×15, first 2 shown]
	s_waitcnt vmcnt(0)
	v_cmp_gt_u32_e32 vcc, s82, v0
	s_or_b64 s[82:83], s[0:1], vcc
	v_readlane_b32 s0, v95, 24
	v_readlane_b32 s1, v95, 25
	s_mov_b32 s33, s1
	s_branch .LBB21_110
.LBB21_109:                             ;   in Loop: Header=BB21_110 Depth=2
	s_or_b64 exec, exec, s[92:93]
	v_mul_f32_e32 v49, v88, v78
	v_fma_f32 v50, v88, v79, v8
	v_cndmask_b32_e64 v8, v50, v8, s[16:17]
	v_cndmask_b32_e64 v49, v49, v88, s[16:17]
	s_waitcnt lgkmcnt(0)
	v_fmac_f32_e32 v8, v48, v49
	v_fmac_f32_e32 v9, v8, v89
	;; [unrolled: 1-line block ×12, first 2 shown]
	v_readlane_b32 s4, v95, 40
	v_fmac_f32_e32 v14, v57, v74
	v_readlane_b32 s5, v95, 41
	v_readlane_b32 s6, v95, 42
	;; [unrolled: 1-line block ×7, first 2 shown]
	v_fmac_f32_e32 v15, v14, v75
	s_add_i32 s96, s96, s4
	v_readlane_b32 s4, v95, 10
	v_fmac_f32_e32 v58, v15, v76
	v_readlane_b32 s5, v95, 11
	v_readlane_b32 s8, v95, 14
	v_fmac_f32_e32 v59, v58, v21
	v_and_b32_e32 v49, 0xffff0000, v4
	v_and_b32_e32 v51, 0xffff0000, v5
	v_lshlrev_b32_e32 v48, 16, v4
	v_lshlrev_b32_e32 v50, 16, v5
	v_and_b32_e32 v5, 0xffff0000, v6
	v_and_b32_e32 v61, 0xffff0000, v7
	v_lshlrev_b32_e32 v4, 16, v6
	v_lshlrev_b32_e32 v60, 16, v7
	;; [unrolled: 4-line block ×4, first 2 shown]
	s_add_i32 s90, s90, 8
	s_add_i32 s33, s33, -1
	s_add_i32 s86, s86, s87
	s_add_i32 s98, s98, s8
	;; [unrolled: 1-line block ×3, first 2 shown]
	v_pk_fma_f32 v[40:41], v[10:11], v[50:51], v[40:41]
	v_pk_fma_f32 v[42:43], v[8:9], v[48:49], v[42:43]
	;; [unrolled: 1-line block ×7, first 2 shown]
	s_cmp_eq_u32 s33, 0
	v_pk_fma_f32 v[30:31], v[14:15], v[0:1], v[30:31]
	v_readlane_b32 s6, v95, 12
	v_readlane_b32 s7, v95, 13
	;; [unrolled: 1-line block ×5, first 2 shown]
	s_cbranch_scc1 .LBB21_199
.LBB21_110:                             ;   Parent Loop BB21_13 Depth=1
                                        ; =>  This Inner Loop Header: Depth=2
	s_lshl_b64 s[92:93], s[88:89], 2
	v_readlane_b32 s0, v95, 6
	s_add_u32 s92, s0, s92
	v_readlane_b32 s0, v95, 7
	s_addc_u32 s93, s0, s93
	global_load_dword v48, v17, s[92:93]
	s_mov_b32 s99, s89
	v_lshl_add_u64 v[0:1], s[98:99], 1, v[44:45]
	v_mov_b32_e32 v2, 0
	v_mov_b32_e32 v3, 0
	s_and_saveexec_b64 s[92:93], s[18:19]
	s_cbranch_execz .LBB21_112
; %bb.111:                              ;   in Loop: Header=BB21_110 Depth=2
	global_load_ushort v3, v[0:1], off
.LBB21_112:                             ;   in Loop: Header=BB21_110 Depth=2
	s_or_b64 exec, exec, s[92:93]
	s_and_saveexec_b64 s[92:93], s[20:21]
	s_cbranch_execz .LBB21_114
; %bb.113:                              ;   in Loop: Header=BB21_110 Depth=2
	global_load_ushort v2, v[0:1], off offset:128
.LBB21_114:                             ;   in Loop: Header=BB21_110 Depth=2
	s_or_b64 exec, exec, s[92:93]
	v_mov_b32_e32 v4, 0
	v_mov_b32_e32 v5, 0
	s_and_saveexec_b64 s[92:93], s[22:23]
	s_cbranch_execz .LBB21_116
; %bb.115:                              ;   in Loop: Header=BB21_110 Depth=2
	global_load_ushort v5, v[0:1], off offset:256
.LBB21_116:                             ;   in Loop: Header=BB21_110 Depth=2
	s_or_b64 exec, exec, s[92:93]
	s_and_saveexec_b64 s[92:93], s[24:25]
	s_cbranch_execz .LBB21_118
; %bb.117:                              ;   in Loop: Header=BB21_110 Depth=2
	global_load_ushort v4, v[0:1], off offset:384
.LBB21_118:                             ;   in Loop: Header=BB21_110 Depth=2
	s_or_b64 exec, exec, s[92:93]
	v_mov_b32_e32 v6, 0
	v_mov_b32_e32 v7, 0
	s_and_saveexec_b64 s[92:93], s[26:27]
	s_cbranch_execz .LBB21_120
; %bb.119:                              ;   in Loop: Header=BB21_110 Depth=2
	global_load_ushort v7, v[0:1], off offset:512
.LBB21_120:                             ;   in Loop: Header=BB21_110 Depth=2
	;; [unrolled: 14-line block ×7, first 2 shown]
	s_or_b64 exec, exec, s[92:93]
	s_and_saveexec_b64 s[92:93], s[50:51]
	s_cbranch_execz .LBB21_142
; %bb.141:                              ;   in Loop: Header=BB21_110 Depth=2
	global_load_ushort v16, v[0:1], off offset:1920
.LBB21_142:                             ;   in Loop: Header=BB21_110 Depth=2
	s_or_b64 exec, exec, s[92:93]
	scratch_load_dword v0, off, off         ; 4-byte Folded Reload
	s_mov_b32 s97, s89
	s_waitcnt vmcnt(0)
	ds_write_b16 v0, v3
	scratch_load_dword v0, off, off offset:8 ; 4-byte Folded Reload
	v_mov_b32_e32 v3, 0
	s_waitcnt vmcnt(0)
	ds_write_b16 v0, v2 offset:128
	scratch_load_dword v0, off, off offset:12 ; 4-byte Folded Reload
	v_mov_b32_e32 v2, 0
	s_waitcnt vmcnt(0)
	ds_write_b16 v0, v5 offset:256
	scratch_load_dword v0, off, off offset:16 ; 4-byte Folded Reload
	s_waitcnt vmcnt(0)
	ds_write_b16 v0, v4 offset:384
	scratch_load_dword v0, off, off offset:20 ; 4-byte Folded Reload
	;; [unrolled: 3-line block ×13, first 2 shown]
	s_waitcnt vmcnt(0)
	ds_write_b16 v0, v16 offset:1920
	; wave barrier
	scratch_load_dword v0, off, off offset:4 ; 4-byte Folded Reload
	s_waitcnt vmcnt(0)
	ds_read_b128 v[12:15], v0
	ds_read_b128 v[8:11], v0 offset:16
	v_lshl_add_u64 v[0:1], s[96:97], 1, v[46:47]
	s_and_saveexec_b64 s[92:93], s[18:19]
	s_cbranch_execz .LBB21_144
; %bb.143:                              ;   in Loop: Header=BB21_110 Depth=2
	global_load_ushort v3, v[0:1], off
.LBB21_144:                             ;   in Loop: Header=BB21_110 Depth=2
	s_or_b64 exec, exec, s[92:93]
	s_and_saveexec_b64 s[92:93], s[20:21]
	s_cbranch_execz .LBB21_146
; %bb.145:                              ;   in Loop: Header=BB21_110 Depth=2
	global_load_ushort v2, v[0:1], off offset:128
.LBB21_146:                             ;   in Loop: Header=BB21_110 Depth=2
	s_or_b64 exec, exec, s[92:93]
	v_mov_b32_e32 v4, 0
	v_mov_b32_e32 v5, 0
	s_and_saveexec_b64 s[92:93], s[22:23]
	s_cbranch_execz .LBB21_148
; %bb.147:                              ;   in Loop: Header=BB21_110 Depth=2
	global_load_ushort v5, v[0:1], off offset:256
.LBB21_148:                             ;   in Loop: Header=BB21_110 Depth=2
	s_or_b64 exec, exec, s[92:93]
	s_and_saveexec_b64 s[92:93], s[24:25]
	s_cbranch_execz .LBB21_150
; %bb.149:                              ;   in Loop: Header=BB21_110 Depth=2
	global_load_ushort v4, v[0:1], off offset:384
.LBB21_150:                             ;   in Loop: Header=BB21_110 Depth=2
	s_or_b64 exec, exec, s[92:93]
	v_mov_b32_e32 v6, 0
	v_mov_b32_e32 v7, 0
	s_and_saveexec_b64 s[92:93], s[26:27]
	s_cbranch_execz .LBB21_152
; %bb.151:                              ;   in Loop: Header=BB21_110 Depth=2
	global_load_ushort v7, v[0:1], off offset:512
.LBB21_152:                             ;   in Loop: Header=BB21_110 Depth=2
	;; [unrolled: 14-line block ×7, first 2 shown]
	s_or_b64 exec, exec, s[92:93]
	s_and_saveexec_b64 s[92:93], s[50:51]
	s_cbranch_execz .LBB21_174
; %bb.173:                              ;   in Loop: Header=BB21_110 Depth=2
	global_load_ushort v52, v[0:1], off offset:1920
.LBB21_174:                             ;   in Loop: Header=BB21_110 Depth=2
	s_or_b64 exec, exec, s[92:93]
	scratch_load_dword v0, off, off         ; 4-byte Folded Reload
	s_andn2_b64 vcc, exec, s[2:3]
	s_waitcnt vmcnt(0)
	ds_write_b16 v0, v3 offset:2112
	scratch_load_dword v0, off, off offset:100 ; 4-byte Folded Reload
	s_waitcnt vmcnt(0)
	ds_write_b16 v0, v2 offset:128
	scratch_load_dword v0, off, off offset:104 ; 4-byte Folded Reload
	;; [unrolled: 3-line block ×15, first 2 shown]
	s_waitcnt vmcnt(0)
	ds_write_b16 v0, v52 offset:1920
	; wave barrier
	scratch_load_dword v0, off, off offset:4 ; 4-byte Folded Reload
	s_waitcnt vmcnt(0)
	ds_read_b128 v[4:7], v0 offset:2112
	scratch_load_dword v0, off, off offset:160 ; 4-byte Folded Reload
	s_waitcnt vmcnt(0)
	ds_read_b128 v[0:3], v0 offset:16
	s_cbranch_vccnz .LBB21_176
; %bb.175:                              ;   in Loop: Header=BB21_110 Depth=2
	v_mov_b32_e32 v16, s90
	ds_read_b64 v[50:51], v16
	s_waitcnt lgkmcnt(0)
	v_mov_b32_e32 v49, v51
	s_cbranch_execz .LBB21_177
	s_branch .LBB21_180
.LBB21_176:                             ;   in Loop: Header=BB21_110 Depth=2
                                        ; implicit-def: $vgpr50
                                        ; implicit-def: $vgpr49
.LBB21_177:                             ;   in Loop: Header=BB21_110 Depth=2
	v_readlane_b32 s0, v95, 0
	v_readlane_b32 s1, v95, 1
	s_andn2_b64 vcc, exec, s[0:1]
	v_mov_b32_e32 v49, 0
	s_cbranch_vccnz .LBB21_179
; %bb.178:                              ;   in Loop: Header=BB21_110 Depth=2
	s_mov_b32 s87, s89
	s_lshl_b64 s[92:93], s[86:87], 1
	v_readlane_b32 s0, v95, 20
	s_add_u32 s92, s0, s92
	v_readlane_b32 s0, v95, 21
	s_addc_u32 s93, s0, s93
	global_load_ushort v16, v17, s[92:93]
	v_readlane_b32 s87, v95, 49
	s_waitcnt vmcnt(0)
	v_lshlrev_b32_e32 v49, 16, v16
.LBB21_179:                             ;   in Loop: Header=BB21_110 Depth=2
	v_mov_b32_e32 v50, 1.0
.LBB21_180:                             ;   in Loop: Header=BB21_110 Depth=2
	s_waitcnt lgkmcnt(14)
	v_lshlrev_b32_e32 v26, 16, v15
	v_and_b32_e32 v15, 0xffff0000, v15
	v_mul_f32_e32 v15, v80, v15
	v_cndmask_b32_e64 v53, 0, v15, s[66:67]
	scratch_load_dword v15, off, off offset:96 ; 4-byte Folded Reload
	v_lshlrev_b32_e32 v51, 16, v8
	v_and_b32_e32 v55, 0xffff0000, v8
	v_lshlrev_b32_e32 v56, 16, v9
	v_mul_f32_e32 v21, 0x3fb8aa3b, v48
	v_mul_f32_e32 v8, v21, v25
	v_cmp_gt_f32_e32 vcc, s91, v8
	v_lshlrev_b32_e32 v58, 16, v10
	v_and_b32_e32 v59, 0xffff0000, v10
	v_cndmask_b32_e32 v8, 0, v22, vcc
	v_mul_f32_e32 v10, v21, v18
	v_and_b32_e32 v57, 0xffff0000, v9
	v_fmac_f32_e32 v8, v21, v25
	v_cndmask_b32_e32 v9, 1.0, v23, vcc
	v_cmp_gt_f32_e32 vcc, s91, v10
	v_exp_f32_e32 v8, v8
	v_lshlrev_b32_e32 v60, 16, v11
	v_cndmask_b32_e32 v10, 0, v22, vcc
	v_fmac_f32_e32 v10, v21, v18
	v_exp_f32_e32 v10, v10
	v_and_b32_e32 v48, 0xffff0000, v11
	v_mul_f32_e32 v9, v8, v9
	v_mul_f32_e32 v11, v21, v20
	v_lshlrev_b32_e32 v16, 16, v12
	v_and_b32_e32 v12, 0xffff0000, v12
	v_cndmask_b32_e64 v88, 1.0, v9, s[52:53]
	v_cndmask_b32_e32 v9, 1.0, v23, vcc
	v_cmp_gt_f32_e32 vcc, s91, v11
	v_mul_f32_e32 v10, v10, v9
	v_mul_f32_e32 v9, v86, v12
	v_cndmask_b32_e32 v11, 0, v22, vcc
	v_mul_f32_e32 v12, v21, v94
	v_fmac_f32_e32 v11, v21, v20
	v_cndmask_b32_e64 v89, 1.0, v10, s[54:55]
	v_cndmask_b32_e32 v10, 1.0, v23, vcc
	v_cmp_gt_f32_e32 vcc, s91, v12
	v_exp_f32_e32 v11, v11
	v_lshlrev_b32_e32 v19, 16, v13
	v_cndmask_b32_e32 v12, 0, v22, vcc
	v_fmac_f32_e32 v12, v21, v94
	v_exp_f32_e32 v12, v12
	v_mul_f32_e32 v11, v11, v10
	v_and_b32_e32 v13, 0xffff0000, v13
	v_cndmask_b32_e64 v90, 1.0, v11, s[56:57]
	v_cndmask_b32_e32 v11, 1.0, v23, vcc
	v_mul_f32_e32 v12, v12, v11
	v_mul_f32_e32 v11, v84, v13
	;; [unrolled: 1-line block ×3, first 2 shown]
	v_cmp_gt_f32_e32 vcc, s91, v13
	v_mul_f32_e32 v8, v87, v16
	v_mul_f32_e32 v16, v21, v63
	v_cndmask_b32_e32 v13, 0, v22, vcc
	v_fmac_f32_e32 v13, v21, v62
	v_cndmask_b32_e64 v91, 1.0, v12, s[58:59]
	v_cndmask_b32_e32 v12, 1.0, v23, vcc
	v_cmp_gt_f32_e32 vcc, s91, v16
	v_exp_f32_e32 v13, v13
	v_lshlrev_b32_e32 v24, 16, v14
	v_cndmask_b32_e32 v16, 0, v22, vcc
	v_fmac_f32_e32 v16, v21, v63
	v_exp_f32_e32 v16, v16
	v_mul_f32_e32 v13, v13, v12
	v_and_b32_e32 v14, 0xffff0000, v14
	v_cndmask_b32_e64 v92, 1.0, v13, s[60:61]
	v_cndmask_b32_e32 v13, 1.0, v23, vcc
	v_mul_f32_e32 v16, v16, v13
	v_mul_f32_e32 v13, v82, v14
	;; [unrolled: 1-line block ×3, first 2 shown]
	v_cmp_gt_f32_e32 vcc, s91, v14
	v_mul_f32_e32 v10, v85, v19
	v_mul_f32_e32 v19, v21, v65
	v_cndmask_b32_e32 v14, 0, v22, vcc
	v_fmac_f32_e32 v14, v21, v64
	v_exp_f32_e32 v14, v14
	v_mul_f32_e32 v12, v83, v24
	v_cndmask_b32_e64 v24, 1.0, v16, s[62:63]
	v_cndmask_b32_e32 v16, 1.0, v23, vcc
	v_cmp_gt_f32_e32 vcc, s91, v19
	v_mul_f32_e32 v14, v14, v16
	v_mul_f32_e32 v16, v81, v26
	s_waitcnt vmcnt(0)
	v_mul_f32_e32 v15, v15, v51
	v_cndmask_b32_e64 v54, 0, v15, s[68:69]
	scratch_load_dword v15, off, off offset:92 ; 4-byte Folded Reload
	v_cndmask_b32_e32 v19, 0, v22, vcc
	v_fmac_f32_e32 v19, v21, v65
	v_cndmask_b32_e64 v52, 0, v16, s[64:65]
	v_mul_f32_e32 v16, v21, v66
	v_exp_f32_e32 v26, v19
	v_cndmask_b32_e64 v19, 1.0, v14, s[64:65]
	v_cndmask_b32_e32 v14, 1.0, v23, vcc
	v_cmp_gt_f32_e32 vcc, s91, v16
	v_mul_f32_e32 v14, v26, v14
	v_cndmask_b32_e64 v77, 1.0, v14, s[66:67]
	v_cndmask_b32_e32 v16, 0, v22, vcc
	v_fmac_f32_e32 v16, v21, v66
	v_exp_f32_e32 v16, v16
	v_cndmask_b32_e32 v14, 1.0, v23, vcc
	v_cndmask_b32_e64 v8, 0, v8, s[52:53]
	v_cndmask_b32_e64 v9, 0, v9, s[54:55]
	v_mul_f32_e32 v14, v16, v14
	v_mul_f32_e32 v16, v21, v67
	v_cmp_gt_f32_e32 vcc, s91, v16
	v_cndmask_b32_e64 v26, 1.0, v14, s[68:69]
	v_cndmask_b32_e64 v10, 0, v10, s[56:57]
	v_cndmask_b32_e32 v16, 0, v22, vcc
	v_fmac_f32_e32 v16, v21, v67
	v_exp_f32_e32 v16, v16
	v_cndmask_b32_e32 v14, 1.0, v23, vcc
	v_cndmask_b32_e64 v11, 0, v11, s[58:59]
	v_cndmask_b32_e64 v12, 0, v12, s[60:61]
	v_mul_f32_e32 v14, v16, v14
	v_mul_f32_e32 v16, v21, v68
	v_cmp_gt_f32_e32 vcc, s91, v16
	v_cndmask_b32_e64 v93, 1.0, v14, s[70:71]
	v_cndmask_b32_e64 v13, 0, v13, s[62:63]
	v_cndmask_b32_e32 v16, 0, v22, vcc
	v_fmac_f32_e32 v16, v21, v68
	v_exp_f32_e32 v16, v16
	v_cndmask_b32_e32 v14, 1.0, v23, vcc
	v_readlane_b32 s0, v95, 28
	v_readlane_b32 s1, v95, 29
	v_mul_f32_e32 v14, v16, v14
	v_mul_f32_e32 v16, v21, v69
	v_cmp_gt_f32_e32 vcc, s91, v16
	v_cndmask_b32_e64 v73, 1.0, v14, s[72:73]
	s_waitcnt vmcnt(0)
	v_mul_f32_e32 v15, v15, v55
	v_cndmask_b32_e64 v55, 0, v15, s[70:71]
	scratch_load_dword v15, off, off offset:88 ; 4-byte Folded Reload
	v_cndmask_b32_e32 v16, 0, v22, vcc
	v_fmac_f32_e32 v16, v21, v69
	v_exp_f32_e32 v16, v16
	v_cndmask_b32_e32 v14, 1.0, v23, vcc
	v_mul_f32_e32 v14, v16, v14
	v_mul_f32_e32 v16, v21, v70
	v_cmp_gt_f32_e32 vcc, s91, v16
	s_waitcnt vmcnt(0)
	v_mul_f32_e32 v15, v15, v56
	v_cndmask_b32_e64 v56, 0, v15, s[72:73]
	scratch_load_dword v15, off, off offset:84 ; 4-byte Folded Reload
	v_cndmask_b32_e32 v16, 0, v22, vcc
	v_fmac_f32_e32 v16, v21, v70
	v_exp_f32_e32 v51, v16
	v_cndmask_b32_e64 v16, 1.0, v14, s[74:75]
	v_cndmask_b32_e32 v14, 1.0, v23, vcc
	s_waitcnt vmcnt(0)
	v_mul_f32_e32 v15, v15, v57
	v_cndmask_b32_e64 v57, 0, v15, s[74:75]
	v_mul_f32_e32 v15, v51, v14
	scratch_load_dword v14, off, off offset:80 ; 4-byte Folded Reload
	v_mul_f32_e32 v51, v21, v71
	v_cmp_gt_f32_e32 vcc, s91, v51
	v_cndmask_b32_e64 v74, 1.0, v15, s[76:77]
	s_nop 0
	v_cndmask_b32_e32 v51, 0, v22, vcc
	v_fmac_f32_e32 v51, v21, v71
	v_exp_f32_e32 v51, v51
	v_cndmask_b32_e32 v15, 1.0, v23, vcc
	v_mul_f32_e32 v51, v51, v15
	scratch_load_dword v15, off, off offset:76 ; 4-byte Folded Reload
	v_cndmask_b32_e64 v75, 1.0, v51, s[78:79]
	s_waitcnt vmcnt(1)
	v_mul_f32_e32 v14, v14, v58
	v_mul_f32_e32 v58, v21, v72
	v_cmp_gt_f32_e32 vcc, s91, v58
	v_cndmask_b32_e64 v14, 0, v14, s[76:77]
	s_nop 0
	v_cndmask_b32_e32 v58, 0, v22, vcc
	v_fmac_f32_e32 v58, v21, v72
	v_exp_f32_e32 v58, v58
	v_cndmask_b32_e32 v51, 1.0, v23, vcc
	v_mul_f32_e32 v51, v58, v51
	scratch_load_dword v58, off, off offset:72 ; 4-byte Folded Reload
	s_waitcnt vmcnt(1)
	v_mul_f32_e32 v15, v15, v59
	v_mul_f32_e32 v59, v21, v27
	v_cmp_gt_f32_e32 vcc, s91, v59
	v_cndmask_b32_e64 v76, 1.0, v51, s[80:81]
	v_cndmask_b32_e64 v15, 0, v15, s[78:79]
	v_cndmask_b32_e32 v59, 0, v22, vcc
	v_fmac_f32_e32 v59, v21, v27
	v_exp_f32_e32 v21, v59
	v_cndmask_b32_e32 v51, 1.0, v23, vcc
	v_mul_f32_e32 v21, v21, v51
	scratch_load_dword v51, off, off offset:68 ; 4-byte Folded Reload
	v_cndmask_b32_e64 v21, 1.0, v21, s[82:83]
	s_waitcnt vmcnt(1)
	v_mul_f32_e32 v58, v58, v60
	v_cndmask_b32_e64 v58, 0, v58, s[80:81]
	s_waitcnt vmcnt(0)
	v_mul_f32_e32 v48, v51, v48
	v_cndmask_b32_e64 v59, 0, v48, s[82:83]
	v_mul_f32_e32 v48, v89, v88
	v_fma_f32 v51, v89, v8, v9
	v_mul_f32_e32 v48, v48, v90
	v_fma_f32 v51, v51, v90, v10
	;; [unrolled: 2-line block ×15, first 2 shown]
	s_nop 0
	v_mov_b32_dpp v61, v51 row_shr:1 row_mask:0xf bank_mask:0xf
	v_mov_b32_dpp v60, v48 row_shr:1 row_mask:0xf bank_mask:0xf
	s_and_saveexec_b64 s[92:93], s[0:1]
; %bb.181:                              ;   in Loop: Header=BB21_110 Depth=2
	v_mul_f32_e32 v61, v51, v61
	v_fmac_f32_e32 v48, v51, v60
	v_mov_b32_e32 v51, v61
; %bb.182:                              ;   in Loop: Header=BB21_110 Depth=2
	s_or_b64 exec, exec, s[92:93]
	v_readlane_b32 s0, v95, 32
	v_mov_b32_dpp v60, v51 row_shr:2 row_mask:0xf bank_mask:0xf
	v_mov_b32_dpp v61, v48 row_shr:2 row_mask:0xf bank_mask:0xf
	v_readlane_b32 s1, v95, 33
	s_and_saveexec_b64 s[92:93], s[0:1]
; %bb.183:                              ;   in Loop: Header=BB21_110 Depth=2
	v_fmac_f32_e32 v48, v51, v61
	v_mul_f32_e32 v51, v51, v60
; %bb.184:                              ;   in Loop: Header=BB21_110 Depth=2
	s_or_b64 exec, exec, s[92:93]
	s_nop 0
	v_mov_b32_dpp v60, v51 row_shr:4 row_mask:0xf bank_mask:0xf
	v_mov_b32_dpp v61, v48 row_shr:4 row_mask:0xf bank_mask:0xf
	s_and_saveexec_b64 s[92:93], s[84:85]
; %bb.185:                              ;   in Loop: Header=BB21_110 Depth=2
	v_fmac_f32_e32 v48, v51, v61
	v_mul_f32_e32 v51, v51, v60
; %bb.186:                              ;   in Loop: Header=BB21_110 Depth=2
	s_or_b64 exec, exec, s[92:93]
	v_readlane_b32 s0, v95, 34
	v_mov_b32_dpp v60, v51 row_shr:8 row_mask:0xf bank_mask:0xf
	v_mov_b32_dpp v61, v48 row_shr:8 row_mask:0xf bank_mask:0xf
	v_readlane_b32 s1, v95, 35
	s_and_saveexec_b64 s[92:93], s[0:1]
; %bb.187:                              ;   in Loop: Header=BB21_110 Depth=2
	v_fmac_f32_e32 v48, v51, v61
	v_mul_f32_e32 v51, v51, v60
; %bb.188:                              ;   in Loop: Header=BB21_110 Depth=2
	s_or_b64 exec, exec, s[92:93]
	v_readlane_b32 s0, v95, 36
	v_mov_b32_dpp v60, v51 row_bcast:15 row_mask:0xf bank_mask:0xf
	v_mov_b32_dpp v61, v48 row_bcast:15 row_mask:0xf bank_mask:0xf
	v_readlane_b32 s1, v95, 37
	s_and_saveexec_b64 s[92:93], s[0:1]
; %bb.189:                              ;   in Loop: Header=BB21_110 Depth=2
	v_fmac_f32_e32 v48, v51, v61
	v_mul_f32_e32 v51, v51, v60
; %bb.190:                              ;   in Loop: Header=BB21_110 Depth=2
	s_or_b64 exec, exec, s[92:93]
	s_nop 0
	v_mov_b32_dpp v60, v51 row_bcast:31 row_mask:0xf bank_mask:0xf
	v_mov_b32_dpp v61, v48 row_bcast:31 row_mask:0xf bank_mask:0xf
	v_mov_b32_e32 v78, v48
	v_mul_f32_e32 v60, v51, v60
	v_fmac_f32_e32 v78, v51, v61
	v_readlane_b32 s0, v95, 38
	v_cndmask_b32_e64 v60, v51, v60, s[12:13]
	v_cndmask_b32_e64 v61, v48, v78, s[12:13]
	v_readlane_b32 s1, v95, 39
	s_and_saveexec_b64 s[92:93], s[0:1]
	s_cbranch_execz .LBB21_192
; %bb.191:                              ;   in Loop: Header=BB21_110 Depth=2
	ds_write_b64 v17, v[60:61] offset:4224
.LBB21_192:                             ;   in Loop: Header=BB21_110 Depth=2
	s_or_b64 exec, exec, s[92:93]
	scratch_load_dword v48, off, off offset:164 ; 4-byte Folded Reload
	s_waitcnt lgkmcnt(0)
	; wave barrier
	s_waitcnt vmcnt(0) lgkmcnt(0)
	ds_bpermute_b32 v78, v48, v60
	ds_bpermute_b32 v79, v48, v61
	s_and_saveexec_b64 s[92:93], s[14:15]
	s_cbranch_execz .LBB21_196
; %bb.193:                              ;   in Loop: Header=BB21_110 Depth=2
	ds_read_b64 v[60:61], v17 offset:4224
	s_and_saveexec_b64 vcc, s[16:17]
	s_cbranch_execz .LBB21_195
; %bb.194:                              ;   in Loop: Header=BB21_110 Depth=2
	v_mov_b32_e32 v51, v49
	ds_write_b64 v17, v[50:51] offset:4224
.LBB21_195:                             ;   in Loop: Header=BB21_110 Depth=2
	s_or_b64 exec, exec, vcc
	s_waitcnt lgkmcnt(0)
	v_mul_f32_e32 v51, v60, v49
	v_pk_add_f32 v[48:49], v[50:51], v[60:61]
	v_mul_f32_e32 v50, v50, v60
.LBB21_196:                             ;   in Loop: Header=BB21_110 Depth=2
	s_or_b64 exec, exec, s[92:93]
	s_waitcnt lgkmcnt(0)
	; wave barrier
	s_waitcnt lgkmcnt(0)
	ds_read_b32 v48, v17 offset:4228
	s_and_saveexec_b64 s[92:93], s[16:17]
	s_cbranch_execz .LBB21_109
; %bb.197:                              ;   in Loop: Header=BB21_110 Depth=2
	v_mov_b32_e32 v51, v49
	v_mov_b32_e32 v60, s90
	s_andn2_b64 vcc, exec, s[94:95]
	ds_write_b64 v60, v[50:51]
	s_cbranch_vccnz .LBB21_109
; %bb.198:                              ;   in Loop: Header=BB21_110 Depth=2
	v_bfe_u32 v50, v49, 16, 1
	s_movk_i32 s0, 0x7fff
	s_mov_b32 s87, s89
	v_add3_u32 v50, v49, v50, s0
	s_lshl_b64 s[0:1], s[86:87], 1
	v_readlane_b32 s4, v95, 20
	v_lshrrev_b32_e32 v50, 16, v50
	v_cmp_o_f32_e32 vcc, v49, v49
	v_mov_b32_e32 v49, 0x7fc0
	s_add_u32 s0, s4, s0
	v_readlane_b32 s4, v95, 21
	v_cndmask_b32_e32 v49, v49, v50, vcc
	v_readlane_b32 s87, v95, 49
	s_addc_u32 s1, s4, s1
	global_store_short v17, v49, s[0:1]
	s_branch .LBB21_109
.LBB21_199:                             ;   in Loop: Header=BB21_13 Depth=1
	v_readlane_b32 s6, v95, 50
	v_readlane_b32 s7, v95, 51
	s_mov_b32 s4, 0x41a00000
	s_mov_b32 s5, 0x3fb8aa3b
	;; [unrolled: 1-line block ×8, first 2 shown]
.LBB21_200:                             ;   in Loop: Header=BB21_13 Depth=1
	s_waitcnt lgkmcnt(0)
	; wave barrier
	scratch_load_dword v9, off, off offset:4 ; 4-byte Folded Reload
	v_bfe_u32 v0, v42, 16, 1
	s_movk_i32 s0, 0x7fff
	v_bfe_u32 v1, v43, 16, 1
	v_add3_u32 v0, v42, v0, s0
	v_bfe_u32 v2, v40, 16, 1
	v_add3_u32 v1, v43, v1, s0
	v_lshrrev_b32_e32 v0, 16, v0
	v_cmp_o_f32_e32 vcc, v42, v42
	v_mov_b32_e32 v10, 0x7fc0
	v_bfe_u32 v3, v41, 16, 1
	v_add3_u32 v2, v40, v2, s0
	v_lshrrev_b32_e32 v1, 16, v1
	v_cndmask_b32_e32 v0, v10, v0, vcc
	v_cmp_o_f32_e32 vcc, v43, v43
	v_add3_u32 v3, v41, v3, s0
	v_lshrrev_b32_e32 v2, 16, v2
	v_cndmask_b32_e32 v4, v10, v1, vcc
	v_cmp_o_f32_e32 vcc, v40, v40
	v_lshrrev_b32_e32 v3, 16, v3
	v_bfe_u32 v6, v36, 16, 1
	v_cndmask_b32_e32 v1, v10, v2, vcc
	v_cmp_o_f32_e32 vcc, v41, v41
	v_bfe_u32 v2, v38, 16, 1
	v_add3_u32 v2, v38, v2, s0
	v_cndmask_b32_e32 v5, v10, v3, vcc
	v_bfe_u32 v3, v39, 16, 1
	v_add3_u32 v3, v39, v3, s0
	v_lshrrev_b32_e32 v2, 16, v2
	v_cmp_o_f32_e32 vcc, v38, v38
	v_bfe_u32 v7, v37, 16, 1
	v_add3_u32 v6, v36, v6, s0
	v_lshrrev_b32_e32 v3, 16, v3
	v_cndmask_b32_e32 v2, v10, v2, vcc
	v_cmp_o_f32_e32 vcc, v39, v39
	v_add3_u32 v7, v37, v7, s0
	v_lshrrev_b32_e32 v6, 16, v6
	v_cndmask_b32_e32 v8, v10, v3, vcc
	v_cmp_o_f32_e32 vcc, v36, v36
	v_lshrrev_b32_e32 v7, 16, v7
	s_mov_b32 s1, 0x5040100
	v_cndmask_b32_e32 v3, v10, v6, vcc
	v_cmp_o_f32_e32 vcc, v37, v37
	v_perm_b32 v2, v8, v2, s1
	v_perm_b32 v1, v5, v1, s1
	v_cndmask_b32_e32 v6, v10, v7, vcc
	v_perm_b32 v3, v6, v3, s1
	v_perm_b32 v0, v4, v0, s1
	v_cmp_o_f32_e32 vcc, v34, v34
	v_bfe_u32 v6, v28, 16, 1
	v_bfe_u32 v7, v29, 16, 1
	v_add3_u32 v6, v28, v6, s0
	v_add3_u32 v7, v29, v7, s0
	v_lshrrev_b32_e32 v6, 16, v6
	v_lshrrev_b32_e32 v7, 16, v7
	v_readlane_b32 s2, v95, 53
	v_readlane_b32 s3, v95, 54
	s_mov_b32 s3, s89
	s_mov_b64 s[56:57], s[2:3]
	s_waitcnt vmcnt(0)
	ds_write_b128 v9, v[0:3]
	v_bfe_u32 v0, v34, 16, 1
	v_bfe_u32 v1, v35, 16, 1
	v_add3_u32 v0, v34, v0, s0
	v_bfe_u32 v2, v32, 16, 1
	v_add3_u32 v1, v35, v1, s0
	v_lshrrev_b32_e32 v0, 16, v0
	v_bfe_u32 v3, v33, 16, 1
	v_add3_u32 v2, v32, v2, s0
	v_lshrrev_b32_e32 v1, 16, v1
	v_cndmask_b32_e32 v0, v10, v0, vcc
	v_cmp_o_f32_e32 vcc, v35, v35
	v_add3_u32 v3, v33, v3, s0
	v_lshrrev_b32_e32 v2, 16, v2
	v_cndmask_b32_e32 v4, v10, v1, vcc
	v_cmp_o_f32_e32 vcc, v32, v32
	v_lshrrev_b32_e32 v3, 16, v3
	v_perm_b32 v0, v4, v0, s1
	v_cndmask_b32_e32 v1, v10, v2, vcc
	v_cmp_o_f32_e32 vcc, v33, v33
	v_bfe_u32 v2, v30, 16, 1
	v_add3_u32 v2, v30, v2, s0
	v_cndmask_b32_e32 v5, v10, v3, vcc
	v_bfe_u32 v3, v31, 16, 1
	v_add3_u32 v3, v31, v3, s0
	v_lshrrev_b32_e32 v2, 16, v2
	v_cmp_o_f32_e32 vcc, v30, v30
	v_lshrrev_b32_e32 v3, 16, v3
	v_perm_b32 v1, v5, v1, s1
	v_cndmask_b32_e32 v2, v10, v2, vcc
	v_cmp_o_f32_e32 vcc, v31, v31
	s_nop 1
	v_cndmask_b32_e32 v8, v10, v3, vcc
	v_cmp_o_f32_e32 vcc, v28, v28
	v_perm_b32 v2, v8, v2, s1
	s_nop 0
	v_cndmask_b32_e32 v3, v10, v6, vcc
	v_cmp_o_f32_e32 vcc, v29, v29
	s_nop 1
	v_cndmask_b32_e32 v6, v10, v7, vcc
	v_perm_b32 v3, v6, v3, s1
	ds_write_b128 v9, v[0:3] offset:16
	; wave barrier
	scratch_load_dword v0, off, off offset:8 ; 4-byte Folded Reload
	s_waitcnt vmcnt(0)
	ds_read_u16 v16, v0 offset:128
	scratch_load_dword v0, off, off offset:12 ; 4-byte Folded Reload
	s_waitcnt vmcnt(0)
	ds_read_u16 v15, v0 offset:256
	scratch_load_dword v0, off, off offset:16 ; 4-byte Folded Reload
	s_waitcnt vmcnt(0)
	ds_read_u16 v14, v0 offset:384
	scratch_load_dword v0, off, off offset:20 ; 4-byte Folded Reload
	s_waitcnt vmcnt(0)
	ds_read_u16 v13, v0 offset:512
	scratch_load_dword v0, off, off offset:24 ; 4-byte Folded Reload
	s_waitcnt vmcnt(0)
	ds_read_u16 v12, v0 offset:640
	scratch_load_dword v0, off, off offset:28 ; 4-byte Folded Reload
	s_waitcnt vmcnt(0)
	ds_read_u16 v11, v0 offset:768
	scratch_load_dword v0, off, off offset:32 ; 4-byte Folded Reload
	s_waitcnt vmcnt(0)
	ds_read_u16 v10, v0 offset:896
	scratch_load_dword v0, off, off offset:36 ; 4-byte Folded Reload
	s_waitcnt vmcnt(0)
	ds_read_u16 v9, v0 offset:1024
	scratch_load_dword v0, off, off offset:40 ; 4-byte Folded Reload
	s_waitcnt vmcnt(0)
	ds_read_u16 v8, v0 offset:1152
	scratch_load_dword v0, off, off offset:44 ; 4-byte Folded Reload
	s_waitcnt vmcnt(0)
	ds_read_u16 v7, v0 offset:1280
	scratch_load_dword v0, off, off offset:48 ; 4-byte Folded Reload
	s_waitcnt vmcnt(0)
	ds_read_u16 v6, v0 offset:1408
	scratch_load_dword v0, off, off offset:52 ; 4-byte Folded Reload
	s_waitcnt vmcnt(0)
	ds_read_u16 v5, v0 offset:1536
	scratch_load_dword v0, off, off offset:56 ; 4-byte Folded Reload
	s_waitcnt vmcnt(0)
	ds_read_u16 v4, v0 offset:1664
	scratch_load_dword v0, off, off offset:60 ; 4-byte Folded Reload
	s_waitcnt vmcnt(0)
	ds_read_u16 v3, v0 offset:1792
	scratch_load_dword v0, off, off offset:64 ; 4-byte Folded Reload
	s_waitcnt vmcnt(0)
	ds_read_u16 v2, v0 offset:1920
	scratch_load_dwordx2 v[0:1], off, off offset:244 ; 8-byte Folded Reload
	s_waitcnt vmcnt(0)
	v_lshl_add_u64 v[0:1], s[2:3], 1, v[0:1]
	s_and_saveexec_b64 s[2:3], s[18:19]
	s_cbranch_execnz .LBB21_269
; %bb.201:                              ;   in Loop: Header=BB21_13 Depth=1
	s_or_b64 exec, exec, s[2:3]
	s_and_saveexec_b64 s[2:3], s[20:21]
	s_cbranch_execnz .LBB21_270
.LBB21_202:                             ;   in Loop: Header=BB21_13 Depth=1
	s_or_b64 exec, exec, s[2:3]
	s_and_saveexec_b64 s[2:3], s[22:23]
	s_cbranch_execnz .LBB21_271
.LBB21_203:                             ;   in Loop: Header=BB21_13 Depth=1
	s_or_b64 exec, exec, s[2:3]
	s_and_saveexec_b64 s[2:3], s[24:25]
	s_cbranch_execnz .LBB21_272
.LBB21_204:                             ;   in Loop: Header=BB21_13 Depth=1
	s_or_b64 exec, exec, s[2:3]
	s_and_saveexec_b64 s[2:3], s[26:27]
	s_cbranch_execnz .LBB21_273
.LBB21_205:                             ;   in Loop: Header=BB21_13 Depth=1
	s_or_b64 exec, exec, s[2:3]
	s_and_saveexec_b64 s[2:3], s[28:29]
	s_cbranch_execnz .LBB21_274
.LBB21_206:                             ;   in Loop: Header=BB21_13 Depth=1
	s_or_b64 exec, exec, s[2:3]
	s_and_saveexec_b64 s[2:3], s[30:31]
	s_cbranch_execnz .LBB21_275
.LBB21_207:                             ;   in Loop: Header=BB21_13 Depth=1
	s_or_b64 exec, exec, s[2:3]
	s_and_saveexec_b64 s[2:3], s[34:35]
	s_cbranch_execnz .LBB21_276
.LBB21_208:                             ;   in Loop: Header=BB21_13 Depth=1
	s_or_b64 exec, exec, s[2:3]
	s_and_saveexec_b64 s[2:3], s[36:37]
	s_cbranch_execnz .LBB21_277
.LBB21_209:                             ;   in Loop: Header=BB21_13 Depth=1
	s_or_b64 exec, exec, s[2:3]
	s_and_saveexec_b64 s[2:3], s[38:39]
	s_cbranch_execnz .LBB21_278
.LBB21_210:                             ;   in Loop: Header=BB21_13 Depth=1
	s_or_b64 exec, exec, s[2:3]
	s_and_saveexec_b64 s[2:3], s[40:41]
	s_cbranch_execnz .LBB21_279
.LBB21_211:                             ;   in Loop: Header=BB21_13 Depth=1
	s_or_b64 exec, exec, s[2:3]
	s_and_saveexec_b64 s[2:3], s[42:43]
	s_cbranch_execnz .LBB21_280
.LBB21_212:                             ;   in Loop: Header=BB21_13 Depth=1
	s_or_b64 exec, exec, s[2:3]
	s_and_saveexec_b64 s[2:3], s[44:45]
	s_cbranch_execnz .LBB21_281
.LBB21_213:                             ;   in Loop: Header=BB21_13 Depth=1
	s_or_b64 exec, exec, s[2:3]
	s_and_saveexec_b64 s[2:3], s[46:47]
	s_cbranch_execnz .LBB21_282
.LBB21_214:                             ;   in Loop: Header=BB21_13 Depth=1
	s_or_b64 exec, exec, s[2:3]
	s_and_saveexec_b64 s[2:3], s[48:49]
	s_cbranch_execnz .LBB21_283
.LBB21_215:                             ;   in Loop: Header=BB21_13 Depth=1
	s_or_b64 exec, exec, s[2:3]
	s_and_saveexec_b64 s[2:3], s[50:51]
	s_cbranch_execz .LBB21_217
.LBB21_216:                             ;   in Loop: Header=BB21_13 Depth=1
	s_waitcnt lgkmcnt(0)
	global_store_short v[0:1], v2, off offset:1920
.LBB21_217:                             ;   in Loop: Header=BB21_13 Depth=1
	s_or_b64 exec, exec, s[2:3]
	s_waitcnt lgkmcnt(0)
	; wave barrier
	s_waitcnt lgkmcnt(0)
	scratch_load_dwordx2 v[0:1], off, off offset:252 ; 8-byte Folded Reload
	v_mov_b32_e32 v2, 0
	v_mov_b32_e32 v3, 0
	s_waitcnt vmcnt(0)
	v_lshl_add_u64 v[0:1], s[56:57], 1, v[0:1]
	s_and_saveexec_b64 s[2:3], s[18:19]
	s_cbranch_execz .LBB21_219
; %bb.218:                              ;   in Loop: Header=BB21_13 Depth=1
	global_load_ushort v3, v[0:1], off
.LBB21_219:                             ;   in Loop: Header=BB21_13 Depth=1
	s_or_b64 exec, exec, s[2:3]
	s_and_saveexec_b64 s[2:3], s[20:21]
	s_cbranch_execz .LBB21_221
; %bb.220:                              ;   in Loop: Header=BB21_13 Depth=1
	global_load_ushort v2, v[0:1], off offset:128
.LBB21_221:                             ;   in Loop: Header=BB21_13 Depth=1
	s_or_b64 exec, exec, s[2:3]
	v_mov_b32_e32 v4, 0
	v_mov_b32_e32 v5, 0
	s_and_saveexec_b64 s[2:3], s[22:23]
	s_cbranch_execz .LBB21_223
; %bb.222:                              ;   in Loop: Header=BB21_13 Depth=1
	global_load_ushort v5, v[0:1], off offset:256
.LBB21_223:                             ;   in Loop: Header=BB21_13 Depth=1
	s_or_b64 exec, exec, s[2:3]
	s_and_saveexec_b64 s[2:3], s[24:25]
	s_cbranch_execz .LBB21_225
; %bb.224:                              ;   in Loop: Header=BB21_13 Depth=1
	global_load_ushort v4, v[0:1], off offset:384
.LBB21_225:                             ;   in Loop: Header=BB21_13 Depth=1
	s_or_b64 exec, exec, s[2:3]
	v_mov_b32_e32 v6, 0
	v_mov_b32_e32 v7, 0
	s_and_saveexec_b64 s[2:3], s[26:27]
	s_cbranch_execz .LBB21_227
; %bb.226:                              ;   in Loop: Header=BB21_13 Depth=1
	global_load_ushort v7, v[0:1], off offset:512
.LBB21_227:                             ;   in Loop: Header=BB21_13 Depth=1
	;; [unrolled: 14-line block ×7, first 2 shown]
	s_or_b64 exec, exec, s[2:3]
	s_and_saveexec_b64 s[2:3], s[50:51]
	s_cbranch_execz .LBB21_249
; %bb.248:                              ;   in Loop: Header=BB21_13 Depth=1
	global_load_ushort v16, v[0:1], off offset:1920
.LBB21_249:                             ;   in Loop: Header=BB21_13 Depth=1
	s_or_b64 exec, exec, s[2:3]
	scratch_load_dword v0, off, off         ; 4-byte Folded Reload
	scratch_load_dword v44, off, off offset:8 ; 4-byte Folded Reload
	scratch_load_dword v45, off, off offset:12 ; 4-byte Folded Reload
	;; [unrolled: 1-line block ×15, first 2 shown]
	s_mov_b32 s1, 0xbfb8aa3b
	s_mov_b32 s52, 0x42ce8ed0
	;; [unrolled: 1-line block ×3, first 2 shown]
	v_mov_b32_e32 v26, 0x7f800000
	s_waitcnt vmcnt(15)
	ds_write_b16 v0, v3
	s_waitcnt vmcnt(14)
	ds_write_b16 v44, v2 offset:128
	s_waitcnt vmcnt(13)
	ds_write_b16 v45, v5 offset:256
	;; [unrolled: 2-line block ×15, first 2 shown]
	; wave barrier
	scratch_load_dword v59, off, off offset:4 ; 4-byte Folded Reload
	s_waitcnt vmcnt(0)
	ds_read_b128 v[4:7], v59
	ds_read_b128 v[0:3], v59 offset:16
	s_waitcnt lgkmcnt(0)
	; wave barrier
	s_waitcnt lgkmcnt(0)
	v_and_b32_e32 v13, 0xffff0000, v5
	v_and_b32_e32 v11, 0xffff0000, v4
	v_lshlrev_b32_e32 v10, 16, v4
	v_mul_f32_e32 v4, 0xbfb8aa3b, v13
	v_lshlrev_b32_e32 v12, 16, v5
	v_fma_f32 v5, v13, s1, -v4
	v_rndne_f32_e32 v8, v4
	v_fmac_f32_e32 v5, 0xb2a5705f, v13
	v_sub_f32_e32 v4, v4, v8
	v_add_f32_e32 v4, v4, v5
	v_exp_f32_e32 v4, v4
	v_cvt_i32_f32_e32 v5, v8
	v_cmp_nlt_f32_e32 vcc, s52, v13
	v_ldexp_f32 v4, v4, v5
	s_nop 0
	v_cndmask_b32_e32 v4, 0, v4, vcc
	v_cmp_ngt_f32_e32 vcc, s53, v13
	s_nop 1
	v_cndmask_b32_e32 v9, v26, v4, vcc
	v_mul_f32_e32 v4, 0xbfb8aa3b, v11
	v_fma_f32 v5, v11, s1, -v4
	v_rndne_f32_e32 v8, v4
	v_fmac_f32_e32 v5, 0xb2a5705f, v11
	v_sub_f32_e32 v4, v4, v8
	v_add_f32_e32 v4, v4, v5
	v_exp_f32_e32 v4, v4
	v_cvt_i32_f32_e32 v5, v8
	v_cmp_nlt_f32_e32 vcc, s52, v11
	v_ldexp_f32 v4, v4, v5
	s_nop 0
	v_cndmask_b32_e32 v4, 0, v4, vcc
	v_cmp_ngt_f32_e32 vcc, s53, v11
	s_nop 1
	v_cndmask_b32_e32 v5, v26, v4, vcc
	v_mul_f32_e32 v4, 0xbfb8aa3b, v12
	v_rndne_f32_e32 v8, v4
	v_sub_f32_e32 v14, v4, v8
	v_fma_f32 v4, v12, s1, -v4
	v_fmac_f32_e32 v4, 0xb2a5705f, v12
	v_add_f32_e32 v4, v14, v4
	v_exp_f32_e32 v4, v4
	v_cvt_i32_f32_e32 v8, v8
	v_cmp_nlt_f32_e32 vcc, s52, v12
	v_ldexp_f32 v4, v4, v8
	s_nop 0
	v_cndmask_b32_e32 v4, 0, v4, vcc
	v_cmp_ngt_f32_e32 vcc, s53, v12
	s_nop 1
	v_cndmask_b32_e32 v8, v26, v4, vcc
	v_mul_f32_e32 v4, 0xbfb8aa3b, v10
	v_rndne_f32_e32 v14, v4
	v_sub_f32_e32 v15, v4, v14
	v_fma_f32 v4, v10, s1, -v4
	v_fmac_f32_e32 v4, 0xb2a5705f, v10
	v_add_f32_e32 v4, v15, v4
	v_exp_f32_e32 v4, v4
	v_cvt_i32_f32_e32 v14, v14
	v_pk_add_f32 v[8:9], v[8:9], 1.0 op_sel_hi:[1,0]
	v_cmp_nlt_f32_e32 vcc, s52, v10
	v_ldexp_f32 v4, v4, v14
	v_div_scale_f32 v14, s[2:3], v9, v9, v13
	v_rcp_f32_e32 v15, v14
	v_cndmask_b32_e32 v4, 0, v4, vcc
	v_cmp_ngt_f32_e32 vcc, s53, v10
	v_fma_f32 v16, -v14, v15, 1.0
	s_nop 0
	v_cndmask_b32_e32 v4, v26, v4, vcc
	v_fmac_f32_e32 v15, v16, v15
	v_div_scale_f32 v16, vcc, v13, v9, v13
	v_mul_f32_e32 v18, v16, v15
	v_fma_f32 v19, -v14, v18, v16
	v_fmac_f32_e32 v18, v19, v15
	v_fma_f32 v14, -v14, v18, v16
	v_div_fmas_f32 v14, v14, v15, v18
	v_div_fixup_f32 v9, v14, v9, v13
	v_div_scale_f32 v13, s[2:3], v8, v8, v12
	v_rcp_f32_e32 v14, v13
	v_pk_add_f32 v[4:5], v[4:5], 1.0 op_sel_hi:[1,0]
	v_fma_f32 v15, -v13, v14, 1.0
	v_fmac_f32_e32 v14, v15, v14
	v_div_scale_f32 v15, vcc, v12, v8, v12
	v_mul_f32_e32 v16, v15, v14
	v_fma_f32 v18, -v13, v16, v15
	v_fmac_f32_e32 v16, v18, v14
	v_fma_f32 v13, -v13, v16, v15
	v_div_fmas_f32 v13, v13, v14, v16
	v_div_fixup_f32 v8, v13, v8, v12
	v_div_scale_f32 v12, s[2:3], v5, v5, v11
	v_rcp_f32_e32 v13, v12
	s_nop 0
	v_fma_f32 v14, -v12, v13, 1.0
	v_fmac_f32_e32 v13, v14, v13
	v_div_scale_f32 v14, vcc, v11, v5, v11
	v_mul_f32_e32 v15, v14, v13
	v_fma_f32 v16, -v12, v15, v14
	v_fmac_f32_e32 v15, v16, v13
	v_fma_f32 v12, -v12, v15, v14
	v_div_fmas_f32 v12, v12, v13, v15
	v_div_fixup_f32 v5, v12, v5, v11
	v_div_scale_f32 v11, s[2:3], v4, v4, v10
	v_rcp_f32_e32 v12, v11
	s_nop 0
	v_fma_f32 v13, -v11, v12, 1.0
	v_fmac_f32_e32 v12, v13, v12
	v_div_scale_f32 v13, vcc, v10, v4, v10
	v_mul_f32_e32 v14, v13, v12
	v_fma_f32 v15, -v11, v14, v13
	v_fmac_f32_e32 v14, v15, v12
	v_fma_f32 v11, -v11, v14, v13
	v_div_fmas_f32 v11, v11, v12, v14
	v_div_fixup_f32 v4, v11, v4, v10
	v_pk_mul_f32 v[4:5], v[42:43], v[4:5]
	v_pk_mul_f32 v[10:11], v[40:41], v[8:9]
	v_bfe_u32 v8, v4, 16, 1
	v_bfe_u32 v9, v5, 16, 1
	v_add3_u32 v8, v4, v8, s0
	v_bfe_u32 v12, v10, 16, 1
	v_add3_u32 v9, v5, v9, s0
	v_lshrrev_b32_e32 v8, 16, v8
	v_cmp_o_f32_e32 vcc, v4, v4
	v_mov_b32_e32 v40, 0x7fc0
	v_bfe_u32 v13, v11, 16, 1
	v_add3_u32 v12, v10, v12, s0
	v_lshrrev_b32_e32 v9, 16, v9
	v_cndmask_b32_e32 v8, v40, v8, vcc
	v_cmp_o_f32_e32 vcc, v5, v5
	v_add3_u32 v13, v11, v13, s0
	v_lshrrev_b32_e32 v12, 16, v12
	v_cndmask_b32_e32 v9, v40, v9, vcc
	v_cmp_o_f32_e32 vcc, v10, v10
	v_and_b32_e32 v15, 0xffff0000, v7
	v_lshrrev_b32_e32 v13, 16, v13
	v_cndmask_b32_e32 v10, v40, v12, vcc
	v_cmp_o_f32_e32 vcc, v11, v11
	v_mul_f32_e32 v4, 0xbfb8aa3b, v15
	v_lshlrev_b32_e32 v12, 16, v6
	v_cndmask_b32_e32 v11, v40, v13, vcc
	v_and_b32_e32 v13, 0xffff0000, v6
	v_fma_f32 v5, v15, s1, -v4
	v_rndne_f32_e32 v6, v4
	v_fmac_f32_e32 v5, 0xb2a5705f, v15
	v_sub_f32_e32 v4, v4, v6
	v_add_f32_e32 v4, v4, v5
	v_exp_f32_e32 v4, v4
	v_cvt_i32_f32_e32 v5, v6
	v_cmp_nlt_f32_e32 vcc, s52, v15
	v_lshlrev_b32_e32 v14, 16, v7
	v_ldexp_f32 v4, v4, v5
	v_cndmask_b32_e32 v4, 0, v4, vcc
	v_cmp_ngt_f32_e32 vcc, s53, v15
	s_nop 1
	v_cndmask_b32_e32 v7, v26, v4, vcc
	v_mul_f32_e32 v4, 0xbfb8aa3b, v13
	v_fma_f32 v5, v13, s1, -v4
	v_rndne_f32_e32 v6, v4
	v_fmac_f32_e32 v5, 0xb2a5705f, v13
	v_sub_f32_e32 v4, v4, v6
	v_add_f32_e32 v4, v4, v5
	v_exp_f32_e32 v4, v4
	v_cvt_i32_f32_e32 v5, v6
	v_cmp_nlt_f32_e32 vcc, s52, v13
	v_ldexp_f32 v4, v4, v5
	s_nop 0
	v_cndmask_b32_e32 v4, 0, v4, vcc
	v_cmp_ngt_f32_e32 vcc, s53, v13
	s_nop 1
	v_cndmask_b32_e32 v5, v26, v4, vcc
	v_mul_f32_e32 v4, 0xbfb8aa3b, v14
	v_rndne_f32_e32 v6, v4
	v_sub_f32_e32 v16, v4, v6
	v_fma_f32 v4, v14, s1, -v4
	v_fmac_f32_e32 v4, 0xb2a5705f, v14
	v_add_f32_e32 v4, v16, v4
	v_exp_f32_e32 v4, v4
	v_cvt_i32_f32_e32 v6, v6
	v_cmp_nlt_f32_e32 vcc, s52, v14
	v_ldexp_f32 v4, v4, v6
	s_nop 0
	v_cndmask_b32_e32 v4, 0, v4, vcc
	v_cmp_ngt_f32_e32 vcc, s53, v14
	s_nop 1
	v_cndmask_b32_e32 v6, v26, v4, vcc
	v_mul_f32_e32 v4, 0xbfb8aa3b, v12
	v_rndne_f32_e32 v16, v4
	v_sub_f32_e32 v18, v4, v16
	v_fma_f32 v4, v12, s1, -v4
	v_fmac_f32_e32 v4, 0xb2a5705f, v12
	v_add_f32_e32 v4, v18, v4
	v_exp_f32_e32 v4, v4
	v_cvt_i32_f32_e32 v16, v16
	v_pk_add_f32 v[6:7], v[6:7], 1.0 op_sel_hi:[1,0]
	v_cmp_nlt_f32_e32 vcc, s52, v12
	v_ldexp_f32 v4, v4, v16
	v_div_scale_f32 v16, s[2:3], v7, v7, v15
	v_rcp_f32_e32 v18, v16
	v_cndmask_b32_e32 v4, 0, v4, vcc
	v_cmp_ngt_f32_e32 vcc, s53, v12
	v_fma_f32 v19, -v16, v18, 1.0
	s_nop 0
	v_cndmask_b32_e32 v4, v26, v4, vcc
	v_fmac_f32_e32 v18, v19, v18
	v_div_scale_f32 v19, vcc, v15, v7, v15
	v_mul_f32_e32 v20, v19, v18
	v_fma_f32 v21, -v16, v20, v19
	v_fmac_f32_e32 v20, v21, v18
	v_fma_f32 v16, -v16, v20, v19
	v_div_fmas_f32 v16, v16, v18, v20
	v_div_fixup_f32 v7, v16, v7, v15
	v_div_scale_f32 v15, s[2:3], v6, v6, v14
	v_rcp_f32_e32 v16, v15
	v_pk_add_f32 v[4:5], v[4:5], 1.0 op_sel_hi:[1,0]
	v_fma_f32 v18, -v15, v16, 1.0
	v_fmac_f32_e32 v16, v18, v16
	v_div_scale_f32 v18, vcc, v14, v6, v14
	v_mul_f32_e32 v19, v18, v16
	v_fma_f32 v20, -v15, v19, v18
	v_fmac_f32_e32 v19, v20, v16
	v_fma_f32 v15, -v15, v19, v18
	v_div_fmas_f32 v15, v15, v16, v19
	v_div_fixup_f32 v6, v15, v6, v14
	v_div_scale_f32 v14, s[2:3], v5, v5, v13
	v_rcp_f32_e32 v15, v14
	s_nop 0
	v_fma_f32 v16, -v14, v15, 1.0
	v_fmac_f32_e32 v15, v16, v15
	v_div_scale_f32 v16, vcc, v13, v5, v13
	v_mul_f32_e32 v18, v16, v15
	v_fma_f32 v19, -v14, v18, v16
	v_fmac_f32_e32 v18, v19, v15
	v_fma_f32 v14, -v14, v18, v16
	v_div_fmas_f32 v14, v14, v15, v18
	v_div_fixup_f32 v5, v14, v5, v13
	v_div_scale_f32 v13, s[2:3], v4, v4, v12
	v_rcp_f32_e32 v14, v13
	s_nop 0
	v_fma_f32 v15, -v13, v14, 1.0
	v_fmac_f32_e32 v14, v15, v14
	v_div_scale_f32 v15, vcc, v12, v4, v12
	v_mul_f32_e32 v16, v15, v14
	v_fma_f32 v18, -v13, v16, v15
	v_fmac_f32_e32 v16, v18, v14
	v_fma_f32 v13, -v13, v16, v15
	v_div_fmas_f32 v13, v13, v14, v16
	v_div_fixup_f32 v4, v13, v4, v12
	v_pk_mul_f32 v[4:5], v[38:39], v[4:5]
	v_pk_mul_f32 v[12:13], v[36:37], v[6:7]
	v_bfe_u32 v6, v4, 16, 1
	v_bfe_u32 v7, v5, 16, 1
	v_add3_u32 v6, v4, v6, s0
	v_bfe_u32 v14, v12, 16, 1
	v_add3_u32 v7, v5, v7, s0
	v_lshrrev_b32_e32 v6, 16, v6
	v_cmp_o_f32_e32 vcc, v4, v4
	v_bfe_u32 v15, v13, 16, 1
	v_add3_u32 v14, v12, v14, s0
	v_lshrrev_b32_e32 v7, 16, v7
	v_cndmask_b32_e32 v6, v40, v6, vcc
	v_cmp_o_f32_e32 vcc, v5, v5
	v_add3_u32 v15, v13, v15, s0
	v_lshrrev_b32_e32 v14, 16, v14
	v_cndmask_b32_e32 v7, v40, v7, vcc
	v_cmp_o_f32_e32 vcc, v12, v12
	v_lshrrev_b32_e32 v15, 16, v15
	v_and_b32_e32 v18, 0xffff0000, v1
	v_cndmask_b32_e32 v12, v40, v14, vcc
	v_cmp_o_f32_e32 vcc, v13, v13
	v_lshlrev_b32_e32 v14, 16, v0
	v_lshlrev_b32_e32 v16, 16, v1
	v_cndmask_b32_e32 v13, v40, v15, vcc
	v_and_b32_e32 v15, 0xffff0000, v0
	v_mul_f32_e32 v0, 0xbfb8aa3b, v18
	v_fma_f32 v1, v18, s1, -v0
	v_rndne_f32_e32 v4, v0
	v_fmac_f32_e32 v1, 0xb2a5705f, v18
	v_sub_f32_e32 v0, v0, v4
	v_add_f32_e32 v0, v0, v1
	v_exp_f32_e32 v0, v0
	v_cvt_i32_f32_e32 v1, v4
	v_cmp_nlt_f32_e32 vcc, s52, v18
	v_ldexp_f32 v0, v0, v1
	s_nop 0
	v_cndmask_b32_e32 v0, 0, v0, vcc
	v_cmp_ngt_f32_e32 vcc, s53, v18
	s_nop 1
	v_cndmask_b32_e32 v5, v26, v0, vcc
	v_mul_f32_e32 v0, 0xbfb8aa3b, v15
	v_fma_f32 v1, v15, s1, -v0
	v_rndne_f32_e32 v4, v0
	v_fmac_f32_e32 v1, 0xb2a5705f, v15
	v_sub_f32_e32 v0, v0, v4
	v_add_f32_e32 v0, v0, v1
	v_exp_f32_e32 v0, v0
	v_cvt_i32_f32_e32 v1, v4
	v_cmp_nlt_f32_e32 vcc, s52, v15
	v_ldexp_f32 v0, v0, v1
	s_nop 0
	v_cndmask_b32_e32 v0, 0, v0, vcc
	v_cmp_ngt_f32_e32 vcc, s53, v15
	s_nop 1
	v_cndmask_b32_e32 v1, v26, v0, vcc
	v_mul_f32_e32 v0, 0xbfb8aa3b, v16
	v_rndne_f32_e32 v4, v0
	v_sub_f32_e32 v19, v0, v4
	v_fma_f32 v0, v16, s1, -v0
	v_fmac_f32_e32 v0, 0xb2a5705f, v16
	v_add_f32_e32 v0, v19, v0
	v_exp_f32_e32 v0, v0
	v_cvt_i32_f32_e32 v4, v4
	v_cmp_nlt_f32_e32 vcc, s52, v16
	v_ldexp_f32 v0, v0, v4
	s_nop 0
	v_cndmask_b32_e32 v0, 0, v0, vcc
	v_cmp_ngt_f32_e32 vcc, s53, v16
	s_nop 1
	v_cndmask_b32_e32 v4, v26, v0, vcc
	v_mul_f32_e32 v0, 0xbfb8aa3b, v14
	v_rndne_f32_e32 v19, v0
	v_sub_f32_e32 v20, v0, v19
	v_fma_f32 v0, v14, s1, -v0
	v_fmac_f32_e32 v0, 0xb2a5705f, v14
	v_add_f32_e32 v0, v20, v0
	v_exp_f32_e32 v0, v0
	v_cvt_i32_f32_e32 v19, v19
	v_pk_add_f32 v[4:5], v[4:5], 1.0 op_sel_hi:[1,0]
	v_cmp_nlt_f32_e32 vcc, s52, v14
	v_ldexp_f32 v0, v0, v19
	v_div_scale_f32 v19, s[2:3], v5, v5, v18
	v_rcp_f32_e32 v20, v19
	v_cndmask_b32_e32 v0, 0, v0, vcc
	v_cmp_ngt_f32_e32 vcc, s53, v14
	v_fma_f32 v21, -v19, v20, 1.0
	s_nop 0
	v_cndmask_b32_e32 v0, v26, v0, vcc
	v_fmac_f32_e32 v20, v21, v20
	v_div_scale_f32 v21, vcc, v18, v5, v18
	v_mul_f32_e32 v24, v21, v20
	v_fma_f32 v25, -v19, v24, v21
	v_fmac_f32_e32 v24, v25, v20
	v_fma_f32 v19, -v19, v24, v21
	v_div_fmas_f32 v19, v19, v20, v24
	v_div_fixup_f32 v5, v19, v5, v18
	v_div_scale_f32 v18, s[2:3], v4, v4, v16
	v_rcp_f32_e32 v19, v18
	v_pk_add_f32 v[0:1], v[0:1], 1.0 op_sel_hi:[1,0]
	v_fma_f32 v20, -v18, v19, 1.0
	v_fmac_f32_e32 v19, v20, v19
	v_div_scale_f32 v20, vcc, v16, v4, v16
	v_mul_f32_e32 v21, v20, v19
	v_fma_f32 v24, -v18, v21, v20
	v_fmac_f32_e32 v21, v24, v19
	v_fma_f32 v18, -v18, v21, v20
	v_div_fmas_f32 v18, v18, v19, v21
	v_div_fixup_f32 v4, v18, v4, v16
	v_div_scale_f32 v16, s[2:3], v1, v1, v15
	v_rcp_f32_e32 v18, v16
	s_nop 0
	v_fma_f32 v19, -v16, v18, 1.0
	v_fmac_f32_e32 v18, v19, v18
	v_div_scale_f32 v19, vcc, v15, v1, v15
	v_mul_f32_e32 v20, v19, v18
	v_fma_f32 v21, -v16, v20, v19
	v_fmac_f32_e32 v20, v21, v18
	v_fma_f32 v16, -v16, v20, v19
	v_div_fmas_f32 v16, v16, v18, v20
	v_div_fixup_f32 v1, v16, v1, v15
	v_div_scale_f32 v15, s[2:3], v0, v0, v14
	v_rcp_f32_e32 v16, v15
	s_nop 0
	v_fma_f32 v18, -v15, v16, 1.0
	v_fmac_f32_e32 v16, v18, v16
	v_div_scale_f32 v18, vcc, v14, v0, v14
	v_mul_f32_e32 v19, v18, v16
	v_fma_f32 v20, -v15, v19, v18
	v_fmac_f32_e32 v19, v20, v16
	v_fma_f32 v15, -v15, v19, v18
	v_div_fmas_f32 v15, v15, v16, v19
	v_div_fixup_f32 v0, v15, v0, v14
	v_pk_mul_f32 v[0:1], v[34:35], v[0:1]
	v_pk_mul_f32 v[14:15], v[32:33], v[4:5]
	v_bfe_u32 v4, v0, 16, 1
	v_bfe_u32 v5, v1, 16, 1
	v_add3_u32 v4, v0, v4, s0
	v_bfe_u32 v16, v14, 16, 1
	v_add3_u32 v5, v1, v5, s0
	v_lshrrev_b32_e32 v4, 16, v4
	v_cmp_o_f32_e32 vcc, v0, v0
	v_bfe_u32 v18, v15, 16, 1
	v_add3_u32 v16, v14, v16, s0
	v_lshrrev_b32_e32 v5, 16, v5
	v_cndmask_b32_e32 v4, v40, v4, vcc
	v_cmp_o_f32_e32 vcc, v1, v1
	v_add3_u32 v18, v15, v18, s0
	v_lshrrev_b32_e32 v16, 16, v16
	v_cndmask_b32_e32 v5, v40, v5, vcc
	v_cmp_o_f32_e32 vcc, v14, v14
	v_and_b32_e32 v20, 0xffff0000, v3
	v_lshrrev_b32_e32 v18, 16, v18
	v_cndmask_b32_e32 v14, v40, v16, vcc
	v_cmp_o_f32_e32 vcc, v15, v15
	v_mul_f32_e32 v0, 0xbfb8aa3b, v20
	v_lshlrev_b32_e32 v16, 16, v2
	v_cndmask_b32_e32 v15, v40, v18, vcc
	v_and_b32_e32 v18, 0xffff0000, v2
	v_fma_f32 v1, v20, s1, -v0
	v_rndne_f32_e32 v2, v0
	v_fmac_f32_e32 v1, 0xb2a5705f, v20
	v_sub_f32_e32 v0, v0, v2
	v_add_f32_e32 v0, v0, v1
	v_exp_f32_e32 v0, v0
	v_cvt_i32_f32_e32 v1, v2
	v_cmp_nlt_f32_e32 vcc, s52, v20
	v_lshlrev_b32_e32 v19, 16, v3
	v_ldexp_f32 v0, v0, v1
	v_cndmask_b32_e32 v0, 0, v0, vcc
	v_cmp_ngt_f32_e32 vcc, s53, v20
	s_nop 1
	v_cndmask_b32_e32 v3, v26, v0, vcc
	v_mul_f32_e32 v0, 0xbfb8aa3b, v18
	v_fma_f32 v1, v18, s1, -v0
	v_rndne_f32_e32 v2, v0
	v_fmac_f32_e32 v1, 0xb2a5705f, v18
	v_sub_f32_e32 v0, v0, v2
	v_add_f32_e32 v0, v0, v1
	v_exp_f32_e32 v0, v0
	v_cvt_i32_f32_e32 v1, v2
	v_cmp_nlt_f32_e32 vcc, s52, v18
	v_ldexp_f32 v0, v0, v1
	s_nop 0
	v_cndmask_b32_e32 v0, 0, v0, vcc
	v_cmp_ngt_f32_e32 vcc, s53, v18
	s_nop 1
	v_cndmask_b32_e32 v1, v26, v0, vcc
	v_mul_f32_e32 v0, 0xbfb8aa3b, v19
	v_rndne_f32_e32 v2, v0
	v_sub_f32_e32 v21, v0, v2
	v_fma_f32 v0, v19, s1, -v0
	v_fmac_f32_e32 v0, 0xb2a5705f, v19
	v_add_f32_e32 v0, v21, v0
	v_exp_f32_e32 v0, v0
	v_cvt_i32_f32_e32 v2, v2
	v_cmp_nlt_f32_e32 vcc, s52, v19
	v_ldexp_f32 v0, v0, v2
	s_nop 0
	v_cndmask_b32_e32 v0, 0, v0, vcc
	v_cmp_ngt_f32_e32 vcc, s53, v19
	s_nop 1
	v_cndmask_b32_e32 v2, v26, v0, vcc
	v_mul_f32_e32 v0, 0xbfb8aa3b, v16
	v_rndne_f32_e32 v21, v0
	v_sub_f32_e32 v24, v0, v21
	v_fma_f32 v0, v16, s1, -v0
	v_fmac_f32_e32 v0, 0xb2a5705f, v16
	v_add_f32_e32 v0, v24, v0
	v_exp_f32_e32 v0, v0
	v_cvt_i32_f32_e32 v21, v21
	v_pk_add_f32 v[2:3], v[2:3], 1.0 op_sel_hi:[1,0]
	v_cmp_nlt_f32_e32 vcc, s52, v16
	v_ldexp_f32 v0, v0, v21
	v_div_scale_f32 v21, s[2:3], v3, v3, v20
	v_rcp_f32_e32 v24, v21
	v_cndmask_b32_e32 v0, 0, v0, vcc
	v_cmp_ngt_f32_e32 vcc, s53, v16
	v_fma_f32 v25, -v21, v24, 1.0
	s_nop 0
	v_cndmask_b32_e32 v0, v26, v0, vcc
	v_fmac_f32_e32 v24, v25, v24
	v_div_scale_f32 v25, vcc, v20, v3, v20
	v_mul_f32_e32 v26, v25, v24
	v_fma_f32 v27, -v21, v26, v25
	v_fmac_f32_e32 v26, v27, v24
	v_fma_f32 v21, -v21, v26, v25
	v_div_fmas_f32 v21, v21, v24, v26
	v_div_fixup_f32 v3, v21, v3, v20
	v_div_scale_f32 v20, s[2:3], v2, v2, v19
	v_rcp_f32_e32 v21, v20
	v_pk_add_f32 v[0:1], v[0:1], 1.0 op_sel_hi:[1,0]
	v_fma_f32 v24, -v20, v21, 1.0
	v_fmac_f32_e32 v21, v24, v21
	v_div_scale_f32 v24, vcc, v19, v2, v19
	v_mul_f32_e32 v25, v24, v21
	v_fma_f32 v26, -v20, v25, v24
	v_fmac_f32_e32 v25, v26, v21
	v_fma_f32 v20, -v20, v25, v24
	v_div_fmas_f32 v20, v20, v21, v25
	v_div_fixup_f32 v2, v20, v2, v19
	v_div_scale_f32 v19, s[2:3], v1, v1, v18
	v_rcp_f32_e32 v20, v19
	v_pk_mul_f32 v[2:3], v[28:29], v[2:3]
	v_fma_f32 v21, -v19, v20, 1.0
	v_fmac_f32_e32 v20, v21, v20
	v_div_scale_f32 v21, vcc, v18, v1, v18
	v_mul_f32_e32 v24, v21, v20
	v_fma_f32 v25, -v19, v24, v21
	v_fmac_f32_e32 v24, v25, v20
	v_fma_f32 v19, -v19, v24, v21
	v_div_fmas_f32 v19, v19, v20, v24
	v_div_fixup_f32 v1, v19, v1, v18
	v_div_scale_f32 v18, s[2:3], v0, v0, v16
	v_rcp_f32_e32 v19, v18
	s_nop 0
	v_fma_f32 v20, -v18, v19, 1.0
	v_fmac_f32_e32 v19, v20, v19
	v_div_scale_f32 v20, vcc, v16, v0, v16
	v_mul_f32_e32 v21, v20, v19
	v_fma_f32 v24, -v18, v21, v20
	v_fmac_f32_e32 v21, v24, v19
	v_fma_f32 v18, -v18, v21, v20
	v_div_fmas_f32 v18, v18, v19, v21
	v_div_fixup_f32 v0, v18, v0, v16
	v_pk_mul_f32 v[0:1], v[30:31], v[0:1]
	v_bfe_u32 v19, v2, 16, 1
	v_bfe_u32 v16, v0, 16, 1
	;; [unrolled: 1-line block ×3, first 2 shown]
	v_add3_u32 v16, v0, v16, s0
	v_add3_u32 v18, v1, v18, s0
	v_lshrrev_b32_e32 v16, 16, v16
	v_cmp_o_f32_e32 vcc, v0, v0
	v_bfe_u32 v20, v3, 16, 1
	v_add3_u32 v19, v2, v19, s0
	v_lshrrev_b32_e32 v18, 16, v18
	v_cndmask_b32_e32 v16, v40, v16, vcc
	v_cmp_o_f32_e32 vcc, v1, v1
	v_add3_u32 v20, v3, v20, s0
	v_lshrrev_b32_e32 v19, 16, v19
	v_cndmask_b32_e32 v18, v40, v18, vcc
	v_cmp_o_f32_e32 vcc, v2, v2
	v_lshrrev_b32_e32 v20, 16, v20
	s_mov_b32 s0, 0x5040100
	v_cndmask_b32_e32 v19, v40, v19, vcc
	v_cmp_o_f32_e32 vcc, v3, v3
	v_perm_b32 v3, v13, v12, s0
	v_perm_b32 v2, v7, v6, s0
	v_cndmask_b32_e32 v20, v40, v20, vcc
	v_perm_b32 v1, v11, v10, s0
	v_perm_b32 v0, v9, v8, s0
	ds_write_b128 v59, v[0:3]
	v_perm_b32 v3, v20, v19, s0
	v_perm_b32 v2, v18, v16, s0
	;; [unrolled: 1-line block ×4, first 2 shown]
	ds_write_b128 v59, v[0:3] offset:16
	; wave barrier
	ds_read_u16 v16, v44 offset:128
	ds_read_u16 v15, v45 offset:256
	;; [unrolled: 1-line block ×15, first 2 shown]
	scratch_load_dwordx2 v[0:1], off, off offset:260 ; 8-byte Folded Reload
	s_waitcnt vmcnt(0)
	v_lshl_add_u64 v[0:1], s[56:57], 1, v[0:1]
	s_and_saveexec_b64 s[2:3], s[18:19]
	s_cbranch_execz .LBB21_251
; %bb.250:                              ;   in Loop: Header=BB21_13 Depth=1
	scratch_load_dword v18, off, off        ; 4-byte Folded Reload
	s_waitcnt vmcnt(0)
	ds_read_u16 v18, v18
	s_waitcnt lgkmcnt(0)
	global_store_short v[0:1], v18, off
.LBB21_251:                             ;   in Loop: Header=BB21_13 Depth=1
	s_or_b64 exec, exec, s[2:3]
	s_and_saveexec_b64 s[2:3], s[20:21]
	s_cbranch_execz .LBB21_253
; %bb.252:                              ;   in Loop: Header=BB21_13 Depth=1
	s_waitcnt lgkmcnt(14)
	global_store_short v[0:1], v16, off offset:128
.LBB21_253:                             ;   in Loop: Header=BB21_13 Depth=1
	s_or_b64 exec, exec, s[2:3]
	s_mov_b64 s[2:3], exec
	s_and_b64 s[0:1], s[2:3], s[22:23]
	v_mov_b32_e32 v39, 0x7f800000
	s_mov_b64 exec, s[0:1]
	s_cbranch_execnz .LBB21_284
; %bb.254:                              ;   in Loop: Header=BB21_13 Depth=1
	s_or_b64 exec, exec, s[2:3]
	s_and_saveexec_b64 s[2:3], s[24:25]
	s_cbranch_execnz .LBB21_285
.LBB21_255:                             ;   in Loop: Header=BB21_13 Depth=1
	s_or_b64 exec, exec, s[2:3]
	s_and_saveexec_b64 s[2:3], s[26:27]
	s_cbranch_execnz .LBB21_286
.LBB21_256:                             ;   in Loop: Header=BB21_13 Depth=1
	s_or_b64 exec, exec, s[2:3]
	s_and_saveexec_b64 s[2:3], s[28:29]
	s_cbranch_execnz .LBB21_287
.LBB21_257:                             ;   in Loop: Header=BB21_13 Depth=1
	s_or_b64 exec, exec, s[2:3]
	s_and_saveexec_b64 s[2:3], s[30:31]
	s_cbranch_execnz .LBB21_288
.LBB21_258:                             ;   in Loop: Header=BB21_13 Depth=1
	s_or_b64 exec, exec, s[2:3]
	s_and_saveexec_b64 s[2:3], s[34:35]
	s_cbranch_execnz .LBB21_289
.LBB21_259:                             ;   in Loop: Header=BB21_13 Depth=1
	s_or_b64 exec, exec, s[2:3]
	s_and_saveexec_b64 s[2:3], s[36:37]
	s_cbranch_execnz .LBB21_290
.LBB21_260:                             ;   in Loop: Header=BB21_13 Depth=1
	s_or_b64 exec, exec, s[2:3]
	s_and_saveexec_b64 s[2:3], s[38:39]
	s_cbranch_execnz .LBB21_291
.LBB21_261:                             ;   in Loop: Header=BB21_13 Depth=1
	s_or_b64 exec, exec, s[2:3]
	s_and_saveexec_b64 s[2:3], s[40:41]
	s_cbranch_execnz .LBB21_292
.LBB21_262:                             ;   in Loop: Header=BB21_13 Depth=1
	s_or_b64 exec, exec, s[2:3]
	s_and_saveexec_b64 s[2:3], s[42:43]
	s_cbranch_execnz .LBB21_293
.LBB21_263:                             ;   in Loop: Header=BB21_13 Depth=1
	s_or_b64 exec, exec, s[2:3]
	s_and_saveexec_b64 s[2:3], s[44:45]
	s_cbranch_execnz .LBB21_294
.LBB21_264:                             ;   in Loop: Header=BB21_13 Depth=1
	s_or_b64 exec, exec, s[2:3]
	s_and_saveexec_b64 s[2:3], s[46:47]
	s_cbranch_execnz .LBB21_295
.LBB21_265:                             ;   in Loop: Header=BB21_13 Depth=1
	s_or_b64 exec, exec, s[2:3]
	s_and_saveexec_b64 s[2:3], s[48:49]
	s_cbranch_execnz .LBB21_296
.LBB21_266:                             ;   in Loop: Header=BB21_13 Depth=1
	s_or_b64 exec, exec, s[2:3]
	s_and_saveexec_b64 s[2:3], s[50:51]
	s_cbranch_execz .LBB21_12
	s_branch .LBB21_297
.LBB21_267:                             ;   in Loop: Header=BB21_13 Depth=1
	global_load_ushort v28, v[8:9], off offset:1664
	s_or_b64 exec, exec, s[2:3]
	s_and_saveexec_b64 s[2:3], s[48:49]
	s_cbranch_execz .LBB21_73
.LBB21_268:                             ;   in Loop: Header=BB21_13 Depth=1
	global_load_ushort v27, v[8:9], off offset:1792
	s_or_b64 exec, exec, s[2:3]
	v_mov_b32_e32 v29, 0
	s_and_saveexec_b64 s[2:3], s[50:51]
	s_cbranch_execnz .LBB21_74
	s_branch .LBB21_75
.LBB21_269:                             ;   in Loop: Header=BB21_13 Depth=1
	scratch_load_dword v18, off, off        ; 4-byte Folded Reload
	s_waitcnt vmcnt(0)
	ds_read_u16 v18, v18
	s_waitcnt lgkmcnt(0)
	global_store_short v[0:1], v18, off
	s_or_b64 exec, exec, s[2:3]
	s_and_saveexec_b64 s[2:3], s[20:21]
	s_cbranch_execz .LBB21_202
.LBB21_270:                             ;   in Loop: Header=BB21_13 Depth=1
	s_waitcnt lgkmcnt(14)
	global_store_short v[0:1], v16, off offset:128
	s_or_b64 exec, exec, s[2:3]
	s_and_saveexec_b64 s[2:3], s[22:23]
	s_cbranch_execz .LBB21_203
.LBB21_271:                             ;   in Loop: Header=BB21_13 Depth=1
	s_waitcnt lgkmcnt(13)
	global_store_short v[0:1], v15, off offset:256
	s_or_b64 exec, exec, s[2:3]
	s_and_saveexec_b64 s[2:3], s[24:25]
	s_cbranch_execz .LBB21_204
.LBB21_272:                             ;   in Loop: Header=BB21_13 Depth=1
	s_waitcnt lgkmcnt(12)
	global_store_short v[0:1], v14, off offset:384
	s_or_b64 exec, exec, s[2:3]
	s_and_saveexec_b64 s[2:3], s[26:27]
	s_cbranch_execz .LBB21_205
.LBB21_273:                             ;   in Loop: Header=BB21_13 Depth=1
	s_waitcnt lgkmcnt(11)
	global_store_short v[0:1], v13, off offset:512
	s_or_b64 exec, exec, s[2:3]
	s_and_saveexec_b64 s[2:3], s[28:29]
	s_cbranch_execz .LBB21_206
.LBB21_274:                             ;   in Loop: Header=BB21_13 Depth=1
	s_waitcnt lgkmcnt(10)
	global_store_short v[0:1], v12, off offset:640
	s_or_b64 exec, exec, s[2:3]
	s_and_saveexec_b64 s[2:3], s[30:31]
	s_cbranch_execz .LBB21_207
.LBB21_275:                             ;   in Loop: Header=BB21_13 Depth=1
	s_waitcnt lgkmcnt(9)
	global_store_short v[0:1], v11, off offset:768
	s_or_b64 exec, exec, s[2:3]
	s_and_saveexec_b64 s[2:3], s[34:35]
	s_cbranch_execz .LBB21_208
.LBB21_276:                             ;   in Loop: Header=BB21_13 Depth=1
	s_waitcnt lgkmcnt(8)
	global_store_short v[0:1], v10, off offset:896
	s_or_b64 exec, exec, s[2:3]
	s_and_saveexec_b64 s[2:3], s[36:37]
	s_cbranch_execz .LBB21_209
.LBB21_277:                             ;   in Loop: Header=BB21_13 Depth=1
	s_waitcnt lgkmcnt(7)
	global_store_short v[0:1], v9, off offset:1024
	s_or_b64 exec, exec, s[2:3]
	s_and_saveexec_b64 s[2:3], s[38:39]
	s_cbranch_execz .LBB21_210
.LBB21_278:                             ;   in Loop: Header=BB21_13 Depth=1
	s_waitcnt lgkmcnt(6)
	global_store_short v[0:1], v8, off offset:1152
	s_or_b64 exec, exec, s[2:3]
	s_and_saveexec_b64 s[2:3], s[40:41]
	s_cbranch_execz .LBB21_211
.LBB21_279:                             ;   in Loop: Header=BB21_13 Depth=1
	s_waitcnt lgkmcnt(5)
	global_store_short v[0:1], v7, off offset:1280
	s_or_b64 exec, exec, s[2:3]
	s_and_saveexec_b64 s[2:3], s[42:43]
	s_cbranch_execz .LBB21_212
.LBB21_280:                             ;   in Loop: Header=BB21_13 Depth=1
	s_waitcnt lgkmcnt(4)
	global_store_short v[0:1], v6, off offset:1408
	s_or_b64 exec, exec, s[2:3]
	s_and_saveexec_b64 s[2:3], s[44:45]
	s_cbranch_execz .LBB21_213
.LBB21_281:                             ;   in Loop: Header=BB21_13 Depth=1
	s_waitcnt lgkmcnt(3)
	global_store_short v[0:1], v5, off offset:1536
	s_or_b64 exec, exec, s[2:3]
	s_and_saveexec_b64 s[2:3], s[46:47]
	s_cbranch_execz .LBB21_214
.LBB21_282:                             ;   in Loop: Header=BB21_13 Depth=1
	s_waitcnt lgkmcnt(2)
	global_store_short v[0:1], v4, off offset:1664
	s_or_b64 exec, exec, s[2:3]
	s_and_saveexec_b64 s[2:3], s[48:49]
	s_cbranch_execz .LBB21_215
.LBB21_283:                             ;   in Loop: Header=BB21_13 Depth=1
	s_waitcnt lgkmcnt(1)
	global_store_short v[0:1], v3, off offset:1792
	s_or_b64 exec, exec, s[2:3]
	s_and_saveexec_b64 s[2:3], s[50:51]
	s_cbranch_execnz .LBB21_216
	s_branch .LBB21_217
.LBB21_284:                             ;   in Loop: Header=BB21_13 Depth=1
	s_waitcnt lgkmcnt(13)
	global_store_short v[0:1], v15, off offset:256
	s_or_b64 exec, exec, s[2:3]
	s_and_saveexec_b64 s[2:3], s[24:25]
	s_cbranch_execz .LBB21_255
.LBB21_285:                             ;   in Loop: Header=BB21_13 Depth=1
	s_waitcnt lgkmcnt(12)
	global_store_short v[0:1], v14, off offset:384
	s_or_b64 exec, exec, s[2:3]
	s_and_saveexec_b64 s[2:3], s[26:27]
	s_cbranch_execz .LBB21_256
.LBB21_286:                             ;   in Loop: Header=BB21_13 Depth=1
	s_waitcnt lgkmcnt(11)
	global_store_short v[0:1], v13, off offset:512
	s_or_b64 exec, exec, s[2:3]
	s_and_saveexec_b64 s[2:3], s[28:29]
	s_cbranch_execz .LBB21_257
.LBB21_287:                             ;   in Loop: Header=BB21_13 Depth=1
	s_waitcnt lgkmcnt(10)
	global_store_short v[0:1], v12, off offset:640
	s_or_b64 exec, exec, s[2:3]
	s_and_saveexec_b64 s[2:3], s[30:31]
	s_cbranch_execz .LBB21_258
.LBB21_288:                             ;   in Loop: Header=BB21_13 Depth=1
	s_waitcnt lgkmcnt(9)
	global_store_short v[0:1], v11, off offset:768
	s_or_b64 exec, exec, s[2:3]
	s_and_saveexec_b64 s[2:3], s[34:35]
	s_cbranch_execz .LBB21_259
.LBB21_289:                             ;   in Loop: Header=BB21_13 Depth=1
	s_waitcnt lgkmcnt(8)
	global_store_short v[0:1], v10, off offset:896
	s_or_b64 exec, exec, s[2:3]
	s_and_saveexec_b64 s[2:3], s[36:37]
	s_cbranch_execz .LBB21_260
.LBB21_290:                             ;   in Loop: Header=BB21_13 Depth=1
	s_waitcnt lgkmcnt(7)
	global_store_short v[0:1], v9, off offset:1024
	s_or_b64 exec, exec, s[2:3]
	s_and_saveexec_b64 s[2:3], s[38:39]
	s_cbranch_execz .LBB21_261
.LBB21_291:                             ;   in Loop: Header=BB21_13 Depth=1
	s_waitcnt lgkmcnt(6)
	global_store_short v[0:1], v8, off offset:1152
	s_or_b64 exec, exec, s[2:3]
	s_and_saveexec_b64 s[2:3], s[40:41]
	s_cbranch_execz .LBB21_262
.LBB21_292:                             ;   in Loop: Header=BB21_13 Depth=1
	s_waitcnt lgkmcnt(5)
	global_store_short v[0:1], v7, off offset:1280
	s_or_b64 exec, exec, s[2:3]
	s_and_saveexec_b64 s[2:3], s[42:43]
	s_cbranch_execz .LBB21_263
.LBB21_293:                             ;   in Loop: Header=BB21_13 Depth=1
	s_waitcnt lgkmcnt(4)
	global_store_short v[0:1], v6, off offset:1408
	s_or_b64 exec, exec, s[2:3]
	s_and_saveexec_b64 s[2:3], s[44:45]
	s_cbranch_execz .LBB21_264
.LBB21_294:                             ;   in Loop: Header=BB21_13 Depth=1
	s_waitcnt lgkmcnt(3)
	global_store_short v[0:1], v5, off offset:1536
	s_or_b64 exec, exec, s[2:3]
	s_and_saveexec_b64 s[2:3], s[46:47]
	s_cbranch_execz .LBB21_265
.LBB21_295:                             ;   in Loop: Header=BB21_13 Depth=1
	s_waitcnt lgkmcnt(2)
	global_store_short v[0:1], v4, off offset:1664
	s_or_b64 exec, exec, s[2:3]
	s_and_saveexec_b64 s[2:3], s[48:49]
	s_cbranch_execz .LBB21_266
.LBB21_296:                             ;   in Loop: Header=BB21_13 Depth=1
	s_waitcnt lgkmcnt(1)
	global_store_short v[0:1], v3, off offset:1792
	s_or_b64 exec, exec, s[2:3]
	s_and_saveexec_b64 s[2:3], s[50:51]
	s_cbranch_execz .LBB21_12
.LBB21_297:                             ;   in Loop: Header=BB21_13 Depth=1
	s_waitcnt lgkmcnt(0)
	global_store_short v[0:1], v2, off offset:1920
	s_branch .LBB21_12
.LBB21_298:
	s_endpgm
	.section	.rodata,"a",@progbits
	.p2align	6, 0x0
	.amdhsa_kernel _Z25selective_scan_fwd_kernelI32Selective_Scan_fwd_kernel_traitsILi64ELi16ELi1ELb0ELb1ELb1ELb1ELb0EN3c108BFloat16EfS2_EEv13SSMParamsBase
		.amdhsa_group_segment_fixed_size 0
		.amdhsa_private_segment_fixed_size 336
		.amdhsa_kernarg_size 248
		.amdhsa_user_sgpr_count 2
		.amdhsa_user_sgpr_dispatch_ptr 0
		.amdhsa_user_sgpr_queue_ptr 0
		.amdhsa_user_sgpr_kernarg_segment_ptr 1
		.amdhsa_user_sgpr_dispatch_id 0
		.amdhsa_user_sgpr_kernarg_preload_length 0
		.amdhsa_user_sgpr_kernarg_preload_offset 0
		.amdhsa_user_sgpr_private_segment_size 0
		.amdhsa_uses_dynamic_stack 0
		.amdhsa_enable_private_segment 1
		.amdhsa_system_sgpr_workgroup_id_x 1
		.amdhsa_system_sgpr_workgroup_id_y 1
		.amdhsa_system_sgpr_workgroup_id_z 0
		.amdhsa_system_sgpr_workgroup_info 0
		.amdhsa_system_vgpr_workitem_id 0
		.amdhsa_next_free_vgpr 96
		.amdhsa_next_free_sgpr 100
		.amdhsa_accum_offset 96
		.amdhsa_reserve_vcc 1
		.amdhsa_float_round_mode_32 0
		.amdhsa_float_round_mode_16_64 0
		.amdhsa_float_denorm_mode_32 3
		.amdhsa_float_denorm_mode_16_64 3
		.amdhsa_dx10_clamp 1
		.amdhsa_ieee_mode 1
		.amdhsa_fp16_overflow 0
		.amdhsa_tg_split 0
		.amdhsa_exception_fp_ieee_invalid_op 0
		.amdhsa_exception_fp_denorm_src 0
		.amdhsa_exception_fp_ieee_div_zero 0
		.amdhsa_exception_fp_ieee_overflow 0
		.amdhsa_exception_fp_ieee_underflow 0
		.amdhsa_exception_fp_ieee_inexact 0
		.amdhsa_exception_int_div_zero 0
	.end_amdhsa_kernel
	.section	.text._Z25selective_scan_fwd_kernelI32Selective_Scan_fwd_kernel_traitsILi64ELi16ELi1ELb0ELb1ELb1ELb1ELb0EN3c108BFloat16EfS2_EEv13SSMParamsBase,"axG",@progbits,_Z25selective_scan_fwd_kernelI32Selective_Scan_fwd_kernel_traitsILi64ELi16ELi1ELb0ELb1ELb1ELb1ELb0EN3c108BFloat16EfS2_EEv13SSMParamsBase,comdat
.Lfunc_end21:
	.size	_Z25selective_scan_fwd_kernelI32Selective_Scan_fwd_kernel_traitsILi64ELi16ELi1ELb0ELb1ELb1ELb1ELb0EN3c108BFloat16EfS2_EEv13SSMParamsBase, .Lfunc_end21-_Z25selective_scan_fwd_kernelI32Selective_Scan_fwd_kernel_traitsILi64ELi16ELi1ELb0ELb1ELb1ELb1ELb0EN3c108BFloat16EfS2_EEv13SSMParamsBase
                                        ; -- End function
	.section	.AMDGPU.csdata,"",@progbits
; Kernel info:
; codeLenInByte = 27576
; NumSgprs: 106
; NumVgprs: 96
; NumAgprs: 0
; TotalNumVgprs: 96
; ScratchSize: 336
; MemoryBound: 0
; FloatMode: 240
; IeeeMode: 1
; LDSByteSize: 0 bytes/workgroup (compile time only)
; SGPRBlocks: 13
; VGPRBlocks: 11
; NumSGPRsForWavesPerEU: 106
; NumVGPRsForWavesPerEU: 96
; AccumOffset: 96
; Occupancy: 5
; WaveLimiterHint : 0
; COMPUTE_PGM_RSRC2:SCRATCH_EN: 1
; COMPUTE_PGM_RSRC2:USER_SGPR: 2
; COMPUTE_PGM_RSRC2:TRAP_HANDLER: 0
; COMPUTE_PGM_RSRC2:TGID_X_EN: 1
; COMPUTE_PGM_RSRC2:TGID_Y_EN: 1
; COMPUTE_PGM_RSRC2:TGID_Z_EN: 0
; COMPUTE_PGM_RSRC2:TIDIG_COMP_CNT: 0
; COMPUTE_PGM_RSRC3_GFX90A:ACCUM_OFFSET: 23
; COMPUTE_PGM_RSRC3_GFX90A:TG_SPLIT: 0
	.section	.text._Z25selective_scan_fwd_kernelI32Selective_Scan_fwd_kernel_traitsILi64ELi16ELi1ELb0ELb1ELb1ELb0ELb1EN3c108BFloat16EfS2_EEv13SSMParamsBase,"axG",@progbits,_Z25selective_scan_fwd_kernelI32Selective_Scan_fwd_kernel_traitsILi64ELi16ELi1ELb0ELb1ELb1ELb0ELb1EN3c108BFloat16EfS2_EEv13SSMParamsBase,comdat
	.protected	_Z25selective_scan_fwd_kernelI32Selective_Scan_fwd_kernel_traitsILi64ELi16ELi1ELb0ELb1ELb1ELb0ELb1EN3c108BFloat16EfS2_EEv13SSMParamsBase ; -- Begin function _Z25selective_scan_fwd_kernelI32Selective_Scan_fwd_kernel_traitsILi64ELi16ELi1ELb0ELb1ELb1ELb0ELb1EN3c108BFloat16EfS2_EEv13SSMParamsBase
	.globl	_Z25selective_scan_fwd_kernelI32Selective_Scan_fwd_kernel_traitsILi64ELi16ELi1ELb0ELb1ELb1ELb0ELb1EN3c108BFloat16EfS2_EEv13SSMParamsBase
	.p2align	8
	.type	_Z25selective_scan_fwd_kernelI32Selective_Scan_fwd_kernel_traitsILi64ELi16ELi1ELb0ELb1ELb1ELb0ELb1EN3c108BFloat16EfS2_EEv13SSMParamsBase,@function
_Z25selective_scan_fwd_kernelI32Selective_Scan_fwd_kernel_traitsILi64ELi16ELi1ELb0ELb1ELb1ELb0ELb1EN3c108BFloat16EfS2_EEv13SSMParamsBase: ; @_Z25selective_scan_fwd_kernelI32Selective_Scan_fwd_kernel_traitsILi64ELi16ELi1ELb0ELb1ELb1ELb0ELb1EN3c108BFloat16EfS2_EEv13SSMParamsBase
; %bb.0:
	s_load_dword s27, s[0:1], 0x18
	s_load_dwordx4 s[4:7], s[0:1], 0xe0
	s_load_dwordx2 s[10:11], s[0:1], 0xf0
	s_mov_b32 s20, s3
	s_ashr_i32 s3, s2, 31
	s_waitcnt lgkmcnt(0)
	s_abs_i32 s26, s27
	v_cvt_f32_u32_e32 v1, s26
	s_lshl_b64 s[8:9], s[2:3], 2
	s_add_u32 s24, s4, s8
	s_addc_u32 s25, s5, s9
	v_rcp_iflag_f32_e32 v1, v1
	s_cmp_eq_u64 s[10:11], 0
                                        ; implicit-def: $vgpr95 : SGPR spill to VGPR lane
	v_mul_f32_e32 v1, 0x4f7ffffe, v1
	v_cvt_u32_f32_e32 v1, v1
	s_nop 0
	v_readfirstlane_b32 s28, v1
	s_cbranch_scc1 .LBB22_2
; %bb.1:
	s_add_u32 s4, s10, s2
	s_addc_u32 s5, s11, s3
	v_mov_b32_e32 v1, 0
	global_load_ubyte v1, v1, s[4:5]
	s_waitcnt vmcnt(0)
	v_and_b32_e32 v1, 1, v1
	v_cmp_eq_u32_e64 s[4:5], 1, v1
	s_branch .LBB22_3
.LBB22_2:
	s_mov_b64 s[4:5], 0
.LBB22_3:
	s_nop 0
	v_writelane_b32 v95, s4, 0
	s_cmp_eq_u64 s[6:7], 0
	s_nop 0
	v_writelane_b32 v95, s5, 1
	s_load_dwordx2 s[4:5], s[0:1], 0x20
	s_cbranch_scc1 .LBB22_5
; %bb.4:
	s_add_u32 s2, s6, s8
	s_addc_u32 s3, s7, s9
	s_load_dword s2, s[2:3], 0x0
	s_waitcnt lgkmcnt(0)
	s_ashr_i32 s3, s2, 31
.LBB22_5:
	s_waitcnt lgkmcnt(0)
	s_cmp_eq_u64 s[4:5], s[2:3]
	s_cbranch_scc1 .LBB22_234
; %bb.6:
	s_load_dwordx16 s[4:19], s[0:1], 0x88
	s_load_dwordx2 s[22:23], s[24:25], 0x0
	s_mov_b32 s3, 0
	v_writelane_b32 v95, s3, 2
	v_writelane_b32 v95, s3, 3
	s_waitcnt lgkmcnt(0)
	s_cmp_eq_u64 s[10:11], 0
	s_cbranch_scc1 .LBB22_8
; %bb.7:
	s_ashr_i32 s21, s20, 31
	s_lshl_b64 s[24:25], s[20:21], 2
	s_add_u32 s10, s10, s24
	s_addc_u32 s11, s11, s25
	s_load_dword s3, s[10:11], 0x0
	s_waitcnt lgkmcnt(0)
	v_writelane_b32 v95, s3, 3
.LBB22_8:
	s_cmp_eq_u64 s[16:17], 0
	s_cbranch_scc1 .LBB22_10
; %bb.9:
	s_ashr_i32 s21, s20, 31
	s_lshl_b64 s[10:11], s[20:21], 2
	s_add_u32 s10, s16, s10
	s_addc_u32 s11, s17, s11
	s_load_dword s3, s[10:11], 0x0
	s_waitcnt lgkmcnt(0)
	v_writelane_b32 v95, s3, 2
.LBB22_10:
	s_sub_i32 s29, s23, s22
	s_cmp_lt_i32 s29, 1
	s_cbranch_scc1 .LBB22_234
; %bb.11:
	v_mbcnt_lo_u32_b32 v1, -1, 0
	v_mbcnt_hi_u32_b32 v20, -1, v1
	s_sub_i32 s3, 0, s26
	v_lshrrev_b32_e32 v1, 5, v20
	s_mul_i32 s3, s3, s28
	v_and_b32_e32 v1, 2, v1
	s_mul_hi_u32 s3, s28, s3
	v_add_u32_e32 v1, v1, v20
	s_abs_i32 s21, s20
	s_add_i32 s28, s28, s3
	v_add_u32_e32 v2, 64, v20
	v_lshl_add_u32 v1, v1, 1, 0
	s_load_dwordx8 s[36:43], s[0:1], 0x2c
	s_load_dwordx2 s[10:11], s[0:1], 0x5c
	s_load_dwordx4 s[44:47], s[0:1], 0x4c
	s_load_dwordx4 s[48:51], s[0:1], 0x7c
	s_load_dwordx2 s[24:25], s[0:1], 0x6c
	s_load_dwordx2 s[16:17], s[0:1], 0xc8
	s_mul_hi_u32 s3, s21, s28
	s_load_dword s28, s[0:1], 0xc
	s_load_dword s23, s[0:1], 0x28
	scratch_store_dword off, v1, off offset:4 ; 4-byte Folded Spill
	scratch_store_dword off, v2, off offset:184 ; 4-byte Folded Spill
	v_lshrrev_b32_e32 v1, 5, v2
	s_ashr_i32 s0, s20, 31
	s_ashr_i32 s1, s27, 31
	v_and_b32_e32 v1, 6, v1
	s_xor_b32 s0, s0, s1
	s_mul_i32 s1, s3, s26
	v_add_lshl_u32 v1, v1, v20, 1
	s_sub_i32 s1, s21, s1
	v_or_b32_e32 v3, 0x80, v20
	v_add_u32_e32 v2, 0, v1
	s_add_i32 s21, s3, 1
	s_sub_i32 s27, s1, s26
	scratch_store_dword off, v2, off offset:8 ; 4-byte Folded Spill
	scratch_store_dword off, v3, off offset:188 ; 4-byte Folded Spill
	v_lshrrev_b32_e32 v2, 5, v3
	s_cmp_ge_u32 s1, s26
	v_and_b32_e32 v2, 6, v2
	s_cselect_b32 s3, s21, s3
	v_add_lshl_u32 v2, v2, v20, 1
	s_cselect_b32 s1, s27, s1
	s_add_i32 s21, s3, 1
	v_add_u32_e32 v4, 0xc0, v20
	v_add_u32_e32 v3, 0, v2
	s_cmp_ge_u32 s1, s26
	scratch_store_dword off, v3, off offset:12 ; 4-byte Folded Spill
	scratch_store_dword off, v4, off offset:192 ; 4-byte Folded Spill
	v_lshrrev_b32_e32 v3, 5, v4
	s_cselect_b32 s1, s21, s3
	v_and_b32_e32 v3, 14, v3
	s_xor_b32 s1, s1, s0
	s_waitcnt lgkmcnt(0)
	s_mul_i32 s92, s22, s46
	s_mov_b32 s93, 0
	v_add_lshl_u32 v3, v3, v20, 1
	s_sub_i32 s3, s1, s0
	s_lshl_b64 s[0:1], s[92:93], 1
	v_or_b32_e32 v5, 0x100, v20
	v_add_u32_e32 v4, 0, v3
	s_add_u32 s12, s12, s0
	s_mul_i32 s92, s47, s20
	scratch_store_dword off, v4, off offset:16 ; 4-byte Folded Spill
	scratch_store_dword off, v5, off offset:196 ; 4-byte Folded Spill
	v_lshrrev_b32_e32 v4, 5, v5
	s_addc_u32 s13, s13, s1
	s_lshl_b64 s[0:1], s[92:93], 1
	v_and_b32_e32 v4, 10, v4
	s_add_u32 s26, s12, s0
	s_mul_i32 s92, s22, s10
	v_add_lshl_u32 v4, v4, v20, 1
	s_addc_u32 s27, s13, s1
	s_lshl_b64 s[0:1], s[92:93], 1
	v_add_u32_e32 v6, 0x140, v20
	v_add_u32_e32 v5, 0, v4
	s_add_u32 s10, s14, s0
	s_mul_i32 s92, s11, s20
	scratch_store_dword off, v5, off offset:20 ; 4-byte Folded Spill
	scratch_store_dword off, v6, off offset:200 ; 4-byte Folded Spill
	v_lshrrev_b32_e32 v5, 5, v6
	s_addc_u32 s12, s15, s1
	s_lshl_b64 s[0:1], s[92:93], 1
	v_and_b32_e32 v5, 14, v5
	s_add_u32 s0, s10, s0
	v_add_lshl_u32 v5, v5, v20, 1
	s_addc_u32 s1, s12, s1
	v_or_b32_e32 v7, 0x180, v20
	v_add_u32_e32 v6, 0, v5
	v_writelane_b32 v95, s0, 4
	s_mul_i32 s92, s36, s20
	scratch_store_dword off, v6, off offset:24 ; 4-byte Folded Spill
	scratch_store_dword off, v7, off offset:204 ; 4-byte Folded Spill
	v_lshrrev_b32_e32 v6, 5, v7
	v_writelane_b32 v95, s1, 5
	s_lshl_b64 s[0:1], s[92:93], 2
	v_and_b32_e32 v6, 14, v6
	s_add_u32 s99, s4, s0
	v_add_lshl_u32 v6, v6, v20, 1
	s_addc_u32 s0, s5, s1
	s_mul_i32 s92, s22, s38
	v_add_u32_e32 v8, 0x1c0, v20
	v_add_u32_e32 v7, 0, v6
	v_writelane_b32 v95, s0, 6
	s_lshl_b64 s[0:1], s[92:93], 1
	scratch_store_dword off, v7, off offset:28 ; 4-byte Folded Spill
	scratch_store_dword off, v8, off offset:208 ; 4-byte Folded Spill
	v_lshrrev_b32_e32 v7, 5, v8
	s_add_u32 s4, s6, s0
	s_mul_i32 s92, s3, s41
	v_and_b32_e32 v7, 30, v7
	s_addc_u32 s5, s7, s1
	s_lshl_b64 s[0:1], s[92:93], 1
	v_add_lshl_u32 v7, v7, v20, 1
	s_add_u32 s0, s4, s0
	v_or_b32_e32 v9, 0x200, v20
	v_add_u32_e32 v8, 0, v7
	s_addc_u32 s1, s5, s1
	scratch_store_dword off, v8, off offset:32 ; 4-byte Folded Spill
	scratch_store_dword off, v9, off offset:212 ; 4-byte Folded Spill
	v_lshrrev_b32_e32 v8, 5, v9
	v_writelane_b32 v95, s0, 7
	v_and_b32_e32 v8, 18, v8
	v_add_lshl_u32 v8, v8, v20, 1
	v_writelane_b32 v95, s1, 8
	v_writelane_b32 v95, s36, 9
	v_add_u32_e32 v10, 0x240, v20
	v_add_u32_e32 v9, 0, v8
	v_writelane_b32 v95, s37, 10
	scratch_store_dword off, v9, off offset:36 ; 4-byte Folded Spill
	scratch_store_dword off, v10, off offset:216 ; 4-byte Folded Spill
	v_lshrrev_b32_e32 v9, 5, v10
	v_writelane_b32 v95, s38, 11
	v_and_b32_e32 v9, 22, v9
	v_writelane_b32 v95, s39, 12
	v_add_lshl_u32 v9, v9, v20, 1
	v_writelane_b32 v95, s40, 13
	v_or_b32_e32 v11, 0x280, v20
	v_add_u32_e32 v10, 0, v9
	v_writelane_b32 v95, s41, 14
	scratch_store_dword off, v10, off offset:40 ; 4-byte Folded Spill
	scratch_store_dword off, v11, off offset:220 ; 4-byte Folded Spill
	v_lshrrev_b32_e32 v10, 5, v11
	v_writelane_b32 v95, s42, 15
	s_mul_i32 s92, s22, s42
	v_and_b32_e32 v10, 22, v10
	v_writelane_b32 v95, s43, 16
	s_lshl_b64 s[0:1], s[92:93], 1
	v_add_lshl_u32 v10, v10, v20, 1
	s_add_u32 s4, s8, s0
	v_writelane_b32 v95, s44, 17
	s_mul_i32 s92, s3, s45
	v_add_u32_e32 v12, 0x2c0, v20
	v_add_u32_e32 v11, 0, v10
	s_addc_u32 s5, s9, s1
	v_writelane_b32 v95, s45, 18
	s_lshl_b64 s[0:1], s[92:93], 1
	scratch_store_dword off, v11, off offset:44 ; 4-byte Folded Spill
	scratch_store_dword off, v12, off offset:224 ; 4-byte Folded Spill
	v_lshrrev_b32_e32 v11, 5, v12
	v_writelane_b32 v95, s46, 19
	s_add_u32 s0, s4, s0
	v_and_b32_e32 v11, 30, v11
	v_writelane_b32 v95, s47, 20
	s_addc_u32 s1, s5, s1
	v_add_lshl_u32 v11, v11, v20, 1
	v_writelane_b32 v95, s0, 21
	v_or_b32_e32 v13, 0x300, v20
	v_add_u32_e32 v12, 0, v11
	v_writelane_b32 v95, s1, 22
	s_mul_i32 s92, s2, s48
	scratch_store_dword off, v12, off offset:48 ; 4-byte Folded Spill
	scratch_store_dword off, v13, off offset:228 ; 4-byte Folded Spill
	v_lshrrev_b32_e32 v12, 5, v13
	s_lshl_b64 s[0:1], s[92:93], 1
	v_writelane_b32 v95, s48, 23
	v_and_b32_e32 v12, 26, v12
	s_add_u32 s2, s16, s0
	v_writelane_b32 v95, s49, 24
	s_mul_i32 s92, s49, s20
	v_add_lshl_u32 v12, v12, v20, 1
	s_addc_u32 s3, s17, s1
	v_writelane_b32 v95, s50, 25
	s_lshl_b64 s[0:1], s[92:93], 1
	v_add_u32_e32 v14, 0x340, v20
	v_add_u32_e32 v13, 0, v12
	v_writelane_b32 v95, s51, 26
	s_add_u32 s0, s2, s0
	scratch_store_dword off, v13, off offset:52 ; 4-byte Folded Spill
	scratch_store_dword off, v14, off offset:232 ; 4-byte Folded Spill
	v_lshrrev_b32_e32 v13, 5, v14
	v_writelane_b32 v95, s0, 27
	s_addc_u32 s0, s3, s1
	v_and_b32_e32 v13, 30, v13
	v_writelane_b32 v95, s0, 28
	s_add_i32 s0, s29, 0x7ff
	v_add_lshl_u32 v13, v13, v20, 1
	s_lshr_b32 s1, s0, 11
	v_or_b32_e32 v15, 0x380, v20
	v_add_u32_e32 v14, 0, v13
	scratch_store_dword off, v14, off offset:56 ; 4-byte Folded Spill
	scratch_store_dword off, v15, off offset:236 ; 4-byte Folded Spill
	v_lshrrev_b32_e32 v14, 5, v15
	s_bitcmp1_b32 s23, 0
	v_and_b32_e32 v14, 30, v14
	s_cselect_b64 s[4:5], -1, 0
	s_cmp_gt_i32 s28, 0
	v_add_lshl_u32 v14, v14, v20, 1
	s_cselect_b64 s[2:3], -1, 0
	s_add_i32 s0, 0, 0x840
	v_add_u32_e32 v15, 0, v14
	v_add_u32_e32 v1, s0, v1
	;; [unrolled: 1-line block ×3, first 2 shown]
	scratch_store_dword off, v15, off offset:60 ; 4-byte Folded Spill
	scratch_store_dword off, v16, off offset:240 ; 4-byte Folded Spill
	;; [unrolled: 1-line block ×3, first 2 shown]
	v_add_u32_e32 v1, s0, v2
	scratch_store_dword off, v1, off offset:104 ; 4-byte Folded Spill
	v_add_u32_e32 v1, s0, v3
	scratch_store_dword off, v1, off offset:108 ; 4-byte Folded Spill
	;; [unrolled: 2-line block ×7, first 2 shown]
	v_add_u32_e32 v1, s0, v9
	v_lshrrev_b32_e32 v15, 5, v16
	scratch_store_dword off, v1, off offset:132 ; 4-byte Folded Spill
	v_add_u32_e32 v1, s0, v10
	v_and_b32_e32 v15, 62, v15
	scratch_store_dword off, v1, off offset:136 ; 4-byte Folded Spill
	v_add_u32_e32 v1, s0, v11
	v_add_lshl_u32 v15, v15, v20, 1
	scratch_store_dword off, v1, off offset:140 ; 4-byte Folded Spill
	v_add_u32_e32 v1, s0, v12
	v_add_u32_e32 v16, 0, v15
	v_lshrrev_b32_e32 v18, 1, v20
	scratch_store_dword off, v1, off offset:144 ; 4-byte Folded Spill
	v_add_u32_e32 v1, s0, v13
	scratch_store_dword off, v16, off offset:64 ; 4-byte Folded Spill
	v_lshlrev_b32_e32 v16, 4, v20
	v_and_b32_e32 v18, 62, v18
	scratch_store_dword off, v1, off offset:148 ; 4-byte Folded Spill
	v_add_u32_e32 v1, s0, v14
	v_add_lshl_u32 v16, v18, v16, 1
	v_writelane_b32 v95, s28, 29
	scratch_store_dword off, v1, off offset:152 ; 4-byte Folded Spill
	v_add_u32_e32 v1, s0, v15
	v_writelane_b32 v95, s2, 30
	scratch_store_dword off, v1, off offset:156 ; 4-byte Folded Spill
	v_add_u32_e32 v1, s0, v16
	s_and_b32 s0, s29, 0x3ff
	v_writelane_b32 v95, s3, 31
	s_cmp_eq_u32 s0, 0
	v_writelane_b32 v95, s29, 32
	s_cselect_b64 s[2:3], -1, 0
	scratch_store_dword off, v1, off offset:160 ; 4-byte Folded Spill
	v_writelane_b32 v95, s2, 33
	v_and_b32_e32 v1, 15, v20
	v_cmp_lt_u32_e64 s[6:7], 7, v1
	v_writelane_b32 v95, s3, 34
	v_cmp_ne_u32_e64 s[2:3], 0, v1
	s_add_i32 s0, s1, -1
	s_mul_i32 s92, s22, s24
	v_writelane_b32 v95, s2, 35
	v_and_b32_e32 v2, 64, v20
	v_lshlrev_b32_e32 v19, 4, v0
	v_writelane_b32 v95, s3, 36
	v_cmp_lt_u32_e64 s[2:3], 1, v1
	v_cmp_gt_u32_e64 s[14:15], 64, v0
	v_cmp_eq_u32_e64 s[16:17], 0, v0
	v_writelane_b32 v95, s2, 37
	v_add_u32_e32 v18, 0, v16
	v_mov_b32_e32 v17, 0
	v_writelane_b32 v95, s3, 38
	v_cmp_lt_u32_e64 s[2:3], 3, v1
	v_writelane_b32 v95, s6, 39
	v_and_b32_e32 v1, 16, v20
	scratch_store_dword off, v18, off       ; 4-byte Folded Spill
	v_writelane_b32 v95, s7, 40
	v_cmp_ne_u32_e64 s[6:7], 0, v1
	v_add_u32_e32 v1, -1, v20
	v_cmp_lt_i32_e32 vcc, v1, v2
	v_writelane_b32 v95, s6, 41
	v_lshlrev_b32_e32 v16, 1, v20
	v_cndmask_b32_e32 v1, v1, v20, vcc
	v_writelane_b32 v95, s7, 42
	v_writelane_b32 v95, s1, 43
	;; [unrolled: 1-line block ×3, first 2 shown]
	s_lshl_b64 s[0:1], s[92:93], 1
	s_add_u32 s18, s18, s0
	s_addc_u32 s19, s19, s1
	v_cmp_eq_u32_e64 s[0:1], 63, v0
	v_lshlrev_b32_e32 v1, 2, v1
	v_mov_b32_e32 v0, v20
	scratch_store_dwordx2 off, v[0:1], off offset:176 ; 8-byte Folded Spill
	v_or_b32_e32 v0, 1, v19
	scratch_store_dword off, v0, off offset:256 ; 4-byte Folded Spill
	v_or_b32_e32 v0, 2, v19
	scratch_store_dword off, v0, off offset:260 ; 4-byte Folded Spill
	;; [unrolled: 2-line block ×6, first 2 shown]
                                        ; implicit-def: $vgpr0
	v_writelane_b32 v95, s0, 45
	v_or_b32_e32 v0, 7, v19
	scratch_store_dword off, v0, off offset:280 ; 4-byte Folded Spill
	v_or_b32_e32 v0, 8, v19
	s_mul_i32 s92, s25, s20
	scratch_store_dword off, v0, off offset:284 ; 4-byte Folded Spill
	v_or_b32_e32 v0, 9, v19
	v_writelane_b32 v95, s1, 46
	s_lshl_b64 s[0:1], s[92:93], 1
	scratch_store_dword off, v0, off offset:288 ; 4-byte Folded Spill
	v_or_b32_e32 v0, 10, v19
	s_add_u32 s0, s18, s0
	scratch_store_dword off, v0, off offset:292 ; 4-byte Folded Spill
	v_or_b32_e32 v0, 11, v19
	s_addc_u32 s1, s19, s1
	s_add_i32 s18, 0, 0x1088
	scratch_store_dword off, v0, off offset:296 ; 4-byte Folded Spill
	v_or_b32_e32 v0, 12, v19
	v_writelane_b32 v95, s18, 47
	scratch_store_dword off, v0, off offset:300 ; 4-byte Folded Spill
	v_or_b32_e32 v0, 13, v19
	scratch_store_dword off, v0, off offset:304 ; 4-byte Folded Spill
	v_or_b32_e32 v0, 14, v19
	v_writelane_b32 v95, s99, 48
	scratch_store_dword off, v1, off offset:164 ; 4-byte Folded Spill
	scratch_store_dword off, v0, off offset:308 ; 4-byte Folded Spill
	;; [unrolled: 1-line block ×3, first 2 shown]
	v_or_b32_e32 v0, 15, v19
	v_writelane_b32 v95, s4, 49
	v_cmp_lt_u32_e64 s[12:13], 31, v20
	s_mov_b32 s6, 0x41a00000
	s_mov_b32 s7, 0x3fb8aa3b
	;; [unrolled: 1-line block ×10, first 2 shown]
	scratch_store_dword off, v0, off offset:312 ; 4-byte Folded Spill
	v_mov_b32_e32 v40, 0x3ecc95a3
	v_mov_b32_e32 v41, 0x7f800000
	;; [unrolled: 1-line block ×4, first 2 shown]
	v_lshl_add_u64 v[0:1], s[0:1], 0, v[16:17]
	v_mov_b32_e32 v42, 0x3f317218
	v_writelane_b32 v95, s5, 50
	scratch_store_dwordx2 off, v[0:1], off offset:244 ; 8-byte Folded Spill
	s_branch .LBB22_13
.LBB22_12:                              ;   in Loop: Header=BB22_13 Depth=1
	s_or_b64 exec, exec, s[18:19]
	v_readlane_b32 s0, v95, 4
	v_readlane_b32 s1, v95, 5
	s_add_u32 s0, s0, 0x800
	s_addc_u32 s1, s1, 0
	v_writelane_b32 v95, s0, 4
	s_nop 1
	v_writelane_b32 v95, s1, 5
	s_nop 0
	v_readlane_b32 s26, v95, 54
	v_readlane_b32 s27, v95, 55
	s_add_u32 s26, s26, 0x800
	s_addc_u32 s27, s27, 0
	v_readlane_b32 s0, v95, 7
	v_readlane_b32 s1, v95, 8
	s_add_u32 s0, s0, 0x800
	s_addc_u32 s1, s1, 0
	v_writelane_b32 v95, s0, 7
	s_nop 1
	v_writelane_b32 v95, s1, 8
	s_nop 0
	v_readlane_b32 s0, v95, 21
	v_readlane_b32 s1, v95, 22
	s_add_u32 s0, s0, 0x800
	s_addc_u32 s1, s1, 0
	v_writelane_b32 v95, s0, 21
	s_nop 1
	v_writelane_b32 v95, s1, 22
	s_nop 0
	v_readlane_b32 s18, v95, 51
	s_add_i32 s18, s18, 1
	v_readlane_b32 s0, v95, 43
	s_cmp_eq_u32 s18, s0
	s_cbranch_scc1 .LBB22_234
.LBB22_13:                              ; =>This Loop Header: Depth=1
                                        ;     Child Loop BB22_110 Depth 2
	s_waitcnt lgkmcnt(0)
	; wave barrier
	s_waitcnt vmcnt(63) expcnt(7) lgkmcnt(15)
	scratch_load_dwordx2 v[0:1], off, off offset:176 ; 8-byte Folded Reload
	s_lshl_b32 s20, s18, 10
	v_writelane_b32 v95, s18, 51
	s_mov_b32 s18, s20
	v_readlane_b32 s0, v95, 32
	v_writelane_b32 v95, s18, 52
	s_sub_i32 s82, s0, s20
	s_waitcnt vmcnt(0) lgkmcnt(0)
	v_mov_b32_e32 v2, v0
	v_writelane_b32 v95, s19, 53
	v_lshlrev_b32_e32 v16, 1, v2
	v_writelane_b32 v95, s26, 54
	v_cmp_gt_u32_e64 s[18:19], s82, v2
	v_mov_b32_e32 v2, 0
	v_writelane_b32 v95, s27, 55
	v_lshl_add_u64 v[0:1], s[26:27], 0, v[16:17]
	s_and_saveexec_b64 s[20:21], s[18:19]
	s_cbranch_execz .LBB22_15
; %bb.14:                               ;   in Loop: Header=BB22_13 Depth=1
	global_load_ushort v2, v[0:1], off
.LBB22_15:                              ;   in Loop: Header=BB22_13 Depth=1
	s_or_b64 exec, exec, s[20:21]
	scratch_load_dword v3, off, off offset:184 ; 4-byte Folded Reload
	v_mov_b32_e32 v4, 0
	s_waitcnt vmcnt(0)
	v_cmp_gt_u32_e64 s[20:21], s82, v3
	v_mov_b32_e32 v3, 0
	s_and_saveexec_b64 s[22:23], s[20:21]
	s_cbranch_execz .LBB22_17
; %bb.16:                               ;   in Loop: Header=BB22_13 Depth=1
	global_load_ushort v4, v[0:1], off offset:128
.LBB22_17:                              ;   in Loop: Header=BB22_13 Depth=1
	s_or_b64 exec, exec, s[22:23]
	scratch_load_dword v5, off, off offset:188 ; 4-byte Folded Reload
	s_waitcnt vmcnt(0)
	v_cmp_gt_u32_e64 s[22:23], s82, v5
	s_and_saveexec_b64 s[24:25], s[22:23]
	s_cbranch_execz .LBB22_19
; %bb.18:                               ;   in Loop: Header=BB22_13 Depth=1
	global_load_ushort v3, v[0:1], off offset:256
.LBB22_19:                              ;   in Loop: Header=BB22_13 Depth=1
	s_or_b64 exec, exec, s[24:25]
	scratch_load_dword v5, off, off offset:192 ; 4-byte Folded Reload
	v_mov_b32_e32 v6, 0
	s_waitcnt vmcnt(0)
	v_cmp_gt_u32_e64 s[24:25], s82, v5
	v_mov_b32_e32 v5, 0
	s_and_saveexec_b64 s[26:27], s[24:25]
	s_cbranch_execz .LBB22_21
; %bb.20:                               ;   in Loop: Header=BB22_13 Depth=1
	global_load_ushort v6, v[0:1], off offset:384
.LBB22_21:                              ;   in Loop: Header=BB22_13 Depth=1
	s_or_b64 exec, exec, s[26:27]
	scratch_load_dword v7, off, off offset:196 ; 4-byte Folded Reload
	s_waitcnt vmcnt(0)
	v_cmp_gt_u32_e64 s[26:27], s82, v7
	s_and_saveexec_b64 s[28:29], s[26:27]
	s_cbranch_execz .LBB22_23
; %bb.22:                               ;   in Loop: Header=BB22_13 Depth=1
	global_load_ushort v5, v[0:1], off offset:512
.LBB22_23:                              ;   in Loop: Header=BB22_13 Depth=1
	;; [unrolled: 20-line block ×4, first 2 shown]
	s_or_b64 exec, exec, s[38:39]
	scratch_load_dword v10, off, off offset:216 ; 4-byte Folded Reload
	v_mov_b32_e32 v12, 0
	v_mov_b32_e32 v13, 0
	s_waitcnt vmcnt(0)
	v_cmp_gt_u32_e64 s[38:39], s82, v10
	s_and_saveexec_b64 s[40:41], s[38:39]
	s_cbranch_execz .LBB22_33
; %bb.32:                               ;   in Loop: Header=BB22_13 Depth=1
	global_load_ushort v13, v[0:1], off offset:1152
.LBB22_33:                              ;   in Loop: Header=BB22_13 Depth=1
	s_or_b64 exec, exec, s[40:41]
	scratch_load_dword v10, off, off offset:220 ; 4-byte Folded Reload
	s_waitcnt vmcnt(0)
	v_cmp_gt_u32_e64 s[40:41], s82, v10
	s_and_saveexec_b64 s[42:43], s[40:41]
	s_cbranch_execz .LBB22_35
; %bb.34:                               ;   in Loop: Header=BB22_13 Depth=1
	global_load_ushort v12, v[0:1], off offset:1280
.LBB22_35:                              ;   in Loop: Header=BB22_13 Depth=1
	s_or_b64 exec, exec, s[42:43]
	scratch_load_dword v10, off, off offset:224 ; 4-byte Folded Reload
	v_mov_b32_e32 v14, 0
	v_mov_b32_e32 v15, 0
	s_waitcnt vmcnt(0)
	v_cmp_gt_u32_e64 s[42:43], s82, v10
	s_and_saveexec_b64 s[44:45], s[42:43]
	s_cbranch_execz .LBB22_37
; %bb.36:                               ;   in Loop: Header=BB22_13 Depth=1
	global_load_ushort v15, v[0:1], off offset:1408
.LBB22_37:                              ;   in Loop: Header=BB22_13 Depth=1
	s_or_b64 exec, exec, s[44:45]
	scratch_load_dword v10, off, off offset:228 ; 4-byte Folded Reload
	s_waitcnt vmcnt(0)
	v_cmp_gt_u32_e64 s[44:45], s82, v10
	s_and_saveexec_b64 s[46:47], s[44:45]
	s_cbranch_execz .LBB22_39
; %bb.38:                               ;   in Loop: Header=BB22_13 Depth=1
	global_load_ushort v14, v[0:1], off offset:1536
.LBB22_39:                              ;   in Loop: Header=BB22_13 Depth=1
	;; [unrolled: 20-line block ×3, first 2 shown]
	s_or_b64 exec, exec, s[50:51]
	scratch_load_dword v10, off, off offset:240 ; 4-byte Folded Reload
	v_mov_b32_e32 v21, 0
	s_waitcnt vmcnt(0)
	v_cmp_gt_u32_e64 s[50:51], s82, v10
	v_mov_b32_e32 v10, 0
	s_and_saveexec_b64 s[52:53], s[50:51]
	s_cbranch_execz .LBB22_45
; %bb.44:                               ;   in Loop: Header=BB22_13 Depth=1
	global_load_ushort v21, v[0:1], off offset:1920
.LBB22_45:                              ;   in Loop: Header=BB22_13 Depth=1
	s_or_b64 exec, exec, s[52:53]
	scratch_load_dword v0, off, off offset:4 ; 4-byte Folded Reload
	v_readlane_b32 s0, v95, 4
	v_readlane_b32 s1, v95, 5
	s_waitcnt vmcnt(0)
	ds_write_b16 v0, v2
	scratch_load_dword v0, off, off offset:8 ; 4-byte Folded Reload
	s_waitcnt vmcnt(0)
	ds_write_b16 v0, v4 offset:128
	scratch_load_dword v0, off, off offset:12 ; 4-byte Folded Reload
	s_waitcnt vmcnt(0)
	ds_write_b16 v0, v3 offset:256
	;; [unrolled: 3-line block ×8, first 2 shown]
	scratch_load_dword v0, off, off offset:40 ; 4-byte Folded Reload
	v_lshl_add_u64 v[8:9], s[0:1], 0, v[16:17]
	s_waitcnt vmcnt(0)
	ds_write_b16 v0, v13 offset:1152
	scratch_load_dword v0, off, off offset:44 ; 4-byte Folded Reload
	s_waitcnt vmcnt(0)
	ds_write_b16 v0, v12 offset:1280
	scratch_load_dword v0, off, off offset:48 ; 4-byte Folded Reload
	;; [unrolled: 3-line block ×6, first 2 shown]
	s_waitcnt vmcnt(0)
	ds_write_b16 v0, v21 offset:1920
	; wave barrier
	scratch_load_dword v4, off, off         ; 4-byte Folded Reload
	s_waitcnt vmcnt(0)
	ds_read_b128 v[0:3], v4
	ds_read_b128 v[4:7], v4 offset:16
	s_waitcnt lgkmcnt(0)
	; wave barrier
	s_waitcnt lgkmcnt(0)
	s_and_saveexec_b64 s[52:53], s[18:19]
	s_cbranch_execz .LBB22_47
; %bb.46:                               ;   in Loop: Header=BB22_13 Depth=1
	global_load_ushort v10, v[8:9], off
.LBB22_47:                              ;   in Loop: Header=BB22_13 Depth=1
	s_or_b64 exec, exec, s[52:53]
	v_mov_b32_e32 v11, 0
	v_mov_b32_e32 v12, 0
	s_and_saveexec_b64 s[52:53], s[20:21]
	s_cbranch_execz .LBB22_49
; %bb.48:                               ;   in Loop: Header=BB22_13 Depth=1
	global_load_ushort v12, v[8:9], off offset:128
.LBB22_49:                              ;   in Loop: Header=BB22_13 Depth=1
	s_or_b64 exec, exec, s[52:53]
	s_and_saveexec_b64 s[52:53], s[22:23]
	s_cbranch_execz .LBB22_51
; %bb.50:                               ;   in Loop: Header=BB22_13 Depth=1
	global_load_ushort v11, v[8:9], off offset:256
.LBB22_51:                              ;   in Loop: Header=BB22_13 Depth=1
	s_or_b64 exec, exec, s[52:53]
	v_mov_b32_e32 v13, 0
	v_mov_b32_e32 v14, 0
	s_and_saveexec_b64 s[52:53], s[24:25]
	s_cbranch_execz .LBB22_53
; %bb.52:                               ;   in Loop: Header=BB22_13 Depth=1
	global_load_ushort v14, v[8:9], off offset:384
.LBB22_53:                              ;   in Loop: Header=BB22_13 Depth=1
	s_or_b64 exec, exec, s[52:53]
	s_and_saveexec_b64 s[52:53], s[26:27]
	s_cbranch_execz .LBB22_55
; %bb.54:                               ;   in Loop: Header=BB22_13 Depth=1
	global_load_ushort v13, v[8:9], off offset:512
.LBB22_55:                              ;   in Loop: Header=BB22_13 Depth=1
	;; [unrolled: 14-line block ×6, first 2 shown]
	s_or_b64 exec, exec, s[52:53]
	v_mov_b32_e32 v26, 0
	v_mov_b32_e32 v27, 0
	s_and_saveexec_b64 s[52:53], s[46:47]
	s_cbranch_execnz .LBB22_216
; %bb.72:                               ;   in Loop: Header=BB22_13 Depth=1
	s_or_b64 exec, exec, s[52:53]
	s_and_saveexec_b64 s[52:53], s[48:49]
	s_cbranch_execnz .LBB22_217
.LBB22_73:                              ;   in Loop: Header=BB22_13 Depth=1
	s_or_b64 exec, exec, s[52:53]
	v_mov_b32_e32 v28, 0
	s_and_saveexec_b64 s[52:53], s[50:51]
	s_cbranch_execz .LBB22_75
.LBB22_74:                              ;   in Loop: Header=BB22_13 Depth=1
	global_load_ushort v28, v[8:9], off offset:1920
.LBB22_75:                              ;   in Loop: Header=BB22_13 Depth=1
	s_or_b64 exec, exec, s[52:53]
	scratch_load_dword v8, off, off offset:4 ; 4-byte Folded Reload
	v_readlane_b32 s0, v95, 2
	s_waitcnt vmcnt(0)
	ds_write_b16 v8, v10
	scratch_load_dword v8, off, off offset:8 ; 4-byte Folded Reload
	s_waitcnt vmcnt(0)
	ds_write_b16 v8, v12 offset:128
	scratch_load_dword v8, off, off offset:12 ; 4-byte Folded Reload
	s_waitcnt vmcnt(0)
	ds_write_b16 v8, v11 offset:256
	;; [unrolled: 3-line block ×15, first 2 shown]
	; wave barrier
	scratch_load_dword v8, off, off         ; 4-byte Folded Reload
	s_waitcnt vmcnt(0)
	ds_read_b128 v[12:15], v8
	ds_read_b128 v[8:11], v8 offset:16
	s_waitcnt lgkmcnt(1)
	v_lshlrev_b32_e32 v18, 16, v12
	v_add_f32_e32 v21, s0, v18
	v_cmp_ge_f32_e32 vcc, s6, v21
	s_and_b64 s[0:1], s[4:5], vcc
	s_and_saveexec_b64 s[54:55], s[0:1]
	s_cbranch_execz .LBB22_77
; %bb.76:                               ;   in Loop: Header=BB22_13 Depth=1
	v_mul_f32_e32 v18, 0x3fb8aa3b, v21
	v_rndne_f32_e32 v20, v18
	v_sub_f32_e32 v22, v18, v20
	v_fma_f32 v18, v21, s7, -v18
	v_fmac_f32_e32 v18, 0x32a5705f, v21
	v_add_f32_e32 v18, v22, v18
	v_cvt_i32_f32_e32 v20, v20
	v_exp_f32_e32 v18, v18
	v_cmp_ngt_f32_e32 vcc, s8, v21
	v_ldexp_f32 v18, v18, v20
	s_nop 0
	v_cndmask_b32_e32 v18, 0, v18, vcc
	v_cmp_nlt_f32_e32 vcc, s9, v21
	s_nop 1
	v_cndmask_b32_e32 v34, v41, v18, vcc
	v_add_f32_e32 v18, 1.0, v34
	v_add_f32_e32 v20, -1.0, v18
	v_sub_f32_e32 v21, v20, v18
	v_add_f32_e32 v21, 1.0, v21
	v_sub_f32_e32 v20, v34, v20
	v_add_f32_e32 v22, v20, v21
	v_frexp_mant_f32_e32 v23, v18
	v_cvt_f64_f32_e32 v[20:21], v18
	v_frexp_exp_i32_f64_e32 v20, v[20:21]
	v_cmp_gt_f32_e32 vcc, s11, v23
	v_cmp_gt_f32_e64 s[52:53], s57, v34
	s_nop 0
	v_subbrev_co_u32_e32 v28, vcc, 0, v20, vcc
	v_sub_u32_e32 v20, 0, v28
	v_ldexp_f32 v18, v18, v20
	v_ldexp_f32 v20, v22, v20
	v_add_f32_e32 v22, -1.0, v18
	v_add_f32_e32 v21, 1.0, v22
	v_sub_f32_e32 v21, v18, v21
	v_add_f32_e32 v23, v20, v21
	v_add_f32_e32 v21, 1.0, v18
	v_add_f32_e32 v24, -1.0, v21
	v_sub_f32_e32 v18, v18, v24
	v_add_f32_e32 v18, v20, v18
	v_add_f32_e32 v29, v21, v18
	v_rcp_f32_e32 v30, v29
	v_sub_f32_e32 v20, v21, v29
	v_add_f32_e32 v21, v22, v23
	v_add_f32_e32 v18, v18, v20
	v_mul_f32_e32 v32, v21, v30
	v_sub_f32_e32 v20, v22, v21
	v_mul_f32_e32 v22, v29, v32
	v_fma_f32 v24, v32, v29, -v22
	v_fmac_f32_e32 v24, v32, v18
	v_add_f32_e32 v31, v23, v20
	v_add_f32_e32 v20, v22, v24
	v_sub_f32_e32 v23, v21, v20
	v_pk_add_f32 v[26:27], v[20:21], v[22:23] neg_lo:[0,1] neg_hi:[0,1]
	v_mov_b32_e32 v25, v20
	v_pk_add_f32 v[20:21], v[26:27], v[24:25] neg_lo:[0,1] neg_hi:[0,1]
	v_cmp_eq_f32_e32 vcc, s10, v34
	v_add_f32_e32 v21, v31, v21
	v_add_f32_e32 v20, v20, v21
	;; [unrolled: 1-line block ×3, first 2 shown]
	v_mul_f32_e32 v31, v30, v21
	v_mul_f32_e32 v22, v29, v31
	v_fma_f32 v24, v31, v29, -v22
	v_fmac_f32_e32 v24, v31, v18
	v_sub_f32_e32 v18, v23, v21
	v_add_f32_e32 v18, v20, v18
	v_add_f32_e32 v20, v22, v24
	v_sub_f32_e32 v23, v21, v20
	v_pk_add_f32 v[26:27], v[20:21], v[22:23] neg_lo:[0,1] neg_hi:[0,1]
	v_mov_b32_e32 v25, v20
	v_pk_add_f32 v[20:21], v[26:27], v[24:25] neg_lo:[0,1] neg_hi:[0,1]
	s_or_b64 vcc, s[52:53], vcc
	v_add_f32_e32 v18, v18, v21
	v_add_f32_e32 v18, v20, v18
	;; [unrolled: 1-line block ×4, first 2 shown]
	v_sub_f32_e32 v20, v21, v32
	v_mul_f32_e32 v18, v30, v18
	v_sub_f32_e32 v20, v31, v20
	v_add_f32_e32 v18, v20, v18
	v_add_f32_e32 v22, v21, v18
	v_mul_f32_e32 v24, v22, v22
	v_fmamk_f32 v20, v24, 0x3e9b6dac, v40
	v_fmaak_f32 v43, v24, v20, 0x3f2aaada
	v_cvt_f32_i32_e32 v20, v28
	v_sub_f32_e32 v21, v22, v21
	v_sub_f32_e32 v18, v18, v21
	v_mul_f32_e32 v21, v22, v24
	v_pk_mul_f32 v[24:25], v[20:21], v[42:43]
	v_ldexp_f32 v23, v22, 1
	v_fma_f32 v22, v20, s56, -v24
	v_fmac_f32_e32 v22, 0xb102e308, v20
	v_pk_add_f32 v[20:21], v[24:25], v[22:23]
	v_ldexp_f32 v18, v18, 1
	v_sub_f32_e32 v23, v21, v23
	v_sub_f32_e32 v23, v25, v23
	v_add_f32_e32 v27, v18, v23
	v_mov_b32_e32 v26, v24
	v_pk_add_f32 v[24:25], v[20:21], v[24:25] neg_lo:[0,1] neg_hi:[0,1]
	v_pk_add_f32 v[28:29], v[20:21], v[26:27]
	v_mov_b32_e32 v23, v20
	v_mov_b32_e32 v25, v29
	v_pk_add_f32 v[30:31], v[22:23], v[24:25] neg_lo:[0,1] neg_hi:[0,1]
	v_pk_add_f32 v[22:23], v[22:23], v[24:25]
	s_nop 0
	v_mov_b32_e32 v18, v23
	v_pk_add_f32 v[24:25], v[18:19], v[20:21] neg_lo:[0,1] neg_hi:[0,1]
	v_mov_b32_e32 v22, v29
	v_mov_b32_e32 v25, v24
	v_pk_add_f32 v[32:33], v[28:29], v[24:25] neg_lo:[0,1] neg_hi:[0,1]
	v_mov_b32_e32 v28, v21
	v_mov_b32_e32 v29, v24
	;; [unrolled: 1-line block ×3, first 2 shown]
	v_pk_add_f32 v[22:23], v[22:23], v[28:29] neg_lo:[0,1] neg_hi:[0,1]
	v_mov_b32_e32 v24, v27
	v_mov_b32_e32 v25, v20
	v_pk_add_f32 v[20:21], v[24:25], v[22:23] neg_lo:[0,1] neg_hi:[0,1]
	v_mov_b32_e32 v32, v30
	v_pk_add_f32 v[22:23], v[32:33], v[20:21]
	s_nop 0
	v_mov_b32_e32 v24, v23
	v_pk_add_f32 v[24:25], v[22:23], v[24:25]
	s_nop 0
	v_pk_add_f32 v[26:27], v[18:19], v[24:25]
	v_mov_b32_e32 v21, v24
	v_mov_b32_e32 v23, v26
	v_pk_add_f32 v[28:29], v[22:23], v[30:31] neg_lo:[0,1] neg_hi:[0,1]
	s_nop 0
	v_sub_f32_e32 v18, v22, v28
	v_pk_add_f32 v[20:21], v[20:21], v[28:29] neg_lo:[0,1] neg_hi:[0,1]
	v_sub_f32_e32 v18, v30, v18
	v_add_f32_e32 v18, v20, v18
	v_add_f32_e32 v18, v18, v21
	;; [unrolled: 1-line block ×3, first 2 shown]
	v_cndmask_b32_e32 v21, v18, v34, vcc
.LBB22_77:                              ;   in Loop: Header=BB22_13 Depth=1
	s_or_b64 exec, exec, s[54:55]
	v_and_b32_e32 v12, 0xffff0000, v12
	v_readlane_b32 s0, v95, 2
	s_nop 1
	v_add_f32_e32 v18, s0, v12
	v_cmp_ge_f32_e32 vcc, s6, v18
	s_and_b64 s[0:1], s[4:5], vcc
	s_and_saveexec_b64 s[54:55], s[0:1]
	s_cbranch_execz .LBB22_79
; %bb.78:                               ;   in Loop: Header=BB22_13 Depth=1
	v_mul_f32_e32 v12, 0x3fb8aa3b, v18
	v_rndne_f32_e32 v20, v12
	v_sub_f32_e32 v22, v12, v20
	v_fma_f32 v12, v18, s7, -v12
	v_fmac_f32_e32 v12, 0x32a5705f, v18
	v_add_f32_e32 v12, v22, v12
	v_cvt_i32_f32_e32 v20, v20
	v_exp_f32_e32 v12, v12
	v_cmp_ngt_f32_e32 vcc, s8, v18
	v_ldexp_f32 v12, v12, v20
	s_nop 0
	v_cndmask_b32_e32 v12, 0, v12, vcc
	v_cmp_nlt_f32_e32 vcc, s9, v18
	s_nop 1
	v_cndmask_b32_e32 v20, v41, v12, vcc
	v_add_f32_e32 v12, 1.0, v20
	v_add_f32_e32 v18, -1.0, v12
	v_sub_f32_e32 v22, v18, v12
	v_add_f32_e32 v22, 1.0, v22
	v_sub_f32_e32 v18, v20, v18
	v_add_f32_e32 v18, v18, v22
	v_frexp_mant_f32_e32 v24, v12
	v_cvt_f64_f32_e32 v[22:23], v12
	v_frexp_exp_i32_f64_e32 v22, v[22:23]
	v_cmp_gt_f32_e32 vcc, s11, v24
	v_cmp_gt_f32_e64 s[52:53], s57, v20
	s_nop 0
	v_subbrev_co_u32_e32 v30, vcc, 0, v22, vcc
	v_sub_u32_e32 v22, 0, v30
	v_ldexp_f32 v12, v12, v22
	v_ldexp_f32 v18, v18, v22
	v_add_f32_e32 v22, -1.0, v12
	v_add_f32_e32 v23, 1.0, v22
	v_sub_f32_e32 v23, v12, v23
	v_add_f32_e32 v24, v18, v23
	v_add_f32_e32 v23, 1.0, v12
	v_add_f32_e32 v25, -1.0, v23
	v_sub_f32_e32 v12, v12, v25
	v_add_f32_e32 v12, v18, v12
	v_add_f32_e32 v18, v23, v12
	v_rcp_f32_e32 v31, v18
	v_sub_f32_e32 v23, v23, v18
	v_add_f32_e32 v12, v12, v23
	v_add_f32_e32 v23, v22, v24
	v_sub_f32_e32 v22, v22, v23
	v_mul_f32_e32 v33, v23, v31
	v_add_f32_e32 v32, v24, v22
	v_mul_f32_e32 v24, v18, v33
	v_fma_f32 v26, v33, v18, -v24
	v_fmac_f32_e32 v26, v33, v12
	v_add_f32_e32 v22, v24, v26
	v_sub_f32_e32 v25, v23, v22
	v_pk_add_f32 v[28:29], v[22:23], v[24:25] neg_lo:[0,1] neg_hi:[0,1]
	v_mov_b32_e32 v27, v22
	v_pk_add_f32 v[22:23], v[28:29], v[26:27] neg_lo:[0,1] neg_hi:[0,1]
	v_cmp_eq_f32_e32 vcc, s10, v20
	v_add_f32_e32 v23, v32, v23
	v_add_f32_e32 v22, v22, v23
	;; [unrolled: 1-line block ×3, first 2 shown]
	v_mul_f32_e32 v32, v31, v23
	v_mul_f32_e32 v24, v18, v32
	v_fma_f32 v26, v32, v18, -v24
	v_fmac_f32_e32 v26, v32, v12
	v_sub_f32_e32 v12, v25, v23
	v_add_f32_e32 v12, v22, v12
	v_add_f32_e32 v22, v24, v26
	v_sub_f32_e32 v25, v23, v22
	v_pk_add_f32 v[28:29], v[22:23], v[24:25] neg_lo:[0,1] neg_hi:[0,1]
	v_mov_b32_e32 v27, v22
	v_pk_add_f32 v[22:23], v[28:29], v[26:27] neg_lo:[0,1] neg_hi:[0,1]
	v_add_f32_e32 v18, v33, v32
	v_add_f32_e32 v12, v12, v23
	;; [unrolled: 1-line block ×4, first 2 shown]
	v_sub_f32_e32 v22, v18, v33
	v_mul_f32_e32 v12, v31, v12
	v_sub_f32_e32 v22, v32, v22
	v_add_f32_e32 v12, v22, v12
	v_add_f32_e32 v23, v18, v12
	v_mul_f32_e32 v24, v23, v23
	v_fmamk_f32 v22, v24, 0x3e9b6dac, v40
	v_fmaak_f32 v43, v24, v22, 0x3f2aaada
	v_cvt_f32_i32_e32 v22, v30
	v_sub_f32_e32 v18, v23, v18
	v_ldexp_f32 v25, v23, 1
	v_mul_f32_e32 v23, v23, v24
	v_pk_mul_f32 v[26:27], v[22:23], v[42:43]
	v_sub_f32_e32 v12, v12, v18
	v_fma_f32 v24, v22, s56, -v26
	v_fmac_f32_e32 v24, 0xb102e308, v22
	v_pk_add_f32 v[22:23], v[26:27], v[24:25]
	v_ldexp_f32 v12, v12, 1
	v_sub_f32_e32 v18, v23, v25
	v_sub_f32_e32 v18, v27, v18
	v_add_f32_e32 v29, v12, v18
	v_mov_b32_e32 v28, v26
	v_pk_add_f32 v[26:27], v[22:23], v[26:27] neg_lo:[0,1] neg_hi:[0,1]
	v_pk_add_f32 v[30:31], v[22:23], v[28:29]
	v_mov_b32_e32 v25, v22
	v_mov_b32_e32 v27, v31
	v_pk_add_f32 v[32:33], v[24:25], v[26:27] neg_lo:[0,1] neg_hi:[0,1]
	v_pk_add_f32 v[24:25], v[24:25], v[26:27]
	s_or_b64 vcc, s[52:53], vcc
	v_mov_b32_e32 v12, v25
	v_pk_add_f32 v[26:27], v[12:13], v[22:23] neg_lo:[0,1] neg_hi:[0,1]
	v_mov_b32_e32 v24, v31
	v_mov_b32_e32 v27, v26
	v_pk_add_f32 v[34:35], v[30:31], v[26:27] neg_lo:[0,1] neg_hi:[0,1]
	v_mov_b32_e32 v30, v23
	v_mov_b32_e32 v31, v26
	;; [unrolled: 1-line block ×3, first 2 shown]
	v_pk_add_f32 v[24:25], v[24:25], v[30:31] neg_lo:[0,1] neg_hi:[0,1]
	v_mov_b32_e32 v26, v29
	v_mov_b32_e32 v27, v22
	v_pk_add_f32 v[22:23], v[26:27], v[24:25] neg_lo:[0,1] neg_hi:[0,1]
	v_mov_b32_e32 v34, v32
	v_pk_add_f32 v[24:25], v[34:35], v[22:23]
	s_nop 0
	v_mov_b32_e32 v18, v25
	v_pk_add_f32 v[26:27], v[24:25], v[18:19]
	s_nop 0
	v_pk_add_f32 v[28:29], v[12:13], v[26:27]
	v_mov_b32_e32 v23, v26
	v_mov_b32_e32 v25, v28
	v_pk_add_f32 v[30:31], v[24:25], v[32:33] neg_lo:[0,1] neg_hi:[0,1]
	s_nop 0
	v_sub_f32_e32 v12, v24, v30
	v_pk_add_f32 v[22:23], v[22:23], v[30:31] neg_lo:[0,1] neg_hi:[0,1]
	v_sub_f32_e32 v12, v32, v12
	v_add_f32_e32 v12, v22, v12
	v_add_f32_e32 v12, v12, v23
	;; [unrolled: 1-line block ×3, first 2 shown]
	v_cndmask_b32_e32 v18, v12, v20, vcc
.LBB22_79:                              ;   in Loop: Header=BB22_13 Depth=1
	s_or_b64 exec, exec, s[54:55]
	v_lshlrev_b32_e32 v12, 16, v13
	v_readlane_b32 s0, v95, 2
	s_nop 1
	v_add_f32_e32 v70, s0, v12
	v_cmp_ge_f32_e32 vcc, s6, v70
	s_and_b64 s[0:1], s[4:5], vcc
	s_and_saveexec_b64 s[54:55], s[0:1]
	s_cbranch_execz .LBB22_81
; %bb.80:                               ;   in Loop: Header=BB22_13 Depth=1
	v_mul_f32_e32 v12, 0x3fb8aa3b, v70
	v_rndne_f32_e32 v20, v12
	v_sub_f32_e32 v22, v12, v20
	v_fma_f32 v12, v70, s7, -v12
	v_fmac_f32_e32 v12, 0x32a5705f, v70
	v_add_f32_e32 v12, v22, v12
	v_cvt_i32_f32_e32 v20, v20
	v_exp_f32_e32 v12, v12
	v_cmp_ngt_f32_e32 vcc, s8, v70
	v_ldexp_f32 v12, v12, v20
	s_nop 0
	v_cndmask_b32_e32 v12, 0, v12, vcc
	v_cmp_nlt_f32_e32 vcc, s9, v70
	s_nop 1
	v_cndmask_b32_e32 v36, v41, v12, vcc
	v_add_f32_e32 v12, 1.0, v36
	v_add_f32_e32 v20, -1.0, v12
	v_sub_f32_e32 v22, v20, v12
	v_add_f32_e32 v22, 1.0, v22
	v_sub_f32_e32 v20, v36, v20
	v_add_f32_e32 v20, v20, v22
	v_frexp_mant_f32_e32 v24, v12
	v_cvt_f64_f32_e32 v[22:23], v12
	v_frexp_exp_i32_f64_e32 v22, v[22:23]
	v_cmp_gt_f32_e32 vcc, s11, v24
	v_cmp_gt_f32_e64 s[52:53], s57, v36
	s_nop 0
	v_subbrev_co_u32_e32 v30, vcc, 0, v22, vcc
	v_sub_u32_e32 v22, 0, v30
	v_ldexp_f32 v12, v12, v22
	v_ldexp_f32 v20, v20, v22
	v_add_f32_e32 v22, -1.0, v12
	v_add_f32_e32 v23, 1.0, v22
	v_sub_f32_e32 v23, v12, v23
	v_add_f32_e32 v24, v20, v23
	v_add_f32_e32 v23, 1.0, v12
	v_add_f32_e32 v25, -1.0, v23
	v_sub_f32_e32 v12, v12, v25
	v_add_f32_e32 v12, v20, v12
	v_add_f32_e32 v20, v23, v12
	v_rcp_f32_e32 v31, v20
	v_sub_f32_e32 v23, v23, v20
	v_add_f32_e32 v12, v12, v23
	v_add_f32_e32 v23, v22, v24
	v_sub_f32_e32 v22, v22, v23
	v_mul_f32_e32 v33, v23, v31
	v_add_f32_e32 v32, v24, v22
	v_mul_f32_e32 v24, v20, v33
	v_fma_f32 v26, v33, v20, -v24
	v_fmac_f32_e32 v26, v33, v12
	v_add_f32_e32 v22, v24, v26
	v_sub_f32_e32 v25, v23, v22
	v_pk_add_f32 v[28:29], v[22:23], v[24:25] neg_lo:[0,1] neg_hi:[0,1]
	v_mov_b32_e32 v27, v22
	v_pk_add_f32 v[22:23], v[28:29], v[26:27] neg_lo:[0,1] neg_hi:[0,1]
	v_cmp_eq_f32_e32 vcc, s10, v36
	v_add_f32_e32 v23, v32, v23
	v_add_f32_e32 v22, v22, v23
	;; [unrolled: 1-line block ×3, first 2 shown]
	v_mul_f32_e32 v32, v31, v23
	v_mul_f32_e32 v24, v20, v32
	v_fma_f32 v26, v32, v20, -v24
	v_fmac_f32_e32 v26, v32, v12
	v_sub_f32_e32 v12, v25, v23
	v_add_f32_e32 v12, v22, v12
	v_add_f32_e32 v22, v24, v26
	v_sub_f32_e32 v25, v23, v22
	v_pk_add_f32 v[28:29], v[22:23], v[24:25] neg_lo:[0,1] neg_hi:[0,1]
	v_mov_b32_e32 v27, v22
	v_pk_add_f32 v[22:23], v[28:29], v[26:27] neg_lo:[0,1] neg_hi:[0,1]
	v_add_f32_e32 v20, v33, v32
	v_add_f32_e32 v12, v12, v23
	;; [unrolled: 1-line block ×4, first 2 shown]
	v_sub_f32_e32 v22, v20, v33
	v_mul_f32_e32 v12, v31, v12
	v_sub_f32_e32 v22, v32, v22
	v_add_f32_e32 v12, v22, v12
	v_add_f32_e32 v23, v20, v12
	v_mul_f32_e32 v24, v23, v23
	v_fmamk_f32 v22, v24, 0x3e9b6dac, v40
	v_fmaak_f32 v43, v24, v22, 0x3f2aaada
	v_cvt_f32_i32_e32 v22, v30
	v_sub_f32_e32 v20, v23, v20
	v_ldexp_f32 v25, v23, 1
	v_mul_f32_e32 v23, v23, v24
	v_pk_mul_f32 v[26:27], v[22:23], v[42:43]
	v_sub_f32_e32 v12, v12, v20
	v_fma_f32 v24, v22, s56, -v26
	v_fmac_f32_e32 v24, 0xb102e308, v22
	v_pk_add_f32 v[22:23], v[26:27], v[24:25]
	v_ldexp_f32 v12, v12, 1
	v_sub_f32_e32 v20, v23, v25
	v_sub_f32_e32 v20, v27, v20
	v_add_f32_e32 v29, v12, v20
	v_mov_b32_e32 v28, v26
	v_pk_add_f32 v[26:27], v[22:23], v[26:27] neg_lo:[0,1] neg_hi:[0,1]
	v_pk_add_f32 v[30:31], v[22:23], v[28:29]
	v_mov_b32_e32 v25, v22
	v_mov_b32_e32 v27, v31
	v_pk_add_f32 v[32:33], v[24:25], v[26:27] neg_lo:[0,1] neg_hi:[0,1]
	v_pk_add_f32 v[24:25], v[24:25], v[26:27]
	s_or_b64 vcc, s[52:53], vcc
	v_mov_b32_e32 v12, v25
	v_pk_add_f32 v[26:27], v[12:13], v[22:23] neg_lo:[0,1] neg_hi:[0,1]
	v_mov_b32_e32 v24, v31
	v_mov_b32_e32 v27, v26
	v_pk_add_f32 v[34:35], v[30:31], v[26:27] neg_lo:[0,1] neg_hi:[0,1]
	v_mov_b32_e32 v30, v23
	v_mov_b32_e32 v31, v26
	v_mov_b32_e32 v33, v25
	v_pk_add_f32 v[24:25], v[24:25], v[30:31] neg_lo:[0,1] neg_hi:[0,1]
	v_mov_b32_e32 v26, v29
	v_mov_b32_e32 v27, v22
	v_pk_add_f32 v[22:23], v[26:27], v[24:25] neg_lo:[0,1] neg_hi:[0,1]
	v_mov_b32_e32 v34, v32
	v_pk_add_f32 v[24:25], v[34:35], v[22:23]
	s_nop 0
	v_mov_b32_e32 v20, v25
	v_pk_add_f32 v[26:27], v[24:25], v[20:21]
	s_nop 0
	v_pk_add_f32 v[28:29], v[12:13], v[26:27]
	v_mov_b32_e32 v23, v26
	v_mov_b32_e32 v25, v28
	v_pk_add_f32 v[30:31], v[24:25], v[32:33] neg_lo:[0,1] neg_hi:[0,1]
	s_nop 0
	v_sub_f32_e32 v12, v24, v30
	v_pk_add_f32 v[22:23], v[22:23], v[30:31] neg_lo:[0,1] neg_hi:[0,1]
	v_sub_f32_e32 v12, v32, v12
	v_add_f32_e32 v12, v22, v12
	v_add_f32_e32 v12, v12, v23
	;; [unrolled: 1-line block ×3, first 2 shown]
	v_cndmask_b32_e32 v70, v12, v36, vcc
.LBB22_81:                              ;   in Loop: Header=BB22_13 Depth=1
	s_or_b64 exec, exec, s[54:55]
	v_and_b32_e32 v12, 0xffff0000, v13
	v_readlane_b32 s0, v95, 2
	s_nop 1
	v_add_f32_e32 v71, s0, v12
	v_cmp_ge_f32_e32 vcc, s6, v71
	s_and_b64 s[0:1], s[4:5], vcc
	s_and_saveexec_b64 s[54:55], s[0:1]
	s_cbranch_execz .LBB22_83
; %bb.82:                               ;   in Loop: Header=BB22_13 Depth=1
	v_mul_f32_e32 v12, 0x3fb8aa3b, v71
	v_rndne_f32_e32 v13, v12
	v_sub_f32_e32 v20, v12, v13
	v_fma_f32 v12, v71, s7, -v12
	v_fmac_f32_e32 v12, 0x32a5705f, v71
	v_add_f32_e32 v12, v20, v12
	v_cvt_i32_f32_e32 v13, v13
	v_exp_f32_e32 v12, v12
	v_cmp_ngt_f32_e32 vcc, s8, v71
	v_ldexp_f32 v12, v12, v13
	s_nop 0
	v_cndmask_b32_e32 v12, 0, v12, vcc
	v_cmp_nlt_f32_e32 vcc, s9, v71
	s_nop 1
	v_cndmask_b32_e32 v34, v41, v12, vcc
	v_add_f32_e32 v20, 1.0, v34
	v_add_f32_e32 v12, -1.0, v20
	v_sub_f32_e32 v13, v12, v20
	v_add_f32_e32 v13, 1.0, v13
	v_sub_f32_e32 v12, v34, v12
	v_add_f32_e32 v22, v12, v13
	v_frexp_mant_f32_e32 v23, v20
	v_cvt_f64_f32_e32 v[12:13], v20
	v_frexp_exp_i32_f64_e32 v12, v[12:13]
	v_cmp_gt_f32_e32 vcc, s11, v23
	v_cmp_gt_f32_e64 s[52:53], s57, v34
	s_nop 0
	v_subbrev_co_u32_e32 v28, vcc, 0, v12, vcc
	v_sub_u32_e32 v12, 0, v28
	v_ldexp_f32 v13, v20, v12
	v_add_f32_e32 v20, -1.0, v13
	v_add_f32_e32 v23, 1.0, v13
	v_ldexp_f32 v12, v22, v12
	v_add_f32_e32 v22, 1.0, v20
	v_add_f32_e32 v24, -1.0, v23
	v_sub_f32_e32 v22, v13, v22
	v_sub_f32_e32 v13, v13, v24
	v_add_f32_e32 v22, v12, v22
	v_add_f32_e32 v12, v12, v13
	;; [unrolled: 1-line block ×3, first 2 shown]
	v_rcp_f32_e32 v31, v29
	v_sub_f32_e32 v13, v23, v29
	v_add_f32_e32 v30, v12, v13
	v_add_f32_e32 v13, v20, v22
	v_sub_f32_e32 v12, v20, v13
	v_mul_f32_e32 v32, v13, v31
	v_add_f32_e32 v20, v22, v12
	v_mul_f32_e32 v22, v29, v32
	v_fma_f32 v24, v32, v29, -v22
	v_fmac_f32_e32 v24, v32, v30
	v_add_f32_e32 v12, v22, v24
	v_sub_f32_e32 v23, v13, v12
	v_pk_add_f32 v[26:27], v[12:13], v[22:23] neg_lo:[0,1] neg_hi:[0,1]
	v_mov_b32_e32 v25, v12
	v_pk_add_f32 v[12:13], v[26:27], v[24:25] neg_lo:[0,1] neg_hi:[0,1]
	v_cmp_eq_f32_e32 vcc, s10, v34
	v_add_f32_e32 v13, v20, v13
	v_add_f32_e32 v12, v12, v13
	;; [unrolled: 1-line block ×3, first 2 shown]
	v_mul_f32_e32 v20, v31, v13
	v_mul_f32_e32 v22, v29, v20
	v_fma_f32 v24, v20, v29, -v22
	v_fmac_f32_e32 v24, v20, v30
	v_sub_f32_e32 v23, v23, v13
	v_add_f32_e32 v29, v12, v23
	v_add_f32_e32 v12, v22, v24
	v_sub_f32_e32 v23, v13, v12
	v_pk_add_f32 v[26:27], v[12:13], v[22:23] neg_lo:[0,1] neg_hi:[0,1]
	v_mov_b32_e32 v25, v12
	v_pk_add_f32 v[12:13], v[26:27], v[24:25] neg_lo:[0,1] neg_hi:[0,1]
	s_or_b64 vcc, s[52:53], vcc
	v_add_f32_e32 v13, v29, v13
	v_add_f32_e32 v12, v12, v13
	;; [unrolled: 1-line block ×4, first 2 shown]
	v_sub_f32_e32 v22, v13, v32
	v_mul_f32_e32 v12, v31, v12
	v_sub_f32_e32 v20, v20, v22
	v_add_f32_e32 v20, v20, v12
	v_add_f32_e32 v22, v13, v20
	v_mul_f32_e32 v24, v22, v22
	v_fmamk_f32 v12, v24, 0x3e9b6dac, v40
	v_fmaak_f32 v43, v24, v12, 0x3f2aaada
	v_cvt_f32_i32_e32 v12, v28
	v_sub_f32_e32 v13, v22, v13
	v_sub_f32_e32 v13, v20, v13
	v_ldexp_f32 v20, v13, 1
	v_mul_f32_e32 v13, v22, v24
	v_pk_mul_f32 v[24:25], v[12:13], v[42:43]
	v_ldexp_f32 v23, v22, 1
	v_fma_f32 v22, v12, s56, -v24
	v_fmac_f32_e32 v22, 0xb102e308, v12
	v_pk_add_f32 v[12:13], v[24:25], v[22:23]
	v_mov_b32_e32 v26, v24
	v_sub_f32_e32 v23, v13, v23
	v_sub_f32_e32 v23, v25, v23
	v_add_f32_e32 v27, v20, v23
	v_pk_add_f32 v[24:25], v[12:13], v[24:25] neg_lo:[0,1] neg_hi:[0,1]
	v_pk_add_f32 v[28:29], v[12:13], v[26:27]
	v_mov_b32_e32 v23, v12
	v_mov_b32_e32 v25, v29
	v_pk_add_f32 v[30:31], v[22:23], v[24:25] neg_lo:[0,1] neg_hi:[0,1]
	v_pk_add_f32 v[22:23], v[22:23], v[24:25]
	s_nop 0
	v_mov_b32_e32 v20, v23
	v_pk_add_f32 v[24:25], v[20:21], v[12:13] neg_lo:[0,1] neg_hi:[0,1]
	v_mov_b32_e32 v22, v29
	v_mov_b32_e32 v25, v24
	v_pk_add_f32 v[32:33], v[28:29], v[24:25] neg_lo:[0,1] neg_hi:[0,1]
	v_mov_b32_e32 v28, v13
	v_mov_b32_e32 v29, v24
	;; [unrolled: 1-line block ×3, first 2 shown]
	v_pk_add_f32 v[22:23], v[22:23], v[28:29] neg_lo:[0,1] neg_hi:[0,1]
	v_mov_b32_e32 v24, v27
	v_mov_b32_e32 v25, v12
	v_pk_add_f32 v[12:13], v[24:25], v[22:23] neg_lo:[0,1] neg_hi:[0,1]
	v_mov_b32_e32 v32, v30
	v_pk_add_f32 v[22:23], v[32:33], v[12:13]
	s_nop 0
	v_mov_b32_e32 v24, v23
	v_pk_add_f32 v[24:25], v[22:23], v[24:25]
	s_nop 0
	v_pk_add_f32 v[26:27], v[20:21], v[24:25]
	v_mov_b32_e32 v13, v24
	v_mov_b32_e32 v23, v26
	v_pk_add_f32 v[28:29], v[22:23], v[30:31] neg_lo:[0,1] neg_hi:[0,1]
	s_nop 0
	v_sub_f32_e32 v20, v22, v28
	v_pk_add_f32 v[12:13], v[12:13], v[28:29] neg_lo:[0,1] neg_hi:[0,1]
	v_sub_f32_e32 v20, v30, v20
	v_add_f32_e32 v12, v12, v20
	v_add_f32_e32 v12, v12, v13
	;; [unrolled: 1-line block ×3, first 2 shown]
	v_cndmask_b32_e32 v71, v12, v34, vcc
.LBB22_83:                              ;   in Loop: Header=BB22_13 Depth=1
	s_or_b64 exec, exec, s[54:55]
	v_lshlrev_b32_e32 v12, 16, v14
	v_readlane_b32 s0, v95, 2
	s_nop 1
	v_add_f32_e32 v90, s0, v12
	v_cmp_ge_f32_e32 vcc, s6, v90
	s_and_b64 s[0:1], s[4:5], vcc
	s_and_saveexec_b64 s[54:55], s[0:1]
	s_cbranch_execz .LBB22_85
; %bb.84:                               ;   in Loop: Header=BB22_13 Depth=1
	v_mul_f32_e32 v12, 0x3fb8aa3b, v90
	v_rndne_f32_e32 v13, v12
	v_sub_f32_e32 v20, v12, v13
	v_fma_f32 v12, v90, s7, -v12
	v_fmac_f32_e32 v12, 0x32a5705f, v90
	v_add_f32_e32 v12, v20, v12
	v_cvt_i32_f32_e32 v13, v13
	v_exp_f32_e32 v12, v12
	v_cmp_ngt_f32_e32 vcc, s8, v90
	v_ldexp_f32 v12, v12, v13
	s_nop 0
	v_cndmask_b32_e32 v12, 0, v12, vcc
	v_cmp_nlt_f32_e32 vcc, s9, v90
	s_nop 1
	v_cndmask_b32_e32 v34, v41, v12, vcc
	v_add_f32_e32 v20, 1.0, v34
	v_add_f32_e32 v12, -1.0, v20
	v_sub_f32_e32 v13, v12, v20
	v_add_f32_e32 v13, 1.0, v13
	v_sub_f32_e32 v12, v34, v12
	v_add_f32_e32 v22, v12, v13
	v_frexp_mant_f32_e32 v23, v20
	v_cvt_f64_f32_e32 v[12:13], v20
	v_frexp_exp_i32_f64_e32 v12, v[12:13]
	v_cmp_gt_f32_e32 vcc, s11, v23
	v_cmp_gt_f32_e64 s[52:53], s57, v34
	s_nop 0
	v_subbrev_co_u32_e32 v28, vcc, 0, v12, vcc
	v_sub_u32_e32 v12, 0, v28
	v_ldexp_f32 v13, v20, v12
	v_add_f32_e32 v20, -1.0, v13
	v_add_f32_e32 v23, 1.0, v13
	v_ldexp_f32 v12, v22, v12
	v_add_f32_e32 v22, 1.0, v20
	v_add_f32_e32 v24, -1.0, v23
	v_sub_f32_e32 v22, v13, v22
	v_sub_f32_e32 v13, v13, v24
	v_add_f32_e32 v22, v12, v22
	v_add_f32_e32 v12, v12, v13
	;; [unrolled: 1-line block ×3, first 2 shown]
	v_rcp_f32_e32 v31, v29
	v_sub_f32_e32 v13, v23, v29
	v_add_f32_e32 v30, v12, v13
	v_add_f32_e32 v13, v20, v22
	v_sub_f32_e32 v12, v20, v13
	v_mul_f32_e32 v32, v13, v31
	v_add_f32_e32 v20, v22, v12
	v_mul_f32_e32 v22, v29, v32
	v_fma_f32 v24, v32, v29, -v22
	v_fmac_f32_e32 v24, v32, v30
	v_add_f32_e32 v12, v22, v24
	v_sub_f32_e32 v23, v13, v12
	v_pk_add_f32 v[26:27], v[12:13], v[22:23] neg_lo:[0,1] neg_hi:[0,1]
	v_mov_b32_e32 v25, v12
	v_pk_add_f32 v[12:13], v[26:27], v[24:25] neg_lo:[0,1] neg_hi:[0,1]
	v_cmp_eq_f32_e32 vcc, s10, v34
	v_add_f32_e32 v13, v20, v13
	v_add_f32_e32 v12, v12, v13
	v_add_f32_e32 v13, v23, v12
	v_mul_f32_e32 v20, v31, v13
	v_mul_f32_e32 v22, v29, v20
	v_fma_f32 v24, v20, v29, -v22
	v_fmac_f32_e32 v24, v20, v30
	v_sub_f32_e32 v23, v23, v13
	v_add_f32_e32 v29, v12, v23
	v_add_f32_e32 v12, v22, v24
	v_sub_f32_e32 v23, v13, v12
	v_pk_add_f32 v[26:27], v[12:13], v[22:23] neg_lo:[0,1] neg_hi:[0,1]
	v_mov_b32_e32 v25, v12
	v_pk_add_f32 v[12:13], v[26:27], v[24:25] neg_lo:[0,1] neg_hi:[0,1]
	s_or_b64 vcc, s[52:53], vcc
	v_add_f32_e32 v13, v29, v13
	v_add_f32_e32 v12, v12, v13
	v_add_f32_e32 v13, v32, v20
	v_add_f32_e32 v12, v23, v12
	v_sub_f32_e32 v22, v13, v32
	v_mul_f32_e32 v12, v31, v12
	v_sub_f32_e32 v20, v20, v22
	v_add_f32_e32 v20, v20, v12
	v_add_f32_e32 v22, v13, v20
	v_mul_f32_e32 v24, v22, v22
	v_fmamk_f32 v12, v24, 0x3e9b6dac, v40
	v_fmaak_f32 v43, v24, v12, 0x3f2aaada
	v_cvt_f32_i32_e32 v12, v28
	v_sub_f32_e32 v13, v22, v13
	v_sub_f32_e32 v13, v20, v13
	v_ldexp_f32 v20, v13, 1
	v_mul_f32_e32 v13, v22, v24
	v_pk_mul_f32 v[24:25], v[12:13], v[42:43]
	v_ldexp_f32 v23, v22, 1
	v_fma_f32 v22, v12, s56, -v24
	v_fmac_f32_e32 v22, 0xb102e308, v12
	v_pk_add_f32 v[12:13], v[24:25], v[22:23]
	v_mov_b32_e32 v26, v24
	v_sub_f32_e32 v23, v13, v23
	v_sub_f32_e32 v23, v25, v23
	v_add_f32_e32 v27, v20, v23
	v_pk_add_f32 v[24:25], v[12:13], v[24:25] neg_lo:[0,1] neg_hi:[0,1]
	v_pk_add_f32 v[28:29], v[12:13], v[26:27]
	v_mov_b32_e32 v23, v12
	v_mov_b32_e32 v25, v29
	v_pk_add_f32 v[30:31], v[22:23], v[24:25] neg_lo:[0,1] neg_hi:[0,1]
	v_pk_add_f32 v[22:23], v[22:23], v[24:25]
	s_nop 0
	v_mov_b32_e32 v20, v23
	v_pk_add_f32 v[24:25], v[20:21], v[12:13] neg_lo:[0,1] neg_hi:[0,1]
	v_mov_b32_e32 v22, v29
	v_mov_b32_e32 v25, v24
	v_pk_add_f32 v[32:33], v[28:29], v[24:25] neg_lo:[0,1] neg_hi:[0,1]
	v_mov_b32_e32 v28, v13
	v_mov_b32_e32 v29, v24
	;; [unrolled: 1-line block ×3, first 2 shown]
	v_pk_add_f32 v[22:23], v[22:23], v[28:29] neg_lo:[0,1] neg_hi:[0,1]
	v_mov_b32_e32 v24, v27
	v_mov_b32_e32 v25, v12
	v_pk_add_f32 v[12:13], v[24:25], v[22:23] neg_lo:[0,1] neg_hi:[0,1]
	v_mov_b32_e32 v32, v30
	v_pk_add_f32 v[22:23], v[32:33], v[12:13]
	s_nop 0
	v_mov_b32_e32 v24, v23
	v_pk_add_f32 v[24:25], v[22:23], v[24:25]
	s_nop 0
	v_pk_add_f32 v[26:27], v[20:21], v[24:25]
	v_mov_b32_e32 v13, v24
	v_mov_b32_e32 v23, v26
	v_pk_add_f32 v[28:29], v[22:23], v[30:31] neg_lo:[0,1] neg_hi:[0,1]
	s_nop 0
	v_sub_f32_e32 v20, v22, v28
	v_pk_add_f32 v[12:13], v[12:13], v[28:29] neg_lo:[0,1] neg_hi:[0,1]
	v_sub_f32_e32 v20, v30, v20
	v_add_f32_e32 v12, v12, v20
	v_add_f32_e32 v12, v12, v13
	;; [unrolled: 1-line block ×3, first 2 shown]
	v_cndmask_b32_e32 v90, v12, v34, vcc
.LBB22_85:                              ;   in Loop: Header=BB22_13 Depth=1
	s_or_b64 exec, exec, s[54:55]
	v_and_b32_e32 v12, 0xffff0000, v14
	v_readlane_b32 s0, v95, 2
	s_nop 1
	v_add_f32_e32 v91, s0, v12
	v_cmp_ge_f32_e32 vcc, s6, v91
	s_and_b64 s[0:1], s[4:5], vcc
	s_and_saveexec_b64 s[54:55], s[0:1]
	s_cbranch_execz .LBB22_87
; %bb.86:                               ;   in Loop: Header=BB22_13 Depth=1
	v_mul_f32_e32 v12, 0x3fb8aa3b, v91
	v_rndne_f32_e32 v13, v12
	v_sub_f32_e32 v14, v12, v13
	v_fma_f32 v12, v91, s7, -v12
	v_fmac_f32_e32 v12, 0x32a5705f, v91
	v_add_f32_e32 v12, v14, v12
	v_cvt_i32_f32_e32 v13, v13
	v_exp_f32_e32 v12, v12
	v_cmp_ngt_f32_e32 vcc, s8, v91
	v_ldexp_f32 v12, v12, v13
	s_nop 0
	v_cndmask_b32_e32 v12, 0, v12, vcc
	v_cmp_nlt_f32_e32 vcc, s9, v91
	s_nop 1
	v_cndmask_b32_e32 v34, v41, v12, vcc
	v_add_f32_e32 v14, 1.0, v34
	v_add_f32_e32 v12, -1.0, v14
	v_sub_f32_e32 v13, v12, v14
	v_add_f32_e32 v13, 1.0, v13
	v_sub_f32_e32 v12, v34, v12
	v_add_f32_e32 v20, v12, v13
	v_frexp_mant_f32_e32 v22, v14
	v_cvt_f64_f32_e32 v[12:13], v14
	v_frexp_exp_i32_f64_e32 v12, v[12:13]
	v_cmp_gt_f32_e32 vcc, s11, v22
	v_cmp_gt_f32_e64 s[52:53], s57, v34
	s_nop 0
	v_subbrev_co_u32_e32 v28, vcc, 0, v12, vcc
	v_sub_u32_e32 v12, 0, v28
	v_ldexp_f32 v13, v14, v12
	v_add_f32_e32 v14, -1.0, v13
	v_add_f32_e32 v22, 1.0, v13
	v_ldexp_f32 v12, v20, v12
	v_add_f32_e32 v20, 1.0, v14
	v_add_f32_e32 v23, -1.0, v22
	v_sub_f32_e32 v20, v13, v20
	v_sub_f32_e32 v13, v13, v23
	v_add_f32_e32 v20, v12, v20
	v_add_f32_e32 v12, v12, v13
	;; [unrolled: 1-line block ×3, first 2 shown]
	v_rcp_f32_e32 v31, v29
	v_sub_f32_e32 v13, v22, v29
	v_add_f32_e32 v30, v12, v13
	v_add_f32_e32 v13, v14, v20
	v_sub_f32_e32 v12, v14, v13
	v_add_f32_e32 v14, v20, v12
	v_mul_f32_e32 v20, v13, v31
	v_mul_f32_e32 v22, v29, v20
	v_fma_f32 v24, v20, v29, -v22
	v_fmac_f32_e32 v24, v20, v30
	v_add_f32_e32 v12, v22, v24
	v_sub_f32_e32 v23, v13, v12
	v_pk_add_f32 v[26:27], v[12:13], v[22:23] neg_lo:[0,1] neg_hi:[0,1]
	v_mov_b32_e32 v25, v12
	v_pk_add_f32 v[12:13], v[26:27], v[24:25] neg_lo:[0,1] neg_hi:[0,1]
	v_cmp_eq_f32_e32 vcc, s10, v34
	v_add_f32_e32 v13, v14, v13
	v_add_f32_e32 v12, v12, v13
	;; [unrolled: 1-line block ×3, first 2 shown]
	v_mul_f32_e32 v14, v31, v13
	v_mul_f32_e32 v22, v29, v14
	v_fma_f32 v24, v14, v29, -v22
	v_fmac_f32_e32 v24, v14, v30
	v_sub_f32_e32 v23, v23, v13
	v_add_f32_e32 v29, v12, v23
	v_add_f32_e32 v12, v22, v24
	v_sub_f32_e32 v23, v13, v12
	v_pk_add_f32 v[26:27], v[12:13], v[22:23] neg_lo:[0,1] neg_hi:[0,1]
	v_mov_b32_e32 v25, v12
	v_pk_add_f32 v[12:13], v[26:27], v[24:25] neg_lo:[0,1] neg_hi:[0,1]
	s_or_b64 vcc, s[52:53], vcc
	v_add_f32_e32 v13, v29, v13
	v_add_f32_e32 v12, v12, v13
	;; [unrolled: 1-line block ×4, first 2 shown]
	v_sub_f32_e32 v20, v13, v20
	v_mul_f32_e32 v12, v31, v12
	v_sub_f32_e32 v14, v14, v20
	v_add_f32_e32 v14, v14, v12
	v_add_f32_e32 v20, v13, v14
	v_mul_f32_e32 v22, v20, v20
	v_fmamk_f32 v12, v22, 0x3e9b6dac, v40
	v_fmaak_f32 v43, v22, v12, 0x3f2aaada
	v_cvt_f32_i32_e32 v12, v28
	v_sub_f32_e32 v13, v20, v13
	v_sub_f32_e32 v13, v14, v13
	v_ldexp_f32 v14, v13, 1
	v_mul_f32_e32 v13, v20, v22
	v_pk_mul_f32 v[24:25], v[12:13], v[42:43]
	v_ldexp_f32 v23, v20, 1
	v_fma_f32 v22, v12, s56, -v24
	v_fmac_f32_e32 v22, 0xb102e308, v12
	v_pk_add_f32 v[12:13], v[24:25], v[22:23]
	v_mov_b32_e32 v26, v24
	v_sub_f32_e32 v20, v13, v23
	v_sub_f32_e32 v20, v25, v20
	v_add_f32_e32 v27, v14, v20
	v_pk_add_f32 v[24:25], v[12:13], v[24:25] neg_lo:[0,1] neg_hi:[0,1]
	v_pk_add_f32 v[28:29], v[12:13], v[26:27]
	v_mov_b32_e32 v23, v12
	v_mov_b32_e32 v25, v29
	v_pk_add_f32 v[30:31], v[22:23], v[24:25] neg_lo:[0,1] neg_hi:[0,1]
	v_pk_add_f32 v[22:23], v[22:23], v[24:25]
	s_nop 0
	v_mov_b32_e32 v14, v23
	v_pk_add_f32 v[24:25], v[14:15], v[12:13] neg_lo:[0,1] neg_hi:[0,1]
	v_mov_b32_e32 v22, v29
	v_mov_b32_e32 v25, v24
	v_pk_add_f32 v[32:33], v[28:29], v[24:25] neg_lo:[0,1] neg_hi:[0,1]
	v_mov_b32_e32 v28, v13
	v_mov_b32_e32 v29, v24
	v_mov_b32_e32 v31, v23
	v_pk_add_f32 v[22:23], v[22:23], v[28:29] neg_lo:[0,1] neg_hi:[0,1]
	v_mov_b32_e32 v24, v27
	v_mov_b32_e32 v25, v12
	v_pk_add_f32 v[12:13], v[24:25], v[22:23] neg_lo:[0,1] neg_hi:[0,1]
	v_mov_b32_e32 v32, v30
	v_pk_add_f32 v[22:23], v[32:33], v[12:13]
	s_nop 0
	v_mov_b32_e32 v20, v23
	v_pk_add_f32 v[24:25], v[22:23], v[20:21]
	s_nop 0
	v_pk_add_f32 v[26:27], v[14:15], v[24:25]
	v_mov_b32_e32 v13, v24
	v_mov_b32_e32 v23, v26
	v_pk_add_f32 v[28:29], v[22:23], v[30:31] neg_lo:[0,1] neg_hi:[0,1]
	s_nop 0
	v_sub_f32_e32 v14, v22, v28
	v_pk_add_f32 v[12:13], v[12:13], v[28:29] neg_lo:[0,1] neg_hi:[0,1]
	v_sub_f32_e32 v14, v30, v14
	v_add_f32_e32 v12, v12, v14
	v_add_f32_e32 v12, v12, v13
	;; [unrolled: 1-line block ×3, first 2 shown]
	v_cndmask_b32_e32 v91, v12, v34, vcc
.LBB22_87:                              ;   in Loop: Header=BB22_13 Depth=1
	s_or_b64 exec, exec, s[54:55]
	v_lshlrev_b32_e32 v12, 16, v15
	v_readlane_b32 s0, v95, 2
	s_nop 1
	v_add_f32_e32 v92, s0, v12
	v_cmp_ge_f32_e32 vcc, s6, v92
	s_and_b64 s[0:1], s[4:5], vcc
	s_and_saveexec_b64 s[54:55], s[0:1]
	s_cbranch_execz .LBB22_89
; %bb.88:                               ;   in Loop: Header=BB22_13 Depth=1
	v_mul_f32_e32 v12, 0x3fb8aa3b, v92
	v_rndne_f32_e32 v13, v12
	v_sub_f32_e32 v14, v12, v13
	v_fma_f32 v12, v92, s7, -v12
	v_fmac_f32_e32 v12, 0x32a5705f, v92
	v_add_f32_e32 v12, v14, v12
	v_cvt_i32_f32_e32 v13, v13
	v_exp_f32_e32 v12, v12
	v_cmp_ngt_f32_e32 vcc, s8, v92
	v_ldexp_f32 v12, v12, v13
	s_nop 0
	v_cndmask_b32_e32 v12, 0, v12, vcc
	v_cmp_nlt_f32_e32 vcc, s9, v92
	s_nop 1
	v_cndmask_b32_e32 v34, v41, v12, vcc
	v_add_f32_e32 v14, 1.0, v34
	v_add_f32_e32 v12, -1.0, v14
	v_sub_f32_e32 v13, v12, v14
	v_add_f32_e32 v13, 1.0, v13
	v_sub_f32_e32 v12, v34, v12
	v_add_f32_e32 v20, v12, v13
	v_frexp_mant_f32_e32 v22, v14
	v_cvt_f64_f32_e32 v[12:13], v14
	v_frexp_exp_i32_f64_e32 v12, v[12:13]
	v_cmp_gt_f32_e32 vcc, s11, v22
	v_cmp_gt_f32_e64 s[52:53], s57, v34
	s_nop 0
	v_subbrev_co_u32_e32 v28, vcc, 0, v12, vcc
	v_sub_u32_e32 v12, 0, v28
	v_ldexp_f32 v13, v14, v12
	v_add_f32_e32 v14, -1.0, v13
	v_add_f32_e32 v22, 1.0, v13
	v_ldexp_f32 v12, v20, v12
	v_add_f32_e32 v20, 1.0, v14
	v_add_f32_e32 v23, -1.0, v22
	v_sub_f32_e32 v20, v13, v20
	v_sub_f32_e32 v13, v13, v23
	v_add_f32_e32 v20, v12, v20
	v_add_f32_e32 v12, v12, v13
	;; [unrolled: 1-line block ×3, first 2 shown]
	v_rcp_f32_e32 v31, v29
	v_sub_f32_e32 v13, v22, v29
	v_add_f32_e32 v30, v12, v13
	v_add_f32_e32 v13, v14, v20
	v_sub_f32_e32 v12, v14, v13
	v_add_f32_e32 v14, v20, v12
	v_mul_f32_e32 v20, v13, v31
	v_mul_f32_e32 v22, v29, v20
	v_fma_f32 v24, v20, v29, -v22
	v_fmac_f32_e32 v24, v20, v30
	v_add_f32_e32 v12, v22, v24
	v_sub_f32_e32 v23, v13, v12
	v_pk_add_f32 v[26:27], v[12:13], v[22:23] neg_lo:[0,1] neg_hi:[0,1]
	v_mov_b32_e32 v25, v12
	v_pk_add_f32 v[12:13], v[26:27], v[24:25] neg_lo:[0,1] neg_hi:[0,1]
	v_cmp_eq_f32_e32 vcc, s10, v34
	v_add_f32_e32 v13, v14, v13
	v_add_f32_e32 v12, v12, v13
	;; [unrolled: 1-line block ×3, first 2 shown]
	v_mul_f32_e32 v14, v31, v13
	v_mul_f32_e32 v22, v29, v14
	v_fma_f32 v24, v14, v29, -v22
	v_fmac_f32_e32 v24, v14, v30
	v_sub_f32_e32 v23, v23, v13
	v_add_f32_e32 v29, v12, v23
	v_add_f32_e32 v12, v22, v24
	v_sub_f32_e32 v23, v13, v12
	v_pk_add_f32 v[26:27], v[12:13], v[22:23] neg_lo:[0,1] neg_hi:[0,1]
	v_mov_b32_e32 v25, v12
	v_pk_add_f32 v[12:13], v[26:27], v[24:25] neg_lo:[0,1] neg_hi:[0,1]
	s_or_b64 vcc, s[52:53], vcc
	v_add_f32_e32 v13, v29, v13
	v_add_f32_e32 v12, v12, v13
	;; [unrolled: 1-line block ×4, first 2 shown]
	v_sub_f32_e32 v20, v13, v20
	v_mul_f32_e32 v12, v31, v12
	v_sub_f32_e32 v14, v14, v20
	v_add_f32_e32 v14, v14, v12
	v_add_f32_e32 v20, v13, v14
	v_mul_f32_e32 v22, v20, v20
	v_fmamk_f32 v12, v22, 0x3e9b6dac, v40
	v_fmaak_f32 v43, v22, v12, 0x3f2aaada
	v_cvt_f32_i32_e32 v12, v28
	v_sub_f32_e32 v13, v20, v13
	v_sub_f32_e32 v13, v14, v13
	v_ldexp_f32 v14, v13, 1
	v_mul_f32_e32 v13, v20, v22
	v_pk_mul_f32 v[24:25], v[12:13], v[42:43]
	v_ldexp_f32 v23, v20, 1
	v_fma_f32 v22, v12, s56, -v24
	v_fmac_f32_e32 v22, 0xb102e308, v12
	v_pk_add_f32 v[12:13], v[24:25], v[22:23]
	v_mov_b32_e32 v26, v24
	v_sub_f32_e32 v20, v13, v23
	v_sub_f32_e32 v20, v25, v20
	v_add_f32_e32 v27, v14, v20
	v_pk_add_f32 v[24:25], v[12:13], v[24:25] neg_lo:[0,1] neg_hi:[0,1]
	v_pk_add_f32 v[28:29], v[12:13], v[26:27]
	v_mov_b32_e32 v23, v12
	v_mov_b32_e32 v25, v29
	v_pk_add_f32 v[30:31], v[22:23], v[24:25] neg_lo:[0,1] neg_hi:[0,1]
	v_pk_add_f32 v[22:23], v[22:23], v[24:25]
	s_nop 0
	v_mov_b32_e32 v14, v23
	v_pk_add_f32 v[24:25], v[14:15], v[12:13] neg_lo:[0,1] neg_hi:[0,1]
	v_mov_b32_e32 v22, v29
	v_mov_b32_e32 v25, v24
	v_pk_add_f32 v[32:33], v[28:29], v[24:25] neg_lo:[0,1] neg_hi:[0,1]
	v_mov_b32_e32 v28, v13
	v_mov_b32_e32 v29, v24
	;; [unrolled: 1-line block ×3, first 2 shown]
	v_pk_add_f32 v[22:23], v[22:23], v[28:29] neg_lo:[0,1] neg_hi:[0,1]
	v_mov_b32_e32 v24, v27
	v_mov_b32_e32 v25, v12
	v_pk_add_f32 v[12:13], v[24:25], v[22:23] neg_lo:[0,1] neg_hi:[0,1]
	v_mov_b32_e32 v32, v30
	v_pk_add_f32 v[22:23], v[32:33], v[12:13]
	s_nop 0
	v_mov_b32_e32 v20, v23
	v_pk_add_f32 v[24:25], v[22:23], v[20:21]
	s_nop 0
	v_pk_add_f32 v[26:27], v[14:15], v[24:25]
	v_mov_b32_e32 v13, v24
	v_mov_b32_e32 v23, v26
	v_pk_add_f32 v[28:29], v[22:23], v[30:31] neg_lo:[0,1] neg_hi:[0,1]
	s_nop 0
	v_sub_f32_e32 v14, v22, v28
	v_pk_add_f32 v[12:13], v[12:13], v[28:29] neg_lo:[0,1] neg_hi:[0,1]
	v_sub_f32_e32 v14, v30, v14
	v_add_f32_e32 v12, v12, v14
	v_add_f32_e32 v12, v12, v13
	;; [unrolled: 1-line block ×3, first 2 shown]
	v_cndmask_b32_e32 v92, v12, v34, vcc
.LBB22_89:                              ;   in Loop: Header=BB22_13 Depth=1
	s_or_b64 exec, exec, s[54:55]
	v_and_b32_e32 v12, 0xffff0000, v15
	v_readlane_b32 s0, v95, 2
	s_nop 1
	v_add_f32_e32 v93, s0, v12
	v_cmp_ge_f32_e32 vcc, s6, v93
	s_and_b64 s[0:1], s[4:5], vcc
	s_and_saveexec_b64 s[54:55], s[0:1]
	s_cbranch_execz .LBB22_91
; %bb.90:                               ;   in Loop: Header=BB22_13 Depth=1
	v_mul_f32_e32 v12, 0x3fb8aa3b, v93
	v_rndne_f32_e32 v13, v12
	v_sub_f32_e32 v14, v12, v13
	v_fma_f32 v12, v93, s7, -v12
	v_fmac_f32_e32 v12, 0x32a5705f, v93
	v_add_f32_e32 v12, v14, v12
	v_cvt_i32_f32_e32 v13, v13
	v_exp_f32_e32 v12, v12
	v_cmp_ngt_f32_e32 vcc, s8, v93
	v_ldexp_f32 v12, v12, v13
	s_nop 0
	v_cndmask_b32_e32 v12, 0, v12, vcc
	v_cmp_nlt_f32_e32 vcc, s9, v93
	s_nop 1
	v_cndmask_b32_e32 v32, v41, v12, vcc
	v_add_f32_e32 v14, 1.0, v32
	v_add_f32_e32 v12, -1.0, v14
	v_sub_f32_e32 v13, v12, v14
	v_add_f32_e32 v13, 1.0, v13
	v_sub_f32_e32 v12, v32, v12
	v_add_f32_e32 v15, v12, v13
	v_frexp_mant_f32_e32 v20, v14
	v_cvt_f64_f32_e32 v[12:13], v14
	v_frexp_exp_i32_f64_e32 v12, v[12:13]
	v_cmp_gt_f32_e32 vcc, s11, v20
	v_cmp_gt_f32_e64 s[52:53], s57, v32
	s_nop 0
	v_subbrev_co_u32_e32 v20, vcc, 0, v12, vcc
	v_sub_u32_e32 v12, 0, v20
	v_ldexp_f32 v13, v14, v12
	v_add_f32_e32 v14, -1.0, v13
	v_add_f32_e32 v22, 1.0, v13
	v_ldexp_f32 v12, v15, v12
	v_add_f32_e32 v15, 1.0, v14
	v_add_f32_e32 v23, -1.0, v22
	v_sub_f32_e32 v15, v13, v15
	v_sub_f32_e32 v13, v13, v23
	v_add_f32_e32 v15, v12, v15
	v_add_f32_e32 v12, v12, v13
	;; [unrolled: 1-line block ×3, first 2 shown]
	v_rcp_f32_e32 v28, v26
	v_sub_f32_e32 v13, v22, v26
	v_add_f32_e32 v27, v12, v13
	v_add_f32_e32 v13, v14, v15
	v_mul_f32_e32 v30, v13, v28
	v_sub_f32_e32 v12, v14, v13
	v_mul_f32_e32 v14, v26, v30
	v_fma_f32 v22, v30, v26, -v14
	v_fmac_f32_e32 v22, v30, v27
	v_add_f32_e32 v29, v15, v12
	v_add_f32_e32 v12, v14, v22
	v_sub_f32_e32 v15, v13, v12
	v_pk_add_f32 v[24:25], v[12:13], v[14:15] neg_lo:[0,1] neg_hi:[0,1]
	v_mov_b32_e32 v23, v12
	v_pk_add_f32 v[12:13], v[24:25], v[22:23] neg_lo:[0,1] neg_hi:[0,1]
	v_cmp_eq_f32_e32 vcc, s10, v32
	v_add_f32_e32 v13, v29, v13
	v_add_f32_e32 v12, v12, v13
	;; [unrolled: 1-line block ×3, first 2 shown]
	v_mul_f32_e32 v29, v28, v13
	v_mul_f32_e32 v14, v26, v29
	v_fma_f32 v22, v29, v26, -v14
	v_fmac_f32_e32 v22, v29, v27
	v_sub_f32_e32 v15, v15, v13
	v_add_f32_e32 v26, v12, v15
	v_add_f32_e32 v12, v14, v22
	v_sub_f32_e32 v15, v13, v12
	v_pk_add_f32 v[24:25], v[12:13], v[14:15] neg_lo:[0,1] neg_hi:[0,1]
	v_mov_b32_e32 v23, v12
	v_pk_add_f32 v[12:13], v[24:25], v[22:23] neg_lo:[0,1] neg_hi:[0,1]
	s_or_b64 vcc, s[52:53], vcc
	v_add_f32_e32 v13, v26, v13
	v_add_f32_e32 v12, v12, v13
	;; [unrolled: 1-line block ×4, first 2 shown]
	v_sub_f32_e32 v14, v13, v30
	v_mul_f32_e32 v12, v28, v12
	v_sub_f32_e32 v14, v29, v14
	v_add_f32_e32 v14, v14, v12
	v_add_f32_e32 v22, v13, v14
	v_mul_f32_e32 v23, v22, v22
	v_fmamk_f32 v12, v23, 0x3e9b6dac, v40
	v_fmaak_f32 v43, v23, v12, 0x3f2aaada
	v_cvt_f32_i32_e32 v12, v20
	v_sub_f32_e32 v13, v22, v13
	v_sub_f32_e32 v13, v14, v13
	v_ldexp_f32 v20, v13, 1
	v_mul_f32_e32 v13, v22, v23
	v_ldexp_f32 v15, v22, 1
	v_pk_mul_f32 v[22:23], v[12:13], v[42:43]
	s_nop 0
	v_fma_f32 v14, v12, s56, -v22
	v_fmac_f32_e32 v14, 0xb102e308, v12
	v_pk_add_f32 v[12:13], v[22:23], v[14:15]
	v_mov_b32_e32 v24, v22
	v_sub_f32_e32 v15, v13, v15
	v_sub_f32_e32 v15, v23, v15
	v_add_f32_e32 v25, v20, v15
	v_pk_add_f32 v[22:23], v[12:13], v[22:23] neg_lo:[0,1] neg_hi:[0,1]
	v_pk_add_f32 v[26:27], v[12:13], v[24:25]
	v_mov_b32_e32 v15, v12
	v_mov_b32_e32 v23, v27
	v_pk_add_f32 v[28:29], v[14:15], v[22:23] neg_lo:[0,1] neg_hi:[0,1]
	v_pk_add_f32 v[14:15], v[14:15], v[22:23]
	s_nop 0
	v_mov_b32_e32 v20, v15
	v_pk_add_f32 v[22:23], v[20:21], v[12:13] neg_lo:[0,1] neg_hi:[0,1]
	v_mov_b32_e32 v14, v27
	v_mov_b32_e32 v23, v22
	v_pk_add_f32 v[30:31], v[26:27], v[22:23] neg_lo:[0,1] neg_hi:[0,1]
	v_mov_b32_e32 v26, v13
	v_mov_b32_e32 v27, v22
	;; [unrolled: 1-line block ×3, first 2 shown]
	v_pk_add_f32 v[14:15], v[14:15], v[26:27] neg_lo:[0,1] neg_hi:[0,1]
	v_mov_b32_e32 v22, v25
	v_mov_b32_e32 v23, v12
	v_pk_add_f32 v[12:13], v[22:23], v[14:15] neg_lo:[0,1] neg_hi:[0,1]
	v_mov_b32_e32 v30, v28
	v_pk_add_f32 v[14:15], v[30:31], v[12:13]
	s_nop 0
	v_mov_b32_e32 v22, v15
	v_pk_add_f32 v[22:23], v[14:15], v[22:23]
	s_nop 0
	v_pk_add_f32 v[24:25], v[20:21], v[22:23]
	v_mov_b32_e32 v13, v22
	v_mov_b32_e32 v15, v24
	v_pk_add_f32 v[26:27], v[14:15], v[28:29] neg_lo:[0,1] neg_hi:[0,1]
	s_nop 0
	v_sub_f32_e32 v14, v14, v26
	v_pk_add_f32 v[12:13], v[12:13], v[26:27] neg_lo:[0,1] neg_hi:[0,1]
	v_sub_f32_e32 v14, v28, v14
	v_add_f32_e32 v12, v12, v14
	v_add_f32_e32 v12, v12, v13
	;; [unrolled: 1-line block ×3, first 2 shown]
	v_cndmask_b32_e32 v93, v12, v32, vcc
.LBB22_91:                              ;   in Loop: Header=BB22_13 Depth=1
	s_or_b64 exec, exec, s[54:55]
	s_waitcnt lgkmcnt(0)
	v_lshlrev_b32_e32 v12, 16, v8
	v_readlane_b32 s0, v95, 2
	s_nop 1
	v_add_f32_e32 v94, s0, v12
	v_cmp_ge_f32_e32 vcc, s6, v94
	s_and_b64 s[0:1], s[4:5], vcc
	s_and_saveexec_b64 s[54:55], s[0:1]
	s_cbranch_execz .LBB22_93
; %bb.92:                               ;   in Loop: Header=BB22_13 Depth=1
	v_mul_f32_e32 v12, 0x3fb8aa3b, v94
	v_rndne_f32_e32 v13, v12
	v_sub_f32_e32 v14, v12, v13
	v_fma_f32 v12, v94, s7, -v12
	v_fmac_f32_e32 v12, 0x32a5705f, v94
	v_add_f32_e32 v12, v14, v12
	v_cvt_i32_f32_e32 v13, v13
	v_exp_f32_e32 v12, v12
	v_cmp_ngt_f32_e32 vcc, s8, v94
	v_ldexp_f32 v12, v12, v13
	s_nop 0
	v_cndmask_b32_e32 v12, 0, v12, vcc
	v_cmp_nlt_f32_e32 vcc, s9, v94
	s_nop 1
	v_cndmask_b32_e32 v32, v41, v12, vcc
	v_add_f32_e32 v14, 1.0, v32
	v_add_f32_e32 v12, -1.0, v14
	v_sub_f32_e32 v13, v12, v14
	v_add_f32_e32 v13, 1.0, v13
	v_sub_f32_e32 v12, v32, v12
	v_add_f32_e32 v15, v12, v13
	v_frexp_mant_f32_e32 v20, v14
	v_cvt_f64_f32_e32 v[12:13], v14
	v_frexp_exp_i32_f64_e32 v12, v[12:13]
	v_cmp_gt_f32_e32 vcc, s11, v20
	v_cmp_gt_f32_e64 s[52:53], s57, v32
	s_nop 0
	v_subbrev_co_u32_e32 v20, vcc, 0, v12, vcc
	v_sub_u32_e32 v12, 0, v20
	v_ldexp_f32 v13, v14, v12
	v_add_f32_e32 v14, -1.0, v13
	v_add_f32_e32 v22, 1.0, v13
	v_ldexp_f32 v12, v15, v12
	v_add_f32_e32 v15, 1.0, v14
	v_add_f32_e32 v23, -1.0, v22
	v_sub_f32_e32 v15, v13, v15
	v_sub_f32_e32 v13, v13, v23
	v_add_f32_e32 v15, v12, v15
	v_add_f32_e32 v12, v12, v13
	;; [unrolled: 1-line block ×3, first 2 shown]
	v_rcp_f32_e32 v28, v26
	v_sub_f32_e32 v13, v22, v26
	v_add_f32_e32 v27, v12, v13
	v_add_f32_e32 v13, v14, v15
	v_mul_f32_e32 v30, v13, v28
	v_sub_f32_e32 v12, v14, v13
	v_mul_f32_e32 v14, v26, v30
	v_fma_f32 v22, v30, v26, -v14
	v_fmac_f32_e32 v22, v30, v27
	v_add_f32_e32 v29, v15, v12
	v_add_f32_e32 v12, v14, v22
	v_sub_f32_e32 v15, v13, v12
	v_pk_add_f32 v[24:25], v[12:13], v[14:15] neg_lo:[0,1] neg_hi:[0,1]
	v_mov_b32_e32 v23, v12
	v_pk_add_f32 v[12:13], v[24:25], v[22:23] neg_lo:[0,1] neg_hi:[0,1]
	v_cmp_eq_f32_e32 vcc, s10, v32
	v_add_f32_e32 v13, v29, v13
	v_add_f32_e32 v12, v12, v13
	;; [unrolled: 1-line block ×3, first 2 shown]
	v_mul_f32_e32 v29, v28, v13
	v_mul_f32_e32 v14, v26, v29
	v_fma_f32 v22, v29, v26, -v14
	v_fmac_f32_e32 v22, v29, v27
	v_sub_f32_e32 v15, v15, v13
	v_add_f32_e32 v26, v12, v15
	v_add_f32_e32 v12, v14, v22
	v_sub_f32_e32 v15, v13, v12
	v_pk_add_f32 v[24:25], v[12:13], v[14:15] neg_lo:[0,1] neg_hi:[0,1]
	v_mov_b32_e32 v23, v12
	v_pk_add_f32 v[12:13], v[24:25], v[22:23] neg_lo:[0,1] neg_hi:[0,1]
	s_or_b64 vcc, s[52:53], vcc
	v_add_f32_e32 v13, v26, v13
	v_add_f32_e32 v12, v12, v13
	v_add_f32_e32 v13, v30, v29
	v_add_f32_e32 v12, v15, v12
	v_sub_f32_e32 v14, v13, v30
	v_mul_f32_e32 v12, v28, v12
	v_sub_f32_e32 v14, v29, v14
	v_add_f32_e32 v14, v14, v12
	v_add_f32_e32 v22, v13, v14
	v_mul_f32_e32 v23, v22, v22
	v_fmamk_f32 v12, v23, 0x3e9b6dac, v40
	v_fmaak_f32 v43, v23, v12, 0x3f2aaada
	v_cvt_f32_i32_e32 v12, v20
	v_sub_f32_e32 v13, v22, v13
	v_sub_f32_e32 v13, v14, v13
	v_ldexp_f32 v20, v13, 1
	v_mul_f32_e32 v13, v22, v23
	v_ldexp_f32 v15, v22, 1
	v_pk_mul_f32 v[22:23], v[12:13], v[42:43]
	s_nop 0
	v_fma_f32 v14, v12, s56, -v22
	v_fmac_f32_e32 v14, 0xb102e308, v12
	v_pk_add_f32 v[12:13], v[22:23], v[14:15]
	v_mov_b32_e32 v24, v22
	v_sub_f32_e32 v15, v13, v15
	v_sub_f32_e32 v15, v23, v15
	v_add_f32_e32 v25, v20, v15
	v_pk_add_f32 v[22:23], v[12:13], v[22:23] neg_lo:[0,1] neg_hi:[0,1]
	v_pk_add_f32 v[26:27], v[12:13], v[24:25]
	v_mov_b32_e32 v15, v12
	v_mov_b32_e32 v23, v27
	v_pk_add_f32 v[28:29], v[14:15], v[22:23] neg_lo:[0,1] neg_hi:[0,1]
	v_pk_add_f32 v[14:15], v[14:15], v[22:23]
	s_nop 0
	v_mov_b32_e32 v20, v15
	v_pk_add_f32 v[22:23], v[20:21], v[12:13] neg_lo:[0,1] neg_hi:[0,1]
	v_mov_b32_e32 v14, v27
	v_mov_b32_e32 v23, v22
	v_pk_add_f32 v[30:31], v[26:27], v[22:23] neg_lo:[0,1] neg_hi:[0,1]
	v_mov_b32_e32 v26, v13
	v_mov_b32_e32 v27, v22
	v_mov_b32_e32 v29, v15
	v_pk_add_f32 v[14:15], v[14:15], v[26:27] neg_lo:[0,1] neg_hi:[0,1]
	v_mov_b32_e32 v22, v25
	v_mov_b32_e32 v23, v12
	v_pk_add_f32 v[12:13], v[22:23], v[14:15] neg_lo:[0,1] neg_hi:[0,1]
	v_mov_b32_e32 v30, v28
	v_pk_add_f32 v[14:15], v[30:31], v[12:13]
	s_nop 0
	v_mov_b32_e32 v22, v15
	v_pk_add_f32 v[22:23], v[14:15], v[22:23]
	s_nop 0
	v_pk_add_f32 v[24:25], v[20:21], v[22:23]
	v_mov_b32_e32 v13, v22
	v_mov_b32_e32 v15, v24
	v_pk_add_f32 v[26:27], v[14:15], v[28:29] neg_lo:[0,1] neg_hi:[0,1]
	s_nop 0
	v_sub_f32_e32 v14, v14, v26
	v_pk_add_f32 v[12:13], v[12:13], v[26:27] neg_lo:[0,1] neg_hi:[0,1]
	v_sub_f32_e32 v14, v28, v14
	v_add_f32_e32 v12, v12, v14
	v_add_f32_e32 v12, v12, v13
	;; [unrolled: 1-line block ×3, first 2 shown]
	v_cndmask_b32_e32 v94, v12, v32, vcc
.LBB22_93:                              ;   in Loop: Header=BB22_13 Depth=1
	s_or_b64 exec, exec, s[54:55]
	v_and_b32_e32 v8, 0xffff0000, v8
	v_readlane_b32 s0, v95, 2
	s_nop 1
	v_add_f32_e32 v58, s0, v8
	v_cmp_ge_f32_e32 vcc, s6, v58
	s_and_b64 s[0:1], s[4:5], vcc
	s_and_saveexec_b64 s[54:55], s[0:1]
	s_cbranch_execz .LBB22_95
; %bb.94:                               ;   in Loop: Header=BB22_13 Depth=1
	v_mul_f32_e32 v8, 0x3fb8aa3b, v58
	v_rndne_f32_e32 v12, v8
	v_sub_f32_e32 v13, v8, v12
	v_fma_f32 v8, v58, s7, -v8
	v_fmac_f32_e32 v8, 0x32a5705f, v58
	v_add_f32_e32 v8, v13, v8
	v_cvt_i32_f32_e32 v12, v12
	v_exp_f32_e32 v8, v8
	v_cmp_ngt_f32_e32 vcc, s8, v58
	v_ldexp_f32 v8, v8, v12
	s_nop 0
	v_cndmask_b32_e32 v8, 0, v8, vcc
	v_cmp_nlt_f32_e32 vcc, s9, v58
	s_nop 1
	v_cndmask_b32_e32 v32, v41, v8, vcc
	v_add_f32_e32 v8, 1.0, v32
	v_add_f32_e32 v12, -1.0, v8
	v_sub_f32_e32 v13, v12, v8
	v_add_f32_e32 v13, 1.0, v13
	v_sub_f32_e32 v12, v32, v12
	v_add_f32_e32 v14, v12, v13
	v_frexp_mant_f32_e32 v15, v8
	v_cvt_f64_f32_e32 v[12:13], v8
	v_frexp_exp_i32_f64_e32 v12, v[12:13]
	v_cmp_gt_f32_e32 vcc, s11, v15
	v_cmp_gt_f32_e64 s[52:53], s57, v32
	s_nop 0
	v_subbrev_co_u32_e32 v20, vcc, 0, v12, vcc
	v_sub_u32_e32 v12, 0, v20
	v_ldexp_f32 v8, v8, v12
	v_ldexp_f32 v12, v14, v12
	v_add_f32_e32 v14, -1.0, v8
	v_add_f32_e32 v13, 1.0, v14
	v_sub_f32_e32 v13, v8, v13
	v_add_f32_e32 v15, v12, v13
	v_add_f32_e32 v13, 1.0, v8
	v_add_f32_e32 v22, -1.0, v13
	v_sub_f32_e32 v8, v8, v22
	v_add_f32_e32 v8, v12, v8
	v_add_f32_e32 v26, v13, v8
	v_rcp_f32_e32 v27, v26
	v_sub_f32_e32 v12, v13, v26
	v_add_f32_e32 v13, v14, v15
	v_add_f32_e32 v8, v8, v12
	v_mul_f32_e32 v29, v13, v27
	v_sub_f32_e32 v12, v14, v13
	v_mul_f32_e32 v14, v26, v29
	v_fma_f32 v22, v29, v26, -v14
	v_fmac_f32_e32 v22, v29, v8
	v_add_f32_e32 v28, v15, v12
	v_add_f32_e32 v12, v14, v22
	v_sub_f32_e32 v15, v13, v12
	v_pk_add_f32 v[24:25], v[12:13], v[14:15] neg_lo:[0,1] neg_hi:[0,1]
	v_mov_b32_e32 v23, v12
	v_pk_add_f32 v[12:13], v[24:25], v[22:23] neg_lo:[0,1] neg_hi:[0,1]
	v_cmp_eq_f32_e32 vcc, s10, v32
	v_add_f32_e32 v13, v28, v13
	v_add_f32_e32 v12, v12, v13
	;; [unrolled: 1-line block ×3, first 2 shown]
	v_mul_f32_e32 v28, v27, v13
	v_mul_f32_e32 v14, v26, v28
	v_fma_f32 v22, v28, v26, -v14
	v_fmac_f32_e32 v22, v28, v8
	v_sub_f32_e32 v8, v15, v13
	v_add_f32_e32 v8, v12, v8
	v_add_f32_e32 v12, v14, v22
	v_sub_f32_e32 v15, v13, v12
	v_pk_add_f32 v[24:25], v[12:13], v[14:15] neg_lo:[0,1] neg_hi:[0,1]
	v_mov_b32_e32 v23, v12
	v_pk_add_f32 v[12:13], v[24:25], v[22:23] neg_lo:[0,1] neg_hi:[0,1]
	s_or_b64 vcc, s[52:53], vcc
	v_add_f32_e32 v8, v8, v13
	v_add_f32_e32 v8, v12, v8
	;; [unrolled: 1-line block ×4, first 2 shown]
	v_sub_f32_e32 v12, v13, v29
	v_mul_f32_e32 v8, v27, v8
	v_sub_f32_e32 v12, v28, v12
	v_add_f32_e32 v8, v12, v8
	v_add_f32_e32 v14, v13, v8
	v_mul_f32_e32 v22, v14, v14
	v_fmamk_f32 v12, v22, 0x3e9b6dac, v40
	v_fmaak_f32 v43, v22, v12, 0x3f2aaada
	v_cvt_f32_i32_e32 v12, v20
	v_sub_f32_e32 v13, v14, v13
	v_sub_f32_e32 v8, v8, v13
	v_mul_f32_e32 v13, v14, v22
	v_pk_mul_f32 v[22:23], v[12:13], v[42:43]
	v_ldexp_f32 v15, v14, 1
	v_fma_f32 v14, v12, s56, -v22
	v_fmac_f32_e32 v14, 0xb102e308, v12
	v_pk_add_f32 v[12:13], v[22:23], v[14:15]
	v_ldexp_f32 v8, v8, 1
	v_sub_f32_e32 v15, v13, v15
	v_sub_f32_e32 v15, v23, v15
	v_add_f32_e32 v25, v8, v15
	v_mov_b32_e32 v24, v22
	v_pk_add_f32 v[22:23], v[12:13], v[22:23] neg_lo:[0,1] neg_hi:[0,1]
	v_pk_add_f32 v[26:27], v[12:13], v[24:25]
	v_mov_b32_e32 v15, v12
	v_mov_b32_e32 v23, v27
	v_pk_add_f32 v[28:29], v[14:15], v[22:23] neg_lo:[0,1] neg_hi:[0,1]
	v_pk_add_f32 v[14:15], v[14:15], v[22:23]
	s_nop 0
	v_mov_b32_e32 v8, v15
	v_pk_add_f32 v[22:23], v[8:9], v[12:13] neg_lo:[0,1] neg_hi:[0,1]
	v_mov_b32_e32 v14, v27
	v_mov_b32_e32 v23, v22
	v_pk_add_f32 v[30:31], v[26:27], v[22:23] neg_lo:[0,1] neg_hi:[0,1]
	v_mov_b32_e32 v26, v13
	v_mov_b32_e32 v27, v22
	;; [unrolled: 1-line block ×3, first 2 shown]
	v_pk_add_f32 v[14:15], v[14:15], v[26:27] neg_lo:[0,1] neg_hi:[0,1]
	v_mov_b32_e32 v22, v25
	v_mov_b32_e32 v23, v12
	v_pk_add_f32 v[12:13], v[22:23], v[14:15] neg_lo:[0,1] neg_hi:[0,1]
	v_mov_b32_e32 v30, v28
	v_pk_add_f32 v[14:15], v[30:31], v[12:13]
	s_nop 0
	v_mov_b32_e32 v20, v15
	v_pk_add_f32 v[22:23], v[14:15], v[20:21]
	s_nop 0
	v_pk_add_f32 v[24:25], v[8:9], v[22:23]
	v_mov_b32_e32 v13, v22
	v_mov_b32_e32 v15, v24
	v_pk_add_f32 v[26:27], v[14:15], v[28:29] neg_lo:[0,1] neg_hi:[0,1]
	s_nop 0
	v_sub_f32_e32 v8, v14, v26
	v_pk_add_f32 v[12:13], v[12:13], v[26:27] neg_lo:[0,1] neg_hi:[0,1]
	v_sub_f32_e32 v8, v28, v8
	v_add_f32_e32 v8, v12, v8
	v_add_f32_e32 v8, v8, v13
	;; [unrolled: 1-line block ×3, first 2 shown]
	v_cndmask_b32_e32 v58, v8, v32, vcc
.LBB22_95:                              ;   in Loop: Header=BB22_13 Depth=1
	s_or_b64 exec, exec, s[54:55]
	v_lshlrev_b32_e32 v8, 16, v9
	v_readlane_b32 s0, v95, 2
	s_nop 1
	v_add_f32_e32 v59, s0, v8
	v_cmp_ge_f32_e32 vcc, s6, v59
	s_and_b64 s[0:1], s[4:5], vcc
	s_and_saveexec_b64 s[54:55], s[0:1]
	s_cbranch_execz .LBB22_97
; %bb.96:                               ;   in Loop: Header=BB22_13 Depth=1
	v_mul_f32_e32 v8, 0x3fb8aa3b, v59
	v_rndne_f32_e32 v12, v8
	v_sub_f32_e32 v13, v8, v12
	v_fma_f32 v8, v59, s7, -v8
	v_fmac_f32_e32 v8, 0x32a5705f, v59
	v_add_f32_e32 v8, v13, v8
	v_cvt_i32_f32_e32 v12, v12
	v_exp_f32_e32 v8, v8
	v_cmp_ngt_f32_e32 vcc, s8, v59
	v_ldexp_f32 v8, v8, v12
	s_nop 0
	v_cndmask_b32_e32 v8, 0, v8, vcc
	v_cmp_nlt_f32_e32 vcc, s9, v59
	s_nop 1
	v_cndmask_b32_e32 v32, v41, v8, vcc
	v_add_f32_e32 v8, 1.0, v32
	v_add_f32_e32 v12, -1.0, v8
	v_sub_f32_e32 v13, v12, v8
	v_add_f32_e32 v13, 1.0, v13
	v_sub_f32_e32 v12, v32, v12
	v_add_f32_e32 v14, v12, v13
	v_frexp_mant_f32_e32 v15, v8
	v_cvt_f64_f32_e32 v[12:13], v8
	v_frexp_exp_i32_f64_e32 v12, v[12:13]
	v_cmp_gt_f32_e32 vcc, s11, v15
	v_cmp_gt_f32_e64 s[52:53], s57, v32
	s_nop 0
	v_subbrev_co_u32_e32 v20, vcc, 0, v12, vcc
	v_sub_u32_e32 v12, 0, v20
	v_ldexp_f32 v8, v8, v12
	v_ldexp_f32 v12, v14, v12
	v_add_f32_e32 v14, -1.0, v8
	v_add_f32_e32 v13, 1.0, v14
	v_sub_f32_e32 v13, v8, v13
	v_add_f32_e32 v15, v12, v13
	v_add_f32_e32 v13, 1.0, v8
	v_add_f32_e32 v22, -1.0, v13
	v_sub_f32_e32 v8, v8, v22
	v_add_f32_e32 v8, v12, v8
	v_add_f32_e32 v26, v13, v8
	v_rcp_f32_e32 v27, v26
	v_sub_f32_e32 v12, v13, v26
	v_add_f32_e32 v13, v14, v15
	v_add_f32_e32 v8, v8, v12
	v_mul_f32_e32 v29, v13, v27
	v_sub_f32_e32 v12, v14, v13
	v_mul_f32_e32 v14, v26, v29
	v_fma_f32 v22, v29, v26, -v14
	v_fmac_f32_e32 v22, v29, v8
	v_add_f32_e32 v28, v15, v12
	v_add_f32_e32 v12, v14, v22
	v_sub_f32_e32 v15, v13, v12
	v_pk_add_f32 v[24:25], v[12:13], v[14:15] neg_lo:[0,1] neg_hi:[0,1]
	v_mov_b32_e32 v23, v12
	v_pk_add_f32 v[12:13], v[24:25], v[22:23] neg_lo:[0,1] neg_hi:[0,1]
	v_cmp_eq_f32_e32 vcc, s10, v32
	v_add_f32_e32 v13, v28, v13
	v_add_f32_e32 v12, v12, v13
	v_add_f32_e32 v13, v15, v12
	v_mul_f32_e32 v28, v27, v13
	v_mul_f32_e32 v14, v26, v28
	v_fma_f32 v22, v28, v26, -v14
	v_fmac_f32_e32 v22, v28, v8
	v_sub_f32_e32 v8, v15, v13
	v_add_f32_e32 v8, v12, v8
	v_add_f32_e32 v12, v14, v22
	v_sub_f32_e32 v15, v13, v12
	v_pk_add_f32 v[24:25], v[12:13], v[14:15] neg_lo:[0,1] neg_hi:[0,1]
	v_mov_b32_e32 v23, v12
	v_pk_add_f32 v[12:13], v[24:25], v[22:23] neg_lo:[0,1] neg_hi:[0,1]
	s_or_b64 vcc, s[52:53], vcc
	v_add_f32_e32 v8, v8, v13
	v_add_f32_e32 v8, v12, v8
	;; [unrolled: 1-line block ×4, first 2 shown]
	v_sub_f32_e32 v12, v13, v29
	v_mul_f32_e32 v8, v27, v8
	v_sub_f32_e32 v12, v28, v12
	v_add_f32_e32 v8, v12, v8
	v_add_f32_e32 v14, v13, v8
	v_mul_f32_e32 v22, v14, v14
	v_fmamk_f32 v12, v22, 0x3e9b6dac, v40
	v_fmaak_f32 v43, v22, v12, 0x3f2aaada
	v_cvt_f32_i32_e32 v12, v20
	v_sub_f32_e32 v13, v14, v13
	v_sub_f32_e32 v8, v8, v13
	v_mul_f32_e32 v13, v14, v22
	v_pk_mul_f32 v[22:23], v[12:13], v[42:43]
	v_ldexp_f32 v15, v14, 1
	v_fma_f32 v14, v12, s56, -v22
	v_fmac_f32_e32 v14, 0xb102e308, v12
	v_pk_add_f32 v[12:13], v[22:23], v[14:15]
	v_ldexp_f32 v8, v8, 1
	v_sub_f32_e32 v15, v13, v15
	v_sub_f32_e32 v15, v23, v15
	v_add_f32_e32 v25, v8, v15
	v_mov_b32_e32 v24, v22
	v_pk_add_f32 v[22:23], v[12:13], v[22:23] neg_lo:[0,1] neg_hi:[0,1]
	v_pk_add_f32 v[26:27], v[12:13], v[24:25]
	v_mov_b32_e32 v15, v12
	v_mov_b32_e32 v23, v27
	v_pk_add_f32 v[28:29], v[14:15], v[22:23] neg_lo:[0,1] neg_hi:[0,1]
	v_pk_add_f32 v[14:15], v[14:15], v[22:23]
	s_nop 0
	v_mov_b32_e32 v8, v15
	v_pk_add_f32 v[22:23], v[8:9], v[12:13] neg_lo:[0,1] neg_hi:[0,1]
	v_mov_b32_e32 v14, v27
	v_mov_b32_e32 v23, v22
	v_pk_add_f32 v[30:31], v[26:27], v[22:23] neg_lo:[0,1] neg_hi:[0,1]
	v_mov_b32_e32 v26, v13
	v_mov_b32_e32 v27, v22
	;; [unrolled: 1-line block ×3, first 2 shown]
	v_pk_add_f32 v[14:15], v[14:15], v[26:27] neg_lo:[0,1] neg_hi:[0,1]
	v_mov_b32_e32 v22, v25
	v_mov_b32_e32 v23, v12
	v_pk_add_f32 v[12:13], v[22:23], v[14:15] neg_lo:[0,1] neg_hi:[0,1]
	v_mov_b32_e32 v30, v28
	v_pk_add_f32 v[14:15], v[30:31], v[12:13]
	s_nop 0
	v_mov_b32_e32 v20, v15
	v_pk_add_f32 v[22:23], v[14:15], v[20:21]
	s_nop 0
	v_pk_add_f32 v[24:25], v[8:9], v[22:23]
	v_mov_b32_e32 v13, v22
	v_mov_b32_e32 v15, v24
	v_pk_add_f32 v[26:27], v[14:15], v[28:29] neg_lo:[0,1] neg_hi:[0,1]
	s_nop 0
	v_sub_f32_e32 v8, v14, v26
	v_pk_add_f32 v[12:13], v[12:13], v[26:27] neg_lo:[0,1] neg_hi:[0,1]
	v_sub_f32_e32 v8, v28, v8
	v_add_f32_e32 v8, v12, v8
	v_add_f32_e32 v8, v8, v13
	;; [unrolled: 1-line block ×3, first 2 shown]
	v_cndmask_b32_e32 v59, v8, v32, vcc
.LBB22_97:                              ;   in Loop: Header=BB22_13 Depth=1
	s_or_b64 exec, exec, s[54:55]
	v_and_b32_e32 v8, 0xffff0000, v9
	v_readlane_b32 s0, v95, 2
	s_nop 1
	v_add_f32_e32 v60, s0, v8
	v_cmp_ge_f32_e32 vcc, s6, v60
	s_and_b64 s[0:1], s[4:5], vcc
	s_and_saveexec_b64 s[54:55], s[0:1]
	s_cbranch_execz .LBB22_99
; %bb.98:                               ;   in Loop: Header=BB22_13 Depth=1
	v_mul_f32_e32 v8, 0x3fb8aa3b, v60
	v_rndne_f32_e32 v9, v8
	v_sub_f32_e32 v12, v8, v9
	v_fma_f32 v8, v60, s7, -v8
	v_fmac_f32_e32 v8, 0x32a5705f, v60
	v_add_f32_e32 v8, v12, v8
	v_cvt_i32_f32_e32 v9, v9
	v_exp_f32_e32 v8, v8
	v_cmp_ngt_f32_e32 vcc, s8, v60
	v_ldexp_f32 v8, v8, v9
	s_nop 0
	v_cndmask_b32_e32 v8, 0, v8, vcc
	v_cmp_nlt_f32_e32 vcc, s9, v60
	s_nop 1
	v_cndmask_b32_e32 v32, v41, v8, vcc
	v_add_f32_e32 v12, 1.0, v32
	v_add_f32_e32 v8, -1.0, v12
	v_sub_f32_e32 v9, v8, v12
	v_add_f32_e32 v9, 1.0, v9
	v_sub_f32_e32 v8, v32, v8
	v_add_f32_e32 v13, v8, v9
	v_frexp_mant_f32_e32 v14, v12
	v_cvt_f64_f32_e32 v[8:9], v12
	v_frexp_exp_i32_f64_e32 v8, v[8:9]
	v_cmp_gt_f32_e32 vcc, s11, v14
	v_cmp_gt_f32_e64 s[52:53], s57, v32
	s_nop 0
	v_subbrev_co_u32_e32 v20, vcc, 0, v8, vcc
	v_sub_u32_e32 v8, 0, v20
	v_ldexp_f32 v9, v12, v8
	v_add_f32_e32 v12, -1.0, v9
	v_add_f32_e32 v14, 1.0, v9
	v_ldexp_f32 v8, v13, v8
	v_add_f32_e32 v13, 1.0, v12
	v_add_f32_e32 v15, -1.0, v14
	v_sub_f32_e32 v13, v9, v13
	v_sub_f32_e32 v9, v9, v15
	v_add_f32_e32 v13, v8, v13
	v_add_f32_e32 v8, v8, v9
	;; [unrolled: 1-line block ×3, first 2 shown]
	v_rcp_f32_e32 v26, v24
	v_sub_f32_e32 v9, v14, v24
	v_add_f32_e32 v25, v8, v9
	v_add_f32_e32 v9, v12, v13
	v_mul_f32_e32 v28, v9, v26
	v_sub_f32_e32 v8, v12, v9
	v_mul_f32_e32 v12, v24, v28
	v_fma_f32 v14, v28, v24, -v12
	v_fmac_f32_e32 v14, v28, v25
	v_add_f32_e32 v27, v13, v8
	v_add_f32_e32 v8, v12, v14
	v_sub_f32_e32 v13, v9, v8
	v_pk_add_f32 v[22:23], v[8:9], v[12:13] neg_lo:[0,1] neg_hi:[0,1]
	v_mov_b32_e32 v15, v8
	v_pk_add_f32 v[8:9], v[22:23], v[14:15] neg_lo:[0,1] neg_hi:[0,1]
	v_cmp_eq_f32_e32 vcc, s10, v32
	v_add_f32_e32 v9, v27, v9
	v_add_f32_e32 v8, v8, v9
	;; [unrolled: 1-line block ×3, first 2 shown]
	v_mul_f32_e32 v27, v26, v9
	v_mul_f32_e32 v12, v24, v27
	v_fma_f32 v14, v27, v24, -v12
	v_fmac_f32_e32 v14, v27, v25
	v_sub_f32_e32 v13, v13, v9
	v_add_f32_e32 v24, v8, v13
	v_add_f32_e32 v8, v12, v14
	v_sub_f32_e32 v13, v9, v8
	v_pk_add_f32 v[22:23], v[8:9], v[12:13] neg_lo:[0,1] neg_hi:[0,1]
	v_mov_b32_e32 v15, v8
	v_pk_add_f32 v[8:9], v[22:23], v[14:15] neg_lo:[0,1] neg_hi:[0,1]
	s_or_b64 vcc, s[52:53], vcc
	v_add_f32_e32 v9, v24, v9
	v_add_f32_e32 v8, v8, v9
	v_add_f32_e32 v9, v28, v27
	v_add_f32_e32 v8, v13, v8
	v_sub_f32_e32 v12, v9, v28
	v_mul_f32_e32 v8, v26, v8
	v_sub_f32_e32 v12, v27, v12
	v_add_f32_e32 v12, v12, v8
	v_add_f32_e32 v14, v9, v12
	v_mul_f32_e32 v15, v14, v14
	v_fmamk_f32 v8, v15, 0x3e9b6dac, v40
	v_fmaak_f32 v43, v15, v8, 0x3f2aaada
	v_cvt_f32_i32_e32 v8, v20
	v_sub_f32_e32 v9, v14, v9
	v_sub_f32_e32 v9, v12, v9
	v_ldexp_f32 v20, v9, 1
	v_mul_f32_e32 v9, v14, v15
	v_ldexp_f32 v13, v14, 1
	v_pk_mul_f32 v[14:15], v[8:9], v[42:43]
	s_nop 0
	v_fma_f32 v12, v8, s56, -v14
	v_fmac_f32_e32 v12, 0xb102e308, v8
	v_pk_add_f32 v[8:9], v[14:15], v[12:13]
	v_mov_b32_e32 v22, v14
	v_sub_f32_e32 v13, v9, v13
	v_sub_f32_e32 v13, v15, v13
	v_add_f32_e32 v23, v20, v13
	v_pk_add_f32 v[14:15], v[8:9], v[14:15] neg_lo:[0,1] neg_hi:[0,1]
	v_pk_add_f32 v[24:25], v[8:9], v[22:23]
	v_mov_b32_e32 v13, v8
	v_mov_b32_e32 v15, v25
	v_pk_add_f32 v[26:27], v[12:13], v[14:15] neg_lo:[0,1] neg_hi:[0,1]
	v_pk_add_f32 v[12:13], v[12:13], v[14:15]
	v_mov_b32_e32 v22, v23
	v_mov_b32_e32 v14, v13
	v_pk_add_f32 v[28:29], v[14:15], v[8:9] neg_lo:[0,1] neg_hi:[0,1]
	v_mov_b32_e32 v12, v25
	v_mov_b32_e32 v15, v28
	v_pk_add_f32 v[30:31], v[24:25], v[14:15] neg_lo:[0,1] neg_hi:[0,1]
	v_mov_b32_e32 v24, v9
	v_mov_b32_e32 v25, v28
	;; [unrolled: 1-line block ×3, first 2 shown]
	v_pk_add_f32 v[12:13], v[12:13], v[24:25] neg_lo:[0,1] neg_hi:[0,1]
	v_mov_b32_e32 v23, v8
	v_pk_add_f32 v[8:9], v[22:23], v[12:13] neg_lo:[0,1] neg_hi:[0,1]
	v_mov_b32_e32 v30, v26
	v_pk_add_f32 v[12:13], v[30:31], v[8:9]
	s_nop 0
	v_mov_b32_e32 v20, v13
	v_pk_add_f32 v[22:23], v[12:13], v[20:21]
	s_nop 0
	v_pk_add_f32 v[14:15], v[14:15], v[22:23]
	v_mov_b32_e32 v9, v22
	v_mov_b32_e32 v13, v14
	v_pk_add_f32 v[24:25], v[12:13], v[26:27] neg_lo:[0,1] neg_hi:[0,1]
	s_nop 0
	v_sub_f32_e32 v12, v12, v24
	v_pk_add_f32 v[8:9], v[8:9], v[24:25] neg_lo:[0,1] neg_hi:[0,1]
	v_sub_f32_e32 v12, v26, v12
	v_add_f32_e32 v8, v8, v12
	v_add_f32_e32 v8, v8, v9
	v_add_f32_e32 v8, v14, v8
	v_cndmask_b32_e32 v60, v8, v32, vcc
.LBB22_99:                              ;   in Loop: Header=BB22_13 Depth=1
	s_or_b64 exec, exec, s[54:55]
	v_lshlrev_b32_e32 v8, 16, v10
	v_readlane_b32 s0, v95, 2
	s_nop 1
	v_add_f32_e32 v61, s0, v8
	v_cmp_ge_f32_e32 vcc, s6, v61
	s_and_b64 s[0:1], s[4:5], vcc
	s_and_saveexec_b64 s[54:55], s[0:1]
	s_cbranch_execz .LBB22_101
; %bb.100:                              ;   in Loop: Header=BB22_13 Depth=1
	v_mul_f32_e32 v8, 0x3fb8aa3b, v61
	v_rndne_f32_e32 v9, v8
	v_sub_f32_e32 v12, v8, v9
	v_fma_f32 v8, v61, s7, -v8
	v_fmac_f32_e32 v8, 0x32a5705f, v61
	v_add_f32_e32 v8, v12, v8
	v_cvt_i32_f32_e32 v9, v9
	v_exp_f32_e32 v8, v8
	v_cmp_ngt_f32_e32 vcc, s8, v61
	v_ldexp_f32 v8, v8, v9
	s_nop 0
	v_cndmask_b32_e32 v8, 0, v8, vcc
	v_cmp_nlt_f32_e32 vcc, s9, v61
	s_nop 1
	v_cndmask_b32_e32 v32, v41, v8, vcc
	v_add_f32_e32 v12, 1.0, v32
	v_add_f32_e32 v8, -1.0, v12
	v_sub_f32_e32 v9, v8, v12
	v_add_f32_e32 v9, 1.0, v9
	v_sub_f32_e32 v8, v32, v8
	v_add_f32_e32 v13, v8, v9
	v_frexp_mant_f32_e32 v14, v12
	v_cvt_f64_f32_e32 v[8:9], v12
	v_frexp_exp_i32_f64_e32 v8, v[8:9]
	v_cmp_gt_f32_e32 vcc, s11, v14
	v_cmp_gt_f32_e64 s[52:53], s57, v32
	s_nop 0
	v_subbrev_co_u32_e32 v20, vcc, 0, v8, vcc
	v_sub_u32_e32 v8, 0, v20
	v_ldexp_f32 v9, v12, v8
	v_add_f32_e32 v12, -1.0, v9
	v_add_f32_e32 v14, 1.0, v9
	v_ldexp_f32 v8, v13, v8
	v_add_f32_e32 v13, 1.0, v12
	v_add_f32_e32 v15, -1.0, v14
	v_sub_f32_e32 v13, v9, v13
	v_sub_f32_e32 v9, v9, v15
	v_add_f32_e32 v13, v8, v13
	v_add_f32_e32 v8, v8, v9
	;; [unrolled: 1-line block ×3, first 2 shown]
	v_rcp_f32_e32 v26, v24
	v_sub_f32_e32 v9, v14, v24
	v_add_f32_e32 v25, v8, v9
	v_add_f32_e32 v9, v12, v13
	v_mul_f32_e32 v28, v9, v26
	v_sub_f32_e32 v8, v12, v9
	v_mul_f32_e32 v12, v24, v28
	v_fma_f32 v14, v28, v24, -v12
	v_fmac_f32_e32 v14, v28, v25
	v_add_f32_e32 v27, v13, v8
	v_add_f32_e32 v8, v12, v14
	v_sub_f32_e32 v13, v9, v8
	v_pk_add_f32 v[22:23], v[8:9], v[12:13] neg_lo:[0,1] neg_hi:[0,1]
	v_mov_b32_e32 v15, v8
	v_pk_add_f32 v[8:9], v[22:23], v[14:15] neg_lo:[0,1] neg_hi:[0,1]
	v_cmp_eq_f32_e32 vcc, s10, v32
	v_add_f32_e32 v9, v27, v9
	v_add_f32_e32 v8, v8, v9
	;; [unrolled: 1-line block ×3, first 2 shown]
	v_mul_f32_e32 v27, v26, v9
	v_mul_f32_e32 v12, v24, v27
	v_fma_f32 v14, v27, v24, -v12
	v_fmac_f32_e32 v14, v27, v25
	v_sub_f32_e32 v13, v13, v9
	v_add_f32_e32 v24, v8, v13
	v_add_f32_e32 v8, v12, v14
	v_sub_f32_e32 v13, v9, v8
	v_pk_add_f32 v[22:23], v[8:9], v[12:13] neg_lo:[0,1] neg_hi:[0,1]
	v_mov_b32_e32 v15, v8
	v_pk_add_f32 v[8:9], v[22:23], v[14:15] neg_lo:[0,1] neg_hi:[0,1]
	s_or_b64 vcc, s[52:53], vcc
	v_add_f32_e32 v9, v24, v9
	v_add_f32_e32 v8, v8, v9
	;; [unrolled: 1-line block ×4, first 2 shown]
	v_sub_f32_e32 v12, v9, v28
	v_mul_f32_e32 v8, v26, v8
	v_sub_f32_e32 v12, v27, v12
	v_add_f32_e32 v12, v12, v8
	v_add_f32_e32 v14, v9, v12
	v_mul_f32_e32 v15, v14, v14
	v_fmamk_f32 v8, v15, 0x3e9b6dac, v40
	v_fmaak_f32 v43, v15, v8, 0x3f2aaada
	v_cvt_f32_i32_e32 v8, v20
	v_sub_f32_e32 v9, v14, v9
	v_sub_f32_e32 v9, v12, v9
	v_ldexp_f32 v20, v9, 1
	v_mul_f32_e32 v9, v14, v15
	v_ldexp_f32 v13, v14, 1
	v_pk_mul_f32 v[14:15], v[8:9], v[42:43]
	s_nop 0
	v_fma_f32 v12, v8, s56, -v14
	v_fmac_f32_e32 v12, 0xb102e308, v8
	v_pk_add_f32 v[8:9], v[14:15], v[12:13]
	v_mov_b32_e32 v22, v14
	v_sub_f32_e32 v13, v9, v13
	v_sub_f32_e32 v13, v15, v13
	v_add_f32_e32 v23, v20, v13
	v_pk_add_f32 v[14:15], v[8:9], v[14:15] neg_lo:[0,1] neg_hi:[0,1]
	v_pk_add_f32 v[24:25], v[8:9], v[22:23]
	v_mov_b32_e32 v13, v8
	v_mov_b32_e32 v15, v25
	v_pk_add_f32 v[26:27], v[12:13], v[14:15] neg_lo:[0,1] neg_hi:[0,1]
	v_pk_add_f32 v[12:13], v[12:13], v[14:15]
	v_mov_b32_e32 v22, v23
	v_mov_b32_e32 v14, v13
	v_pk_add_f32 v[28:29], v[14:15], v[8:9] neg_lo:[0,1] neg_hi:[0,1]
	v_mov_b32_e32 v12, v25
	v_mov_b32_e32 v15, v28
	v_pk_add_f32 v[30:31], v[24:25], v[14:15] neg_lo:[0,1] neg_hi:[0,1]
	v_mov_b32_e32 v24, v9
	v_mov_b32_e32 v25, v28
	;; [unrolled: 1-line block ×3, first 2 shown]
	v_pk_add_f32 v[12:13], v[12:13], v[24:25] neg_lo:[0,1] neg_hi:[0,1]
	v_mov_b32_e32 v23, v8
	v_pk_add_f32 v[8:9], v[22:23], v[12:13] neg_lo:[0,1] neg_hi:[0,1]
	v_mov_b32_e32 v30, v26
	v_pk_add_f32 v[12:13], v[30:31], v[8:9]
	s_nop 0
	v_mov_b32_e32 v20, v13
	v_pk_add_f32 v[22:23], v[12:13], v[20:21]
	s_nop 0
	v_pk_add_f32 v[14:15], v[14:15], v[22:23]
	v_mov_b32_e32 v9, v22
	v_mov_b32_e32 v13, v14
	v_pk_add_f32 v[24:25], v[12:13], v[26:27] neg_lo:[0,1] neg_hi:[0,1]
	s_nop 0
	v_sub_f32_e32 v12, v12, v24
	v_pk_add_f32 v[8:9], v[8:9], v[24:25] neg_lo:[0,1] neg_hi:[0,1]
	v_sub_f32_e32 v12, v26, v12
	v_add_f32_e32 v8, v8, v12
	v_add_f32_e32 v8, v8, v9
	;; [unrolled: 1-line block ×3, first 2 shown]
	v_cndmask_b32_e32 v61, v8, v32, vcc
.LBB22_101:                             ;   in Loop: Header=BB22_13 Depth=1
	s_or_b64 exec, exec, s[54:55]
	v_and_b32_e32 v8, 0xffff0000, v10
	v_readlane_b32 s0, v95, 2
	s_nop 1
	v_add_f32_e32 v62, s0, v8
	v_cmp_ge_f32_e32 vcc, s6, v62
	s_and_b64 s[0:1], s[4:5], vcc
	s_and_saveexec_b64 s[54:55], s[0:1]
	s_cbranch_execz .LBB22_103
; %bb.102:                              ;   in Loop: Header=BB22_13 Depth=1
	v_mul_f32_e32 v8, 0x3fb8aa3b, v62
	v_rndne_f32_e32 v9, v8
	v_sub_f32_e32 v10, v8, v9
	v_fma_f32 v8, v62, s7, -v8
	v_fmac_f32_e32 v8, 0x32a5705f, v62
	v_add_f32_e32 v8, v10, v8
	v_cvt_i32_f32_e32 v9, v9
	v_exp_f32_e32 v8, v8
	v_cmp_ngt_f32_e32 vcc, s8, v62
	v_ldexp_f32 v8, v8, v9
	s_nop 0
	v_cndmask_b32_e32 v8, 0, v8, vcc
	v_cmp_nlt_f32_e32 vcc, s9, v62
	s_nop 1
	v_cndmask_b32_e32 v20, v41, v8, vcc
	v_add_f32_e32 v10, 1.0, v20
	v_add_f32_e32 v8, -1.0, v10
	v_sub_f32_e32 v9, v8, v10
	v_add_f32_e32 v9, 1.0, v9
	v_sub_f32_e32 v8, v20, v8
	v_add_f32_e32 v12, v8, v9
	v_frexp_mant_f32_e32 v13, v10
	v_cvt_f64_f32_e32 v[8:9], v10
	v_frexp_exp_i32_f64_e32 v8, v[8:9]
	v_cmp_gt_f32_e32 vcc, s11, v13
	v_cmp_gt_f32_e64 s[52:53], s57, v20
	s_nop 0
	v_subbrev_co_u32_e32 v24, vcc, 0, v8, vcc
	v_sub_u32_e32 v8, 0, v24
	v_ldexp_f32 v9, v10, v8
	v_add_f32_e32 v10, -1.0, v9
	v_add_f32_e32 v13, 1.0, v9
	v_ldexp_f32 v8, v12, v8
	v_add_f32_e32 v12, 1.0, v10
	v_add_f32_e32 v14, -1.0, v13
	v_sub_f32_e32 v12, v9, v12
	v_sub_f32_e32 v9, v9, v14
	v_add_f32_e32 v12, v8, v12
	v_add_f32_e32 v8, v8, v9
	;; [unrolled: 1-line block ×3, first 2 shown]
	v_rcp_f32_e32 v27, v25
	v_sub_f32_e32 v9, v13, v25
	v_add_f32_e32 v26, v8, v9
	v_add_f32_e32 v9, v10, v12
	v_sub_f32_e32 v8, v10, v9
	v_mul_f32_e32 v28, v9, v27
	v_add_f32_e32 v10, v12, v8
	v_mul_f32_e32 v12, v25, v28
	v_fma_f32 v14, v28, v25, -v12
	v_fmac_f32_e32 v14, v28, v26
	v_add_f32_e32 v8, v12, v14
	v_sub_f32_e32 v13, v9, v8
	v_pk_add_f32 v[22:23], v[8:9], v[12:13] neg_lo:[0,1] neg_hi:[0,1]
	v_mov_b32_e32 v15, v8
	v_pk_add_f32 v[8:9], v[22:23], v[14:15] neg_lo:[0,1] neg_hi:[0,1]
	v_cmp_eq_f32_e32 vcc, s10, v20
	v_add_f32_e32 v9, v10, v9
	v_add_f32_e32 v8, v8, v9
	;; [unrolled: 1-line block ×3, first 2 shown]
	v_mul_f32_e32 v10, v27, v9
	v_mul_f32_e32 v12, v25, v10
	v_fma_f32 v14, v10, v25, -v12
	v_fmac_f32_e32 v14, v10, v26
	v_sub_f32_e32 v13, v13, v9
	v_add_f32_e32 v25, v8, v13
	v_add_f32_e32 v8, v12, v14
	v_sub_f32_e32 v13, v9, v8
	v_pk_add_f32 v[22:23], v[8:9], v[12:13] neg_lo:[0,1] neg_hi:[0,1]
	v_mov_b32_e32 v15, v8
	v_pk_add_f32 v[8:9], v[22:23], v[14:15] neg_lo:[0,1] neg_hi:[0,1]
	s_or_b64 vcc, s[52:53], vcc
	v_add_f32_e32 v9, v25, v9
	v_add_f32_e32 v8, v8, v9
	;; [unrolled: 1-line block ×4, first 2 shown]
	v_sub_f32_e32 v12, v9, v28
	v_mul_f32_e32 v8, v27, v8
	v_sub_f32_e32 v10, v10, v12
	v_add_f32_e32 v10, v10, v8
	v_add_f32_e32 v12, v9, v10
	v_mul_f32_e32 v14, v12, v12
	v_fmamk_f32 v8, v14, 0x3e9b6dac, v40
	v_fmaak_f32 v43, v14, v8, 0x3f2aaada
	v_cvt_f32_i32_e32 v8, v24
	v_sub_f32_e32 v9, v12, v9
	v_sub_f32_e32 v9, v10, v9
	v_ldexp_f32 v10, v9, 1
	v_mul_f32_e32 v9, v12, v14
	v_pk_mul_f32 v[14:15], v[8:9], v[42:43]
	v_ldexp_f32 v13, v12, 1
	v_fma_f32 v12, v8, s56, -v14
	v_fmac_f32_e32 v12, 0xb102e308, v8
	v_pk_add_f32 v[8:9], v[14:15], v[12:13]
	v_mov_b32_e32 v22, v14
	v_sub_f32_e32 v13, v9, v13
	v_sub_f32_e32 v13, v15, v13
	v_add_f32_e32 v23, v10, v13
	v_pk_add_f32 v[14:15], v[8:9], v[14:15] neg_lo:[0,1] neg_hi:[0,1]
	v_pk_add_f32 v[24:25], v[8:9], v[22:23]
	v_mov_b32_e32 v13, v8
	v_mov_b32_e32 v15, v25
	v_pk_add_f32 v[26:27], v[12:13], v[14:15] neg_lo:[0,1] neg_hi:[0,1]
	v_pk_add_f32 v[12:13], v[12:13], v[14:15]
	s_nop 0
	v_mov_b32_e32 v10, v13
	v_pk_add_f32 v[14:15], v[10:11], v[8:9] neg_lo:[0,1] neg_hi:[0,1]
	v_mov_b32_e32 v12, v25
	v_mov_b32_e32 v15, v14
	v_pk_add_f32 v[28:29], v[24:25], v[14:15] neg_lo:[0,1] neg_hi:[0,1]
	v_mov_b32_e32 v24, v9
	v_mov_b32_e32 v25, v14
	;; [unrolled: 1-line block ×3, first 2 shown]
	v_pk_add_f32 v[12:13], v[12:13], v[24:25] neg_lo:[0,1] neg_hi:[0,1]
	v_mov_b32_e32 v14, v23
	v_mov_b32_e32 v15, v8
	v_pk_add_f32 v[8:9], v[14:15], v[12:13] neg_lo:[0,1] neg_hi:[0,1]
	v_mov_b32_e32 v28, v26
	v_pk_add_f32 v[12:13], v[28:29], v[8:9]
	s_nop 0
	v_mov_b32_e32 v14, v13
	v_pk_add_f32 v[14:15], v[12:13], v[14:15]
	s_nop 0
	v_pk_add_f32 v[22:23], v[10:11], v[14:15]
	v_mov_b32_e32 v9, v14
	v_mov_b32_e32 v13, v22
	v_pk_add_f32 v[24:25], v[12:13], v[26:27] neg_lo:[0,1] neg_hi:[0,1]
	s_nop 0
	v_sub_f32_e32 v10, v12, v24
	v_pk_add_f32 v[8:9], v[8:9], v[24:25] neg_lo:[0,1] neg_hi:[0,1]
	v_sub_f32_e32 v10, v26, v10
	v_add_f32_e32 v8, v8, v10
	v_add_f32_e32 v8, v8, v9
	;; [unrolled: 1-line block ×3, first 2 shown]
	v_cndmask_b32_e32 v62, v8, v20, vcc
.LBB22_103:                             ;   in Loop: Header=BB22_13 Depth=1
	s_or_b64 exec, exec, s[54:55]
	v_lshlrev_b32_e32 v8, 16, v11
	v_readlane_b32 s0, v95, 2
	s_nop 1
	v_add_f32_e32 v63, s0, v8
	v_cmp_ge_f32_e32 vcc, s6, v63
	s_and_b64 s[0:1], s[4:5], vcc
	s_and_saveexec_b64 s[54:55], s[0:1]
	s_cbranch_execz .LBB22_105
; %bb.104:                              ;   in Loop: Header=BB22_13 Depth=1
	v_mul_f32_e32 v8, 0x3fb8aa3b, v63
	v_rndne_f32_e32 v9, v8
	v_sub_f32_e32 v10, v8, v9
	v_fma_f32 v8, v63, s7, -v8
	v_fmac_f32_e32 v8, 0x32a5705f, v63
	v_add_f32_e32 v8, v10, v8
	v_cvt_i32_f32_e32 v9, v9
	v_exp_f32_e32 v8, v8
	v_cmp_ngt_f32_e32 vcc, s8, v63
	v_ldexp_f32 v8, v8, v9
	s_nop 0
	v_cndmask_b32_e32 v8, 0, v8, vcc
	v_cmp_nlt_f32_e32 vcc, s9, v63
	s_nop 1
	v_cndmask_b32_e32 v20, v41, v8, vcc
	v_add_f32_e32 v10, 1.0, v20
	v_add_f32_e32 v8, -1.0, v10
	v_sub_f32_e32 v9, v8, v10
	v_add_f32_e32 v9, 1.0, v9
	v_sub_f32_e32 v8, v20, v8
	v_add_f32_e32 v12, v8, v9
	v_frexp_mant_f32_e32 v13, v10
	v_cvt_f64_f32_e32 v[8:9], v10
	v_frexp_exp_i32_f64_e32 v8, v[8:9]
	v_cmp_gt_f32_e32 vcc, s11, v13
	v_cmp_gt_f32_e64 s[52:53], s57, v20
	s_nop 0
	v_subbrev_co_u32_e32 v24, vcc, 0, v8, vcc
	v_sub_u32_e32 v8, 0, v24
	v_ldexp_f32 v9, v10, v8
	v_add_f32_e32 v10, -1.0, v9
	v_add_f32_e32 v13, 1.0, v9
	v_ldexp_f32 v8, v12, v8
	v_add_f32_e32 v12, 1.0, v10
	v_add_f32_e32 v14, -1.0, v13
	v_sub_f32_e32 v12, v9, v12
	v_sub_f32_e32 v9, v9, v14
	v_add_f32_e32 v12, v8, v12
	v_add_f32_e32 v8, v8, v9
	;; [unrolled: 1-line block ×3, first 2 shown]
	v_rcp_f32_e32 v27, v25
	v_sub_f32_e32 v9, v13, v25
	v_add_f32_e32 v26, v8, v9
	v_add_f32_e32 v9, v10, v12
	v_sub_f32_e32 v8, v10, v9
	v_mul_f32_e32 v28, v9, v27
	v_add_f32_e32 v10, v12, v8
	v_mul_f32_e32 v12, v25, v28
	v_fma_f32 v14, v28, v25, -v12
	v_fmac_f32_e32 v14, v28, v26
	v_add_f32_e32 v8, v12, v14
	v_sub_f32_e32 v13, v9, v8
	v_pk_add_f32 v[22:23], v[8:9], v[12:13] neg_lo:[0,1] neg_hi:[0,1]
	v_mov_b32_e32 v15, v8
	v_pk_add_f32 v[8:9], v[22:23], v[14:15] neg_lo:[0,1] neg_hi:[0,1]
	v_cmp_eq_f32_e32 vcc, s10, v20
	v_add_f32_e32 v9, v10, v9
	v_add_f32_e32 v8, v8, v9
	;; [unrolled: 1-line block ×3, first 2 shown]
	v_mul_f32_e32 v10, v27, v9
	v_mul_f32_e32 v12, v25, v10
	v_fma_f32 v14, v10, v25, -v12
	v_fmac_f32_e32 v14, v10, v26
	v_sub_f32_e32 v13, v13, v9
	v_add_f32_e32 v25, v8, v13
	v_add_f32_e32 v8, v12, v14
	v_sub_f32_e32 v13, v9, v8
	v_pk_add_f32 v[22:23], v[8:9], v[12:13] neg_lo:[0,1] neg_hi:[0,1]
	v_mov_b32_e32 v15, v8
	v_pk_add_f32 v[8:9], v[22:23], v[14:15] neg_lo:[0,1] neg_hi:[0,1]
	s_or_b64 vcc, s[52:53], vcc
	v_add_f32_e32 v9, v25, v9
	v_add_f32_e32 v8, v8, v9
	;; [unrolled: 1-line block ×4, first 2 shown]
	v_sub_f32_e32 v12, v9, v28
	v_mul_f32_e32 v8, v27, v8
	v_sub_f32_e32 v10, v10, v12
	v_add_f32_e32 v10, v10, v8
	v_add_f32_e32 v12, v9, v10
	v_mul_f32_e32 v14, v12, v12
	v_fmamk_f32 v8, v14, 0x3e9b6dac, v40
	v_fmaak_f32 v43, v14, v8, 0x3f2aaada
	v_cvt_f32_i32_e32 v8, v24
	v_sub_f32_e32 v9, v12, v9
	v_sub_f32_e32 v9, v10, v9
	v_ldexp_f32 v10, v9, 1
	v_mul_f32_e32 v9, v12, v14
	v_pk_mul_f32 v[14:15], v[8:9], v[42:43]
	v_ldexp_f32 v13, v12, 1
	v_fma_f32 v12, v8, s56, -v14
	v_fmac_f32_e32 v12, 0xb102e308, v8
	v_pk_add_f32 v[8:9], v[14:15], v[12:13]
	v_mov_b32_e32 v22, v14
	v_sub_f32_e32 v13, v9, v13
	v_sub_f32_e32 v13, v15, v13
	v_add_f32_e32 v23, v10, v13
	v_pk_add_f32 v[14:15], v[8:9], v[14:15] neg_lo:[0,1] neg_hi:[0,1]
	v_pk_add_f32 v[24:25], v[8:9], v[22:23]
	v_mov_b32_e32 v13, v8
	v_mov_b32_e32 v15, v25
	v_pk_add_f32 v[26:27], v[12:13], v[14:15] neg_lo:[0,1] neg_hi:[0,1]
	v_pk_add_f32 v[12:13], v[12:13], v[14:15]
	s_nop 0
	v_mov_b32_e32 v10, v13
	v_pk_add_f32 v[14:15], v[10:11], v[8:9] neg_lo:[0,1] neg_hi:[0,1]
	v_mov_b32_e32 v12, v25
	v_mov_b32_e32 v15, v14
	v_pk_add_f32 v[28:29], v[24:25], v[14:15] neg_lo:[0,1] neg_hi:[0,1]
	v_mov_b32_e32 v24, v9
	v_mov_b32_e32 v25, v14
	;; [unrolled: 1-line block ×3, first 2 shown]
	v_pk_add_f32 v[12:13], v[12:13], v[24:25] neg_lo:[0,1] neg_hi:[0,1]
	v_mov_b32_e32 v14, v23
	v_mov_b32_e32 v15, v8
	v_pk_add_f32 v[8:9], v[14:15], v[12:13] neg_lo:[0,1] neg_hi:[0,1]
	v_mov_b32_e32 v28, v26
	v_pk_add_f32 v[12:13], v[28:29], v[8:9]
	s_nop 0
	v_mov_b32_e32 v14, v13
	v_pk_add_f32 v[14:15], v[12:13], v[14:15]
	s_nop 0
	v_pk_add_f32 v[22:23], v[10:11], v[14:15]
	v_mov_b32_e32 v9, v14
	v_mov_b32_e32 v13, v22
	v_pk_add_f32 v[24:25], v[12:13], v[26:27] neg_lo:[0,1] neg_hi:[0,1]
	s_nop 0
	v_sub_f32_e32 v10, v12, v24
	v_pk_add_f32 v[8:9], v[8:9], v[24:25] neg_lo:[0,1] neg_hi:[0,1]
	v_sub_f32_e32 v10, v26, v10
	v_add_f32_e32 v8, v8, v10
	v_add_f32_e32 v8, v8, v9
	;; [unrolled: 1-line block ×3, first 2 shown]
	v_cndmask_b32_e32 v63, v8, v20, vcc
.LBB22_105:                             ;   in Loop: Header=BB22_13 Depth=1
	s_or_b64 exec, exec, s[54:55]
	v_and_b32_e32 v8, 0xffff0000, v11
	v_readlane_b32 s0, v95, 2
	s_nop 1
	v_add_f32_e32 v23, s0, v8
	v_cmp_ge_f32_e32 vcc, s6, v23
	s_and_b64 s[0:1], s[4:5], vcc
	s_and_saveexec_b64 s[54:55], s[0:1]
	s_cbranch_execz .LBB22_107
; %bb.106:                              ;   in Loop: Header=BB22_13 Depth=1
	v_mul_f32_e32 v8, 0x3fb8aa3b, v23
	v_rndne_f32_e32 v9, v8
	v_sub_f32_e32 v10, v8, v9
	v_fma_f32 v8, v23, s7, -v8
	v_fmac_f32_e32 v8, 0x32a5705f, v23
	v_add_f32_e32 v8, v10, v8
	v_cvt_i32_f32_e32 v9, v9
	v_exp_f32_e32 v8, v8
	v_cmp_ngt_f32_e32 vcc, s8, v23
	v_ldexp_f32 v8, v8, v9
	s_nop 0
	v_cndmask_b32_e32 v8, 0, v8, vcc
	v_cmp_nlt_f32_e32 vcc, s9, v23
	s_nop 1
	v_cndmask_b32_e32 v20, v41, v8, vcc
	v_add_f32_e32 v10, 1.0, v20
	v_add_f32_e32 v8, -1.0, v10
	v_sub_f32_e32 v9, v8, v10
	v_add_f32_e32 v9, 1.0, v9
	v_sub_f32_e32 v8, v20, v8
	v_add_f32_e32 v11, v8, v9
	v_frexp_mant_f32_e32 v12, v10
	v_cvt_f64_f32_e32 v[8:9], v10
	v_frexp_exp_i32_f64_e32 v8, v[8:9]
	v_cmp_gt_f32_e32 vcc, s11, v12
	v_cmp_gt_f32_e64 s[52:53], s57, v20
	s_nop 0
	v_subbrev_co_u32_e32 v22, vcc, 0, v8, vcc
	v_sub_u32_e32 v8, 0, v22
	v_ldexp_f32 v9, v10, v8
	v_add_f32_e32 v10, -1.0, v9
	v_add_f32_e32 v12, 1.0, v9
	v_ldexp_f32 v8, v11, v8
	v_add_f32_e32 v11, 1.0, v10
	v_add_f32_e32 v13, -1.0, v12
	v_sub_f32_e32 v11, v9, v11
	v_sub_f32_e32 v9, v9, v13
	v_add_f32_e32 v11, v8, v11
	v_add_f32_e32 v8, v8, v9
	;; [unrolled: 1-line block ×3, first 2 shown]
	v_rcp_f32_e32 v25, v23
	v_sub_f32_e32 v9, v12, v23
	v_add_f32_e32 v24, v8, v9
	v_add_f32_e32 v9, v10, v11
	v_mul_f32_e32 v27, v9, v25
	v_sub_f32_e32 v8, v10, v9
	v_mul_f32_e32 v10, v23, v27
	v_fma_f32 v12, v27, v23, -v10
	v_fmac_f32_e32 v12, v27, v24
	v_add_f32_e32 v26, v11, v8
	v_add_f32_e32 v8, v10, v12
	v_sub_f32_e32 v11, v9, v8
	v_pk_add_f32 v[14:15], v[8:9], v[10:11] neg_lo:[0,1] neg_hi:[0,1]
	v_mov_b32_e32 v13, v8
	v_pk_add_f32 v[8:9], v[14:15], v[12:13] neg_lo:[0,1] neg_hi:[0,1]
	v_cmp_eq_f32_e32 vcc, s10, v20
	v_add_f32_e32 v9, v26, v9
	v_add_f32_e32 v8, v8, v9
	;; [unrolled: 1-line block ×3, first 2 shown]
	v_mul_f32_e32 v26, v25, v9
	v_mul_f32_e32 v10, v23, v26
	v_fma_f32 v12, v26, v23, -v10
	v_fmac_f32_e32 v12, v26, v24
	v_sub_f32_e32 v11, v11, v9
	v_add_f32_e32 v23, v8, v11
	v_add_f32_e32 v8, v10, v12
	v_sub_f32_e32 v11, v9, v8
	v_pk_add_f32 v[14:15], v[8:9], v[10:11] neg_lo:[0,1] neg_hi:[0,1]
	v_mov_b32_e32 v13, v8
	v_pk_add_f32 v[8:9], v[14:15], v[12:13] neg_lo:[0,1] neg_hi:[0,1]
	s_or_b64 vcc, s[52:53], vcc
	v_add_f32_e32 v9, v23, v9
	v_add_f32_e32 v8, v8, v9
	v_add_f32_e32 v9, v27, v26
	v_add_f32_e32 v8, v11, v8
	v_sub_f32_e32 v10, v9, v27
	v_mul_f32_e32 v8, v25, v8
	v_sub_f32_e32 v10, v26, v10
	v_add_f32_e32 v10, v10, v8
	v_add_f32_e32 v12, v9, v10
	v_mul_f32_e32 v13, v12, v12
	v_fmamk_f32 v8, v13, 0x3e9b6dac, v40
	v_fmaak_f32 v43, v13, v8, 0x3f2aaada
	v_cvt_f32_i32_e32 v8, v22
	v_sub_f32_e32 v9, v12, v9
	v_sub_f32_e32 v9, v10, v9
	v_ldexp_f32 v14, v9, 1
	v_mul_f32_e32 v9, v12, v13
	v_ldexp_f32 v11, v12, 1
	v_pk_mul_f32 v[12:13], v[8:9], v[42:43]
	s_nop 0
	v_fma_f32 v10, v8, s56, -v12
	v_fmac_f32_e32 v10, 0xb102e308, v8
	v_pk_add_f32 v[8:9], v[12:13], v[10:11]
	s_nop 0
	v_sub_f32_e32 v11, v9, v11
	v_sub_f32_e32 v11, v13, v11
	v_add_f32_e32 v15, v14, v11
	v_mov_b32_e32 v14, v12
	v_pk_add_f32 v[12:13], v[8:9], v[12:13] neg_lo:[0,1] neg_hi:[0,1]
	v_pk_add_f32 v[22:23], v[8:9], v[14:15]
	v_mov_b32_e32 v11, v8
	v_mov_b32_e32 v13, v23
	v_pk_add_f32 v[24:25], v[10:11], v[12:13] neg_lo:[0,1] neg_hi:[0,1]
	v_pk_add_f32 v[10:11], v[10:11], v[12:13]
	v_mov_b32_e32 v14, v15
	v_mov_b32_e32 v12, v11
	v_pk_add_f32 v[26:27], v[12:13], v[8:9] neg_lo:[0,1] neg_hi:[0,1]
	v_mov_b32_e32 v10, v23
	v_mov_b32_e32 v13, v26
	v_pk_add_f32 v[28:29], v[22:23], v[12:13] neg_lo:[0,1] neg_hi:[0,1]
	v_mov_b32_e32 v22, v9
	v_mov_b32_e32 v23, v26
	;; [unrolled: 1-line block ×3, first 2 shown]
	v_pk_add_f32 v[10:11], v[10:11], v[22:23] neg_lo:[0,1] neg_hi:[0,1]
	v_mov_b32_e32 v15, v8
	v_pk_add_f32 v[8:9], v[14:15], v[10:11] neg_lo:[0,1] neg_hi:[0,1]
	v_mov_b32_e32 v28, v24
	v_pk_add_f32 v[10:11], v[28:29], v[8:9]
	s_nop 0
	v_mov_b32_e32 v14, v11
	v_pk_add_f32 v[14:15], v[10:11], v[14:15]
	s_nop 0
	v_pk_add_f32 v[12:13], v[12:13], v[14:15]
	v_mov_b32_e32 v9, v14
	v_mov_b32_e32 v11, v12
	v_pk_add_f32 v[22:23], v[10:11], v[24:25] neg_lo:[0,1] neg_hi:[0,1]
	s_nop 0
	v_sub_f32_e32 v10, v10, v22
	v_pk_add_f32 v[8:9], v[8:9], v[22:23] neg_lo:[0,1] neg_hi:[0,1]
	v_sub_f32_e32 v10, v24, v10
	v_add_f32_e32 v8, v8, v10
	v_add_f32_e32 v8, v8, v9
	;; [unrolled: 1-line block ×3, first 2 shown]
	v_cndmask_b32_e32 v23, v8, v20, vcc
.LBB22_107:                             ;   in Loop: Header=BB22_13 Depth=1
	s_or_b64 exec, exec, s[54:55]
	v_lshlrev_b32_e32 v8, 16, v7
	v_readlane_b32 s0, v95, 3
	v_and_b32_e32 v13, 0xffff0000, v7
	v_and_b32_e32 v7, 0xffff0000, v6
	v_lshlrev_b32_e32 v6, 16, v6
	v_and_b32_e32 v9, 0xffff0000, v5
	v_lshlrev_b32_e32 v5, 16, v5
	;; [unrolled: 2-line block ×7, first 2 shown]
	v_mul_f32_e32 v24, s0, v8
	v_mul_f32_e32 v27, s0, v7
	;; [unrolled: 1-line block ×16, first 2 shown]
	v_readlane_b32 s0, v95, 30
	v_readlane_b32 s1, v95, 31
	s_and_b64 vcc, exec, s[0:1]
	s_waitcnt lgkmcnt(0)
	; wave barrier
	s_cbranch_vccz .LBB22_200
; %bb.108:                              ;   in Loop: Header=BB22_13 Depth=1
	v_mul_f32_e32 v82, v21, v0
	scratch_load_dword v0, off, off offset:252 ; 4-byte Folded Reload
	v_readlane_b32 s0, v95, 7
	v_readlane_b32 s1, v95, 8
	scratch_store_dwordx2 off, v[42:43], off offset:168 ; 8-byte Folded Spill
	v_mul_f32_e32 v6, v61, v6
	v_lshl_add_u64 v[40:41], s[0:1], 0, v[16:17]
	v_readlane_b32 s0, v95, 21
	v_readlane_b32 s1, v95, 22
	v_mul_f32_e32 v5, v59, v5
	s_mov_b32 s92, 0
	v_lshl_add_u64 v[42:43], s[0:1], 0, v[16:17]
	v_readlane_b32 s1, v95, 51
	s_cmp_lg_u32 s1, 0
	v_readlane_b32 s0, v95, 44
	s_cselect_b64 s[86:87], -1, 0
	s_cmp_eq_u32 s1, s0
	v_readlane_b32 s0, v95, 33
	v_readlane_b32 s1, v95, 34
	s_cselect_b64 s[90:91], -1, 0
	v_mul_f32_e32 v13, v23, v13
	v_mul_f32_e32 v8, v63, v8
	;; [unrolled: 1-line block ×3, first 2 shown]
	scratch_store_dword off, v6, off offset:80 ; 4-byte Folded Spill
	v_mul_f32_e32 v6, v60, v9
	scratch_store_dword off, v5, off offset:88 ; 4-byte Folded Spill
	v_mul_f32_e32 v5, v58, v10
	v_mul_f32_e32 v4, v94, v4
	v_mul_f32_e32 v75, v93, v11
	v_mul_f32_e32 v76, v92, v3
	v_mul_f32_e32 v77, v91, v12
	v_mul_f32_e32 v78, v90, v2
	v_mul_f32_e32 v79, v71, v14
	v_mul_f32_e32 v80, v70, v1
	v_mul_f32_e32 v81, v18, v15
	s_mov_b32 s96, s92
	s_mov_b32 s94, s92
	;; [unrolled: 1-line block ×3, first 2 shown]
	scratch_store_dword off, v13, off offset:68 ; 4-byte Folded Spill
	scratch_store_dword off, v8, off offset:72 ; 4-byte Folded Spill
	;; [unrolled: 1-line block ×6, first 2 shown]
	s_waitcnt vmcnt(9)
	v_cmp_gt_u32_e32 vcc, s82, v0
	scratch_load_dword v0, off, off offset:256 ; 4-byte Folded Reload
	s_or_b64 s[52:53], s[0:1], vcc
	s_waitcnt vmcnt(0)
	v_cmp_gt_u32_e32 vcc, s82, v0
	scratch_load_dword v0, off, off offset:260 ; 4-byte Folded Reload
	s_or_b64 s[54:55], s[0:1], vcc
	;; [unrolled: 4-line block ×15, first 2 shown]
	s_waitcnt vmcnt(0)
	v_cmp_gt_u32_e32 vcc, s82, v0
	s_or_b64 s[82:83], s[0:1], vcc
	v_readlane_b32 s0, v95, 29
	v_readlane_b32 s1, v95, 47
	s_branch .LBB22_110
.LBB22_109:                             ;   in Loop: Header=BB22_110 Depth=2
	s_or_b64 exec, exec, s[84:85]
	v_mul_f32_e32 v20, v83, v20
	v_fma_f32 v45, v83, v74, v8
	v_cndmask_b32_e64 v8, v45, v8, s[16:17]
	v_cndmask_b32_e64 v20, v20, v83, s[16:17]
	s_waitcnt lgkmcnt(0)
	v_fmac_f32_e32 v8, v44, v20
	v_fmac_f32_e32 v9, v8, v84
	;; [unrolled: 1-line block ×10, first 2 shown]
	v_readlane_b32 s4, v95, 23
	v_fmac_f32_e32 v52, v51, v64
	v_readlane_b32 s5, v95, 24
	v_readlane_b32 s6, v95, 25
	;; [unrolled: 1-line block ×3, first 2 shown]
	v_fmac_f32_e32 v53, v52, v16
	s_add_i32 s98, s98, s6
	v_readlane_b32 s4, v95, 17
	v_fmac_f32_e32 v48, v53, v65
	v_readlane_b32 s5, v95, 18
	v_readlane_b32 s6, v95, 19
	;; [unrolled: 1-line block ×3, first 2 shown]
	v_fmac_f32_e32 v49, v48, v66
	s_add_i32 s94, s94, s4
	v_readlane_b32 s4, v95, 9
	v_fmac_f32_e32 v54, v49, v67
	v_readlane_b32 s5, v95, 10
	v_readlane_b32 s8, v95, 13
	v_fmac_f32_e32 v55, v54, v68
	v_and_b32_e32 v45, 0xffff0000, v4
	v_and_b32_e32 v47, 0xffff0000, v5
	v_lshlrev_b32_e32 v44, 16, v4
	v_lshlrev_b32_e32 v46, 16, v5
	v_and_b32_e32 v5, 0xffff0000, v6
	v_and_b32_e32 v57, 0xffff0000, v7
	v_lshlrev_b32_e32 v4, 16, v6
	v_lshlrev_b32_e32 v56, 16, v7
	;; [unrolled: 4-line block ×4, first 2 shown]
	s_add_i32 s1, s1, 8
	s_add_i32 s0, s0, -1
	s_add_i32 s96, s96, s8
	s_add_i32 s92, s92, s5
	v_pk_fma_f32 v[36:37], v[10:11], v[46:47], v[36:37]
	v_pk_fma_f32 v[38:39], v[8:9], v[44:45], v[38:39]
	;; [unrolled: 1-line block ×7, first 2 shown]
	s_cmp_eq_u32 s0, 0
	v_pk_fma_f32 v[26:27], v[48:49], v[0:1], v[26:27]
	v_readlane_b32 s6, v95, 11
	v_readlane_b32 s7, v95, 12
	;; [unrolled: 1-line block ×5, first 2 shown]
	s_cbranch_scc1 .LBB22_199
.LBB22_110:                             ;   Parent Loop BB22_13 Depth=1
                                        ; =>  This Inner Loop Header: Depth=2
	s_lshl_b64 s[84:85], s[92:93], 2
	s_add_u32 s84, s99, s84
	v_readlane_b32 s4, v95, 6
	s_addc_u32 s85, s4, s85
	global_load_dword v44, v17, s[84:85]
	s_mov_b32 s97, s93
	v_lshl_add_u64 v[0:1], s[96:97], 1, v[40:41]
	v_mov_b32_e32 v2, 0
	v_mov_b32_e32 v3, 0
	s_and_saveexec_b64 s[84:85], s[18:19]
	s_cbranch_execz .LBB22_112
; %bb.111:                              ;   in Loop: Header=BB22_110 Depth=2
	global_load_ushort v3, v[0:1], off
.LBB22_112:                             ;   in Loop: Header=BB22_110 Depth=2
	s_or_b64 exec, exec, s[84:85]
	s_and_saveexec_b64 s[84:85], s[20:21]
	s_cbranch_execz .LBB22_114
; %bb.113:                              ;   in Loop: Header=BB22_110 Depth=2
	global_load_ushort v2, v[0:1], off offset:128
.LBB22_114:                             ;   in Loop: Header=BB22_110 Depth=2
	s_or_b64 exec, exec, s[84:85]
	v_mov_b32_e32 v4, 0
	v_mov_b32_e32 v5, 0
	s_and_saveexec_b64 s[84:85], s[22:23]
	s_cbranch_execz .LBB22_116
; %bb.115:                              ;   in Loop: Header=BB22_110 Depth=2
	global_load_ushort v5, v[0:1], off offset:256
.LBB22_116:                             ;   in Loop: Header=BB22_110 Depth=2
	s_or_b64 exec, exec, s[84:85]
	s_and_saveexec_b64 s[84:85], s[24:25]
	s_cbranch_execz .LBB22_118
; %bb.117:                              ;   in Loop: Header=BB22_110 Depth=2
	global_load_ushort v4, v[0:1], off offset:384
.LBB22_118:                             ;   in Loop: Header=BB22_110 Depth=2
	s_or_b64 exec, exec, s[84:85]
	v_mov_b32_e32 v6, 0
	v_mov_b32_e32 v7, 0
	s_and_saveexec_b64 s[84:85], s[26:27]
	s_cbranch_execz .LBB22_120
; %bb.119:                              ;   in Loop: Header=BB22_110 Depth=2
	global_load_ushort v7, v[0:1], off offset:512
.LBB22_120:                             ;   in Loop: Header=BB22_110 Depth=2
	;; [unrolled: 14-line block ×7, first 2 shown]
	s_or_b64 exec, exec, s[84:85]
	s_and_saveexec_b64 s[84:85], s[50:51]
	s_cbranch_execz .LBB22_142
; %bb.141:                              ;   in Loop: Header=BB22_110 Depth=2
	global_load_ushort v16, v[0:1], off offset:1920
.LBB22_142:                             ;   in Loop: Header=BB22_110 Depth=2
	s_or_b64 exec, exec, s[84:85]
	scratch_load_dword v0, off, off offset:4 ; 4-byte Folded Reload
	s_mov_b32 s95, s93
	s_waitcnt vmcnt(0)
	ds_write_b16 v0, v3
	scratch_load_dword v0, off, off offset:8 ; 4-byte Folded Reload
	v_mov_b32_e32 v3, 0
	s_waitcnt vmcnt(0)
	ds_write_b16 v0, v2 offset:128
	scratch_load_dword v0, off, off offset:12 ; 4-byte Folded Reload
	v_mov_b32_e32 v2, 0
	s_waitcnt vmcnt(0)
	ds_write_b16 v0, v5 offset:256
	scratch_load_dword v0, off, off offset:16 ; 4-byte Folded Reload
	s_waitcnt vmcnt(0)
	ds_write_b16 v0, v4 offset:384
	scratch_load_dword v0, off, off offset:20 ; 4-byte Folded Reload
	;; [unrolled: 3-line block ×13, first 2 shown]
	s_waitcnt vmcnt(0)
	ds_write_b16 v0, v16 offset:1920
	; wave barrier
	scratch_load_dword v0, off, off         ; 4-byte Folded Reload
	s_waitcnt vmcnt(0)
	ds_read_b128 v[12:15], v0
	ds_read_b128 v[8:11], v0 offset:16
	v_lshl_add_u64 v[0:1], s[94:95], 1, v[42:43]
	s_and_saveexec_b64 s[84:85], s[18:19]
	s_cbranch_execz .LBB22_144
; %bb.143:                              ;   in Loop: Header=BB22_110 Depth=2
	global_load_ushort v3, v[0:1], off
.LBB22_144:                             ;   in Loop: Header=BB22_110 Depth=2
	s_or_b64 exec, exec, s[84:85]
	s_and_saveexec_b64 s[84:85], s[20:21]
	s_cbranch_execz .LBB22_146
; %bb.145:                              ;   in Loop: Header=BB22_110 Depth=2
	global_load_ushort v2, v[0:1], off offset:128
.LBB22_146:                             ;   in Loop: Header=BB22_110 Depth=2
	s_or_b64 exec, exec, s[84:85]
	v_mov_b32_e32 v4, 0
	v_mov_b32_e32 v5, 0
	s_and_saveexec_b64 s[84:85], s[22:23]
	s_cbranch_execz .LBB22_148
; %bb.147:                              ;   in Loop: Header=BB22_110 Depth=2
	global_load_ushort v5, v[0:1], off offset:256
.LBB22_148:                             ;   in Loop: Header=BB22_110 Depth=2
	s_or_b64 exec, exec, s[84:85]
	s_and_saveexec_b64 s[84:85], s[24:25]
	s_cbranch_execz .LBB22_150
; %bb.149:                              ;   in Loop: Header=BB22_110 Depth=2
	global_load_ushort v4, v[0:1], off offset:384
.LBB22_150:                             ;   in Loop: Header=BB22_110 Depth=2
	s_or_b64 exec, exec, s[84:85]
	v_mov_b32_e32 v6, 0
	v_mov_b32_e32 v7, 0
	s_and_saveexec_b64 s[84:85], s[26:27]
	s_cbranch_execz .LBB22_152
; %bb.151:                              ;   in Loop: Header=BB22_110 Depth=2
	global_load_ushort v7, v[0:1], off offset:512
.LBB22_152:                             ;   in Loop: Header=BB22_110 Depth=2
	s_or_b64 exec, exec, s[84:85]
	s_and_saveexec_b64 s[84:85], s[28:29]
	s_cbranch_execz .LBB22_154
; %bb.153:                              ;   in Loop: Header=BB22_110 Depth=2
	global_load_ushort v6, v[0:1], off offset:640
.LBB22_154:                             ;   in Loop: Header=BB22_110 Depth=2
	s_or_b64 exec, exec, s[84:85]
	v_mov_b32_e32 v16, 0
	v_mov_b32_e32 v22, 0
	s_and_saveexec_b64 s[84:85], s[30:31]
	s_cbranch_execz .LBB22_156
; %bb.155:                              ;   in Loop: Header=BB22_110 Depth=2
	global_load_ushort v22, v[0:1], off offset:768
.LBB22_156:                             ;   in Loop: Header=BB22_110 Depth=2
	s_or_b64 exec, exec, s[84:85]
	s_and_saveexec_b64 s[84:85], s[34:35]
	s_cbranch_execz .LBB22_158
; %bb.157:                              ;   in Loop: Header=BB22_110 Depth=2
	global_load_ushort v16, v[0:1], off offset:896
.LBB22_158:                             ;   in Loop: Header=BB22_110 Depth=2
	s_or_b64 exec, exec, s[84:85]
	v_mov_b32_e32 v45, 0
	v_mov_b32_e32 v46, 0
	s_and_saveexec_b64 s[84:85], s[36:37]
	s_cbranch_execz .LBB22_160
; %bb.159:                              ;   in Loop: Header=BB22_110 Depth=2
	global_load_ushort v46, v[0:1], off offset:1024
.LBB22_160:                             ;   in Loop: Header=BB22_110 Depth=2
	s_or_b64 exec, exec, s[84:85]
	s_and_saveexec_b64 s[84:85], s[38:39]
	s_cbranch_execz .LBB22_162
; %bb.161:                              ;   in Loop: Header=BB22_110 Depth=2
	global_load_ushort v45, v[0:1], off offset:1152
.LBB22_162:                             ;   in Loop: Header=BB22_110 Depth=2
	s_or_b64 exec, exec, s[84:85]
	v_mov_b32_e32 v47, 0
	v_mov_b32_e32 v20, 0
	s_and_saveexec_b64 s[84:85], s[40:41]
	s_cbranch_execz .LBB22_164
; %bb.163:                              ;   in Loop: Header=BB22_110 Depth=2
	global_load_ushort v20, v[0:1], off offset:1280
.LBB22_164:                             ;   in Loop: Header=BB22_110 Depth=2
	s_or_b64 exec, exec, s[84:85]
	s_and_saveexec_b64 s[84:85], s[42:43]
	s_cbranch_execz .LBB22_166
; %bb.165:                              ;   in Loop: Header=BB22_110 Depth=2
	global_load_ushort v47, v[0:1], off offset:1408
.LBB22_166:                             ;   in Loop: Header=BB22_110 Depth=2
	s_or_b64 exec, exec, s[84:85]
	v_mov_b32_e32 v48, 0
	v_mov_b32_e32 v49, 0
	s_and_saveexec_b64 s[84:85], s[44:45]
	s_cbranch_execz .LBB22_168
; %bb.167:                              ;   in Loop: Header=BB22_110 Depth=2
	global_load_ushort v49, v[0:1], off offset:1536
.LBB22_168:                             ;   in Loop: Header=BB22_110 Depth=2
	s_or_b64 exec, exec, s[84:85]
	s_and_saveexec_b64 s[84:85], s[46:47]
	s_cbranch_execz .LBB22_170
; %bb.169:                              ;   in Loop: Header=BB22_110 Depth=2
	global_load_ushort v48, v[0:1], off offset:1664
.LBB22_170:                             ;   in Loop: Header=BB22_110 Depth=2
	s_or_b64 exec, exec, s[84:85]
	v_mov_b32_e32 v50, 0
	v_mov_b32_e32 v51, 0
	s_and_saveexec_b64 s[84:85], s[48:49]
	s_cbranch_execz .LBB22_172
; %bb.171:                              ;   in Loop: Header=BB22_110 Depth=2
	global_load_ushort v51, v[0:1], off offset:1792
.LBB22_172:                             ;   in Loop: Header=BB22_110 Depth=2
	s_or_b64 exec, exec, s[84:85]
	s_and_saveexec_b64 s[84:85], s[50:51]
	s_cbranch_execz .LBB22_174
; %bb.173:                              ;   in Loop: Header=BB22_110 Depth=2
	global_load_ushort v50, v[0:1], off offset:1920
.LBB22_174:                             ;   in Loop: Header=BB22_110 Depth=2
	s_or_b64 exec, exec, s[84:85]
	scratch_load_dword v0, off, off offset:4 ; 4-byte Folded Reload
	s_andn2_b64 vcc, exec, s[86:87]
	s_waitcnt vmcnt(0)
	ds_write_b16 v0, v3 offset:2112
	scratch_load_dword v0, off, off offset:100 ; 4-byte Folded Reload
	s_waitcnt vmcnt(0)
	ds_write_b16 v0, v2 offset:128
	scratch_load_dword v0, off, off offset:104 ; 4-byte Folded Reload
	;; [unrolled: 3-line block ×15, first 2 shown]
	s_waitcnt vmcnt(0)
	ds_write_b16 v0, v50 offset:1920
	; wave barrier
	scratch_load_dword v0, off, off         ; 4-byte Folded Reload
	s_waitcnt vmcnt(0)
	ds_read_b128 v[4:7], v0 offset:2112
	scratch_load_dword v0, off, off offset:160 ; 4-byte Folded Reload
	s_waitcnt vmcnt(0)
	ds_read_b128 v[0:3], v0 offset:16
	s_cbranch_vccnz .LBB22_176
; %bb.175:                              ;   in Loop: Header=BB22_110 Depth=2
	v_mov_b32_e32 v16, s1
	ds_read_b64 v[46:47], v16
	s_waitcnt lgkmcnt(0)
	v_mov_b32_e32 v45, v47
	s_cbranch_execz .LBB22_177
	s_branch .LBB22_180
.LBB22_176:                             ;   in Loop: Header=BB22_110 Depth=2
                                        ; implicit-def: $vgpr46
                                        ; implicit-def: $vgpr45
.LBB22_177:                             ;   in Loop: Header=BB22_110 Depth=2
	v_readlane_b32 s84, v95, 0
	v_readlane_b32 s85, v95, 1
	s_andn2_b64 vcc, exec, s[84:85]
	v_mov_b32_e32 v45, 0
	s_cbranch_vccnz .LBB22_179
; %bb.178:                              ;   in Loop: Header=BB22_110 Depth=2
	s_mov_b32 s99, s93
	s_lshl_b64 s[84:85], s[98:99], 1
	v_readlane_b32 s4, v95, 27
	s_add_u32 s84, s4, s84
	v_readlane_b32 s4, v95, 28
	s_addc_u32 s85, s4, s85
	global_load_ushort v16, v17, s[84:85]
	v_readlane_b32 s99, v95, 48
	s_waitcnt vmcnt(0)
	v_lshlrev_b32_e32 v45, 16, v16
.LBB22_179:                             ;   in Loop: Header=BB22_110 Depth=2
	v_mov_b32_e32 v46, 1.0
.LBB22_180:                             ;   in Loop: Header=BB22_110 Depth=2
	v_mul_f32_e32 v44, 0x3fb8aa3b, v44
	s_waitcnt lgkmcnt(14)
	v_lshlrev_b32_e32 v49, 16, v8
	v_and_b32_e32 v51, 0xffff0000, v8
	v_mul_f32_e32 v8, v44, v21
	v_cmp_gt_f32_e32 vcc, s33, v8
	v_lshlrev_b32_e32 v54, 16, v10
	v_and_b32_e32 v55, 0xffff0000, v10
	v_cndmask_b32_e32 v8, 0, v72, vcc
	v_mul_f32_e32 v10, v44, v18
	v_lshlrev_b32_e32 v52, 16, v9
	v_and_b32_e32 v53, 0xffff0000, v9
	v_fmac_f32_e32 v8, v44, v21
	v_cndmask_b32_e32 v9, 1.0, v19, vcc
	v_cmp_gt_f32_e32 vcc, s33, v10
	v_exp_f32_e32 v8, v8
	v_lshlrev_b32_e32 v56, 16, v11
	v_cndmask_b32_e32 v10, 0, v72, vcc
	v_fmac_f32_e32 v10, v44, v18
	v_exp_f32_e32 v10, v10
	v_and_b32_e32 v47, 0xffff0000, v11
	v_mul_f32_e32 v9, v8, v9
	v_mul_f32_e32 v11, v44, v70
	v_lshlrev_b32_e32 v16, 16, v12
	v_and_b32_e32 v12, 0xffff0000, v12
	v_cndmask_b32_e64 v83, 1.0, v9, s[52:53]
	v_cndmask_b32_e32 v9, 1.0, v19, vcc
	v_cmp_gt_f32_e32 vcc, s33, v11
	v_mul_f32_e32 v10, v10, v9
	v_mul_f32_e32 v9, v81, v12
	v_cndmask_b32_e32 v11, 0, v72, vcc
	v_mul_f32_e32 v12, v44, v71
	v_fmac_f32_e32 v11, v44, v70
	v_cndmask_b32_e64 v84, 1.0, v10, s[54:55]
	v_cndmask_b32_e32 v10, 1.0, v19, vcc
	v_cmp_gt_f32_e32 vcc, s33, v12
	v_exp_f32_e32 v11, v11
	v_lshlrev_b32_e32 v20, 16, v13
	v_cndmask_b32_e32 v12, 0, v72, vcc
	v_fmac_f32_e32 v12, v44, v71
	v_exp_f32_e32 v12, v12
	v_mul_f32_e32 v11, v11, v10
	v_and_b32_e32 v13, 0xffff0000, v13
	v_cndmask_b32_e64 v85, 1.0, v11, s[56:57]
	v_cndmask_b32_e32 v11, 1.0, v19, vcc
	v_mul_f32_e32 v12, v12, v11
	v_mul_f32_e32 v11, v79, v13
	;; [unrolled: 1-line block ×3, first 2 shown]
	v_cmp_gt_f32_e32 vcc, s33, v13
	v_mul_f32_e32 v8, v82, v16
	v_mul_f32_e32 v16, v44, v91
	v_cndmask_b32_e32 v13, 0, v72, vcc
	v_fmac_f32_e32 v13, v44, v90
	v_cndmask_b32_e64 v86, 1.0, v12, s[58:59]
	v_cndmask_b32_e32 v12, 1.0, v19, vcc
	v_cmp_gt_f32_e32 vcc, s33, v16
	v_exp_f32_e32 v13, v13
	v_lshlrev_b32_e32 v22, 16, v14
	v_cndmask_b32_e32 v16, 0, v72, vcc
	v_fmac_f32_e32 v16, v44, v91
	v_exp_f32_e32 v16, v16
	v_mul_f32_e32 v13, v13, v12
	v_and_b32_e32 v14, 0xffff0000, v14
	v_cndmask_b32_e64 v87, 1.0, v13, s[60:61]
	v_cndmask_b32_e32 v13, 1.0, v19, vcc
	v_mul_f32_e32 v16, v16, v13
	v_mul_f32_e32 v13, v77, v14
	;; [unrolled: 1-line block ×3, first 2 shown]
	v_cmp_gt_f32_e32 vcc, s33, v14
	v_mul_f32_e32 v10, v80, v20
	v_mul_f32_e32 v20, v44, v93
	v_cndmask_b32_e32 v14, 0, v72, vcc
	v_fmac_f32_e32 v14, v44, v92
	v_cndmask_b32_e64 v88, 1.0, v16, s[62:63]
	v_cndmask_b32_e32 v16, 1.0, v19, vcc
	v_cmp_gt_f32_e32 vcc, s33, v20
	v_exp_f32_e32 v14, v14
	v_mul_f32_e32 v12, v78, v22
	v_cndmask_b32_e32 v20, 0, v72, vcc
	v_fmac_f32_e32 v20, v44, v93
	v_exp_f32_e32 v20, v20
	v_mul_f32_e32 v16, v14, v16
	v_cndmask_b32_e64 v69, 1.0, v16, s[64:65]
	v_cndmask_b32_e32 v16, 1.0, v19, vcc
	v_mul_f32_e32 v16, v20, v16
	v_mul_f32_e32 v20, v44, v94
	v_cmp_gt_f32_e32 vcc, s33, v20
	v_cndmask_b32_e64 v73, 1.0, v16, s[66:67]
	v_mul_f32_e32 v22, v44, v58
	v_cndmask_b32_e32 v20, 0, v72, vcc
	v_fmac_f32_e32 v20, v44, v94
	v_exp_f32_e32 v20, v20
	v_cndmask_b32_e32 v16, 1.0, v19, vcc
	v_cmp_gt_f32_e32 vcc, s33, v22
	v_lshlrev_b32_e32 v48, 16, v15
	v_mul_f32_e32 v16, v20, v16
	scratch_load_dword v20, off, off offset:96 ; 4-byte Folded Reload
	v_cndmask_b32_e32 v22, 0, v72, vcc
	v_fmac_f32_e32 v22, v44, v58
	v_mul_f32_e32 v14, v76, v48
	v_exp_f32_e32 v48, v22
	v_cndmask_b32_e64 v22, 1.0, v16, s[68:69]
	v_cndmask_b32_e32 v16, 1.0, v19, vcc
	v_cndmask_b32_e64 v8, 0, v8, s[52:53]
	v_mul_f32_e32 v16, v48, v16
	v_mul_f32_e32 v48, v44, v59
	v_cmp_gt_f32_e32 vcc, s33, v48
	v_cndmask_b32_e64 v89, 1.0, v16, s[70:71]
	v_cndmask_b32_e64 v9, 0, v9, s[54:55]
	v_cndmask_b32_e32 v48, 0, v72, vcc
	v_fmac_f32_e32 v48, v44, v59
	v_exp_f32_e32 v48, v48
	v_cndmask_b32_e32 v16, 1.0, v19, vcc
	v_cndmask_b32_e64 v10, 0, v10, s[56:57]
	v_cndmask_b32_e64 v11, 0, v11, s[58:59]
	v_mul_f32_e32 v16, v48, v16
	v_mul_f32_e32 v48, v44, v60
	v_cmp_gt_f32_e32 vcc, s33, v48
	v_cndmask_b32_e64 v64, 1.0, v16, s[72:73]
	v_cndmask_b32_e64 v12, 0, v12, s[60:61]
	v_cndmask_b32_e32 v48, 0, v72, vcc
	v_fmac_f32_e32 v48, v44, v60
	v_exp_f32_e32 v48, v48
	v_cndmask_b32_e32 v16, 1.0, v19, vcc
	v_and_b32_e32 v15, 0xffff0000, v15
	v_cndmask_b32_e64 v13, 0, v13, s[62:63]
	v_mul_f32_e32 v16, v48, v16
	v_mul_f32_e32 v48, v44, v61
	v_cmp_gt_f32_e32 vcc, s33, v48
	v_cndmask_b32_e64 v14, 0, v14, s[64:65]
	v_mul_f32_e32 v15, v75, v15
	v_cndmask_b32_e32 v48, 0, v72, vcc
	v_fmac_f32_e32 v48, v44, v61
	v_exp_f32_e32 v48, v48
	v_cndmask_b32_e64 v15, 0, v15, s[66:67]
	v_cndmask_b32_e64 v16, 1.0, v16, s[74:75]
	v_readlane_b32 s4, v95, 35
	v_readlane_b32 s5, v95, 36
	s_waitcnt vmcnt(0)
	v_mul_f32_e32 v20, v20, v49
	v_cndmask_b32_e64 v50, 0, v20, s[68:69]
	scratch_load_dword v20, off, off offset:92 ; 4-byte Folded Reload
	v_mul_f32_e32 v49, v44, v62
	s_waitcnt vmcnt(0)
	v_mul_f32_e32 v20, v20, v51
	v_cndmask_b32_e64 v51, 0, v20, s[70:71]
	scratch_load_dword v20, off, off offset:88 ; 4-byte Folded Reload
	s_waitcnt vmcnt(0)
	v_mul_f32_e32 v20, v20, v52
	v_cndmask_b32_e64 v52, 0, v20, s[72:73]
	scratch_load_dword v20, off, off offset:84 ; 4-byte Folded Reload
	s_waitcnt vmcnt(0)
	v_mul_f32_e32 v20, v20, v53
	v_cndmask_b32_e64 v53, 0, v20, s[74:75]
	v_cndmask_b32_e32 v20, 1.0, v19, vcc
	v_mul_f32_e32 v20, v48, v20
	scratch_load_dword v48, off, off offset:80 ; 4-byte Folded Reload
	v_cmp_gt_f32_e32 vcc, s33, v49
	v_cndmask_b32_e64 v65, 1.0, v20, s[76:77]
	s_nop 0
	v_cndmask_b32_e32 v49, 0, v72, vcc
	v_fmac_f32_e32 v49, v44, v62
	v_exp_f32_e32 v49, v49
	v_cndmask_b32_e32 v20, 1.0, v19, vcc
	v_mul_f32_e32 v20, v49, v20
	scratch_load_dword v49, off, off offset:76 ; 4-byte Folded Reload
	v_cndmask_b32_e64 v66, 1.0, v20, s[78:79]
	s_waitcnt vmcnt(1)
	v_mul_f32_e32 v48, v48, v54
	v_mul_f32_e32 v54, v44, v63
	v_cmp_gt_f32_e32 vcc, s33, v54
	v_cndmask_b32_e64 v48, 0, v48, s[76:77]
	s_nop 0
	v_cndmask_b32_e32 v54, 0, v72, vcc
	v_fmac_f32_e32 v54, v44, v63
	v_exp_f32_e32 v54, v54
	v_cndmask_b32_e32 v20, 1.0, v19, vcc
	v_mul_f32_e32 v20, v54, v20
	scratch_load_dword v54, off, off offset:72 ; 4-byte Folded Reload
	s_waitcnt vmcnt(1)
	v_mul_f32_e32 v49, v49, v55
	v_mul_f32_e32 v55, v44, v23
	v_cmp_gt_f32_e32 vcc, s33, v55
	v_cndmask_b32_e64 v67, 1.0, v20, s[80:81]
	v_cndmask_b32_e64 v49, 0, v49, s[78:79]
	v_cndmask_b32_e32 v55, 0, v72, vcc
	v_fmac_f32_e32 v55, v44, v23
	v_exp_f32_e32 v44, v55
	v_cndmask_b32_e32 v20, 1.0, v19, vcc
	v_mul_f32_e32 v20, v44, v20
	scratch_load_dword v44, off, off offset:68 ; 4-byte Folded Reload
	v_cndmask_b32_e64 v68, 1.0, v20, s[82:83]
	v_mul_f32_e32 v20, v84, v83
	v_mul_f32_e32 v20, v20, v85
	;; [unrolled: 1-line block ×14, first 2 shown]
	s_waitcnt vmcnt(1)
	v_mul_f32_e32 v54, v54, v56
	v_cndmask_b32_e64 v54, 0, v54, s[80:81]
	s_waitcnt vmcnt(0)
	v_mul_f32_e32 v44, v44, v47
	v_cndmask_b32_e64 v55, 0, v44, s[82:83]
	v_fma_f32 v44, v84, v8, v9
	v_fma_f32 v44, v44, v85, v10
	;; [unrolled: 1-line block ×14, first 2 shown]
	v_mul_f32_e32 v47, v20, v68
	v_fma_f32 v44, v44, v68, v55
	s_nop 0
	v_mov_b32_dpp v56, v47 row_shr:1 row_mask:0xf bank_mask:0xf
	v_mov_b32_dpp v20, v44 row_shr:1 row_mask:0xf bank_mask:0xf
	s_and_saveexec_b64 s[84:85], s[4:5]
; %bb.181:                              ;   in Loop: Header=BB22_110 Depth=2
	v_mul_f32_e32 v56, v47, v56
	v_fmac_f32_e32 v44, v47, v20
	v_mov_b32_e32 v47, v56
; %bb.182:                              ;   in Loop: Header=BB22_110 Depth=2
	s_or_b64 exec, exec, s[84:85]
	v_readlane_b32 s4, v95, 37
	v_mov_b32_dpp v20, v47 row_shr:2 row_mask:0xf bank_mask:0xf
	v_mov_b32_dpp v56, v44 row_shr:2 row_mask:0xf bank_mask:0xf
	v_readlane_b32 s5, v95, 38
	s_and_saveexec_b64 s[84:85], s[4:5]
; %bb.183:                              ;   in Loop: Header=BB22_110 Depth=2
	v_fmac_f32_e32 v44, v47, v56
	v_mul_f32_e32 v47, v47, v20
; %bb.184:                              ;   in Loop: Header=BB22_110 Depth=2
	s_or_b64 exec, exec, s[84:85]
	s_nop 0
	v_mov_b32_dpp v20, v47 row_shr:4 row_mask:0xf bank_mask:0xf
	v_mov_b32_dpp v56, v44 row_shr:4 row_mask:0xf bank_mask:0xf
	s_and_saveexec_b64 s[84:85], s[2:3]
; %bb.185:                              ;   in Loop: Header=BB22_110 Depth=2
	v_fmac_f32_e32 v44, v47, v56
	v_mul_f32_e32 v47, v47, v20
; %bb.186:                              ;   in Loop: Header=BB22_110 Depth=2
	s_or_b64 exec, exec, s[84:85]
	v_readlane_b32 s4, v95, 39
	v_mov_b32_dpp v20, v47 row_shr:8 row_mask:0xf bank_mask:0xf
	v_mov_b32_dpp v56, v44 row_shr:8 row_mask:0xf bank_mask:0xf
	v_readlane_b32 s5, v95, 40
	s_and_saveexec_b64 s[84:85], s[4:5]
; %bb.187:                              ;   in Loop: Header=BB22_110 Depth=2
	v_fmac_f32_e32 v44, v47, v56
	v_mul_f32_e32 v47, v47, v20
; %bb.188:                              ;   in Loop: Header=BB22_110 Depth=2
	s_or_b64 exec, exec, s[84:85]
	v_readlane_b32 s4, v95, 41
	v_mov_b32_dpp v20, v47 row_bcast:15 row_mask:0xf bank_mask:0xf
	v_mov_b32_dpp v56, v44 row_bcast:15 row_mask:0xf bank_mask:0xf
	v_readlane_b32 s5, v95, 42
	s_and_saveexec_b64 s[84:85], s[4:5]
; %bb.189:                              ;   in Loop: Header=BB22_110 Depth=2
	v_fmac_f32_e32 v44, v47, v56
	v_mul_f32_e32 v47, v47, v20
; %bb.190:                              ;   in Loop: Header=BB22_110 Depth=2
	s_or_b64 exec, exec, s[84:85]
	s_nop 0
	v_mov_b32_dpp v20, v47 row_bcast:31 row_mask:0xf bank_mask:0xf
	v_mov_b32_dpp v56, v44 row_bcast:31 row_mask:0xf bank_mask:0xf
	v_mov_b32_e32 v57, v44
	v_mul_f32_e32 v20, v47, v20
	v_fmac_f32_e32 v57, v47, v56
	v_readlane_b32 s4, v95, 45
	v_cndmask_b32_e64 v56, v47, v20, s[12:13]
	v_cndmask_b32_e64 v57, v44, v57, s[12:13]
	v_readlane_b32 s5, v95, 46
	s_and_saveexec_b64 s[84:85], s[4:5]
	s_cbranch_execz .LBB22_192
; %bb.191:                              ;   in Loop: Header=BB22_110 Depth=2
	ds_write_b64 v17, v[56:57] offset:4224
.LBB22_192:                             ;   in Loop: Header=BB22_110 Depth=2
	s_or_b64 exec, exec, s[84:85]
	scratch_load_dword v44, off, off offset:164 ; 4-byte Folded Reload
	s_waitcnt lgkmcnt(0)
	; wave barrier
	s_waitcnt vmcnt(0) lgkmcnt(0)
	ds_bpermute_b32 v20, v44, v56
	ds_bpermute_b32 v74, v44, v57
	s_and_saveexec_b64 s[84:85], s[14:15]
	s_cbranch_execz .LBB22_196
; %bb.193:                              ;   in Loop: Header=BB22_110 Depth=2
	ds_read_b64 v[56:57], v17 offset:4224
	s_and_saveexec_b64 s[88:89], s[16:17]
	s_cbranch_execz .LBB22_195
; %bb.194:                              ;   in Loop: Header=BB22_110 Depth=2
	v_mov_b32_e32 v47, v45
	ds_write_b64 v17, v[46:47] offset:4224
.LBB22_195:                             ;   in Loop: Header=BB22_110 Depth=2
	s_or_b64 exec, exec, s[88:89]
	s_waitcnt lgkmcnt(0)
	v_mul_f32_e32 v47, v56, v45
	v_pk_add_f32 v[44:45], v[46:47], v[56:57]
	v_mul_f32_e32 v46, v46, v56
.LBB22_196:                             ;   in Loop: Header=BB22_110 Depth=2
	s_or_b64 exec, exec, s[84:85]
	s_waitcnt lgkmcnt(0)
	; wave barrier
	s_waitcnt lgkmcnt(0)
	ds_read_b32 v44, v17 offset:4228
	s_and_saveexec_b64 s[84:85], s[16:17]
	s_cbranch_execz .LBB22_109
; %bb.197:                              ;   in Loop: Header=BB22_110 Depth=2
	v_mov_b32_e32 v47, v45
	v_mov_b32_e32 v56, s1
	s_andn2_b64 vcc, exec, s[90:91]
	ds_write_b64 v56, v[46:47]
	s_cbranch_vccnz .LBB22_109
; %bb.198:                              ;   in Loop: Header=BB22_110 Depth=2
	v_bfe_u32 v46, v45, 16, 1
	s_movk_i32 s4, 0x7fff
	s_mov_b32 s99, s93
	v_add3_u32 v46, v45, v46, s4
	s_lshl_b64 s[88:89], s[98:99], 1
	v_readlane_b32 s4, v95, 27
	v_lshrrev_b32_e32 v46, 16, v46
	v_cmp_o_f32_e32 vcc, v45, v45
	v_mov_b32_e32 v45, 0x7fc0
	s_add_u32 s88, s4, s88
	v_readlane_b32 s4, v95, 28
	v_cndmask_b32_e32 v45, v45, v46, vcc
	v_readlane_b32 s99, v95, 48
	s_addc_u32 s89, s4, s89
	global_store_short v17, v45, s[88:89]
	s_branch .LBB22_109
.LBB22_199:                             ;   in Loop: Header=BB22_13 Depth=1
	scratch_load_dwordx2 v[42:43], off, off offset:168 ; 8-byte Folded Reload
	v_readlane_b32 s4, v95, 49
	v_readlane_b32 s5, v95, 50
	s_mov_b32 s6, 0x41a00000
	s_mov_b32 s7, 0x3fb8aa3b
	s_mov_b32 s8, 0xc2ce8ed0
	s_mov_b32 s9, 0x42b17218
	s_mov_b32 s10, 0x7f800000
	s_mov_b32 s11, 0x3f2aaaab
	s_mov_b32 s56, 0x3f317218
	s_mov_b32 s57, 0x33800000
	v_mov_b32_e32 v40, 0x3ecc95a3
	v_mov_b32_e32 v41, 0x7f800000
.LBB22_200:                             ;   in Loop: Header=BB22_13 Depth=1
	s_waitcnt lgkmcnt(0)
	; wave barrier
	scratch_load_dword v9, off, off         ; 4-byte Folded Reload
	v_bfe_u32 v0, v38, 16, 1
	s_movk_i32 s0, 0x7fff
	v_bfe_u32 v1, v39, 16, 1
	v_add3_u32 v0, v38, v0, s0
	v_bfe_u32 v2, v36, 16, 1
	v_add3_u32 v1, v39, v1, s0
	v_lshrrev_b32_e32 v0, 16, v0
	v_cmp_o_f32_e32 vcc, v38, v38
	v_mov_b32_e32 v10, 0x7fc0
	v_bfe_u32 v3, v37, 16, 1
	v_add3_u32 v2, v36, v2, s0
	v_lshrrev_b32_e32 v1, 16, v1
	v_cndmask_b32_e32 v0, v10, v0, vcc
	v_cmp_o_f32_e32 vcc, v39, v39
	v_add3_u32 v3, v37, v3, s0
	v_lshrrev_b32_e32 v2, 16, v2
	v_cndmask_b32_e32 v4, v10, v1, vcc
	v_cmp_o_f32_e32 vcc, v36, v36
	v_lshrrev_b32_e32 v3, 16, v3
	v_bfe_u32 v6, v32, 16, 1
	v_cndmask_b32_e32 v1, v10, v2, vcc
	v_cmp_o_f32_e32 vcc, v37, v37
	v_bfe_u32 v2, v34, 16, 1
	v_add3_u32 v2, v34, v2, s0
	v_cndmask_b32_e32 v5, v10, v3, vcc
	v_bfe_u32 v3, v35, 16, 1
	v_add3_u32 v3, v35, v3, s0
	v_lshrrev_b32_e32 v2, 16, v2
	v_cmp_o_f32_e32 vcc, v34, v34
	v_bfe_u32 v7, v33, 16, 1
	v_add3_u32 v6, v32, v6, s0
	v_lshrrev_b32_e32 v3, 16, v3
	v_cndmask_b32_e32 v2, v10, v2, vcc
	v_cmp_o_f32_e32 vcc, v35, v35
	v_add3_u32 v7, v33, v7, s0
	v_lshrrev_b32_e32 v6, 16, v6
	v_cndmask_b32_e32 v8, v10, v3, vcc
	v_cmp_o_f32_e32 vcc, v32, v32
	v_lshrrev_b32_e32 v7, 16, v7
	s_mov_b32 s1, 0x5040100
	v_cndmask_b32_e32 v3, v10, v6, vcc
	v_cmp_o_f32_e32 vcc, v33, v33
	v_perm_b32 v2, v8, v2, s1
	v_perm_b32 v1, v5, v1, s1
	v_cndmask_b32_e32 v6, v10, v7, vcc
	v_perm_b32 v3, v6, v3, s1
	v_perm_b32 v0, v4, v0, s1
	v_cmp_o_f32_e32 vcc, v30, v30
	v_bfe_u32 v6, v24, 16, 1
	v_bfe_u32 v7, v25, 16, 1
	v_add3_u32 v6, v24, v6, s0
	v_add3_u32 v7, v25, v7, s0
	v_lshrrev_b32_e32 v6, 16, v6
	v_lshrrev_b32_e32 v7, 16, v7
	s_waitcnt vmcnt(0)
	ds_write_b128 v9, v[0:3]
	v_bfe_u32 v0, v30, 16, 1
	v_bfe_u32 v1, v31, 16, 1
	v_add3_u32 v0, v30, v0, s0
	v_bfe_u32 v2, v28, 16, 1
	v_add3_u32 v1, v31, v1, s0
	v_lshrrev_b32_e32 v0, 16, v0
	v_bfe_u32 v3, v29, 16, 1
	v_add3_u32 v2, v28, v2, s0
	v_lshrrev_b32_e32 v1, 16, v1
	v_cndmask_b32_e32 v0, v10, v0, vcc
	v_cmp_o_f32_e32 vcc, v31, v31
	v_add3_u32 v3, v29, v3, s0
	v_lshrrev_b32_e32 v2, 16, v2
	v_cndmask_b32_e32 v4, v10, v1, vcc
	v_cmp_o_f32_e32 vcc, v28, v28
	v_lshrrev_b32_e32 v3, 16, v3
	v_perm_b32 v0, v4, v0, s1
	v_cndmask_b32_e32 v1, v10, v2, vcc
	v_cmp_o_f32_e32 vcc, v29, v29
	v_bfe_u32 v2, v26, 16, 1
	v_add3_u32 v2, v26, v2, s0
	v_cndmask_b32_e32 v5, v10, v3, vcc
	v_bfe_u32 v3, v27, 16, 1
	v_add3_u32 v3, v27, v3, s0
	v_lshrrev_b32_e32 v2, 16, v2
	v_cmp_o_f32_e32 vcc, v26, v26
	v_lshrrev_b32_e32 v3, 16, v3
	v_perm_b32 v1, v5, v1, s1
	v_cndmask_b32_e32 v2, v10, v2, vcc
	v_cmp_o_f32_e32 vcc, v27, v27
	s_nop 1
	v_cndmask_b32_e32 v8, v10, v3, vcc
	v_cmp_o_f32_e32 vcc, v24, v24
	v_perm_b32 v2, v8, v2, s1
	s_nop 0
	v_cndmask_b32_e32 v3, v10, v6, vcc
	v_cmp_o_f32_e32 vcc, v25, v25
	s_nop 1
	v_cndmask_b32_e32 v6, v10, v7, vcc
	v_perm_b32 v3, v6, v3, s1
	ds_write_b128 v9, v[0:3] offset:16
	; wave barrier
	scratch_load_dword v0, off, off offset:8 ; 4-byte Folded Reload
	v_readlane_b32 s0, v95, 52
	v_readlane_b32 s1, v95, 53
	s_mov_b32 s1, s93
	s_waitcnt vmcnt(0)
	ds_read_u16 v16, v0 offset:128
	scratch_load_dword v0, off, off offset:12 ; 4-byte Folded Reload
	s_waitcnt vmcnt(0)
	ds_read_u16 v15, v0 offset:256
	scratch_load_dword v0, off, off offset:16 ; 4-byte Folded Reload
	;; [unrolled: 3-line block ×14, first 2 shown]
	s_waitcnt vmcnt(0)
	ds_read_u16 v2, v0 offset:1920
	scratch_load_dwordx2 v[0:1], off, off offset:244 ; 8-byte Folded Reload
	s_waitcnt vmcnt(0)
	v_lshl_add_u64 v[0:1], s[0:1], 1, v[0:1]
	s_and_saveexec_b64 s[52:53], s[18:19]
	s_cbranch_execnz .LBB22_218
; %bb.201:                              ;   in Loop: Header=BB22_13 Depth=1
	s_or_b64 exec, exec, s[52:53]
	s_and_saveexec_b64 s[18:19], s[20:21]
	s_cbranch_execnz .LBB22_219
.LBB22_202:                             ;   in Loop: Header=BB22_13 Depth=1
	s_or_b64 exec, exec, s[18:19]
	s_and_saveexec_b64 s[18:19], s[22:23]
	s_cbranch_execnz .LBB22_220
.LBB22_203:                             ;   in Loop: Header=BB22_13 Depth=1
	s_or_b64 exec, exec, s[18:19]
	s_and_saveexec_b64 s[18:19], s[24:25]
	s_cbranch_execnz .LBB22_221
.LBB22_204:                             ;   in Loop: Header=BB22_13 Depth=1
	s_or_b64 exec, exec, s[18:19]
	s_and_saveexec_b64 s[18:19], s[26:27]
	s_cbranch_execnz .LBB22_222
.LBB22_205:                             ;   in Loop: Header=BB22_13 Depth=1
	s_or_b64 exec, exec, s[18:19]
	s_and_saveexec_b64 s[18:19], s[28:29]
	s_cbranch_execnz .LBB22_223
.LBB22_206:                             ;   in Loop: Header=BB22_13 Depth=1
	s_or_b64 exec, exec, s[18:19]
	s_and_saveexec_b64 s[18:19], s[30:31]
	s_cbranch_execnz .LBB22_224
.LBB22_207:                             ;   in Loop: Header=BB22_13 Depth=1
	s_or_b64 exec, exec, s[18:19]
	s_and_saveexec_b64 s[18:19], s[34:35]
	s_cbranch_execnz .LBB22_225
.LBB22_208:                             ;   in Loop: Header=BB22_13 Depth=1
	s_or_b64 exec, exec, s[18:19]
	s_and_saveexec_b64 s[18:19], s[36:37]
	s_cbranch_execnz .LBB22_226
.LBB22_209:                             ;   in Loop: Header=BB22_13 Depth=1
	s_or_b64 exec, exec, s[18:19]
	s_and_saveexec_b64 s[18:19], s[38:39]
	s_cbranch_execnz .LBB22_227
.LBB22_210:                             ;   in Loop: Header=BB22_13 Depth=1
	s_or_b64 exec, exec, s[18:19]
	s_and_saveexec_b64 s[18:19], s[40:41]
	s_cbranch_execnz .LBB22_228
.LBB22_211:                             ;   in Loop: Header=BB22_13 Depth=1
	s_or_b64 exec, exec, s[18:19]
	s_and_saveexec_b64 s[18:19], s[42:43]
	s_cbranch_execnz .LBB22_229
.LBB22_212:                             ;   in Loop: Header=BB22_13 Depth=1
	s_or_b64 exec, exec, s[18:19]
	s_and_saveexec_b64 s[18:19], s[44:45]
	s_cbranch_execnz .LBB22_230
.LBB22_213:                             ;   in Loop: Header=BB22_13 Depth=1
	s_or_b64 exec, exec, s[18:19]
	s_and_saveexec_b64 s[18:19], s[46:47]
	s_cbranch_execnz .LBB22_231
.LBB22_214:                             ;   in Loop: Header=BB22_13 Depth=1
	s_or_b64 exec, exec, s[18:19]
	s_and_saveexec_b64 s[18:19], s[48:49]
	s_cbranch_execnz .LBB22_232
.LBB22_215:                             ;   in Loop: Header=BB22_13 Depth=1
	s_or_b64 exec, exec, s[18:19]
	s_and_saveexec_b64 s[18:19], s[50:51]
	s_cbranch_execz .LBB22_12
	s_branch .LBB22_233
.LBB22_216:                             ;   in Loop: Header=BB22_13 Depth=1
	global_load_ushort v27, v[8:9], off offset:1664
	s_or_b64 exec, exec, s[52:53]
	s_and_saveexec_b64 s[52:53], s[48:49]
	s_cbranch_execz .LBB22_73
.LBB22_217:                             ;   in Loop: Header=BB22_13 Depth=1
	global_load_ushort v26, v[8:9], off offset:1792
	s_or_b64 exec, exec, s[52:53]
	v_mov_b32_e32 v28, 0
	s_and_saveexec_b64 s[52:53], s[50:51]
	s_cbranch_execnz .LBB22_74
	s_branch .LBB22_75
.LBB22_218:                             ;   in Loop: Header=BB22_13 Depth=1
	scratch_load_dword v18, off, off offset:4 ; 4-byte Folded Reload
	s_waitcnt vmcnt(0)
	ds_read_u16 v18, v18
	s_waitcnt lgkmcnt(0)
	global_store_short v[0:1], v18, off
	s_or_b64 exec, exec, s[52:53]
	s_and_saveexec_b64 s[18:19], s[20:21]
	s_cbranch_execz .LBB22_202
.LBB22_219:                             ;   in Loop: Header=BB22_13 Depth=1
	s_waitcnt lgkmcnt(14)
	global_store_short v[0:1], v16, off offset:128
	s_or_b64 exec, exec, s[18:19]
	s_and_saveexec_b64 s[18:19], s[22:23]
	s_cbranch_execz .LBB22_203
.LBB22_220:                             ;   in Loop: Header=BB22_13 Depth=1
	s_waitcnt lgkmcnt(13)
	global_store_short v[0:1], v15, off offset:256
	s_or_b64 exec, exec, s[18:19]
	s_and_saveexec_b64 s[18:19], s[24:25]
	s_cbranch_execz .LBB22_204
.LBB22_221:                             ;   in Loop: Header=BB22_13 Depth=1
	s_waitcnt lgkmcnt(12)
	global_store_short v[0:1], v14, off offset:384
	s_or_b64 exec, exec, s[18:19]
	s_and_saveexec_b64 s[18:19], s[26:27]
	s_cbranch_execz .LBB22_205
.LBB22_222:                             ;   in Loop: Header=BB22_13 Depth=1
	s_waitcnt lgkmcnt(11)
	global_store_short v[0:1], v13, off offset:512
	s_or_b64 exec, exec, s[18:19]
	s_and_saveexec_b64 s[18:19], s[28:29]
	s_cbranch_execz .LBB22_206
.LBB22_223:                             ;   in Loop: Header=BB22_13 Depth=1
	s_waitcnt lgkmcnt(10)
	global_store_short v[0:1], v12, off offset:640
	s_or_b64 exec, exec, s[18:19]
	s_and_saveexec_b64 s[18:19], s[30:31]
	s_cbranch_execz .LBB22_207
.LBB22_224:                             ;   in Loop: Header=BB22_13 Depth=1
	s_waitcnt lgkmcnt(9)
	global_store_short v[0:1], v11, off offset:768
	s_or_b64 exec, exec, s[18:19]
	s_and_saveexec_b64 s[18:19], s[34:35]
	s_cbranch_execz .LBB22_208
.LBB22_225:                             ;   in Loop: Header=BB22_13 Depth=1
	s_waitcnt lgkmcnt(8)
	global_store_short v[0:1], v10, off offset:896
	s_or_b64 exec, exec, s[18:19]
	s_and_saveexec_b64 s[18:19], s[36:37]
	s_cbranch_execz .LBB22_209
.LBB22_226:                             ;   in Loop: Header=BB22_13 Depth=1
	s_waitcnt lgkmcnt(7)
	global_store_short v[0:1], v9, off offset:1024
	s_or_b64 exec, exec, s[18:19]
	s_and_saveexec_b64 s[18:19], s[38:39]
	s_cbranch_execz .LBB22_210
.LBB22_227:                             ;   in Loop: Header=BB22_13 Depth=1
	s_waitcnt lgkmcnt(6)
	global_store_short v[0:1], v8, off offset:1152
	s_or_b64 exec, exec, s[18:19]
	s_and_saveexec_b64 s[18:19], s[40:41]
	s_cbranch_execz .LBB22_211
.LBB22_228:                             ;   in Loop: Header=BB22_13 Depth=1
	s_waitcnt lgkmcnt(5)
	global_store_short v[0:1], v7, off offset:1280
	s_or_b64 exec, exec, s[18:19]
	s_and_saveexec_b64 s[18:19], s[42:43]
	s_cbranch_execz .LBB22_212
.LBB22_229:                             ;   in Loop: Header=BB22_13 Depth=1
	s_waitcnt lgkmcnt(4)
	global_store_short v[0:1], v6, off offset:1408
	s_or_b64 exec, exec, s[18:19]
	s_and_saveexec_b64 s[18:19], s[44:45]
	s_cbranch_execz .LBB22_213
.LBB22_230:                             ;   in Loop: Header=BB22_13 Depth=1
	s_waitcnt lgkmcnt(3)
	global_store_short v[0:1], v5, off offset:1536
	s_or_b64 exec, exec, s[18:19]
	s_and_saveexec_b64 s[18:19], s[46:47]
	s_cbranch_execz .LBB22_214
.LBB22_231:                             ;   in Loop: Header=BB22_13 Depth=1
	s_waitcnt lgkmcnt(2)
	global_store_short v[0:1], v4, off offset:1664
	s_or_b64 exec, exec, s[18:19]
	s_and_saveexec_b64 s[18:19], s[48:49]
	s_cbranch_execz .LBB22_215
.LBB22_232:                             ;   in Loop: Header=BB22_13 Depth=1
	s_waitcnt lgkmcnt(1)
	global_store_short v[0:1], v3, off offset:1792
	s_or_b64 exec, exec, s[18:19]
	s_and_saveexec_b64 s[18:19], s[50:51]
	s_cbranch_execz .LBB22_12
.LBB22_233:                             ;   in Loop: Header=BB22_13 Depth=1
	s_waitcnt lgkmcnt(0)
	global_store_short v[0:1], v2, off offset:1920
	s_branch .LBB22_12
.LBB22_234:
	s_endpgm
	.section	.rodata,"a",@progbits
	.p2align	6, 0x0
	.amdhsa_kernel _Z25selective_scan_fwd_kernelI32Selective_Scan_fwd_kernel_traitsILi64ELi16ELi1ELb0ELb1ELb1ELb0ELb1EN3c108BFloat16EfS2_EEv13SSMParamsBase
		.amdhsa_group_segment_fixed_size 0
		.amdhsa_private_segment_fixed_size 320
		.amdhsa_kernarg_size 248
		.amdhsa_user_sgpr_count 2
		.amdhsa_user_sgpr_dispatch_ptr 0
		.amdhsa_user_sgpr_queue_ptr 0
		.amdhsa_user_sgpr_kernarg_segment_ptr 1
		.amdhsa_user_sgpr_dispatch_id 0
		.amdhsa_user_sgpr_kernarg_preload_length 0
		.amdhsa_user_sgpr_kernarg_preload_offset 0
		.amdhsa_user_sgpr_private_segment_size 0
		.amdhsa_uses_dynamic_stack 0
		.amdhsa_enable_private_segment 1
		.amdhsa_system_sgpr_workgroup_id_x 1
		.amdhsa_system_sgpr_workgroup_id_y 1
		.amdhsa_system_sgpr_workgroup_id_z 0
		.amdhsa_system_sgpr_workgroup_info 0
		.amdhsa_system_vgpr_workitem_id 0
		.amdhsa_next_free_vgpr 96
		.amdhsa_next_free_sgpr 100
		.amdhsa_accum_offset 96
		.amdhsa_reserve_vcc 1
		.amdhsa_float_round_mode_32 0
		.amdhsa_float_round_mode_16_64 0
		.amdhsa_float_denorm_mode_32 3
		.amdhsa_float_denorm_mode_16_64 3
		.amdhsa_dx10_clamp 1
		.amdhsa_ieee_mode 1
		.amdhsa_fp16_overflow 0
		.amdhsa_tg_split 0
		.amdhsa_exception_fp_ieee_invalid_op 0
		.amdhsa_exception_fp_denorm_src 0
		.amdhsa_exception_fp_ieee_div_zero 0
		.amdhsa_exception_fp_ieee_overflow 0
		.amdhsa_exception_fp_ieee_underflow 0
		.amdhsa_exception_fp_ieee_inexact 0
		.amdhsa_exception_int_div_zero 0
	.end_amdhsa_kernel
	.section	.text._Z25selective_scan_fwd_kernelI32Selective_Scan_fwd_kernel_traitsILi64ELi16ELi1ELb0ELb1ELb1ELb0ELb1EN3c108BFloat16EfS2_EEv13SSMParamsBase,"axG",@progbits,_Z25selective_scan_fwd_kernelI32Selective_Scan_fwd_kernel_traitsILi64ELi16ELi1ELb0ELb1ELb1ELb0ELb1EN3c108BFloat16EfS2_EEv13SSMParamsBase,comdat
.Lfunc_end22:
	.size	_Z25selective_scan_fwd_kernelI32Selective_Scan_fwd_kernel_traitsILi64ELi16ELi1ELb0ELb1ELb1ELb0ELb1EN3c108BFloat16EfS2_EEv13SSMParamsBase, .Lfunc_end22-_Z25selective_scan_fwd_kernelI32Selective_Scan_fwd_kernel_traitsILi64ELi16ELi1ELb0ELb1ELb1ELb0ELb1EN3c108BFloat16EfS2_EEv13SSMParamsBase
                                        ; -- End function
	.section	.AMDGPU.csdata,"",@progbits
; Kernel info:
; codeLenInByte = 22296
; NumSgprs: 106
; NumVgprs: 96
; NumAgprs: 0
; TotalNumVgprs: 96
; ScratchSize: 320
; MemoryBound: 0
; FloatMode: 240
; IeeeMode: 1
; LDSByteSize: 0 bytes/workgroup (compile time only)
; SGPRBlocks: 13
; VGPRBlocks: 11
; NumSGPRsForWavesPerEU: 106
; NumVGPRsForWavesPerEU: 96
; AccumOffset: 96
; Occupancy: 5
; WaveLimiterHint : 1
; COMPUTE_PGM_RSRC2:SCRATCH_EN: 1
; COMPUTE_PGM_RSRC2:USER_SGPR: 2
; COMPUTE_PGM_RSRC2:TRAP_HANDLER: 0
; COMPUTE_PGM_RSRC2:TGID_X_EN: 1
; COMPUTE_PGM_RSRC2:TGID_Y_EN: 1
; COMPUTE_PGM_RSRC2:TGID_Z_EN: 0
; COMPUTE_PGM_RSRC2:TIDIG_COMP_CNT: 0
; COMPUTE_PGM_RSRC3_GFX90A:ACCUM_OFFSET: 23
; COMPUTE_PGM_RSRC3_GFX90A:TG_SPLIT: 0
	.section	.text._Z25selective_scan_fwd_kernelI32Selective_Scan_fwd_kernel_traitsILi64ELi16ELi1ELb0ELb1ELb1ELb0ELb0EN3c108BFloat16EfS2_EEv13SSMParamsBase,"axG",@progbits,_Z25selective_scan_fwd_kernelI32Selective_Scan_fwd_kernel_traitsILi64ELi16ELi1ELb0ELb1ELb1ELb0ELb0EN3c108BFloat16EfS2_EEv13SSMParamsBase,comdat
	.protected	_Z25selective_scan_fwd_kernelI32Selective_Scan_fwd_kernel_traitsILi64ELi16ELi1ELb0ELb1ELb1ELb0ELb0EN3c108BFloat16EfS2_EEv13SSMParamsBase ; -- Begin function _Z25selective_scan_fwd_kernelI32Selective_Scan_fwd_kernel_traitsILi64ELi16ELi1ELb0ELb1ELb1ELb0ELb0EN3c108BFloat16EfS2_EEv13SSMParamsBase
	.globl	_Z25selective_scan_fwd_kernelI32Selective_Scan_fwd_kernel_traitsILi64ELi16ELi1ELb0ELb1ELb1ELb0ELb0EN3c108BFloat16EfS2_EEv13SSMParamsBase
	.p2align	8
	.type	_Z25selective_scan_fwd_kernelI32Selective_Scan_fwd_kernel_traitsILi64ELi16ELi1ELb0ELb1ELb1ELb0ELb0EN3c108BFloat16EfS2_EEv13SSMParamsBase,@function
_Z25selective_scan_fwd_kernelI32Selective_Scan_fwd_kernel_traitsILi64ELi16ELi1ELb0ELb1ELb1ELb0ELb0EN3c108BFloat16EfS2_EEv13SSMParamsBase: ; @_Z25selective_scan_fwd_kernelI32Selective_Scan_fwd_kernel_traitsILi64ELi16ELi1ELb0ELb1ELb1ELb0ELb0EN3c108BFloat16EfS2_EEv13SSMParamsBase
; %bb.0:
	s_load_dword s27, s[0:1], 0x18
	s_load_dwordx4 s[4:7], s[0:1], 0xe8
	s_mov_b32 s20, s3
                                        ; implicit-def: $vgpr95 : SGPR spill to VGPR lane
	s_waitcnt lgkmcnt(0)
	s_abs_i32 s26, s27
	v_cvt_f32_u32_e32 v1, s26
	s_cmp_eq_u64 s[6:7], 0
	v_rcp_iflag_f32_e32 v1, v1
	s_nop 0
	v_mul_f32_e32 v1, 0x4f7ffffe, v1
	v_cvt_u32_f32_e32 v1, v1
	s_nop 0
	v_readfirstlane_b32 s22, v1
	s_cbranch_scc1 .LBB23_2
; %bb.1:
	s_ashr_i32 s3, s2, 31
	s_add_u32 s6, s6, s2
	s_addc_u32 s7, s7, s3
	v_mov_b32_e32 v1, 0
	global_load_ubyte v1, v1, s[6:7]
	s_waitcnt vmcnt(0)
	v_and_b32_e32 v1, 1, v1
	v_cmp_eq_u32_e64 s[6:7], 1, v1
	s_branch .LBB23_3
.LBB23_2:
	s_mov_b64 s[6:7], 0
.LBB23_3:
	s_nop 0
	v_writelane_b32 v95, s6, 0
	s_cmp_eq_u64 s[4:5], 0
	s_nop 0
	v_writelane_b32 v95, s7, 1
	s_load_dwordx2 s[6:7], s[0:1], 0x20
	s_cbranch_scc1 .LBB23_5
; %bb.4:
	s_ashr_i32 s3, s2, 31
	s_lshl_b64 s[8:9], s[2:3], 2
	s_add_u32 s4, s4, s8
	s_addc_u32 s5, s5, s9
	s_load_dword s24, s[4:5], 0x0
	s_waitcnt lgkmcnt(0)
	s_ashr_i32 s25, s24, 31
	s_cmp_eq_u64 s[6:7], s[24:25]
	s_cbranch_scc0 .LBB23_6
	s_branch .LBB23_234
.LBB23_5:
	s_mov_b32 s24, s2
	s_ashr_i32 s25, s24, 31
	s_waitcnt lgkmcnt(0)
	s_cmp_eq_u64 s[6:7], s[24:25]
	s_cbranch_scc1 .LBB23_234
.LBB23_6:
	s_load_dwordx16 s[4:19], s[0:1], 0x88
	s_load_dwordx2 s[30:31], s[0:1], 0x8
	s_mov_b32 s3, 0
	v_writelane_b32 v95, s3, 2
	v_writelane_b32 v95, s3, 3
	s_waitcnt lgkmcnt(0)
	s_cmp_eq_u64 s[10:11], 0
	s_cbranch_scc1 .LBB23_8
; %bb.7:
	s_ashr_i32 s21, s20, 31
	s_lshl_b64 s[28:29], s[20:21], 2
	s_add_u32 s10, s10, s28
	s_addc_u32 s11, s11, s29
	s_load_dword s3, s[10:11], 0x0
	s_waitcnt lgkmcnt(0)
	v_writelane_b32 v95, s3, 3
.LBB23_8:
	s_cmp_eq_u64 s[16:17], 0
	s_cbranch_scc1 .LBB23_10
; %bb.9:
	s_ashr_i32 s21, s20, 31
	s_lshl_b64 s[10:11], s[20:21], 2
	s_add_u32 s10, s16, s10
	s_addc_u32 s11, s17, s11
	s_load_dword s3, s[10:11], 0x0
	s_waitcnt lgkmcnt(0)
	v_writelane_b32 v95, s3, 2
.LBB23_10:
	s_cmp_lt_i32 s30, 1
	s_cbranch_scc1 .LBB23_234
; %bb.11:
	v_mbcnt_lo_u32_b32 v1, -1, 0
	v_mbcnt_hi_u32_b32 v20, -1, v1
	v_lshrrev_b32_e32 v1, 5, v20
	s_sub_i32 s3, 0, s26
	v_and_b32_e32 v1, 2, v1
	s_mul_i32 s3, s3, s22
	v_add_u32_e32 v1, v1, v20
	s_mul_hi_u32 s3, s22, s3
	v_add_u32_e32 v2, 64, v20
	v_lshl_add_u32 v1, v1, 1, 0
	s_load_dwordx8 s[36:43], s[0:1], 0x2c
	s_load_dwordx2 s[10:11], s[0:1], 0x5c
	s_load_dwordx4 s[44:47], s[0:1], 0x4c
	s_abs_i32 s21, s20
	s_add_i32 s3, s22, s3
	s_load_dwordx4 s[48:51], s[0:1], 0x7c
	s_load_dwordx2 s[22:23], s[0:1], 0x6c
	s_load_dwordx2 s[16:17], s[0:1], 0xc8
	scratch_store_dword off, v1, off offset:4 ; 4-byte Folded Spill
	scratch_store_dword off, v2, off offset:184 ; 4-byte Folded Spill
	v_lshrrev_b32_e32 v1, 5, v2
	s_mul_hi_u32 s3, s21, s3
	s_load_dword s25, s[0:1], 0x28
	s_ashr_i32 s0, s20, 31
	s_ashr_i32 s1, s27, 31
	v_and_b32_e32 v1, 6, v1
	s_xor_b32 s0, s0, s1
	s_mul_i32 s1, s3, s26
	v_add_lshl_u32 v1, v1, v20, 1
	s_sub_i32 s1, s21, s1
	v_or_b32_e32 v3, 0x80, v20
	v_add_u32_e32 v2, 0, v1
	s_add_i32 s21, s3, 1
	s_sub_i32 s27, s1, s26
	scratch_store_dword off, v2, off offset:8 ; 4-byte Folded Spill
	scratch_store_dword off, v3, off offset:188 ; 4-byte Folded Spill
	v_lshrrev_b32_e32 v2, 5, v3
	s_cmp_ge_u32 s1, s26
	v_and_b32_e32 v2, 6, v2
	s_cselect_b32 s3, s21, s3
	v_add_lshl_u32 v2, v2, v20, 1
	s_cselect_b32 s1, s27, s1
	s_add_i32 s21, s3, 1
	v_add_u32_e32 v4, 0xc0, v20
	v_add_u32_e32 v3, 0, v2
	s_cmp_ge_u32 s1, s26
	scratch_store_dword off, v3, off offset:12 ; 4-byte Folded Spill
	scratch_store_dword off, v4, off offset:192 ; 4-byte Folded Spill
	v_lshrrev_b32_e32 v3, 5, v4
	s_cselect_b32 s1, s21, s3
	v_and_b32_e32 v3, 14, v3
	s_xor_b32 s1, s1, s0
	s_waitcnt lgkmcnt(0)
	s_mul_i32 s88, s46, s2
	s_mov_b32 s89, 0
	v_add_lshl_u32 v3, v3, v20, 1
	s_sub_i32 s3, s1, s0
	s_lshl_b64 s[0:1], s[88:89], 1
	v_or_b32_e32 v5, 0x100, v20
	v_add_u32_e32 v4, 0, v3
	s_add_u32 s12, s12, s0
	s_mul_i32 s88, s47, s20
	scratch_store_dword off, v4, off offset:16 ; 4-byte Folded Spill
	scratch_store_dword off, v5, off offset:196 ; 4-byte Folded Spill
	v_lshrrev_b32_e32 v4, 5, v5
	s_addc_u32 s13, s13, s1
	s_lshl_b64 s[0:1], s[88:89], 1
	v_and_b32_e32 v4, 10, v4
	s_add_u32 s26, s12, s0
	s_mul_i32 s88, s10, s2
	v_add_lshl_u32 v4, v4, v20, 1
	s_addc_u32 s27, s13, s1
	s_lshl_b64 s[0:1], s[88:89], 1
	v_add_u32_e32 v6, 0x140, v20
	v_add_u32_e32 v5, 0, v4
	s_add_u32 s10, s14, s0
	s_mul_i32 s88, s11, s20
	scratch_store_dword off, v5, off offset:20 ; 4-byte Folded Spill
	scratch_store_dword off, v6, off offset:200 ; 4-byte Folded Spill
	v_lshrrev_b32_e32 v5, 5, v6
	s_addc_u32 s12, s15, s1
	s_lshl_b64 s[0:1], s[88:89], 1
	v_and_b32_e32 v5, 14, v5
	s_add_u32 s0, s10, s0
	v_add_lshl_u32 v5, v5, v20, 1
	s_addc_u32 s1, s12, s1
	v_or_b32_e32 v7, 0x180, v20
	v_add_u32_e32 v6, 0, v5
	v_writelane_b32 v95, s0, 4
	s_mul_i32 s88, s36, s20
	scratch_store_dword off, v6, off offset:24 ; 4-byte Folded Spill
	scratch_store_dword off, v7, off offset:204 ; 4-byte Folded Spill
	v_lshrrev_b32_e32 v6, 5, v7
	v_writelane_b32 v95, s1, 5
	s_lshl_b64 s[0:1], s[88:89], 2
	v_and_b32_e32 v6, 14, v6
	s_add_u32 s97, s4, s0
	v_add_lshl_u32 v6, v6, v20, 1
	s_addc_u32 s0, s5, s1
	s_mul_i32 s88, s38, s2
	v_add_u32_e32 v8, 0x1c0, v20
	v_add_u32_e32 v7, 0, v6
	v_writelane_b32 v95, s0, 6
	s_lshl_b64 s[0:1], s[88:89], 1
	scratch_store_dword off, v7, off offset:28 ; 4-byte Folded Spill
	scratch_store_dword off, v8, off offset:208 ; 4-byte Folded Spill
	v_lshrrev_b32_e32 v7, 5, v8
	s_add_u32 s4, s6, s0
	s_mul_i32 s88, s3, s41
	v_and_b32_e32 v7, 30, v7
	s_addc_u32 s5, s7, s1
	s_lshl_b64 s[0:1], s[88:89], 1
	v_add_lshl_u32 v7, v7, v20, 1
	s_add_u32 s0, s4, s0
	v_or_b32_e32 v9, 0x200, v20
	v_add_u32_e32 v8, 0, v7
	s_addc_u32 s1, s5, s1
	scratch_store_dword off, v8, off offset:32 ; 4-byte Folded Spill
	scratch_store_dword off, v9, off offset:212 ; 4-byte Folded Spill
	v_lshrrev_b32_e32 v8, 5, v9
	v_writelane_b32 v95, s0, 7
	v_and_b32_e32 v8, 18, v8
	v_add_lshl_u32 v8, v8, v20, 1
	v_writelane_b32 v95, s1, 8
	v_writelane_b32 v95, s36, 9
	v_add_u32_e32 v10, 0x240, v20
	v_add_u32_e32 v9, 0, v8
	v_writelane_b32 v95, s37, 10
	scratch_store_dword off, v9, off offset:36 ; 4-byte Folded Spill
	scratch_store_dword off, v10, off offset:216 ; 4-byte Folded Spill
	v_lshrrev_b32_e32 v9, 5, v10
	v_writelane_b32 v95, s38, 11
	v_and_b32_e32 v9, 22, v9
	v_writelane_b32 v95, s39, 12
	v_add_lshl_u32 v9, v9, v20, 1
	v_writelane_b32 v95, s40, 13
	v_or_b32_e32 v11, 0x280, v20
	v_add_u32_e32 v10, 0, v9
	v_writelane_b32 v95, s41, 14
	scratch_store_dword off, v10, off offset:40 ; 4-byte Folded Spill
	scratch_store_dword off, v11, off offset:220 ; 4-byte Folded Spill
	v_lshrrev_b32_e32 v10, 5, v11
	v_writelane_b32 v95, s42, 15
	s_mul_i32 s88, s42, s2
	v_and_b32_e32 v10, 22, v10
	v_writelane_b32 v95, s43, 16
	s_lshl_b64 s[0:1], s[88:89], 1
	v_add_lshl_u32 v10, v10, v20, 1
	s_add_u32 s4, s8, s0
	v_writelane_b32 v95, s44, 17
	s_mul_i32 s88, s3, s45
	v_add_u32_e32 v12, 0x2c0, v20
	v_add_u32_e32 v11, 0, v10
	s_addc_u32 s5, s9, s1
	v_writelane_b32 v95, s45, 18
	s_lshl_b64 s[0:1], s[88:89], 1
	scratch_store_dword off, v11, off offset:44 ; 4-byte Folded Spill
	scratch_store_dword off, v12, off offset:224 ; 4-byte Folded Spill
	v_lshrrev_b32_e32 v11, 5, v12
	v_writelane_b32 v95, s46, 19
	s_add_u32 s0, s4, s0
	v_and_b32_e32 v11, 30, v11
	v_writelane_b32 v95, s47, 20
	s_addc_u32 s1, s5, s1
	v_add_lshl_u32 v11, v11, v20, 1
	v_writelane_b32 v95, s0, 21
	v_or_b32_e32 v13, 0x300, v20
	v_add_u32_e32 v12, 0, v11
	v_writelane_b32 v95, s1, 22
	s_mul_i32 s88, s24, s48
	scratch_store_dword off, v12, off offset:48 ; 4-byte Folded Spill
	scratch_store_dword off, v13, off offset:228 ; 4-byte Folded Spill
	v_lshrrev_b32_e32 v12, 5, v13
	s_lshl_b64 s[0:1], s[88:89], 1
	v_writelane_b32 v95, s48, 23
	v_and_b32_e32 v12, 26, v12
	s_add_u32 s3, s16, s0
	v_writelane_b32 v95, s49, 24
	s_mul_i32 s88, s49, s20
	v_add_lshl_u32 v12, v12, v20, 1
	s_addc_u32 s4, s17, s1
	v_writelane_b32 v95, s50, 25
	s_lshl_b64 s[0:1], s[88:89], 1
	v_add_u32_e32 v14, 0x340, v20
	v_add_u32_e32 v13, 0, v12
	v_writelane_b32 v95, s51, 26
	s_add_u32 s0, s3, s0
	scratch_store_dword off, v13, off offset:52 ; 4-byte Folded Spill
	scratch_store_dword off, v14, off offset:232 ; 4-byte Folded Spill
	v_lshrrev_b32_e32 v13, 5, v14
	v_writelane_b32 v95, s0, 27
	s_addc_u32 s0, s4, s1
	v_and_b32_e32 v13, 30, v13
	v_writelane_b32 v95, s0, 28
	s_add_i32 s0, s30, 0x7ff
	v_add_lshl_u32 v13, v13, v20, 1
	s_lshr_b32 s1, s0, 11
	v_or_b32_e32 v15, 0x380, v20
	v_add_u32_e32 v14, 0, v13
	scratch_store_dword off, v14, off offset:56 ; 4-byte Folded Spill
	scratch_store_dword off, v15, off offset:236 ; 4-byte Folded Spill
	v_lshrrev_b32_e32 v14, 5, v15
	s_bitcmp1_b32 s25, 0
	v_and_b32_e32 v14, 30, v14
	s_cselect_b64 s[4:5], -1, 0
	s_cmp_gt_i32 s31, 0
	v_add_lshl_u32 v14, v14, v20, 1
	s_cselect_b64 s[6:7], -1, 0
	s_add_i32 s0, 0, 0x840
	v_add_u32_e32 v15, 0, v14
	v_add_u32_e32 v1, s0, v1
	;; [unrolled: 1-line block ×3, first 2 shown]
	scratch_store_dword off, v15, off offset:60 ; 4-byte Folded Spill
	scratch_store_dword off, v16, off offset:240 ; 4-byte Folded Spill
	;; [unrolled: 1-line block ×3, first 2 shown]
	v_add_u32_e32 v1, s0, v2
	scratch_store_dword off, v1, off offset:104 ; 4-byte Folded Spill
	v_add_u32_e32 v1, s0, v3
	scratch_store_dword off, v1, off offset:108 ; 4-byte Folded Spill
	;; [unrolled: 2-line block ×7, first 2 shown]
	v_add_u32_e32 v1, s0, v9
	v_lshrrev_b32_e32 v15, 5, v16
	scratch_store_dword off, v1, off offset:132 ; 4-byte Folded Spill
	v_add_u32_e32 v1, s0, v10
	v_and_b32_e32 v15, 62, v15
	scratch_store_dword off, v1, off offset:136 ; 4-byte Folded Spill
	v_add_u32_e32 v1, s0, v11
	v_add_lshl_u32 v15, v15, v20, 1
	scratch_store_dword off, v1, off offset:140 ; 4-byte Folded Spill
	v_add_u32_e32 v1, s0, v12
	v_add_u32_e32 v16, 0, v15
	v_lshrrev_b32_e32 v18, 1, v20
	scratch_store_dword off, v1, off offset:144 ; 4-byte Folded Spill
	v_add_u32_e32 v1, s0, v13
	scratch_store_dword off, v16, off offset:64 ; 4-byte Folded Spill
	v_lshlrev_b32_e32 v16, 4, v20
	v_and_b32_e32 v18, 62, v18
	v_writelane_b32 v95, s6, 29
	scratch_store_dword off, v1, off offset:148 ; 4-byte Folded Spill
	v_add_u32_e32 v1, s0, v14
	v_add_lshl_u32 v16, v18, v16, 1
	v_writelane_b32 v95, s7, 30
	scratch_store_dword off, v1, off offset:152 ; 4-byte Folded Spill
	v_add_u32_e32 v1, s0, v15
	scratch_store_dword off, v1, off offset:156 ; 4-byte Folded Spill
	v_add_u32_e32 v1, s0, v16
	v_writelane_b32 v95, s30, 31
	s_and_b32 s0, s30, 0x3ff
	s_cmp_eq_u32 s0, 0
	v_writelane_b32 v95, s31, 32
	s_cselect_b64 s[6:7], -1, 0
	scratch_store_dword off, v1, off offset:160 ; 4-byte Folded Spill
	v_writelane_b32 v95, s6, 33
	v_and_b32_e32 v1, 15, v20
	v_cmp_lt_u32_e64 s[84:85], 3, v1
	v_writelane_b32 v95, s7, 34
	v_cmp_ne_u32_e64 s[6:7], 0, v1
	s_mul_i32 s88, s22, s2
	v_and_b32_e32 v2, 64, v20
	v_writelane_b32 v95, s6, 35
	s_add_i32 s0, s1, -1
	s_lshl_b64 s[2:3], s[88:89], 1
	v_writelane_b32 v95, s7, 36
	v_cmp_lt_u32_e64 s[6:7], 1, v1
	v_lshlrev_b32_e32 v19, 4, v0
	v_cmp_gt_u32_e64 s[14:15], 64, v0
	v_writelane_b32 v95, s6, 37
	v_cmp_eq_u32_e64 s[16:17], 0, v0
	s_mul_i32 s88, s23, s20
	v_writelane_b32 v95, s7, 38
	v_cmp_lt_u32_e64 s[6:7], 7, v1
	v_and_b32_e32 v1, 16, v20
	v_add_u32_e32 v18, 0, v16
	v_writelane_b32 v95, s6, 39
	v_mov_b32_e32 v17, 0
	scratch_store_dword off, v18, off       ; 4-byte Folded Spill
	v_writelane_b32 v95, s7, 40
	v_cmp_ne_u32_e64 s[6:7], 0, v1
	v_add_u32_e32 v1, -1, v20
	v_cmp_lt_i32_e32 vcc, v1, v2
	v_writelane_b32 v95, s6, 41
	v_lshlrev_b32_e32 v16, 1, v20
	v_cndmask_b32_e32 v1, v1, v20, vcc
	v_writelane_b32 v95, s7, 42
	v_writelane_b32 v95, s1, 43
	;; [unrolled: 1-line block ×3, first 2 shown]
	s_add_u32 s0, s18, s2
	s_addc_u32 s1, s19, s3
	v_cmp_eq_u32_e64 s[2:3], 63, v0
	v_lshlrev_b32_e32 v1, 2, v1
	v_mov_b32_e32 v0, v20
	scratch_store_dwordx2 off, v[0:1], off offset:176 ; 8-byte Folded Spill
	v_or_b32_e32 v0, 1, v19
	scratch_store_dword off, v0, off offset:256 ; 4-byte Folded Spill
	v_or_b32_e32 v0, 2, v19
	scratch_store_dword off, v0, off offset:260 ; 4-byte Folded Spill
	v_or_b32_e32 v0, 3, v19
	scratch_store_dword off, v0, off offset:264 ; 4-byte Folded Spill
	v_or_b32_e32 v0, 4, v19
	scratch_store_dword off, v0, off offset:268 ; 4-byte Folded Spill
	v_or_b32_e32 v0, 5, v19
	scratch_store_dword off, v0, off offset:272 ; 4-byte Folded Spill
	v_or_b32_e32 v0, 6, v19
	scratch_store_dword off, v0, off offset:276 ; 4-byte Folded Spill
                                        ; implicit-def: $vgpr0
	v_writelane_b32 v95, s2, 45
	v_or_b32_e32 v0, 7, v19
	scratch_store_dword off, v0, off offset:280 ; 4-byte Folded Spill
	v_or_b32_e32 v0, 8, v19
	scratch_store_dword off, v0, off offset:284 ; 4-byte Folded Spill
	v_or_b32_e32 v0, 9, v19
	v_writelane_b32 v95, s3, 46
	s_lshl_b64 s[2:3], s[88:89], 1
	scratch_store_dword off, v0, off offset:288 ; 4-byte Folded Spill
	v_or_b32_e32 v0, 10, v19
	s_add_u32 s2, s0, s2
	scratch_store_dword off, v0, off offset:292 ; 4-byte Folded Spill
	v_or_b32_e32 v0, 11, v19
	s_addc_u32 s3, s1, s3
	s_add_i32 s0, 0, 0x1088
	scratch_store_dword off, v0, off offset:296 ; 4-byte Folded Spill
	v_or_b32_e32 v0, 12, v19
	v_writelane_b32 v95, s0, 47
	scratch_store_dword off, v0, off offset:300 ; 4-byte Folded Spill
	v_or_b32_e32 v0, 13, v19
	scratch_store_dword off, v0, off offset:304 ; 4-byte Folded Spill
	v_or_b32_e32 v0, 14, v19
	v_writelane_b32 v95, s97, 48
	scratch_store_dword off, v1, off offset:164 ; 4-byte Folded Spill
	scratch_store_dword off, v0, off offset:308 ; 4-byte Folded Spill
	;; [unrolled: 1-line block ×3, first 2 shown]
	v_or_b32_e32 v0, 15, v19
	v_writelane_b32 v95, s4, 49
	v_cmp_lt_u32_e64 s[12:13], 31, v20
	s_mov_b32 s6, 0x41a00000
	s_mov_b32 s7, 0x3fb8aa3b
	;; [unrolled: 1-line block ×10, first 2 shown]
	scratch_store_dword off, v0, off offset:312 ; 4-byte Folded Spill
	v_mov_b32_e32 v40, 0x3ecc95a3
	v_mov_b32_e32 v41, 0x7f800000
	;; [unrolled: 1-line block ×4, first 2 shown]
	v_lshl_add_u64 v[0:1], s[2:3], 0, v[16:17]
	v_mov_b32_e32 v42, 0x3f317218
	v_writelane_b32 v95, s5, 50
	scratch_store_dwordx2 off, v[0:1], off offset:244 ; 8-byte Folded Spill
	s_branch .LBB23_13
.LBB23_12:                              ;   in Loop: Header=BB23_13 Depth=1
	s_or_b64 exec, exec, s[2:3]
	v_readlane_b32 s0, v95, 4
	v_readlane_b32 s1, v95, 5
	s_add_u32 s0, s0, 0x800
	s_addc_u32 s1, s1, 0
	v_writelane_b32 v95, s0, 4
	s_nop 1
	v_writelane_b32 v95, s1, 5
	s_nop 0
	v_readlane_b32 s26, v95, 54
	v_readlane_b32 s27, v95, 55
	s_add_u32 s26, s26, 0x800
	s_addc_u32 s27, s27, 0
	v_readlane_b32 s0, v95, 7
	v_readlane_b32 s1, v95, 8
	s_add_u32 s0, s0, 0x800
	s_addc_u32 s1, s1, 0
	v_writelane_b32 v95, s0, 7
	s_nop 1
	v_writelane_b32 v95, s1, 8
	s_nop 0
	v_readlane_b32 s0, v95, 21
	v_readlane_b32 s1, v95, 22
	s_add_u32 s0, s0, 0x800
	s_addc_u32 s1, s1, 0
	v_writelane_b32 v95, s0, 21
	s_nop 1
	v_writelane_b32 v95, s1, 22
	s_nop 0
	v_readlane_b32 s1, v95, 51
	s_add_i32 s1, s1, 1
	v_readlane_b32 s0, v95, 43
	s_cmp_eq_u32 s1, s0
	s_cbranch_scc1 .LBB23_234
.LBB23_13:                              ; =>This Loop Header: Depth=1
                                        ;     Child Loop BB23_110 Depth 2
	s_waitcnt lgkmcnt(0)
	; wave barrier
	s_waitcnt vmcnt(63) expcnt(7) lgkmcnt(15)
	scratch_load_dwordx2 v[0:1], off, off offset:176 ; 8-byte Folded Reload
	v_writelane_b32 v95, s1, 51
	s_lshl_b32 s18, s1, 10
	v_readlane_b32 s0, v95, 31
	s_mov_b32 s2, s18
	v_readlane_b32 s1, v95, 32
	v_writelane_b32 v95, s2, 52
	s_sub_i32 s82, s0, s18
	s_waitcnt vmcnt(0) lgkmcnt(0)
	v_mov_b32_e32 v2, v0
	v_writelane_b32 v95, s3, 53
	v_lshlrev_b32_e32 v16, 1, v2
	v_writelane_b32 v95, s26, 54
	v_cmp_gt_u32_e64 s[18:19], s82, v2
	v_mov_b32_e32 v2, 0
	v_writelane_b32 v95, s27, 55
	v_lshl_add_u64 v[0:1], s[26:27], 0, v[16:17]
	s_and_saveexec_b64 s[2:3], s[18:19]
	s_cbranch_execz .LBB23_15
; %bb.14:                               ;   in Loop: Header=BB23_13 Depth=1
	global_load_ushort v2, v[0:1], off
.LBB23_15:                              ;   in Loop: Header=BB23_13 Depth=1
	s_or_b64 exec, exec, s[2:3]
	scratch_load_dword v3, off, off offset:184 ; 4-byte Folded Reload
	v_mov_b32_e32 v4, 0
	s_waitcnt vmcnt(0)
	v_cmp_gt_u32_e64 s[20:21], s82, v3
	v_mov_b32_e32 v3, 0
	s_and_saveexec_b64 s[2:3], s[20:21]
	s_cbranch_execz .LBB23_17
; %bb.16:                               ;   in Loop: Header=BB23_13 Depth=1
	global_load_ushort v4, v[0:1], off offset:128
.LBB23_17:                              ;   in Loop: Header=BB23_13 Depth=1
	s_or_b64 exec, exec, s[2:3]
	scratch_load_dword v5, off, off offset:188 ; 4-byte Folded Reload
	s_waitcnt vmcnt(0)
	v_cmp_gt_u32_e64 s[22:23], s82, v5
	s_and_saveexec_b64 s[2:3], s[22:23]
	s_cbranch_execz .LBB23_19
; %bb.18:                               ;   in Loop: Header=BB23_13 Depth=1
	global_load_ushort v3, v[0:1], off offset:256
.LBB23_19:                              ;   in Loop: Header=BB23_13 Depth=1
	s_or_b64 exec, exec, s[2:3]
	scratch_load_dword v5, off, off offset:192 ; 4-byte Folded Reload
	v_mov_b32_e32 v6, 0
	s_waitcnt vmcnt(0)
	v_cmp_gt_u32_e64 s[24:25], s82, v5
	v_mov_b32_e32 v5, 0
	s_and_saveexec_b64 s[2:3], s[24:25]
	s_cbranch_execz .LBB23_21
; %bb.20:                               ;   in Loop: Header=BB23_13 Depth=1
	global_load_ushort v6, v[0:1], off offset:384
.LBB23_21:                              ;   in Loop: Header=BB23_13 Depth=1
	s_or_b64 exec, exec, s[2:3]
	scratch_load_dword v7, off, off offset:196 ; 4-byte Folded Reload
	s_waitcnt vmcnt(0)
	v_cmp_gt_u32_e64 s[26:27], s82, v7
	s_and_saveexec_b64 s[2:3], s[26:27]
	s_cbranch_execz .LBB23_23
; %bb.22:                               ;   in Loop: Header=BB23_13 Depth=1
	global_load_ushort v5, v[0:1], off offset:512
.LBB23_23:                              ;   in Loop: Header=BB23_13 Depth=1
	;; [unrolled: 20-line block ×4, first 2 shown]
	s_or_b64 exec, exec, s[2:3]
	scratch_load_dword v10, off, off offset:216 ; 4-byte Folded Reload
	v_mov_b32_e32 v12, 0
	v_mov_b32_e32 v13, 0
	s_waitcnt vmcnt(0)
	v_cmp_gt_u32_e64 s[38:39], s82, v10
	s_and_saveexec_b64 s[2:3], s[38:39]
	s_cbranch_execz .LBB23_33
; %bb.32:                               ;   in Loop: Header=BB23_13 Depth=1
	global_load_ushort v13, v[0:1], off offset:1152
.LBB23_33:                              ;   in Loop: Header=BB23_13 Depth=1
	s_or_b64 exec, exec, s[2:3]
	scratch_load_dword v10, off, off offset:220 ; 4-byte Folded Reload
	s_waitcnt vmcnt(0)
	v_cmp_gt_u32_e64 s[40:41], s82, v10
	s_and_saveexec_b64 s[2:3], s[40:41]
	s_cbranch_execz .LBB23_35
; %bb.34:                               ;   in Loop: Header=BB23_13 Depth=1
	global_load_ushort v12, v[0:1], off offset:1280
.LBB23_35:                              ;   in Loop: Header=BB23_13 Depth=1
	s_or_b64 exec, exec, s[2:3]
	scratch_load_dword v10, off, off offset:224 ; 4-byte Folded Reload
	v_mov_b32_e32 v14, 0
	v_mov_b32_e32 v15, 0
	s_waitcnt vmcnt(0)
	v_cmp_gt_u32_e64 s[42:43], s82, v10
	s_and_saveexec_b64 s[2:3], s[42:43]
	s_cbranch_execz .LBB23_37
; %bb.36:                               ;   in Loop: Header=BB23_13 Depth=1
	global_load_ushort v15, v[0:1], off offset:1408
.LBB23_37:                              ;   in Loop: Header=BB23_13 Depth=1
	s_or_b64 exec, exec, s[2:3]
	scratch_load_dword v10, off, off offset:228 ; 4-byte Folded Reload
	s_waitcnt vmcnt(0)
	v_cmp_gt_u32_e64 s[44:45], s82, v10
	s_and_saveexec_b64 s[2:3], s[44:45]
	s_cbranch_execz .LBB23_39
; %bb.38:                               ;   in Loop: Header=BB23_13 Depth=1
	global_load_ushort v14, v[0:1], off offset:1536
.LBB23_39:                              ;   in Loop: Header=BB23_13 Depth=1
	;; [unrolled: 20-line block ×3, first 2 shown]
	s_or_b64 exec, exec, s[2:3]
	scratch_load_dword v10, off, off offset:240 ; 4-byte Folded Reload
	v_mov_b32_e32 v21, 0
	s_waitcnt vmcnt(0)
	v_cmp_gt_u32_e64 s[50:51], s82, v10
	v_mov_b32_e32 v10, 0
	s_and_saveexec_b64 s[2:3], s[50:51]
	s_cbranch_execz .LBB23_45
; %bb.44:                               ;   in Loop: Header=BB23_13 Depth=1
	global_load_ushort v21, v[0:1], off offset:1920
.LBB23_45:                              ;   in Loop: Header=BB23_13 Depth=1
	s_or_b64 exec, exec, s[2:3]
	scratch_load_dword v0, off, off offset:4 ; 4-byte Folded Reload
	v_readlane_b32 s0, v95, 4
	v_readlane_b32 s1, v95, 5
	s_waitcnt vmcnt(0)
	ds_write_b16 v0, v2
	scratch_load_dword v0, off, off offset:8 ; 4-byte Folded Reload
	s_waitcnt vmcnt(0)
	ds_write_b16 v0, v4 offset:128
	scratch_load_dword v0, off, off offset:12 ; 4-byte Folded Reload
	s_waitcnt vmcnt(0)
	ds_write_b16 v0, v3 offset:256
	;; [unrolled: 3-line block ×8, first 2 shown]
	scratch_load_dword v0, off, off offset:40 ; 4-byte Folded Reload
	v_lshl_add_u64 v[8:9], s[0:1], 0, v[16:17]
	s_waitcnt vmcnt(0)
	ds_write_b16 v0, v13 offset:1152
	scratch_load_dword v0, off, off offset:44 ; 4-byte Folded Reload
	s_waitcnt vmcnt(0)
	ds_write_b16 v0, v12 offset:1280
	scratch_load_dword v0, off, off offset:48 ; 4-byte Folded Reload
	;; [unrolled: 3-line block ×6, first 2 shown]
	s_waitcnt vmcnt(0)
	ds_write_b16 v0, v21 offset:1920
	; wave barrier
	scratch_load_dword v4, off, off         ; 4-byte Folded Reload
	s_waitcnt vmcnt(0)
	ds_read_b128 v[0:3], v4
	ds_read_b128 v[4:7], v4 offset:16
	s_waitcnt lgkmcnt(0)
	; wave barrier
	s_waitcnt lgkmcnt(0)
	s_and_saveexec_b64 s[2:3], s[18:19]
	s_cbranch_execz .LBB23_47
; %bb.46:                               ;   in Loop: Header=BB23_13 Depth=1
	global_load_ushort v10, v[8:9], off
.LBB23_47:                              ;   in Loop: Header=BB23_13 Depth=1
	s_or_b64 exec, exec, s[2:3]
	v_mov_b32_e32 v11, 0
	v_mov_b32_e32 v12, 0
	s_and_saveexec_b64 s[2:3], s[20:21]
	s_cbranch_execz .LBB23_49
; %bb.48:                               ;   in Loop: Header=BB23_13 Depth=1
	global_load_ushort v12, v[8:9], off offset:128
.LBB23_49:                              ;   in Loop: Header=BB23_13 Depth=1
	s_or_b64 exec, exec, s[2:3]
	s_and_saveexec_b64 s[2:3], s[22:23]
	s_cbranch_execz .LBB23_51
; %bb.50:                               ;   in Loop: Header=BB23_13 Depth=1
	global_load_ushort v11, v[8:9], off offset:256
.LBB23_51:                              ;   in Loop: Header=BB23_13 Depth=1
	s_or_b64 exec, exec, s[2:3]
	v_mov_b32_e32 v13, 0
	v_mov_b32_e32 v14, 0
	s_and_saveexec_b64 s[2:3], s[24:25]
	s_cbranch_execz .LBB23_53
; %bb.52:                               ;   in Loop: Header=BB23_13 Depth=1
	global_load_ushort v14, v[8:9], off offset:384
.LBB23_53:                              ;   in Loop: Header=BB23_13 Depth=1
	s_or_b64 exec, exec, s[2:3]
	s_and_saveexec_b64 s[2:3], s[26:27]
	s_cbranch_execz .LBB23_55
; %bb.54:                               ;   in Loop: Header=BB23_13 Depth=1
	global_load_ushort v13, v[8:9], off offset:512
.LBB23_55:                              ;   in Loop: Header=BB23_13 Depth=1
	;; [unrolled: 14-line block ×6, first 2 shown]
	s_or_b64 exec, exec, s[2:3]
	v_mov_b32_e32 v26, 0
	v_mov_b32_e32 v27, 0
	s_and_saveexec_b64 s[2:3], s[46:47]
	s_cbranch_execnz .LBB23_216
; %bb.72:                               ;   in Loop: Header=BB23_13 Depth=1
	s_or_b64 exec, exec, s[2:3]
	s_and_saveexec_b64 s[2:3], s[48:49]
	s_cbranch_execnz .LBB23_217
.LBB23_73:                              ;   in Loop: Header=BB23_13 Depth=1
	s_or_b64 exec, exec, s[2:3]
	v_mov_b32_e32 v28, 0
	s_and_saveexec_b64 s[2:3], s[50:51]
	s_cbranch_execz .LBB23_75
.LBB23_74:                              ;   in Loop: Header=BB23_13 Depth=1
	global_load_ushort v28, v[8:9], off offset:1920
.LBB23_75:                              ;   in Loop: Header=BB23_13 Depth=1
	s_or_b64 exec, exec, s[2:3]
	scratch_load_dword v8, off, off offset:4 ; 4-byte Folded Reload
	v_readlane_b32 s0, v95, 2
	s_waitcnt vmcnt(0)
	ds_write_b16 v8, v10
	scratch_load_dword v8, off, off offset:8 ; 4-byte Folded Reload
	s_waitcnt vmcnt(0)
	ds_write_b16 v8, v12 offset:128
	scratch_load_dword v8, off, off offset:12 ; 4-byte Folded Reload
	s_waitcnt vmcnt(0)
	ds_write_b16 v8, v11 offset:256
	;; [unrolled: 3-line block ×15, first 2 shown]
	; wave barrier
	scratch_load_dword v8, off, off         ; 4-byte Folded Reload
	s_waitcnt vmcnt(0)
	ds_read_b128 v[12:15], v8
	ds_read_b128 v[8:11], v8 offset:16
	s_waitcnt lgkmcnt(1)
	v_lshlrev_b32_e32 v18, 16, v12
	v_add_f32_e32 v21, s0, v18
	v_cmp_ge_f32_e32 vcc, s6, v21
	s_and_b64 s[2:3], s[4:5], vcc
	s_and_saveexec_b64 s[52:53], s[2:3]
	s_cbranch_execz .LBB23_77
; %bb.76:                               ;   in Loop: Header=BB23_13 Depth=1
	v_mul_f32_e32 v18, 0x3fb8aa3b, v21
	v_rndne_f32_e32 v20, v18
	v_sub_f32_e32 v22, v18, v20
	v_fma_f32 v18, v21, s7, -v18
	v_fmac_f32_e32 v18, 0x32a5705f, v21
	v_add_f32_e32 v18, v22, v18
	v_cvt_i32_f32_e32 v20, v20
	v_exp_f32_e32 v18, v18
	v_cmp_ngt_f32_e32 vcc, s8, v21
	v_ldexp_f32 v18, v18, v20
	s_nop 0
	v_cndmask_b32_e32 v18, 0, v18, vcc
	v_cmp_nlt_f32_e32 vcc, s9, v21
	s_nop 1
	v_cndmask_b32_e32 v34, v41, v18, vcc
	v_add_f32_e32 v18, 1.0, v34
	v_add_f32_e32 v20, -1.0, v18
	v_sub_f32_e32 v21, v20, v18
	v_add_f32_e32 v21, 1.0, v21
	v_sub_f32_e32 v20, v34, v20
	v_add_f32_e32 v22, v20, v21
	v_frexp_mant_f32_e32 v23, v18
	v_cvt_f64_f32_e32 v[20:21], v18
	v_frexp_exp_i32_f64_e32 v20, v[20:21]
	v_cmp_gt_f32_e32 vcc, s11, v23
	v_cmp_gt_f32_e64 s[2:3], s54, v34
	s_nop 0
	v_subbrev_co_u32_e32 v28, vcc, 0, v20, vcc
	v_sub_u32_e32 v20, 0, v28
	v_ldexp_f32 v18, v18, v20
	v_ldexp_f32 v20, v22, v20
	v_add_f32_e32 v22, -1.0, v18
	v_add_f32_e32 v21, 1.0, v22
	v_sub_f32_e32 v21, v18, v21
	v_add_f32_e32 v23, v20, v21
	v_add_f32_e32 v21, 1.0, v18
	v_add_f32_e32 v24, -1.0, v21
	v_sub_f32_e32 v18, v18, v24
	v_add_f32_e32 v18, v20, v18
	v_add_f32_e32 v29, v21, v18
	v_rcp_f32_e32 v30, v29
	v_sub_f32_e32 v20, v21, v29
	v_add_f32_e32 v21, v22, v23
	v_add_f32_e32 v18, v18, v20
	v_mul_f32_e32 v32, v21, v30
	v_sub_f32_e32 v20, v22, v21
	v_mul_f32_e32 v22, v29, v32
	v_fma_f32 v24, v32, v29, -v22
	v_fmac_f32_e32 v24, v32, v18
	v_add_f32_e32 v31, v23, v20
	v_add_f32_e32 v20, v22, v24
	v_sub_f32_e32 v23, v21, v20
	v_pk_add_f32 v[26:27], v[20:21], v[22:23] neg_lo:[0,1] neg_hi:[0,1]
	v_mov_b32_e32 v25, v20
	v_pk_add_f32 v[20:21], v[26:27], v[24:25] neg_lo:[0,1] neg_hi:[0,1]
	v_cmp_eq_f32_e32 vcc, s10, v34
	v_add_f32_e32 v21, v31, v21
	v_add_f32_e32 v20, v20, v21
	;; [unrolled: 1-line block ×3, first 2 shown]
	v_mul_f32_e32 v31, v30, v21
	v_mul_f32_e32 v22, v29, v31
	v_fma_f32 v24, v31, v29, -v22
	v_fmac_f32_e32 v24, v31, v18
	v_sub_f32_e32 v18, v23, v21
	v_add_f32_e32 v18, v20, v18
	v_add_f32_e32 v20, v22, v24
	v_sub_f32_e32 v23, v21, v20
	v_pk_add_f32 v[26:27], v[20:21], v[22:23] neg_lo:[0,1] neg_hi:[0,1]
	v_mov_b32_e32 v25, v20
	v_pk_add_f32 v[20:21], v[26:27], v[24:25] neg_lo:[0,1] neg_hi:[0,1]
	s_or_b64 vcc, s[2:3], vcc
	v_add_f32_e32 v18, v18, v21
	v_add_f32_e32 v18, v20, v18
	;; [unrolled: 1-line block ×4, first 2 shown]
	v_sub_f32_e32 v20, v21, v32
	v_mul_f32_e32 v18, v30, v18
	v_sub_f32_e32 v20, v31, v20
	v_add_f32_e32 v18, v20, v18
	v_add_f32_e32 v22, v21, v18
	v_mul_f32_e32 v24, v22, v22
	v_fmamk_f32 v20, v24, 0x3e9b6dac, v40
	v_fmaak_f32 v43, v24, v20, 0x3f2aaada
	v_cvt_f32_i32_e32 v20, v28
	v_sub_f32_e32 v21, v22, v21
	v_sub_f32_e32 v18, v18, v21
	v_mul_f32_e32 v21, v22, v24
	v_pk_mul_f32 v[24:25], v[20:21], v[42:43]
	v_ldexp_f32 v23, v22, 1
	v_fma_f32 v22, v20, s33, -v24
	v_fmac_f32_e32 v22, 0xb102e308, v20
	v_pk_add_f32 v[20:21], v[24:25], v[22:23]
	v_ldexp_f32 v18, v18, 1
	v_sub_f32_e32 v23, v21, v23
	v_sub_f32_e32 v23, v25, v23
	v_add_f32_e32 v27, v18, v23
	v_mov_b32_e32 v26, v24
	v_pk_add_f32 v[24:25], v[20:21], v[24:25] neg_lo:[0,1] neg_hi:[0,1]
	v_pk_add_f32 v[28:29], v[20:21], v[26:27]
	v_mov_b32_e32 v23, v20
	v_mov_b32_e32 v25, v29
	v_pk_add_f32 v[30:31], v[22:23], v[24:25] neg_lo:[0,1] neg_hi:[0,1]
	v_pk_add_f32 v[22:23], v[22:23], v[24:25]
	s_nop 0
	v_mov_b32_e32 v18, v23
	v_pk_add_f32 v[24:25], v[18:19], v[20:21] neg_lo:[0,1] neg_hi:[0,1]
	v_mov_b32_e32 v22, v29
	v_mov_b32_e32 v25, v24
	v_pk_add_f32 v[32:33], v[28:29], v[24:25] neg_lo:[0,1] neg_hi:[0,1]
	v_mov_b32_e32 v28, v21
	v_mov_b32_e32 v29, v24
	;; [unrolled: 1-line block ×3, first 2 shown]
	v_pk_add_f32 v[22:23], v[22:23], v[28:29] neg_lo:[0,1] neg_hi:[0,1]
	v_mov_b32_e32 v24, v27
	v_mov_b32_e32 v25, v20
	v_pk_add_f32 v[20:21], v[24:25], v[22:23] neg_lo:[0,1] neg_hi:[0,1]
	v_mov_b32_e32 v32, v30
	v_pk_add_f32 v[22:23], v[32:33], v[20:21]
	s_nop 0
	v_mov_b32_e32 v24, v23
	v_pk_add_f32 v[24:25], v[22:23], v[24:25]
	s_nop 0
	v_pk_add_f32 v[26:27], v[18:19], v[24:25]
	v_mov_b32_e32 v21, v24
	v_mov_b32_e32 v23, v26
	v_pk_add_f32 v[28:29], v[22:23], v[30:31] neg_lo:[0,1] neg_hi:[0,1]
	s_nop 0
	v_sub_f32_e32 v18, v22, v28
	v_pk_add_f32 v[20:21], v[20:21], v[28:29] neg_lo:[0,1] neg_hi:[0,1]
	v_sub_f32_e32 v18, v30, v18
	v_add_f32_e32 v18, v20, v18
	v_add_f32_e32 v18, v18, v21
	;; [unrolled: 1-line block ×3, first 2 shown]
	v_cndmask_b32_e32 v21, v18, v34, vcc
.LBB23_77:                              ;   in Loop: Header=BB23_13 Depth=1
	s_or_b64 exec, exec, s[52:53]
	v_and_b32_e32 v12, 0xffff0000, v12
	v_readlane_b32 s0, v95, 2
	s_nop 1
	v_add_f32_e32 v18, s0, v12
	v_cmp_ge_f32_e32 vcc, s6, v18
	s_and_b64 s[2:3], s[4:5], vcc
	s_and_saveexec_b64 s[52:53], s[2:3]
	s_cbranch_execz .LBB23_79
; %bb.78:                               ;   in Loop: Header=BB23_13 Depth=1
	v_mul_f32_e32 v12, 0x3fb8aa3b, v18
	v_rndne_f32_e32 v20, v12
	v_sub_f32_e32 v22, v12, v20
	v_fma_f32 v12, v18, s7, -v12
	v_fmac_f32_e32 v12, 0x32a5705f, v18
	v_add_f32_e32 v12, v22, v12
	v_cvt_i32_f32_e32 v20, v20
	v_exp_f32_e32 v12, v12
	v_cmp_ngt_f32_e32 vcc, s8, v18
	v_ldexp_f32 v12, v12, v20
	s_nop 0
	v_cndmask_b32_e32 v12, 0, v12, vcc
	v_cmp_nlt_f32_e32 vcc, s9, v18
	s_nop 1
	v_cndmask_b32_e32 v20, v41, v12, vcc
	v_add_f32_e32 v12, 1.0, v20
	v_add_f32_e32 v18, -1.0, v12
	v_sub_f32_e32 v22, v18, v12
	v_add_f32_e32 v22, 1.0, v22
	v_sub_f32_e32 v18, v20, v18
	v_add_f32_e32 v18, v18, v22
	v_frexp_mant_f32_e32 v24, v12
	v_cvt_f64_f32_e32 v[22:23], v12
	v_frexp_exp_i32_f64_e32 v22, v[22:23]
	v_cmp_gt_f32_e32 vcc, s11, v24
	v_cmp_gt_f32_e64 s[2:3], s54, v20
	s_nop 0
	v_subbrev_co_u32_e32 v30, vcc, 0, v22, vcc
	v_sub_u32_e32 v22, 0, v30
	v_ldexp_f32 v12, v12, v22
	v_ldexp_f32 v18, v18, v22
	v_add_f32_e32 v22, -1.0, v12
	v_add_f32_e32 v23, 1.0, v22
	v_sub_f32_e32 v23, v12, v23
	v_add_f32_e32 v24, v18, v23
	v_add_f32_e32 v23, 1.0, v12
	v_add_f32_e32 v25, -1.0, v23
	v_sub_f32_e32 v12, v12, v25
	v_add_f32_e32 v12, v18, v12
	v_add_f32_e32 v18, v23, v12
	v_rcp_f32_e32 v31, v18
	v_sub_f32_e32 v23, v23, v18
	v_add_f32_e32 v12, v12, v23
	v_add_f32_e32 v23, v22, v24
	v_sub_f32_e32 v22, v22, v23
	v_mul_f32_e32 v33, v23, v31
	v_add_f32_e32 v32, v24, v22
	v_mul_f32_e32 v24, v18, v33
	v_fma_f32 v26, v33, v18, -v24
	v_fmac_f32_e32 v26, v33, v12
	v_add_f32_e32 v22, v24, v26
	v_sub_f32_e32 v25, v23, v22
	v_pk_add_f32 v[28:29], v[22:23], v[24:25] neg_lo:[0,1] neg_hi:[0,1]
	v_mov_b32_e32 v27, v22
	v_pk_add_f32 v[22:23], v[28:29], v[26:27] neg_lo:[0,1] neg_hi:[0,1]
	v_cmp_eq_f32_e32 vcc, s10, v20
	v_add_f32_e32 v23, v32, v23
	v_add_f32_e32 v22, v22, v23
	;; [unrolled: 1-line block ×3, first 2 shown]
	v_mul_f32_e32 v32, v31, v23
	v_mul_f32_e32 v24, v18, v32
	v_fma_f32 v26, v32, v18, -v24
	v_fmac_f32_e32 v26, v32, v12
	v_sub_f32_e32 v12, v25, v23
	v_add_f32_e32 v12, v22, v12
	v_add_f32_e32 v22, v24, v26
	v_sub_f32_e32 v25, v23, v22
	v_pk_add_f32 v[28:29], v[22:23], v[24:25] neg_lo:[0,1] neg_hi:[0,1]
	v_mov_b32_e32 v27, v22
	v_pk_add_f32 v[22:23], v[28:29], v[26:27] neg_lo:[0,1] neg_hi:[0,1]
	v_add_f32_e32 v18, v33, v32
	v_add_f32_e32 v12, v12, v23
	v_add_f32_e32 v12, v22, v12
	v_add_f32_e32 v12, v25, v12
	v_sub_f32_e32 v22, v18, v33
	v_mul_f32_e32 v12, v31, v12
	v_sub_f32_e32 v22, v32, v22
	v_add_f32_e32 v12, v22, v12
	v_add_f32_e32 v23, v18, v12
	v_mul_f32_e32 v24, v23, v23
	v_fmamk_f32 v22, v24, 0x3e9b6dac, v40
	v_fmaak_f32 v43, v24, v22, 0x3f2aaada
	v_cvt_f32_i32_e32 v22, v30
	v_sub_f32_e32 v18, v23, v18
	v_ldexp_f32 v25, v23, 1
	v_mul_f32_e32 v23, v23, v24
	v_pk_mul_f32 v[26:27], v[22:23], v[42:43]
	v_sub_f32_e32 v12, v12, v18
	v_fma_f32 v24, v22, s33, -v26
	v_fmac_f32_e32 v24, 0xb102e308, v22
	v_pk_add_f32 v[22:23], v[26:27], v[24:25]
	v_ldexp_f32 v12, v12, 1
	v_sub_f32_e32 v18, v23, v25
	v_sub_f32_e32 v18, v27, v18
	v_add_f32_e32 v29, v12, v18
	v_mov_b32_e32 v28, v26
	v_pk_add_f32 v[26:27], v[22:23], v[26:27] neg_lo:[0,1] neg_hi:[0,1]
	v_pk_add_f32 v[30:31], v[22:23], v[28:29]
	v_mov_b32_e32 v25, v22
	v_mov_b32_e32 v27, v31
	v_pk_add_f32 v[32:33], v[24:25], v[26:27] neg_lo:[0,1] neg_hi:[0,1]
	v_pk_add_f32 v[24:25], v[24:25], v[26:27]
	s_or_b64 vcc, s[2:3], vcc
	v_mov_b32_e32 v12, v25
	v_pk_add_f32 v[26:27], v[12:13], v[22:23] neg_lo:[0,1] neg_hi:[0,1]
	v_mov_b32_e32 v24, v31
	v_mov_b32_e32 v27, v26
	v_pk_add_f32 v[34:35], v[30:31], v[26:27] neg_lo:[0,1] neg_hi:[0,1]
	v_mov_b32_e32 v30, v23
	v_mov_b32_e32 v31, v26
	;; [unrolled: 1-line block ×3, first 2 shown]
	v_pk_add_f32 v[24:25], v[24:25], v[30:31] neg_lo:[0,1] neg_hi:[0,1]
	v_mov_b32_e32 v26, v29
	v_mov_b32_e32 v27, v22
	v_pk_add_f32 v[22:23], v[26:27], v[24:25] neg_lo:[0,1] neg_hi:[0,1]
	v_mov_b32_e32 v34, v32
	v_pk_add_f32 v[24:25], v[34:35], v[22:23]
	s_nop 0
	v_mov_b32_e32 v18, v25
	v_pk_add_f32 v[26:27], v[24:25], v[18:19]
	s_nop 0
	v_pk_add_f32 v[28:29], v[12:13], v[26:27]
	v_mov_b32_e32 v23, v26
	v_mov_b32_e32 v25, v28
	v_pk_add_f32 v[30:31], v[24:25], v[32:33] neg_lo:[0,1] neg_hi:[0,1]
	s_nop 0
	v_sub_f32_e32 v12, v24, v30
	v_pk_add_f32 v[22:23], v[22:23], v[30:31] neg_lo:[0,1] neg_hi:[0,1]
	v_sub_f32_e32 v12, v32, v12
	v_add_f32_e32 v12, v22, v12
	v_add_f32_e32 v12, v12, v23
	;; [unrolled: 1-line block ×3, first 2 shown]
	v_cndmask_b32_e32 v18, v12, v20, vcc
.LBB23_79:                              ;   in Loop: Header=BB23_13 Depth=1
	s_or_b64 exec, exec, s[52:53]
	v_lshlrev_b32_e32 v12, 16, v13
	v_readlane_b32 s0, v95, 2
	s_nop 1
	v_add_f32_e32 v70, s0, v12
	v_cmp_ge_f32_e32 vcc, s6, v70
	s_and_b64 s[2:3], s[4:5], vcc
	s_and_saveexec_b64 s[52:53], s[2:3]
	s_cbranch_execz .LBB23_81
; %bb.80:                               ;   in Loop: Header=BB23_13 Depth=1
	v_mul_f32_e32 v12, 0x3fb8aa3b, v70
	v_rndne_f32_e32 v20, v12
	v_sub_f32_e32 v22, v12, v20
	v_fma_f32 v12, v70, s7, -v12
	v_fmac_f32_e32 v12, 0x32a5705f, v70
	v_add_f32_e32 v12, v22, v12
	v_cvt_i32_f32_e32 v20, v20
	v_exp_f32_e32 v12, v12
	v_cmp_ngt_f32_e32 vcc, s8, v70
	v_ldexp_f32 v12, v12, v20
	s_nop 0
	v_cndmask_b32_e32 v12, 0, v12, vcc
	v_cmp_nlt_f32_e32 vcc, s9, v70
	s_nop 1
	v_cndmask_b32_e32 v36, v41, v12, vcc
	v_add_f32_e32 v12, 1.0, v36
	v_add_f32_e32 v20, -1.0, v12
	v_sub_f32_e32 v22, v20, v12
	v_add_f32_e32 v22, 1.0, v22
	v_sub_f32_e32 v20, v36, v20
	v_add_f32_e32 v20, v20, v22
	v_frexp_mant_f32_e32 v24, v12
	v_cvt_f64_f32_e32 v[22:23], v12
	v_frexp_exp_i32_f64_e32 v22, v[22:23]
	v_cmp_gt_f32_e32 vcc, s11, v24
	v_cmp_gt_f32_e64 s[2:3], s54, v36
	s_nop 0
	v_subbrev_co_u32_e32 v30, vcc, 0, v22, vcc
	v_sub_u32_e32 v22, 0, v30
	v_ldexp_f32 v12, v12, v22
	v_ldexp_f32 v20, v20, v22
	v_add_f32_e32 v22, -1.0, v12
	v_add_f32_e32 v23, 1.0, v22
	v_sub_f32_e32 v23, v12, v23
	v_add_f32_e32 v24, v20, v23
	v_add_f32_e32 v23, 1.0, v12
	v_add_f32_e32 v25, -1.0, v23
	v_sub_f32_e32 v12, v12, v25
	v_add_f32_e32 v12, v20, v12
	v_add_f32_e32 v20, v23, v12
	v_rcp_f32_e32 v31, v20
	v_sub_f32_e32 v23, v23, v20
	v_add_f32_e32 v12, v12, v23
	v_add_f32_e32 v23, v22, v24
	v_sub_f32_e32 v22, v22, v23
	v_mul_f32_e32 v33, v23, v31
	v_add_f32_e32 v32, v24, v22
	v_mul_f32_e32 v24, v20, v33
	v_fma_f32 v26, v33, v20, -v24
	v_fmac_f32_e32 v26, v33, v12
	v_add_f32_e32 v22, v24, v26
	v_sub_f32_e32 v25, v23, v22
	v_pk_add_f32 v[28:29], v[22:23], v[24:25] neg_lo:[0,1] neg_hi:[0,1]
	v_mov_b32_e32 v27, v22
	v_pk_add_f32 v[22:23], v[28:29], v[26:27] neg_lo:[0,1] neg_hi:[0,1]
	v_cmp_eq_f32_e32 vcc, s10, v36
	v_add_f32_e32 v23, v32, v23
	v_add_f32_e32 v22, v22, v23
	;; [unrolled: 1-line block ×3, first 2 shown]
	v_mul_f32_e32 v32, v31, v23
	v_mul_f32_e32 v24, v20, v32
	v_fma_f32 v26, v32, v20, -v24
	v_fmac_f32_e32 v26, v32, v12
	v_sub_f32_e32 v12, v25, v23
	v_add_f32_e32 v12, v22, v12
	v_add_f32_e32 v22, v24, v26
	v_sub_f32_e32 v25, v23, v22
	v_pk_add_f32 v[28:29], v[22:23], v[24:25] neg_lo:[0,1] neg_hi:[0,1]
	v_mov_b32_e32 v27, v22
	v_pk_add_f32 v[22:23], v[28:29], v[26:27] neg_lo:[0,1] neg_hi:[0,1]
	v_add_f32_e32 v20, v33, v32
	v_add_f32_e32 v12, v12, v23
	v_add_f32_e32 v12, v22, v12
	v_add_f32_e32 v12, v25, v12
	v_sub_f32_e32 v22, v20, v33
	v_mul_f32_e32 v12, v31, v12
	v_sub_f32_e32 v22, v32, v22
	v_add_f32_e32 v12, v22, v12
	v_add_f32_e32 v23, v20, v12
	v_mul_f32_e32 v24, v23, v23
	v_fmamk_f32 v22, v24, 0x3e9b6dac, v40
	v_fmaak_f32 v43, v24, v22, 0x3f2aaada
	v_cvt_f32_i32_e32 v22, v30
	v_sub_f32_e32 v20, v23, v20
	v_ldexp_f32 v25, v23, 1
	v_mul_f32_e32 v23, v23, v24
	v_pk_mul_f32 v[26:27], v[22:23], v[42:43]
	v_sub_f32_e32 v12, v12, v20
	v_fma_f32 v24, v22, s33, -v26
	v_fmac_f32_e32 v24, 0xb102e308, v22
	v_pk_add_f32 v[22:23], v[26:27], v[24:25]
	v_ldexp_f32 v12, v12, 1
	v_sub_f32_e32 v20, v23, v25
	v_sub_f32_e32 v20, v27, v20
	v_add_f32_e32 v29, v12, v20
	v_mov_b32_e32 v28, v26
	v_pk_add_f32 v[26:27], v[22:23], v[26:27] neg_lo:[0,1] neg_hi:[0,1]
	v_pk_add_f32 v[30:31], v[22:23], v[28:29]
	v_mov_b32_e32 v25, v22
	v_mov_b32_e32 v27, v31
	v_pk_add_f32 v[32:33], v[24:25], v[26:27] neg_lo:[0,1] neg_hi:[0,1]
	v_pk_add_f32 v[24:25], v[24:25], v[26:27]
	s_or_b64 vcc, s[2:3], vcc
	v_mov_b32_e32 v12, v25
	v_pk_add_f32 v[26:27], v[12:13], v[22:23] neg_lo:[0,1] neg_hi:[0,1]
	v_mov_b32_e32 v24, v31
	v_mov_b32_e32 v27, v26
	v_pk_add_f32 v[34:35], v[30:31], v[26:27] neg_lo:[0,1] neg_hi:[0,1]
	v_mov_b32_e32 v30, v23
	v_mov_b32_e32 v31, v26
	;; [unrolled: 1-line block ×3, first 2 shown]
	v_pk_add_f32 v[24:25], v[24:25], v[30:31] neg_lo:[0,1] neg_hi:[0,1]
	v_mov_b32_e32 v26, v29
	v_mov_b32_e32 v27, v22
	v_pk_add_f32 v[22:23], v[26:27], v[24:25] neg_lo:[0,1] neg_hi:[0,1]
	v_mov_b32_e32 v34, v32
	v_pk_add_f32 v[24:25], v[34:35], v[22:23]
	s_nop 0
	v_mov_b32_e32 v20, v25
	v_pk_add_f32 v[26:27], v[24:25], v[20:21]
	s_nop 0
	v_pk_add_f32 v[28:29], v[12:13], v[26:27]
	v_mov_b32_e32 v23, v26
	v_mov_b32_e32 v25, v28
	v_pk_add_f32 v[30:31], v[24:25], v[32:33] neg_lo:[0,1] neg_hi:[0,1]
	s_nop 0
	v_sub_f32_e32 v12, v24, v30
	v_pk_add_f32 v[22:23], v[22:23], v[30:31] neg_lo:[0,1] neg_hi:[0,1]
	v_sub_f32_e32 v12, v32, v12
	v_add_f32_e32 v12, v22, v12
	v_add_f32_e32 v12, v12, v23
	;; [unrolled: 1-line block ×3, first 2 shown]
	v_cndmask_b32_e32 v70, v12, v36, vcc
.LBB23_81:                              ;   in Loop: Header=BB23_13 Depth=1
	s_or_b64 exec, exec, s[52:53]
	v_and_b32_e32 v12, 0xffff0000, v13
	v_readlane_b32 s0, v95, 2
	s_nop 1
	v_add_f32_e32 v71, s0, v12
	v_cmp_ge_f32_e32 vcc, s6, v71
	s_and_b64 s[2:3], s[4:5], vcc
	s_and_saveexec_b64 s[52:53], s[2:3]
	s_cbranch_execz .LBB23_83
; %bb.82:                               ;   in Loop: Header=BB23_13 Depth=1
	v_mul_f32_e32 v12, 0x3fb8aa3b, v71
	v_rndne_f32_e32 v13, v12
	v_sub_f32_e32 v20, v12, v13
	v_fma_f32 v12, v71, s7, -v12
	v_fmac_f32_e32 v12, 0x32a5705f, v71
	v_add_f32_e32 v12, v20, v12
	v_cvt_i32_f32_e32 v13, v13
	v_exp_f32_e32 v12, v12
	v_cmp_ngt_f32_e32 vcc, s8, v71
	v_ldexp_f32 v12, v12, v13
	s_nop 0
	v_cndmask_b32_e32 v12, 0, v12, vcc
	v_cmp_nlt_f32_e32 vcc, s9, v71
	s_nop 1
	v_cndmask_b32_e32 v34, v41, v12, vcc
	v_add_f32_e32 v20, 1.0, v34
	v_add_f32_e32 v12, -1.0, v20
	v_sub_f32_e32 v13, v12, v20
	v_add_f32_e32 v13, 1.0, v13
	v_sub_f32_e32 v12, v34, v12
	v_add_f32_e32 v22, v12, v13
	v_frexp_mant_f32_e32 v23, v20
	v_cvt_f64_f32_e32 v[12:13], v20
	v_frexp_exp_i32_f64_e32 v12, v[12:13]
	v_cmp_gt_f32_e32 vcc, s11, v23
	v_cmp_gt_f32_e64 s[2:3], s54, v34
	s_nop 0
	v_subbrev_co_u32_e32 v28, vcc, 0, v12, vcc
	v_sub_u32_e32 v12, 0, v28
	v_ldexp_f32 v13, v20, v12
	v_add_f32_e32 v20, -1.0, v13
	v_add_f32_e32 v23, 1.0, v13
	v_ldexp_f32 v12, v22, v12
	v_add_f32_e32 v22, 1.0, v20
	v_add_f32_e32 v24, -1.0, v23
	v_sub_f32_e32 v22, v13, v22
	v_sub_f32_e32 v13, v13, v24
	v_add_f32_e32 v22, v12, v22
	v_add_f32_e32 v12, v12, v13
	v_add_f32_e32 v29, v23, v12
	v_rcp_f32_e32 v31, v29
	v_sub_f32_e32 v13, v23, v29
	v_add_f32_e32 v30, v12, v13
	v_add_f32_e32 v13, v20, v22
	v_sub_f32_e32 v12, v20, v13
	v_mul_f32_e32 v32, v13, v31
	v_add_f32_e32 v20, v22, v12
	v_mul_f32_e32 v22, v29, v32
	v_fma_f32 v24, v32, v29, -v22
	v_fmac_f32_e32 v24, v32, v30
	v_add_f32_e32 v12, v22, v24
	v_sub_f32_e32 v23, v13, v12
	v_pk_add_f32 v[26:27], v[12:13], v[22:23] neg_lo:[0,1] neg_hi:[0,1]
	v_mov_b32_e32 v25, v12
	v_pk_add_f32 v[12:13], v[26:27], v[24:25] neg_lo:[0,1] neg_hi:[0,1]
	v_cmp_eq_f32_e32 vcc, s10, v34
	v_add_f32_e32 v13, v20, v13
	v_add_f32_e32 v12, v12, v13
	;; [unrolled: 1-line block ×3, first 2 shown]
	v_mul_f32_e32 v20, v31, v13
	v_mul_f32_e32 v22, v29, v20
	v_fma_f32 v24, v20, v29, -v22
	v_fmac_f32_e32 v24, v20, v30
	v_sub_f32_e32 v23, v23, v13
	v_add_f32_e32 v29, v12, v23
	v_add_f32_e32 v12, v22, v24
	v_sub_f32_e32 v23, v13, v12
	v_pk_add_f32 v[26:27], v[12:13], v[22:23] neg_lo:[0,1] neg_hi:[0,1]
	v_mov_b32_e32 v25, v12
	v_pk_add_f32 v[12:13], v[26:27], v[24:25] neg_lo:[0,1] neg_hi:[0,1]
	s_or_b64 vcc, s[2:3], vcc
	v_add_f32_e32 v13, v29, v13
	v_add_f32_e32 v12, v12, v13
	;; [unrolled: 1-line block ×4, first 2 shown]
	v_sub_f32_e32 v22, v13, v32
	v_mul_f32_e32 v12, v31, v12
	v_sub_f32_e32 v20, v20, v22
	v_add_f32_e32 v20, v20, v12
	v_add_f32_e32 v22, v13, v20
	v_mul_f32_e32 v24, v22, v22
	v_fmamk_f32 v12, v24, 0x3e9b6dac, v40
	v_fmaak_f32 v43, v24, v12, 0x3f2aaada
	v_cvt_f32_i32_e32 v12, v28
	v_sub_f32_e32 v13, v22, v13
	v_sub_f32_e32 v13, v20, v13
	v_ldexp_f32 v20, v13, 1
	v_mul_f32_e32 v13, v22, v24
	v_pk_mul_f32 v[24:25], v[12:13], v[42:43]
	v_ldexp_f32 v23, v22, 1
	v_fma_f32 v22, v12, s33, -v24
	v_fmac_f32_e32 v22, 0xb102e308, v12
	v_pk_add_f32 v[12:13], v[24:25], v[22:23]
	v_mov_b32_e32 v26, v24
	v_sub_f32_e32 v23, v13, v23
	v_sub_f32_e32 v23, v25, v23
	v_add_f32_e32 v27, v20, v23
	v_pk_add_f32 v[24:25], v[12:13], v[24:25] neg_lo:[0,1] neg_hi:[0,1]
	v_pk_add_f32 v[28:29], v[12:13], v[26:27]
	v_mov_b32_e32 v23, v12
	v_mov_b32_e32 v25, v29
	v_pk_add_f32 v[30:31], v[22:23], v[24:25] neg_lo:[0,1] neg_hi:[0,1]
	v_pk_add_f32 v[22:23], v[22:23], v[24:25]
	s_nop 0
	v_mov_b32_e32 v20, v23
	v_pk_add_f32 v[24:25], v[20:21], v[12:13] neg_lo:[0,1] neg_hi:[0,1]
	v_mov_b32_e32 v22, v29
	v_mov_b32_e32 v25, v24
	v_pk_add_f32 v[32:33], v[28:29], v[24:25] neg_lo:[0,1] neg_hi:[0,1]
	v_mov_b32_e32 v28, v13
	v_mov_b32_e32 v29, v24
	;; [unrolled: 1-line block ×3, first 2 shown]
	v_pk_add_f32 v[22:23], v[22:23], v[28:29] neg_lo:[0,1] neg_hi:[0,1]
	v_mov_b32_e32 v24, v27
	v_mov_b32_e32 v25, v12
	v_pk_add_f32 v[12:13], v[24:25], v[22:23] neg_lo:[0,1] neg_hi:[0,1]
	v_mov_b32_e32 v32, v30
	v_pk_add_f32 v[22:23], v[32:33], v[12:13]
	s_nop 0
	v_mov_b32_e32 v24, v23
	v_pk_add_f32 v[24:25], v[22:23], v[24:25]
	s_nop 0
	v_pk_add_f32 v[26:27], v[20:21], v[24:25]
	v_mov_b32_e32 v13, v24
	v_mov_b32_e32 v23, v26
	v_pk_add_f32 v[28:29], v[22:23], v[30:31] neg_lo:[0,1] neg_hi:[0,1]
	s_nop 0
	v_sub_f32_e32 v20, v22, v28
	v_pk_add_f32 v[12:13], v[12:13], v[28:29] neg_lo:[0,1] neg_hi:[0,1]
	v_sub_f32_e32 v20, v30, v20
	v_add_f32_e32 v12, v12, v20
	v_add_f32_e32 v12, v12, v13
	;; [unrolled: 1-line block ×3, first 2 shown]
	v_cndmask_b32_e32 v71, v12, v34, vcc
.LBB23_83:                              ;   in Loop: Header=BB23_13 Depth=1
	s_or_b64 exec, exec, s[52:53]
	v_lshlrev_b32_e32 v12, 16, v14
	v_readlane_b32 s0, v95, 2
	s_nop 1
	v_add_f32_e32 v90, s0, v12
	v_cmp_ge_f32_e32 vcc, s6, v90
	s_and_b64 s[2:3], s[4:5], vcc
	s_and_saveexec_b64 s[52:53], s[2:3]
	s_cbranch_execz .LBB23_85
; %bb.84:                               ;   in Loop: Header=BB23_13 Depth=1
	v_mul_f32_e32 v12, 0x3fb8aa3b, v90
	v_rndne_f32_e32 v13, v12
	v_sub_f32_e32 v20, v12, v13
	v_fma_f32 v12, v90, s7, -v12
	v_fmac_f32_e32 v12, 0x32a5705f, v90
	v_add_f32_e32 v12, v20, v12
	v_cvt_i32_f32_e32 v13, v13
	v_exp_f32_e32 v12, v12
	v_cmp_ngt_f32_e32 vcc, s8, v90
	v_ldexp_f32 v12, v12, v13
	s_nop 0
	v_cndmask_b32_e32 v12, 0, v12, vcc
	v_cmp_nlt_f32_e32 vcc, s9, v90
	s_nop 1
	v_cndmask_b32_e32 v34, v41, v12, vcc
	v_add_f32_e32 v20, 1.0, v34
	v_add_f32_e32 v12, -1.0, v20
	v_sub_f32_e32 v13, v12, v20
	v_add_f32_e32 v13, 1.0, v13
	v_sub_f32_e32 v12, v34, v12
	v_add_f32_e32 v22, v12, v13
	v_frexp_mant_f32_e32 v23, v20
	v_cvt_f64_f32_e32 v[12:13], v20
	v_frexp_exp_i32_f64_e32 v12, v[12:13]
	v_cmp_gt_f32_e32 vcc, s11, v23
	v_cmp_gt_f32_e64 s[2:3], s54, v34
	s_nop 0
	v_subbrev_co_u32_e32 v28, vcc, 0, v12, vcc
	v_sub_u32_e32 v12, 0, v28
	v_ldexp_f32 v13, v20, v12
	v_add_f32_e32 v20, -1.0, v13
	v_add_f32_e32 v23, 1.0, v13
	v_ldexp_f32 v12, v22, v12
	v_add_f32_e32 v22, 1.0, v20
	v_add_f32_e32 v24, -1.0, v23
	v_sub_f32_e32 v22, v13, v22
	v_sub_f32_e32 v13, v13, v24
	v_add_f32_e32 v22, v12, v22
	v_add_f32_e32 v12, v12, v13
	v_add_f32_e32 v29, v23, v12
	v_rcp_f32_e32 v31, v29
	v_sub_f32_e32 v13, v23, v29
	v_add_f32_e32 v30, v12, v13
	v_add_f32_e32 v13, v20, v22
	v_sub_f32_e32 v12, v20, v13
	v_mul_f32_e32 v32, v13, v31
	v_add_f32_e32 v20, v22, v12
	v_mul_f32_e32 v22, v29, v32
	v_fma_f32 v24, v32, v29, -v22
	v_fmac_f32_e32 v24, v32, v30
	v_add_f32_e32 v12, v22, v24
	v_sub_f32_e32 v23, v13, v12
	v_pk_add_f32 v[26:27], v[12:13], v[22:23] neg_lo:[0,1] neg_hi:[0,1]
	v_mov_b32_e32 v25, v12
	v_pk_add_f32 v[12:13], v[26:27], v[24:25] neg_lo:[0,1] neg_hi:[0,1]
	v_cmp_eq_f32_e32 vcc, s10, v34
	v_add_f32_e32 v13, v20, v13
	v_add_f32_e32 v12, v12, v13
	;; [unrolled: 1-line block ×3, first 2 shown]
	v_mul_f32_e32 v20, v31, v13
	v_mul_f32_e32 v22, v29, v20
	v_fma_f32 v24, v20, v29, -v22
	v_fmac_f32_e32 v24, v20, v30
	v_sub_f32_e32 v23, v23, v13
	v_add_f32_e32 v29, v12, v23
	v_add_f32_e32 v12, v22, v24
	v_sub_f32_e32 v23, v13, v12
	v_pk_add_f32 v[26:27], v[12:13], v[22:23] neg_lo:[0,1] neg_hi:[0,1]
	v_mov_b32_e32 v25, v12
	v_pk_add_f32 v[12:13], v[26:27], v[24:25] neg_lo:[0,1] neg_hi:[0,1]
	s_or_b64 vcc, s[2:3], vcc
	v_add_f32_e32 v13, v29, v13
	v_add_f32_e32 v12, v12, v13
	;; [unrolled: 1-line block ×4, first 2 shown]
	v_sub_f32_e32 v22, v13, v32
	v_mul_f32_e32 v12, v31, v12
	v_sub_f32_e32 v20, v20, v22
	v_add_f32_e32 v20, v20, v12
	v_add_f32_e32 v22, v13, v20
	v_mul_f32_e32 v24, v22, v22
	v_fmamk_f32 v12, v24, 0x3e9b6dac, v40
	v_fmaak_f32 v43, v24, v12, 0x3f2aaada
	v_cvt_f32_i32_e32 v12, v28
	v_sub_f32_e32 v13, v22, v13
	v_sub_f32_e32 v13, v20, v13
	v_ldexp_f32 v20, v13, 1
	v_mul_f32_e32 v13, v22, v24
	v_pk_mul_f32 v[24:25], v[12:13], v[42:43]
	v_ldexp_f32 v23, v22, 1
	v_fma_f32 v22, v12, s33, -v24
	v_fmac_f32_e32 v22, 0xb102e308, v12
	v_pk_add_f32 v[12:13], v[24:25], v[22:23]
	v_mov_b32_e32 v26, v24
	v_sub_f32_e32 v23, v13, v23
	v_sub_f32_e32 v23, v25, v23
	v_add_f32_e32 v27, v20, v23
	v_pk_add_f32 v[24:25], v[12:13], v[24:25] neg_lo:[0,1] neg_hi:[0,1]
	v_pk_add_f32 v[28:29], v[12:13], v[26:27]
	v_mov_b32_e32 v23, v12
	v_mov_b32_e32 v25, v29
	v_pk_add_f32 v[30:31], v[22:23], v[24:25] neg_lo:[0,1] neg_hi:[0,1]
	v_pk_add_f32 v[22:23], v[22:23], v[24:25]
	s_nop 0
	v_mov_b32_e32 v20, v23
	v_pk_add_f32 v[24:25], v[20:21], v[12:13] neg_lo:[0,1] neg_hi:[0,1]
	v_mov_b32_e32 v22, v29
	v_mov_b32_e32 v25, v24
	v_pk_add_f32 v[32:33], v[28:29], v[24:25] neg_lo:[0,1] neg_hi:[0,1]
	v_mov_b32_e32 v28, v13
	v_mov_b32_e32 v29, v24
	;; [unrolled: 1-line block ×3, first 2 shown]
	v_pk_add_f32 v[22:23], v[22:23], v[28:29] neg_lo:[0,1] neg_hi:[0,1]
	v_mov_b32_e32 v24, v27
	v_mov_b32_e32 v25, v12
	v_pk_add_f32 v[12:13], v[24:25], v[22:23] neg_lo:[0,1] neg_hi:[0,1]
	v_mov_b32_e32 v32, v30
	v_pk_add_f32 v[22:23], v[32:33], v[12:13]
	s_nop 0
	v_mov_b32_e32 v24, v23
	v_pk_add_f32 v[24:25], v[22:23], v[24:25]
	s_nop 0
	v_pk_add_f32 v[26:27], v[20:21], v[24:25]
	v_mov_b32_e32 v13, v24
	v_mov_b32_e32 v23, v26
	v_pk_add_f32 v[28:29], v[22:23], v[30:31] neg_lo:[0,1] neg_hi:[0,1]
	s_nop 0
	v_sub_f32_e32 v20, v22, v28
	v_pk_add_f32 v[12:13], v[12:13], v[28:29] neg_lo:[0,1] neg_hi:[0,1]
	v_sub_f32_e32 v20, v30, v20
	v_add_f32_e32 v12, v12, v20
	v_add_f32_e32 v12, v12, v13
	;; [unrolled: 1-line block ×3, first 2 shown]
	v_cndmask_b32_e32 v90, v12, v34, vcc
.LBB23_85:                              ;   in Loop: Header=BB23_13 Depth=1
	s_or_b64 exec, exec, s[52:53]
	v_and_b32_e32 v12, 0xffff0000, v14
	v_readlane_b32 s0, v95, 2
	s_nop 1
	v_add_f32_e32 v91, s0, v12
	v_cmp_ge_f32_e32 vcc, s6, v91
	s_and_b64 s[2:3], s[4:5], vcc
	s_and_saveexec_b64 s[52:53], s[2:3]
	s_cbranch_execz .LBB23_87
; %bb.86:                               ;   in Loop: Header=BB23_13 Depth=1
	v_mul_f32_e32 v12, 0x3fb8aa3b, v91
	v_rndne_f32_e32 v13, v12
	v_sub_f32_e32 v14, v12, v13
	v_fma_f32 v12, v91, s7, -v12
	v_fmac_f32_e32 v12, 0x32a5705f, v91
	v_add_f32_e32 v12, v14, v12
	v_cvt_i32_f32_e32 v13, v13
	v_exp_f32_e32 v12, v12
	v_cmp_ngt_f32_e32 vcc, s8, v91
	v_ldexp_f32 v12, v12, v13
	s_nop 0
	v_cndmask_b32_e32 v12, 0, v12, vcc
	v_cmp_nlt_f32_e32 vcc, s9, v91
	s_nop 1
	v_cndmask_b32_e32 v34, v41, v12, vcc
	v_add_f32_e32 v14, 1.0, v34
	v_add_f32_e32 v12, -1.0, v14
	v_sub_f32_e32 v13, v12, v14
	v_add_f32_e32 v13, 1.0, v13
	v_sub_f32_e32 v12, v34, v12
	v_add_f32_e32 v20, v12, v13
	v_frexp_mant_f32_e32 v22, v14
	v_cvt_f64_f32_e32 v[12:13], v14
	v_frexp_exp_i32_f64_e32 v12, v[12:13]
	v_cmp_gt_f32_e32 vcc, s11, v22
	v_cmp_gt_f32_e64 s[2:3], s54, v34
	s_nop 0
	v_subbrev_co_u32_e32 v28, vcc, 0, v12, vcc
	v_sub_u32_e32 v12, 0, v28
	v_ldexp_f32 v13, v14, v12
	v_add_f32_e32 v14, -1.0, v13
	v_add_f32_e32 v22, 1.0, v13
	v_ldexp_f32 v12, v20, v12
	v_add_f32_e32 v20, 1.0, v14
	v_add_f32_e32 v23, -1.0, v22
	v_sub_f32_e32 v20, v13, v20
	v_sub_f32_e32 v13, v13, v23
	v_add_f32_e32 v20, v12, v20
	v_add_f32_e32 v12, v12, v13
	v_add_f32_e32 v29, v22, v12
	v_rcp_f32_e32 v31, v29
	v_sub_f32_e32 v13, v22, v29
	v_add_f32_e32 v30, v12, v13
	v_add_f32_e32 v13, v14, v20
	v_sub_f32_e32 v12, v14, v13
	v_add_f32_e32 v14, v20, v12
	v_mul_f32_e32 v20, v13, v31
	v_mul_f32_e32 v22, v29, v20
	v_fma_f32 v24, v20, v29, -v22
	v_fmac_f32_e32 v24, v20, v30
	v_add_f32_e32 v12, v22, v24
	v_sub_f32_e32 v23, v13, v12
	v_pk_add_f32 v[26:27], v[12:13], v[22:23] neg_lo:[0,1] neg_hi:[0,1]
	v_mov_b32_e32 v25, v12
	v_pk_add_f32 v[12:13], v[26:27], v[24:25] neg_lo:[0,1] neg_hi:[0,1]
	v_cmp_eq_f32_e32 vcc, s10, v34
	v_add_f32_e32 v13, v14, v13
	v_add_f32_e32 v12, v12, v13
	;; [unrolled: 1-line block ×3, first 2 shown]
	v_mul_f32_e32 v14, v31, v13
	v_mul_f32_e32 v22, v29, v14
	v_fma_f32 v24, v14, v29, -v22
	v_fmac_f32_e32 v24, v14, v30
	v_sub_f32_e32 v23, v23, v13
	v_add_f32_e32 v29, v12, v23
	v_add_f32_e32 v12, v22, v24
	v_sub_f32_e32 v23, v13, v12
	v_pk_add_f32 v[26:27], v[12:13], v[22:23] neg_lo:[0,1] neg_hi:[0,1]
	v_mov_b32_e32 v25, v12
	v_pk_add_f32 v[12:13], v[26:27], v[24:25] neg_lo:[0,1] neg_hi:[0,1]
	s_or_b64 vcc, s[2:3], vcc
	v_add_f32_e32 v13, v29, v13
	v_add_f32_e32 v12, v12, v13
	v_add_f32_e32 v13, v20, v14
	v_add_f32_e32 v12, v23, v12
	v_sub_f32_e32 v20, v13, v20
	v_mul_f32_e32 v12, v31, v12
	v_sub_f32_e32 v14, v14, v20
	v_add_f32_e32 v14, v14, v12
	v_add_f32_e32 v20, v13, v14
	v_mul_f32_e32 v22, v20, v20
	v_fmamk_f32 v12, v22, 0x3e9b6dac, v40
	v_fmaak_f32 v43, v22, v12, 0x3f2aaada
	v_cvt_f32_i32_e32 v12, v28
	v_sub_f32_e32 v13, v20, v13
	v_sub_f32_e32 v13, v14, v13
	v_ldexp_f32 v14, v13, 1
	v_mul_f32_e32 v13, v20, v22
	v_pk_mul_f32 v[24:25], v[12:13], v[42:43]
	v_ldexp_f32 v23, v20, 1
	v_fma_f32 v22, v12, s33, -v24
	v_fmac_f32_e32 v22, 0xb102e308, v12
	v_pk_add_f32 v[12:13], v[24:25], v[22:23]
	v_mov_b32_e32 v26, v24
	v_sub_f32_e32 v20, v13, v23
	v_sub_f32_e32 v20, v25, v20
	v_add_f32_e32 v27, v14, v20
	v_pk_add_f32 v[24:25], v[12:13], v[24:25] neg_lo:[0,1] neg_hi:[0,1]
	v_pk_add_f32 v[28:29], v[12:13], v[26:27]
	v_mov_b32_e32 v23, v12
	v_mov_b32_e32 v25, v29
	v_pk_add_f32 v[30:31], v[22:23], v[24:25] neg_lo:[0,1] neg_hi:[0,1]
	v_pk_add_f32 v[22:23], v[22:23], v[24:25]
	s_nop 0
	v_mov_b32_e32 v14, v23
	v_pk_add_f32 v[24:25], v[14:15], v[12:13] neg_lo:[0,1] neg_hi:[0,1]
	v_mov_b32_e32 v22, v29
	v_mov_b32_e32 v25, v24
	v_pk_add_f32 v[32:33], v[28:29], v[24:25] neg_lo:[0,1] neg_hi:[0,1]
	v_mov_b32_e32 v28, v13
	v_mov_b32_e32 v29, v24
	;; [unrolled: 1-line block ×3, first 2 shown]
	v_pk_add_f32 v[22:23], v[22:23], v[28:29] neg_lo:[0,1] neg_hi:[0,1]
	v_mov_b32_e32 v24, v27
	v_mov_b32_e32 v25, v12
	v_pk_add_f32 v[12:13], v[24:25], v[22:23] neg_lo:[0,1] neg_hi:[0,1]
	v_mov_b32_e32 v32, v30
	v_pk_add_f32 v[22:23], v[32:33], v[12:13]
	s_nop 0
	v_mov_b32_e32 v20, v23
	v_pk_add_f32 v[24:25], v[22:23], v[20:21]
	s_nop 0
	v_pk_add_f32 v[26:27], v[14:15], v[24:25]
	v_mov_b32_e32 v13, v24
	v_mov_b32_e32 v23, v26
	v_pk_add_f32 v[28:29], v[22:23], v[30:31] neg_lo:[0,1] neg_hi:[0,1]
	s_nop 0
	v_sub_f32_e32 v14, v22, v28
	v_pk_add_f32 v[12:13], v[12:13], v[28:29] neg_lo:[0,1] neg_hi:[0,1]
	v_sub_f32_e32 v14, v30, v14
	v_add_f32_e32 v12, v12, v14
	v_add_f32_e32 v12, v12, v13
	;; [unrolled: 1-line block ×3, first 2 shown]
	v_cndmask_b32_e32 v91, v12, v34, vcc
.LBB23_87:                              ;   in Loop: Header=BB23_13 Depth=1
	s_or_b64 exec, exec, s[52:53]
	v_lshlrev_b32_e32 v12, 16, v15
	v_readlane_b32 s0, v95, 2
	s_nop 1
	v_add_f32_e32 v92, s0, v12
	v_cmp_ge_f32_e32 vcc, s6, v92
	s_and_b64 s[2:3], s[4:5], vcc
	s_and_saveexec_b64 s[52:53], s[2:3]
	s_cbranch_execz .LBB23_89
; %bb.88:                               ;   in Loop: Header=BB23_13 Depth=1
	v_mul_f32_e32 v12, 0x3fb8aa3b, v92
	v_rndne_f32_e32 v13, v12
	v_sub_f32_e32 v14, v12, v13
	v_fma_f32 v12, v92, s7, -v12
	v_fmac_f32_e32 v12, 0x32a5705f, v92
	v_add_f32_e32 v12, v14, v12
	v_cvt_i32_f32_e32 v13, v13
	v_exp_f32_e32 v12, v12
	v_cmp_ngt_f32_e32 vcc, s8, v92
	v_ldexp_f32 v12, v12, v13
	s_nop 0
	v_cndmask_b32_e32 v12, 0, v12, vcc
	v_cmp_nlt_f32_e32 vcc, s9, v92
	s_nop 1
	v_cndmask_b32_e32 v34, v41, v12, vcc
	v_add_f32_e32 v14, 1.0, v34
	v_add_f32_e32 v12, -1.0, v14
	v_sub_f32_e32 v13, v12, v14
	v_add_f32_e32 v13, 1.0, v13
	v_sub_f32_e32 v12, v34, v12
	v_add_f32_e32 v20, v12, v13
	v_frexp_mant_f32_e32 v22, v14
	v_cvt_f64_f32_e32 v[12:13], v14
	v_frexp_exp_i32_f64_e32 v12, v[12:13]
	v_cmp_gt_f32_e32 vcc, s11, v22
	v_cmp_gt_f32_e64 s[2:3], s54, v34
	s_nop 0
	v_subbrev_co_u32_e32 v28, vcc, 0, v12, vcc
	v_sub_u32_e32 v12, 0, v28
	v_ldexp_f32 v13, v14, v12
	v_add_f32_e32 v14, -1.0, v13
	v_add_f32_e32 v22, 1.0, v13
	v_ldexp_f32 v12, v20, v12
	v_add_f32_e32 v20, 1.0, v14
	v_add_f32_e32 v23, -1.0, v22
	v_sub_f32_e32 v20, v13, v20
	v_sub_f32_e32 v13, v13, v23
	v_add_f32_e32 v20, v12, v20
	v_add_f32_e32 v12, v12, v13
	;; [unrolled: 1-line block ×3, first 2 shown]
	v_rcp_f32_e32 v31, v29
	v_sub_f32_e32 v13, v22, v29
	v_add_f32_e32 v30, v12, v13
	v_add_f32_e32 v13, v14, v20
	v_sub_f32_e32 v12, v14, v13
	v_add_f32_e32 v14, v20, v12
	v_mul_f32_e32 v20, v13, v31
	v_mul_f32_e32 v22, v29, v20
	v_fma_f32 v24, v20, v29, -v22
	v_fmac_f32_e32 v24, v20, v30
	v_add_f32_e32 v12, v22, v24
	v_sub_f32_e32 v23, v13, v12
	v_pk_add_f32 v[26:27], v[12:13], v[22:23] neg_lo:[0,1] neg_hi:[0,1]
	v_mov_b32_e32 v25, v12
	v_pk_add_f32 v[12:13], v[26:27], v[24:25] neg_lo:[0,1] neg_hi:[0,1]
	v_cmp_eq_f32_e32 vcc, s10, v34
	v_add_f32_e32 v13, v14, v13
	v_add_f32_e32 v12, v12, v13
	;; [unrolled: 1-line block ×3, first 2 shown]
	v_mul_f32_e32 v14, v31, v13
	v_mul_f32_e32 v22, v29, v14
	v_fma_f32 v24, v14, v29, -v22
	v_fmac_f32_e32 v24, v14, v30
	v_sub_f32_e32 v23, v23, v13
	v_add_f32_e32 v29, v12, v23
	v_add_f32_e32 v12, v22, v24
	v_sub_f32_e32 v23, v13, v12
	v_pk_add_f32 v[26:27], v[12:13], v[22:23] neg_lo:[0,1] neg_hi:[0,1]
	v_mov_b32_e32 v25, v12
	v_pk_add_f32 v[12:13], v[26:27], v[24:25] neg_lo:[0,1] neg_hi:[0,1]
	s_or_b64 vcc, s[2:3], vcc
	v_add_f32_e32 v13, v29, v13
	v_add_f32_e32 v12, v12, v13
	;; [unrolled: 1-line block ×4, first 2 shown]
	v_sub_f32_e32 v20, v13, v20
	v_mul_f32_e32 v12, v31, v12
	v_sub_f32_e32 v14, v14, v20
	v_add_f32_e32 v14, v14, v12
	v_add_f32_e32 v20, v13, v14
	v_mul_f32_e32 v22, v20, v20
	v_fmamk_f32 v12, v22, 0x3e9b6dac, v40
	v_fmaak_f32 v43, v22, v12, 0x3f2aaada
	v_cvt_f32_i32_e32 v12, v28
	v_sub_f32_e32 v13, v20, v13
	v_sub_f32_e32 v13, v14, v13
	v_ldexp_f32 v14, v13, 1
	v_mul_f32_e32 v13, v20, v22
	v_pk_mul_f32 v[24:25], v[12:13], v[42:43]
	v_ldexp_f32 v23, v20, 1
	v_fma_f32 v22, v12, s33, -v24
	v_fmac_f32_e32 v22, 0xb102e308, v12
	v_pk_add_f32 v[12:13], v[24:25], v[22:23]
	v_mov_b32_e32 v26, v24
	v_sub_f32_e32 v20, v13, v23
	v_sub_f32_e32 v20, v25, v20
	v_add_f32_e32 v27, v14, v20
	v_pk_add_f32 v[24:25], v[12:13], v[24:25] neg_lo:[0,1] neg_hi:[0,1]
	v_pk_add_f32 v[28:29], v[12:13], v[26:27]
	v_mov_b32_e32 v23, v12
	v_mov_b32_e32 v25, v29
	v_pk_add_f32 v[30:31], v[22:23], v[24:25] neg_lo:[0,1] neg_hi:[0,1]
	v_pk_add_f32 v[22:23], v[22:23], v[24:25]
	s_nop 0
	v_mov_b32_e32 v14, v23
	v_pk_add_f32 v[24:25], v[14:15], v[12:13] neg_lo:[0,1] neg_hi:[0,1]
	v_mov_b32_e32 v22, v29
	v_mov_b32_e32 v25, v24
	v_pk_add_f32 v[32:33], v[28:29], v[24:25] neg_lo:[0,1] neg_hi:[0,1]
	v_mov_b32_e32 v28, v13
	v_mov_b32_e32 v29, v24
	;; [unrolled: 1-line block ×3, first 2 shown]
	v_pk_add_f32 v[22:23], v[22:23], v[28:29] neg_lo:[0,1] neg_hi:[0,1]
	v_mov_b32_e32 v24, v27
	v_mov_b32_e32 v25, v12
	v_pk_add_f32 v[12:13], v[24:25], v[22:23] neg_lo:[0,1] neg_hi:[0,1]
	v_mov_b32_e32 v32, v30
	v_pk_add_f32 v[22:23], v[32:33], v[12:13]
	s_nop 0
	v_mov_b32_e32 v20, v23
	v_pk_add_f32 v[24:25], v[22:23], v[20:21]
	s_nop 0
	v_pk_add_f32 v[26:27], v[14:15], v[24:25]
	v_mov_b32_e32 v13, v24
	v_mov_b32_e32 v23, v26
	v_pk_add_f32 v[28:29], v[22:23], v[30:31] neg_lo:[0,1] neg_hi:[0,1]
	s_nop 0
	v_sub_f32_e32 v14, v22, v28
	v_pk_add_f32 v[12:13], v[12:13], v[28:29] neg_lo:[0,1] neg_hi:[0,1]
	v_sub_f32_e32 v14, v30, v14
	v_add_f32_e32 v12, v12, v14
	v_add_f32_e32 v12, v12, v13
	;; [unrolled: 1-line block ×3, first 2 shown]
	v_cndmask_b32_e32 v92, v12, v34, vcc
.LBB23_89:                              ;   in Loop: Header=BB23_13 Depth=1
	s_or_b64 exec, exec, s[52:53]
	v_and_b32_e32 v12, 0xffff0000, v15
	v_readlane_b32 s0, v95, 2
	s_nop 1
	v_add_f32_e32 v93, s0, v12
	v_cmp_ge_f32_e32 vcc, s6, v93
	s_and_b64 s[2:3], s[4:5], vcc
	s_and_saveexec_b64 s[52:53], s[2:3]
	s_cbranch_execz .LBB23_91
; %bb.90:                               ;   in Loop: Header=BB23_13 Depth=1
	v_mul_f32_e32 v12, 0x3fb8aa3b, v93
	v_rndne_f32_e32 v13, v12
	v_sub_f32_e32 v14, v12, v13
	v_fma_f32 v12, v93, s7, -v12
	v_fmac_f32_e32 v12, 0x32a5705f, v93
	v_add_f32_e32 v12, v14, v12
	v_cvt_i32_f32_e32 v13, v13
	v_exp_f32_e32 v12, v12
	v_cmp_ngt_f32_e32 vcc, s8, v93
	v_ldexp_f32 v12, v12, v13
	s_nop 0
	v_cndmask_b32_e32 v12, 0, v12, vcc
	v_cmp_nlt_f32_e32 vcc, s9, v93
	s_nop 1
	v_cndmask_b32_e32 v32, v41, v12, vcc
	v_add_f32_e32 v14, 1.0, v32
	v_add_f32_e32 v12, -1.0, v14
	v_sub_f32_e32 v13, v12, v14
	v_add_f32_e32 v13, 1.0, v13
	v_sub_f32_e32 v12, v32, v12
	v_add_f32_e32 v15, v12, v13
	v_frexp_mant_f32_e32 v20, v14
	v_cvt_f64_f32_e32 v[12:13], v14
	v_frexp_exp_i32_f64_e32 v12, v[12:13]
	v_cmp_gt_f32_e32 vcc, s11, v20
	v_cmp_gt_f32_e64 s[2:3], s54, v32
	s_nop 0
	v_subbrev_co_u32_e32 v20, vcc, 0, v12, vcc
	v_sub_u32_e32 v12, 0, v20
	v_ldexp_f32 v13, v14, v12
	v_add_f32_e32 v14, -1.0, v13
	v_add_f32_e32 v22, 1.0, v13
	v_ldexp_f32 v12, v15, v12
	v_add_f32_e32 v15, 1.0, v14
	v_add_f32_e32 v23, -1.0, v22
	v_sub_f32_e32 v15, v13, v15
	v_sub_f32_e32 v13, v13, v23
	v_add_f32_e32 v15, v12, v15
	v_add_f32_e32 v12, v12, v13
	;; [unrolled: 1-line block ×3, first 2 shown]
	v_rcp_f32_e32 v28, v26
	v_sub_f32_e32 v13, v22, v26
	v_add_f32_e32 v27, v12, v13
	v_add_f32_e32 v13, v14, v15
	v_mul_f32_e32 v30, v13, v28
	v_sub_f32_e32 v12, v14, v13
	v_mul_f32_e32 v14, v26, v30
	v_fma_f32 v22, v30, v26, -v14
	v_fmac_f32_e32 v22, v30, v27
	v_add_f32_e32 v29, v15, v12
	v_add_f32_e32 v12, v14, v22
	v_sub_f32_e32 v15, v13, v12
	v_pk_add_f32 v[24:25], v[12:13], v[14:15] neg_lo:[0,1] neg_hi:[0,1]
	v_mov_b32_e32 v23, v12
	v_pk_add_f32 v[12:13], v[24:25], v[22:23] neg_lo:[0,1] neg_hi:[0,1]
	v_cmp_eq_f32_e32 vcc, s10, v32
	v_add_f32_e32 v13, v29, v13
	v_add_f32_e32 v12, v12, v13
	;; [unrolled: 1-line block ×3, first 2 shown]
	v_mul_f32_e32 v29, v28, v13
	v_mul_f32_e32 v14, v26, v29
	v_fma_f32 v22, v29, v26, -v14
	v_fmac_f32_e32 v22, v29, v27
	v_sub_f32_e32 v15, v15, v13
	v_add_f32_e32 v26, v12, v15
	v_add_f32_e32 v12, v14, v22
	v_sub_f32_e32 v15, v13, v12
	v_pk_add_f32 v[24:25], v[12:13], v[14:15] neg_lo:[0,1] neg_hi:[0,1]
	v_mov_b32_e32 v23, v12
	v_pk_add_f32 v[12:13], v[24:25], v[22:23] neg_lo:[0,1] neg_hi:[0,1]
	s_or_b64 vcc, s[2:3], vcc
	v_add_f32_e32 v13, v26, v13
	v_add_f32_e32 v12, v12, v13
	;; [unrolled: 1-line block ×4, first 2 shown]
	v_sub_f32_e32 v14, v13, v30
	v_mul_f32_e32 v12, v28, v12
	v_sub_f32_e32 v14, v29, v14
	v_add_f32_e32 v14, v14, v12
	v_add_f32_e32 v22, v13, v14
	v_mul_f32_e32 v23, v22, v22
	v_fmamk_f32 v12, v23, 0x3e9b6dac, v40
	v_fmaak_f32 v43, v23, v12, 0x3f2aaada
	v_cvt_f32_i32_e32 v12, v20
	v_sub_f32_e32 v13, v22, v13
	v_sub_f32_e32 v13, v14, v13
	v_ldexp_f32 v20, v13, 1
	v_mul_f32_e32 v13, v22, v23
	v_ldexp_f32 v15, v22, 1
	v_pk_mul_f32 v[22:23], v[12:13], v[42:43]
	s_nop 0
	v_fma_f32 v14, v12, s33, -v22
	v_fmac_f32_e32 v14, 0xb102e308, v12
	v_pk_add_f32 v[12:13], v[22:23], v[14:15]
	v_mov_b32_e32 v24, v22
	v_sub_f32_e32 v15, v13, v15
	v_sub_f32_e32 v15, v23, v15
	v_add_f32_e32 v25, v20, v15
	v_pk_add_f32 v[22:23], v[12:13], v[22:23] neg_lo:[0,1] neg_hi:[0,1]
	v_pk_add_f32 v[26:27], v[12:13], v[24:25]
	v_mov_b32_e32 v15, v12
	v_mov_b32_e32 v23, v27
	v_pk_add_f32 v[28:29], v[14:15], v[22:23] neg_lo:[0,1] neg_hi:[0,1]
	v_pk_add_f32 v[14:15], v[14:15], v[22:23]
	s_nop 0
	v_mov_b32_e32 v20, v15
	v_pk_add_f32 v[22:23], v[20:21], v[12:13] neg_lo:[0,1] neg_hi:[0,1]
	v_mov_b32_e32 v14, v27
	v_mov_b32_e32 v23, v22
	v_pk_add_f32 v[30:31], v[26:27], v[22:23] neg_lo:[0,1] neg_hi:[0,1]
	v_mov_b32_e32 v26, v13
	v_mov_b32_e32 v27, v22
	;; [unrolled: 1-line block ×3, first 2 shown]
	v_pk_add_f32 v[14:15], v[14:15], v[26:27] neg_lo:[0,1] neg_hi:[0,1]
	v_mov_b32_e32 v22, v25
	v_mov_b32_e32 v23, v12
	v_pk_add_f32 v[12:13], v[22:23], v[14:15] neg_lo:[0,1] neg_hi:[0,1]
	v_mov_b32_e32 v30, v28
	v_pk_add_f32 v[14:15], v[30:31], v[12:13]
	s_nop 0
	v_mov_b32_e32 v22, v15
	v_pk_add_f32 v[22:23], v[14:15], v[22:23]
	s_nop 0
	v_pk_add_f32 v[24:25], v[20:21], v[22:23]
	v_mov_b32_e32 v13, v22
	v_mov_b32_e32 v15, v24
	v_pk_add_f32 v[26:27], v[14:15], v[28:29] neg_lo:[0,1] neg_hi:[0,1]
	s_nop 0
	v_sub_f32_e32 v14, v14, v26
	v_pk_add_f32 v[12:13], v[12:13], v[26:27] neg_lo:[0,1] neg_hi:[0,1]
	v_sub_f32_e32 v14, v28, v14
	v_add_f32_e32 v12, v12, v14
	v_add_f32_e32 v12, v12, v13
	;; [unrolled: 1-line block ×3, first 2 shown]
	v_cndmask_b32_e32 v93, v12, v32, vcc
.LBB23_91:                              ;   in Loop: Header=BB23_13 Depth=1
	s_or_b64 exec, exec, s[52:53]
	s_waitcnt lgkmcnt(0)
	v_lshlrev_b32_e32 v12, 16, v8
	v_readlane_b32 s0, v95, 2
	s_nop 1
	v_add_f32_e32 v94, s0, v12
	v_cmp_ge_f32_e32 vcc, s6, v94
	s_and_b64 s[2:3], s[4:5], vcc
	s_and_saveexec_b64 s[52:53], s[2:3]
	s_cbranch_execz .LBB23_93
; %bb.92:                               ;   in Loop: Header=BB23_13 Depth=1
	v_mul_f32_e32 v12, 0x3fb8aa3b, v94
	v_rndne_f32_e32 v13, v12
	v_sub_f32_e32 v14, v12, v13
	v_fma_f32 v12, v94, s7, -v12
	v_fmac_f32_e32 v12, 0x32a5705f, v94
	v_add_f32_e32 v12, v14, v12
	v_cvt_i32_f32_e32 v13, v13
	v_exp_f32_e32 v12, v12
	v_cmp_ngt_f32_e32 vcc, s8, v94
	v_ldexp_f32 v12, v12, v13
	s_nop 0
	v_cndmask_b32_e32 v12, 0, v12, vcc
	v_cmp_nlt_f32_e32 vcc, s9, v94
	s_nop 1
	v_cndmask_b32_e32 v32, v41, v12, vcc
	v_add_f32_e32 v14, 1.0, v32
	v_add_f32_e32 v12, -1.0, v14
	v_sub_f32_e32 v13, v12, v14
	v_add_f32_e32 v13, 1.0, v13
	v_sub_f32_e32 v12, v32, v12
	v_add_f32_e32 v15, v12, v13
	v_frexp_mant_f32_e32 v20, v14
	v_cvt_f64_f32_e32 v[12:13], v14
	v_frexp_exp_i32_f64_e32 v12, v[12:13]
	v_cmp_gt_f32_e32 vcc, s11, v20
	v_cmp_gt_f32_e64 s[2:3], s54, v32
	s_nop 0
	v_subbrev_co_u32_e32 v20, vcc, 0, v12, vcc
	v_sub_u32_e32 v12, 0, v20
	v_ldexp_f32 v13, v14, v12
	v_add_f32_e32 v14, -1.0, v13
	v_add_f32_e32 v22, 1.0, v13
	v_ldexp_f32 v12, v15, v12
	v_add_f32_e32 v15, 1.0, v14
	v_add_f32_e32 v23, -1.0, v22
	v_sub_f32_e32 v15, v13, v15
	v_sub_f32_e32 v13, v13, v23
	v_add_f32_e32 v15, v12, v15
	v_add_f32_e32 v12, v12, v13
	;; [unrolled: 1-line block ×3, first 2 shown]
	v_rcp_f32_e32 v28, v26
	v_sub_f32_e32 v13, v22, v26
	v_add_f32_e32 v27, v12, v13
	v_add_f32_e32 v13, v14, v15
	v_mul_f32_e32 v30, v13, v28
	v_sub_f32_e32 v12, v14, v13
	v_mul_f32_e32 v14, v26, v30
	v_fma_f32 v22, v30, v26, -v14
	v_fmac_f32_e32 v22, v30, v27
	v_add_f32_e32 v29, v15, v12
	v_add_f32_e32 v12, v14, v22
	v_sub_f32_e32 v15, v13, v12
	v_pk_add_f32 v[24:25], v[12:13], v[14:15] neg_lo:[0,1] neg_hi:[0,1]
	v_mov_b32_e32 v23, v12
	v_pk_add_f32 v[12:13], v[24:25], v[22:23] neg_lo:[0,1] neg_hi:[0,1]
	v_cmp_eq_f32_e32 vcc, s10, v32
	v_add_f32_e32 v13, v29, v13
	v_add_f32_e32 v12, v12, v13
	;; [unrolled: 1-line block ×3, first 2 shown]
	v_mul_f32_e32 v29, v28, v13
	v_mul_f32_e32 v14, v26, v29
	v_fma_f32 v22, v29, v26, -v14
	v_fmac_f32_e32 v22, v29, v27
	v_sub_f32_e32 v15, v15, v13
	v_add_f32_e32 v26, v12, v15
	v_add_f32_e32 v12, v14, v22
	v_sub_f32_e32 v15, v13, v12
	v_pk_add_f32 v[24:25], v[12:13], v[14:15] neg_lo:[0,1] neg_hi:[0,1]
	v_mov_b32_e32 v23, v12
	v_pk_add_f32 v[12:13], v[24:25], v[22:23] neg_lo:[0,1] neg_hi:[0,1]
	s_or_b64 vcc, s[2:3], vcc
	v_add_f32_e32 v13, v26, v13
	v_add_f32_e32 v12, v12, v13
	v_add_f32_e32 v13, v30, v29
	v_add_f32_e32 v12, v15, v12
	v_sub_f32_e32 v14, v13, v30
	v_mul_f32_e32 v12, v28, v12
	v_sub_f32_e32 v14, v29, v14
	v_add_f32_e32 v14, v14, v12
	v_add_f32_e32 v22, v13, v14
	v_mul_f32_e32 v23, v22, v22
	v_fmamk_f32 v12, v23, 0x3e9b6dac, v40
	v_fmaak_f32 v43, v23, v12, 0x3f2aaada
	v_cvt_f32_i32_e32 v12, v20
	v_sub_f32_e32 v13, v22, v13
	v_sub_f32_e32 v13, v14, v13
	v_ldexp_f32 v20, v13, 1
	v_mul_f32_e32 v13, v22, v23
	v_ldexp_f32 v15, v22, 1
	v_pk_mul_f32 v[22:23], v[12:13], v[42:43]
	s_nop 0
	v_fma_f32 v14, v12, s33, -v22
	v_fmac_f32_e32 v14, 0xb102e308, v12
	v_pk_add_f32 v[12:13], v[22:23], v[14:15]
	v_mov_b32_e32 v24, v22
	v_sub_f32_e32 v15, v13, v15
	v_sub_f32_e32 v15, v23, v15
	v_add_f32_e32 v25, v20, v15
	v_pk_add_f32 v[22:23], v[12:13], v[22:23] neg_lo:[0,1] neg_hi:[0,1]
	v_pk_add_f32 v[26:27], v[12:13], v[24:25]
	v_mov_b32_e32 v15, v12
	v_mov_b32_e32 v23, v27
	v_pk_add_f32 v[28:29], v[14:15], v[22:23] neg_lo:[0,1] neg_hi:[0,1]
	v_pk_add_f32 v[14:15], v[14:15], v[22:23]
	s_nop 0
	v_mov_b32_e32 v20, v15
	v_pk_add_f32 v[22:23], v[20:21], v[12:13] neg_lo:[0,1] neg_hi:[0,1]
	v_mov_b32_e32 v14, v27
	v_mov_b32_e32 v23, v22
	v_pk_add_f32 v[30:31], v[26:27], v[22:23] neg_lo:[0,1] neg_hi:[0,1]
	v_mov_b32_e32 v26, v13
	v_mov_b32_e32 v27, v22
	;; [unrolled: 1-line block ×3, first 2 shown]
	v_pk_add_f32 v[14:15], v[14:15], v[26:27] neg_lo:[0,1] neg_hi:[0,1]
	v_mov_b32_e32 v22, v25
	v_mov_b32_e32 v23, v12
	v_pk_add_f32 v[12:13], v[22:23], v[14:15] neg_lo:[0,1] neg_hi:[0,1]
	v_mov_b32_e32 v30, v28
	v_pk_add_f32 v[14:15], v[30:31], v[12:13]
	s_nop 0
	v_mov_b32_e32 v22, v15
	v_pk_add_f32 v[22:23], v[14:15], v[22:23]
	s_nop 0
	v_pk_add_f32 v[24:25], v[20:21], v[22:23]
	v_mov_b32_e32 v13, v22
	v_mov_b32_e32 v15, v24
	v_pk_add_f32 v[26:27], v[14:15], v[28:29] neg_lo:[0,1] neg_hi:[0,1]
	s_nop 0
	v_sub_f32_e32 v14, v14, v26
	v_pk_add_f32 v[12:13], v[12:13], v[26:27] neg_lo:[0,1] neg_hi:[0,1]
	v_sub_f32_e32 v14, v28, v14
	v_add_f32_e32 v12, v12, v14
	v_add_f32_e32 v12, v12, v13
	;; [unrolled: 1-line block ×3, first 2 shown]
	v_cndmask_b32_e32 v94, v12, v32, vcc
.LBB23_93:                              ;   in Loop: Header=BB23_13 Depth=1
	s_or_b64 exec, exec, s[52:53]
	v_and_b32_e32 v8, 0xffff0000, v8
	v_readlane_b32 s0, v95, 2
	s_nop 1
	v_add_f32_e32 v58, s0, v8
	v_cmp_ge_f32_e32 vcc, s6, v58
	s_and_b64 s[2:3], s[4:5], vcc
	s_and_saveexec_b64 s[52:53], s[2:3]
	s_cbranch_execz .LBB23_95
; %bb.94:                               ;   in Loop: Header=BB23_13 Depth=1
	v_mul_f32_e32 v8, 0x3fb8aa3b, v58
	v_rndne_f32_e32 v12, v8
	v_sub_f32_e32 v13, v8, v12
	v_fma_f32 v8, v58, s7, -v8
	v_fmac_f32_e32 v8, 0x32a5705f, v58
	v_add_f32_e32 v8, v13, v8
	v_cvt_i32_f32_e32 v12, v12
	v_exp_f32_e32 v8, v8
	v_cmp_ngt_f32_e32 vcc, s8, v58
	v_ldexp_f32 v8, v8, v12
	s_nop 0
	v_cndmask_b32_e32 v8, 0, v8, vcc
	v_cmp_nlt_f32_e32 vcc, s9, v58
	s_nop 1
	v_cndmask_b32_e32 v32, v41, v8, vcc
	v_add_f32_e32 v8, 1.0, v32
	v_add_f32_e32 v12, -1.0, v8
	v_sub_f32_e32 v13, v12, v8
	v_add_f32_e32 v13, 1.0, v13
	v_sub_f32_e32 v12, v32, v12
	v_add_f32_e32 v14, v12, v13
	v_frexp_mant_f32_e32 v15, v8
	v_cvt_f64_f32_e32 v[12:13], v8
	v_frexp_exp_i32_f64_e32 v12, v[12:13]
	v_cmp_gt_f32_e32 vcc, s11, v15
	v_cmp_gt_f32_e64 s[2:3], s54, v32
	s_nop 0
	v_subbrev_co_u32_e32 v20, vcc, 0, v12, vcc
	v_sub_u32_e32 v12, 0, v20
	v_ldexp_f32 v8, v8, v12
	v_ldexp_f32 v12, v14, v12
	v_add_f32_e32 v14, -1.0, v8
	v_add_f32_e32 v13, 1.0, v14
	v_sub_f32_e32 v13, v8, v13
	v_add_f32_e32 v15, v12, v13
	v_add_f32_e32 v13, 1.0, v8
	v_add_f32_e32 v22, -1.0, v13
	v_sub_f32_e32 v8, v8, v22
	v_add_f32_e32 v8, v12, v8
	v_add_f32_e32 v26, v13, v8
	v_rcp_f32_e32 v27, v26
	v_sub_f32_e32 v12, v13, v26
	v_add_f32_e32 v13, v14, v15
	v_add_f32_e32 v8, v8, v12
	v_mul_f32_e32 v29, v13, v27
	v_sub_f32_e32 v12, v14, v13
	v_mul_f32_e32 v14, v26, v29
	v_fma_f32 v22, v29, v26, -v14
	v_fmac_f32_e32 v22, v29, v8
	v_add_f32_e32 v28, v15, v12
	v_add_f32_e32 v12, v14, v22
	v_sub_f32_e32 v15, v13, v12
	v_pk_add_f32 v[24:25], v[12:13], v[14:15] neg_lo:[0,1] neg_hi:[0,1]
	v_mov_b32_e32 v23, v12
	v_pk_add_f32 v[12:13], v[24:25], v[22:23] neg_lo:[0,1] neg_hi:[0,1]
	v_cmp_eq_f32_e32 vcc, s10, v32
	v_add_f32_e32 v13, v28, v13
	v_add_f32_e32 v12, v12, v13
	;; [unrolled: 1-line block ×3, first 2 shown]
	v_mul_f32_e32 v28, v27, v13
	v_mul_f32_e32 v14, v26, v28
	v_fma_f32 v22, v28, v26, -v14
	v_fmac_f32_e32 v22, v28, v8
	v_sub_f32_e32 v8, v15, v13
	v_add_f32_e32 v8, v12, v8
	v_add_f32_e32 v12, v14, v22
	v_sub_f32_e32 v15, v13, v12
	v_pk_add_f32 v[24:25], v[12:13], v[14:15] neg_lo:[0,1] neg_hi:[0,1]
	v_mov_b32_e32 v23, v12
	v_pk_add_f32 v[12:13], v[24:25], v[22:23] neg_lo:[0,1] neg_hi:[0,1]
	s_or_b64 vcc, s[2:3], vcc
	v_add_f32_e32 v8, v8, v13
	v_add_f32_e32 v8, v12, v8
	;; [unrolled: 1-line block ×4, first 2 shown]
	v_sub_f32_e32 v12, v13, v29
	v_mul_f32_e32 v8, v27, v8
	v_sub_f32_e32 v12, v28, v12
	v_add_f32_e32 v8, v12, v8
	v_add_f32_e32 v14, v13, v8
	v_mul_f32_e32 v22, v14, v14
	v_fmamk_f32 v12, v22, 0x3e9b6dac, v40
	v_fmaak_f32 v43, v22, v12, 0x3f2aaada
	v_cvt_f32_i32_e32 v12, v20
	v_sub_f32_e32 v13, v14, v13
	v_sub_f32_e32 v8, v8, v13
	v_mul_f32_e32 v13, v14, v22
	v_pk_mul_f32 v[22:23], v[12:13], v[42:43]
	v_ldexp_f32 v15, v14, 1
	v_fma_f32 v14, v12, s33, -v22
	v_fmac_f32_e32 v14, 0xb102e308, v12
	v_pk_add_f32 v[12:13], v[22:23], v[14:15]
	v_ldexp_f32 v8, v8, 1
	v_sub_f32_e32 v15, v13, v15
	v_sub_f32_e32 v15, v23, v15
	v_add_f32_e32 v25, v8, v15
	v_mov_b32_e32 v24, v22
	v_pk_add_f32 v[22:23], v[12:13], v[22:23] neg_lo:[0,1] neg_hi:[0,1]
	v_pk_add_f32 v[26:27], v[12:13], v[24:25]
	v_mov_b32_e32 v15, v12
	v_mov_b32_e32 v23, v27
	v_pk_add_f32 v[28:29], v[14:15], v[22:23] neg_lo:[0,1] neg_hi:[0,1]
	v_pk_add_f32 v[14:15], v[14:15], v[22:23]
	s_nop 0
	v_mov_b32_e32 v8, v15
	v_pk_add_f32 v[22:23], v[8:9], v[12:13] neg_lo:[0,1] neg_hi:[0,1]
	v_mov_b32_e32 v14, v27
	v_mov_b32_e32 v23, v22
	v_pk_add_f32 v[30:31], v[26:27], v[22:23] neg_lo:[0,1] neg_hi:[0,1]
	v_mov_b32_e32 v26, v13
	v_mov_b32_e32 v27, v22
	;; [unrolled: 1-line block ×3, first 2 shown]
	v_pk_add_f32 v[14:15], v[14:15], v[26:27] neg_lo:[0,1] neg_hi:[0,1]
	v_mov_b32_e32 v22, v25
	v_mov_b32_e32 v23, v12
	v_pk_add_f32 v[12:13], v[22:23], v[14:15] neg_lo:[0,1] neg_hi:[0,1]
	v_mov_b32_e32 v30, v28
	v_pk_add_f32 v[14:15], v[30:31], v[12:13]
	s_nop 0
	v_mov_b32_e32 v20, v15
	v_pk_add_f32 v[22:23], v[14:15], v[20:21]
	s_nop 0
	v_pk_add_f32 v[24:25], v[8:9], v[22:23]
	v_mov_b32_e32 v13, v22
	v_mov_b32_e32 v15, v24
	v_pk_add_f32 v[26:27], v[14:15], v[28:29] neg_lo:[0,1] neg_hi:[0,1]
	s_nop 0
	v_sub_f32_e32 v8, v14, v26
	v_pk_add_f32 v[12:13], v[12:13], v[26:27] neg_lo:[0,1] neg_hi:[0,1]
	v_sub_f32_e32 v8, v28, v8
	v_add_f32_e32 v8, v12, v8
	v_add_f32_e32 v8, v8, v13
	v_add_f32_e32 v8, v24, v8
	v_cndmask_b32_e32 v58, v8, v32, vcc
.LBB23_95:                              ;   in Loop: Header=BB23_13 Depth=1
	s_or_b64 exec, exec, s[52:53]
	v_lshlrev_b32_e32 v8, 16, v9
	v_readlane_b32 s0, v95, 2
	s_nop 1
	v_add_f32_e32 v59, s0, v8
	v_cmp_ge_f32_e32 vcc, s6, v59
	s_and_b64 s[2:3], s[4:5], vcc
	s_and_saveexec_b64 s[52:53], s[2:3]
	s_cbranch_execz .LBB23_97
; %bb.96:                               ;   in Loop: Header=BB23_13 Depth=1
	v_mul_f32_e32 v8, 0x3fb8aa3b, v59
	v_rndne_f32_e32 v12, v8
	v_sub_f32_e32 v13, v8, v12
	v_fma_f32 v8, v59, s7, -v8
	v_fmac_f32_e32 v8, 0x32a5705f, v59
	v_add_f32_e32 v8, v13, v8
	v_cvt_i32_f32_e32 v12, v12
	v_exp_f32_e32 v8, v8
	v_cmp_ngt_f32_e32 vcc, s8, v59
	v_ldexp_f32 v8, v8, v12
	s_nop 0
	v_cndmask_b32_e32 v8, 0, v8, vcc
	v_cmp_nlt_f32_e32 vcc, s9, v59
	s_nop 1
	v_cndmask_b32_e32 v32, v41, v8, vcc
	v_add_f32_e32 v8, 1.0, v32
	v_add_f32_e32 v12, -1.0, v8
	v_sub_f32_e32 v13, v12, v8
	v_add_f32_e32 v13, 1.0, v13
	v_sub_f32_e32 v12, v32, v12
	v_add_f32_e32 v14, v12, v13
	v_frexp_mant_f32_e32 v15, v8
	v_cvt_f64_f32_e32 v[12:13], v8
	v_frexp_exp_i32_f64_e32 v12, v[12:13]
	v_cmp_gt_f32_e32 vcc, s11, v15
	v_cmp_gt_f32_e64 s[2:3], s54, v32
	s_nop 0
	v_subbrev_co_u32_e32 v20, vcc, 0, v12, vcc
	v_sub_u32_e32 v12, 0, v20
	v_ldexp_f32 v8, v8, v12
	v_ldexp_f32 v12, v14, v12
	v_add_f32_e32 v14, -1.0, v8
	v_add_f32_e32 v13, 1.0, v14
	v_sub_f32_e32 v13, v8, v13
	v_add_f32_e32 v15, v12, v13
	v_add_f32_e32 v13, 1.0, v8
	v_add_f32_e32 v22, -1.0, v13
	v_sub_f32_e32 v8, v8, v22
	v_add_f32_e32 v8, v12, v8
	v_add_f32_e32 v26, v13, v8
	v_rcp_f32_e32 v27, v26
	v_sub_f32_e32 v12, v13, v26
	v_add_f32_e32 v13, v14, v15
	v_add_f32_e32 v8, v8, v12
	v_mul_f32_e32 v29, v13, v27
	v_sub_f32_e32 v12, v14, v13
	v_mul_f32_e32 v14, v26, v29
	v_fma_f32 v22, v29, v26, -v14
	v_fmac_f32_e32 v22, v29, v8
	v_add_f32_e32 v28, v15, v12
	v_add_f32_e32 v12, v14, v22
	v_sub_f32_e32 v15, v13, v12
	v_pk_add_f32 v[24:25], v[12:13], v[14:15] neg_lo:[0,1] neg_hi:[0,1]
	v_mov_b32_e32 v23, v12
	v_pk_add_f32 v[12:13], v[24:25], v[22:23] neg_lo:[0,1] neg_hi:[0,1]
	v_cmp_eq_f32_e32 vcc, s10, v32
	v_add_f32_e32 v13, v28, v13
	v_add_f32_e32 v12, v12, v13
	;; [unrolled: 1-line block ×3, first 2 shown]
	v_mul_f32_e32 v28, v27, v13
	v_mul_f32_e32 v14, v26, v28
	v_fma_f32 v22, v28, v26, -v14
	v_fmac_f32_e32 v22, v28, v8
	v_sub_f32_e32 v8, v15, v13
	v_add_f32_e32 v8, v12, v8
	v_add_f32_e32 v12, v14, v22
	v_sub_f32_e32 v15, v13, v12
	v_pk_add_f32 v[24:25], v[12:13], v[14:15] neg_lo:[0,1] neg_hi:[0,1]
	v_mov_b32_e32 v23, v12
	v_pk_add_f32 v[12:13], v[24:25], v[22:23] neg_lo:[0,1] neg_hi:[0,1]
	s_or_b64 vcc, s[2:3], vcc
	v_add_f32_e32 v8, v8, v13
	v_add_f32_e32 v8, v12, v8
	;; [unrolled: 1-line block ×4, first 2 shown]
	v_sub_f32_e32 v12, v13, v29
	v_mul_f32_e32 v8, v27, v8
	v_sub_f32_e32 v12, v28, v12
	v_add_f32_e32 v8, v12, v8
	v_add_f32_e32 v14, v13, v8
	v_mul_f32_e32 v22, v14, v14
	v_fmamk_f32 v12, v22, 0x3e9b6dac, v40
	v_fmaak_f32 v43, v22, v12, 0x3f2aaada
	v_cvt_f32_i32_e32 v12, v20
	v_sub_f32_e32 v13, v14, v13
	v_sub_f32_e32 v8, v8, v13
	v_mul_f32_e32 v13, v14, v22
	v_pk_mul_f32 v[22:23], v[12:13], v[42:43]
	v_ldexp_f32 v15, v14, 1
	v_fma_f32 v14, v12, s33, -v22
	v_fmac_f32_e32 v14, 0xb102e308, v12
	v_pk_add_f32 v[12:13], v[22:23], v[14:15]
	v_ldexp_f32 v8, v8, 1
	v_sub_f32_e32 v15, v13, v15
	v_sub_f32_e32 v15, v23, v15
	v_add_f32_e32 v25, v8, v15
	v_mov_b32_e32 v24, v22
	v_pk_add_f32 v[22:23], v[12:13], v[22:23] neg_lo:[0,1] neg_hi:[0,1]
	v_pk_add_f32 v[26:27], v[12:13], v[24:25]
	v_mov_b32_e32 v15, v12
	v_mov_b32_e32 v23, v27
	v_pk_add_f32 v[28:29], v[14:15], v[22:23] neg_lo:[0,1] neg_hi:[0,1]
	v_pk_add_f32 v[14:15], v[14:15], v[22:23]
	s_nop 0
	v_mov_b32_e32 v8, v15
	v_pk_add_f32 v[22:23], v[8:9], v[12:13] neg_lo:[0,1] neg_hi:[0,1]
	v_mov_b32_e32 v14, v27
	v_mov_b32_e32 v23, v22
	v_pk_add_f32 v[30:31], v[26:27], v[22:23] neg_lo:[0,1] neg_hi:[0,1]
	v_mov_b32_e32 v26, v13
	v_mov_b32_e32 v27, v22
	;; [unrolled: 1-line block ×3, first 2 shown]
	v_pk_add_f32 v[14:15], v[14:15], v[26:27] neg_lo:[0,1] neg_hi:[0,1]
	v_mov_b32_e32 v22, v25
	v_mov_b32_e32 v23, v12
	v_pk_add_f32 v[12:13], v[22:23], v[14:15] neg_lo:[0,1] neg_hi:[0,1]
	v_mov_b32_e32 v30, v28
	v_pk_add_f32 v[14:15], v[30:31], v[12:13]
	s_nop 0
	v_mov_b32_e32 v20, v15
	v_pk_add_f32 v[22:23], v[14:15], v[20:21]
	s_nop 0
	v_pk_add_f32 v[24:25], v[8:9], v[22:23]
	v_mov_b32_e32 v13, v22
	v_mov_b32_e32 v15, v24
	v_pk_add_f32 v[26:27], v[14:15], v[28:29] neg_lo:[0,1] neg_hi:[0,1]
	s_nop 0
	v_sub_f32_e32 v8, v14, v26
	v_pk_add_f32 v[12:13], v[12:13], v[26:27] neg_lo:[0,1] neg_hi:[0,1]
	v_sub_f32_e32 v8, v28, v8
	v_add_f32_e32 v8, v12, v8
	v_add_f32_e32 v8, v8, v13
	;; [unrolled: 1-line block ×3, first 2 shown]
	v_cndmask_b32_e32 v59, v8, v32, vcc
.LBB23_97:                              ;   in Loop: Header=BB23_13 Depth=1
	s_or_b64 exec, exec, s[52:53]
	v_and_b32_e32 v8, 0xffff0000, v9
	v_readlane_b32 s0, v95, 2
	s_nop 1
	v_add_f32_e32 v60, s0, v8
	v_cmp_ge_f32_e32 vcc, s6, v60
	s_and_b64 s[2:3], s[4:5], vcc
	s_and_saveexec_b64 s[52:53], s[2:3]
	s_cbranch_execz .LBB23_99
; %bb.98:                               ;   in Loop: Header=BB23_13 Depth=1
	v_mul_f32_e32 v8, 0x3fb8aa3b, v60
	v_rndne_f32_e32 v9, v8
	v_sub_f32_e32 v12, v8, v9
	v_fma_f32 v8, v60, s7, -v8
	v_fmac_f32_e32 v8, 0x32a5705f, v60
	v_add_f32_e32 v8, v12, v8
	v_cvt_i32_f32_e32 v9, v9
	v_exp_f32_e32 v8, v8
	v_cmp_ngt_f32_e32 vcc, s8, v60
	v_ldexp_f32 v8, v8, v9
	s_nop 0
	v_cndmask_b32_e32 v8, 0, v8, vcc
	v_cmp_nlt_f32_e32 vcc, s9, v60
	s_nop 1
	v_cndmask_b32_e32 v32, v41, v8, vcc
	v_add_f32_e32 v12, 1.0, v32
	v_add_f32_e32 v8, -1.0, v12
	v_sub_f32_e32 v9, v8, v12
	v_add_f32_e32 v9, 1.0, v9
	v_sub_f32_e32 v8, v32, v8
	v_add_f32_e32 v13, v8, v9
	v_frexp_mant_f32_e32 v14, v12
	v_cvt_f64_f32_e32 v[8:9], v12
	v_frexp_exp_i32_f64_e32 v8, v[8:9]
	v_cmp_gt_f32_e32 vcc, s11, v14
	v_cmp_gt_f32_e64 s[2:3], s54, v32
	s_nop 0
	v_subbrev_co_u32_e32 v20, vcc, 0, v8, vcc
	v_sub_u32_e32 v8, 0, v20
	v_ldexp_f32 v9, v12, v8
	v_add_f32_e32 v12, -1.0, v9
	v_add_f32_e32 v14, 1.0, v9
	v_ldexp_f32 v8, v13, v8
	v_add_f32_e32 v13, 1.0, v12
	v_add_f32_e32 v15, -1.0, v14
	v_sub_f32_e32 v13, v9, v13
	v_sub_f32_e32 v9, v9, v15
	v_add_f32_e32 v13, v8, v13
	v_add_f32_e32 v8, v8, v9
	;; [unrolled: 1-line block ×3, first 2 shown]
	v_rcp_f32_e32 v26, v24
	v_sub_f32_e32 v9, v14, v24
	v_add_f32_e32 v25, v8, v9
	v_add_f32_e32 v9, v12, v13
	v_mul_f32_e32 v28, v9, v26
	v_sub_f32_e32 v8, v12, v9
	v_mul_f32_e32 v12, v24, v28
	v_fma_f32 v14, v28, v24, -v12
	v_fmac_f32_e32 v14, v28, v25
	v_add_f32_e32 v27, v13, v8
	v_add_f32_e32 v8, v12, v14
	v_sub_f32_e32 v13, v9, v8
	v_pk_add_f32 v[22:23], v[8:9], v[12:13] neg_lo:[0,1] neg_hi:[0,1]
	v_mov_b32_e32 v15, v8
	v_pk_add_f32 v[8:9], v[22:23], v[14:15] neg_lo:[0,1] neg_hi:[0,1]
	v_cmp_eq_f32_e32 vcc, s10, v32
	v_add_f32_e32 v9, v27, v9
	v_add_f32_e32 v8, v8, v9
	;; [unrolled: 1-line block ×3, first 2 shown]
	v_mul_f32_e32 v27, v26, v9
	v_mul_f32_e32 v12, v24, v27
	v_fma_f32 v14, v27, v24, -v12
	v_fmac_f32_e32 v14, v27, v25
	v_sub_f32_e32 v13, v13, v9
	v_add_f32_e32 v24, v8, v13
	v_add_f32_e32 v8, v12, v14
	v_sub_f32_e32 v13, v9, v8
	v_pk_add_f32 v[22:23], v[8:9], v[12:13] neg_lo:[0,1] neg_hi:[0,1]
	v_mov_b32_e32 v15, v8
	v_pk_add_f32 v[8:9], v[22:23], v[14:15] neg_lo:[0,1] neg_hi:[0,1]
	s_or_b64 vcc, s[2:3], vcc
	v_add_f32_e32 v9, v24, v9
	v_add_f32_e32 v8, v8, v9
	;; [unrolled: 1-line block ×4, first 2 shown]
	v_sub_f32_e32 v12, v9, v28
	v_mul_f32_e32 v8, v26, v8
	v_sub_f32_e32 v12, v27, v12
	v_add_f32_e32 v12, v12, v8
	v_add_f32_e32 v14, v9, v12
	v_mul_f32_e32 v15, v14, v14
	v_fmamk_f32 v8, v15, 0x3e9b6dac, v40
	v_fmaak_f32 v43, v15, v8, 0x3f2aaada
	v_cvt_f32_i32_e32 v8, v20
	v_sub_f32_e32 v9, v14, v9
	v_sub_f32_e32 v9, v12, v9
	v_ldexp_f32 v20, v9, 1
	v_mul_f32_e32 v9, v14, v15
	v_ldexp_f32 v13, v14, 1
	v_pk_mul_f32 v[14:15], v[8:9], v[42:43]
	s_nop 0
	v_fma_f32 v12, v8, s33, -v14
	v_fmac_f32_e32 v12, 0xb102e308, v8
	v_pk_add_f32 v[8:9], v[14:15], v[12:13]
	v_mov_b32_e32 v22, v14
	v_sub_f32_e32 v13, v9, v13
	v_sub_f32_e32 v13, v15, v13
	v_add_f32_e32 v23, v20, v13
	v_pk_add_f32 v[14:15], v[8:9], v[14:15] neg_lo:[0,1] neg_hi:[0,1]
	v_pk_add_f32 v[24:25], v[8:9], v[22:23]
	v_mov_b32_e32 v13, v8
	v_mov_b32_e32 v15, v25
	v_pk_add_f32 v[26:27], v[12:13], v[14:15] neg_lo:[0,1] neg_hi:[0,1]
	v_pk_add_f32 v[12:13], v[12:13], v[14:15]
	v_mov_b32_e32 v22, v23
	v_mov_b32_e32 v14, v13
	v_pk_add_f32 v[28:29], v[14:15], v[8:9] neg_lo:[0,1] neg_hi:[0,1]
	v_mov_b32_e32 v12, v25
	v_mov_b32_e32 v15, v28
	v_pk_add_f32 v[30:31], v[24:25], v[14:15] neg_lo:[0,1] neg_hi:[0,1]
	v_mov_b32_e32 v24, v9
	v_mov_b32_e32 v25, v28
	;; [unrolled: 1-line block ×3, first 2 shown]
	v_pk_add_f32 v[12:13], v[12:13], v[24:25] neg_lo:[0,1] neg_hi:[0,1]
	v_mov_b32_e32 v23, v8
	v_pk_add_f32 v[8:9], v[22:23], v[12:13] neg_lo:[0,1] neg_hi:[0,1]
	v_mov_b32_e32 v30, v26
	v_pk_add_f32 v[12:13], v[30:31], v[8:9]
	s_nop 0
	v_mov_b32_e32 v20, v13
	v_pk_add_f32 v[22:23], v[12:13], v[20:21]
	s_nop 0
	v_pk_add_f32 v[14:15], v[14:15], v[22:23]
	v_mov_b32_e32 v9, v22
	v_mov_b32_e32 v13, v14
	v_pk_add_f32 v[24:25], v[12:13], v[26:27] neg_lo:[0,1] neg_hi:[0,1]
	s_nop 0
	v_sub_f32_e32 v12, v12, v24
	v_pk_add_f32 v[8:9], v[8:9], v[24:25] neg_lo:[0,1] neg_hi:[0,1]
	v_sub_f32_e32 v12, v26, v12
	v_add_f32_e32 v8, v8, v12
	v_add_f32_e32 v8, v8, v9
	;; [unrolled: 1-line block ×3, first 2 shown]
	v_cndmask_b32_e32 v60, v8, v32, vcc
.LBB23_99:                              ;   in Loop: Header=BB23_13 Depth=1
	s_or_b64 exec, exec, s[52:53]
	v_lshlrev_b32_e32 v8, 16, v10
	v_readlane_b32 s0, v95, 2
	s_nop 1
	v_add_f32_e32 v61, s0, v8
	v_cmp_ge_f32_e32 vcc, s6, v61
	s_and_b64 s[2:3], s[4:5], vcc
	s_and_saveexec_b64 s[52:53], s[2:3]
	s_cbranch_execz .LBB23_101
; %bb.100:                              ;   in Loop: Header=BB23_13 Depth=1
	v_mul_f32_e32 v8, 0x3fb8aa3b, v61
	v_rndne_f32_e32 v9, v8
	v_sub_f32_e32 v12, v8, v9
	v_fma_f32 v8, v61, s7, -v8
	v_fmac_f32_e32 v8, 0x32a5705f, v61
	v_add_f32_e32 v8, v12, v8
	v_cvt_i32_f32_e32 v9, v9
	v_exp_f32_e32 v8, v8
	v_cmp_ngt_f32_e32 vcc, s8, v61
	v_ldexp_f32 v8, v8, v9
	s_nop 0
	v_cndmask_b32_e32 v8, 0, v8, vcc
	v_cmp_nlt_f32_e32 vcc, s9, v61
	s_nop 1
	v_cndmask_b32_e32 v32, v41, v8, vcc
	v_add_f32_e32 v12, 1.0, v32
	v_add_f32_e32 v8, -1.0, v12
	v_sub_f32_e32 v9, v8, v12
	v_add_f32_e32 v9, 1.0, v9
	v_sub_f32_e32 v8, v32, v8
	v_add_f32_e32 v13, v8, v9
	v_frexp_mant_f32_e32 v14, v12
	v_cvt_f64_f32_e32 v[8:9], v12
	v_frexp_exp_i32_f64_e32 v8, v[8:9]
	v_cmp_gt_f32_e32 vcc, s11, v14
	v_cmp_gt_f32_e64 s[2:3], s54, v32
	s_nop 0
	v_subbrev_co_u32_e32 v20, vcc, 0, v8, vcc
	v_sub_u32_e32 v8, 0, v20
	v_ldexp_f32 v9, v12, v8
	v_add_f32_e32 v12, -1.0, v9
	v_add_f32_e32 v14, 1.0, v9
	v_ldexp_f32 v8, v13, v8
	v_add_f32_e32 v13, 1.0, v12
	v_add_f32_e32 v15, -1.0, v14
	v_sub_f32_e32 v13, v9, v13
	v_sub_f32_e32 v9, v9, v15
	v_add_f32_e32 v13, v8, v13
	v_add_f32_e32 v8, v8, v9
	;; [unrolled: 1-line block ×3, first 2 shown]
	v_rcp_f32_e32 v26, v24
	v_sub_f32_e32 v9, v14, v24
	v_add_f32_e32 v25, v8, v9
	v_add_f32_e32 v9, v12, v13
	v_mul_f32_e32 v28, v9, v26
	v_sub_f32_e32 v8, v12, v9
	v_mul_f32_e32 v12, v24, v28
	v_fma_f32 v14, v28, v24, -v12
	v_fmac_f32_e32 v14, v28, v25
	v_add_f32_e32 v27, v13, v8
	v_add_f32_e32 v8, v12, v14
	v_sub_f32_e32 v13, v9, v8
	v_pk_add_f32 v[22:23], v[8:9], v[12:13] neg_lo:[0,1] neg_hi:[0,1]
	v_mov_b32_e32 v15, v8
	v_pk_add_f32 v[8:9], v[22:23], v[14:15] neg_lo:[0,1] neg_hi:[0,1]
	v_cmp_eq_f32_e32 vcc, s10, v32
	v_add_f32_e32 v9, v27, v9
	v_add_f32_e32 v8, v8, v9
	;; [unrolled: 1-line block ×3, first 2 shown]
	v_mul_f32_e32 v27, v26, v9
	v_mul_f32_e32 v12, v24, v27
	v_fma_f32 v14, v27, v24, -v12
	v_fmac_f32_e32 v14, v27, v25
	v_sub_f32_e32 v13, v13, v9
	v_add_f32_e32 v24, v8, v13
	v_add_f32_e32 v8, v12, v14
	v_sub_f32_e32 v13, v9, v8
	v_pk_add_f32 v[22:23], v[8:9], v[12:13] neg_lo:[0,1] neg_hi:[0,1]
	v_mov_b32_e32 v15, v8
	v_pk_add_f32 v[8:9], v[22:23], v[14:15] neg_lo:[0,1] neg_hi:[0,1]
	s_or_b64 vcc, s[2:3], vcc
	v_add_f32_e32 v9, v24, v9
	v_add_f32_e32 v8, v8, v9
	;; [unrolled: 1-line block ×4, first 2 shown]
	v_sub_f32_e32 v12, v9, v28
	v_mul_f32_e32 v8, v26, v8
	v_sub_f32_e32 v12, v27, v12
	v_add_f32_e32 v12, v12, v8
	v_add_f32_e32 v14, v9, v12
	v_mul_f32_e32 v15, v14, v14
	v_fmamk_f32 v8, v15, 0x3e9b6dac, v40
	v_fmaak_f32 v43, v15, v8, 0x3f2aaada
	v_cvt_f32_i32_e32 v8, v20
	v_sub_f32_e32 v9, v14, v9
	v_sub_f32_e32 v9, v12, v9
	v_ldexp_f32 v20, v9, 1
	v_mul_f32_e32 v9, v14, v15
	v_ldexp_f32 v13, v14, 1
	v_pk_mul_f32 v[14:15], v[8:9], v[42:43]
	s_nop 0
	v_fma_f32 v12, v8, s33, -v14
	v_fmac_f32_e32 v12, 0xb102e308, v8
	v_pk_add_f32 v[8:9], v[14:15], v[12:13]
	v_mov_b32_e32 v22, v14
	v_sub_f32_e32 v13, v9, v13
	v_sub_f32_e32 v13, v15, v13
	v_add_f32_e32 v23, v20, v13
	v_pk_add_f32 v[14:15], v[8:9], v[14:15] neg_lo:[0,1] neg_hi:[0,1]
	v_pk_add_f32 v[24:25], v[8:9], v[22:23]
	v_mov_b32_e32 v13, v8
	v_mov_b32_e32 v15, v25
	v_pk_add_f32 v[26:27], v[12:13], v[14:15] neg_lo:[0,1] neg_hi:[0,1]
	v_pk_add_f32 v[12:13], v[12:13], v[14:15]
	v_mov_b32_e32 v22, v23
	v_mov_b32_e32 v14, v13
	v_pk_add_f32 v[28:29], v[14:15], v[8:9] neg_lo:[0,1] neg_hi:[0,1]
	v_mov_b32_e32 v12, v25
	v_mov_b32_e32 v15, v28
	v_pk_add_f32 v[30:31], v[24:25], v[14:15] neg_lo:[0,1] neg_hi:[0,1]
	v_mov_b32_e32 v24, v9
	v_mov_b32_e32 v25, v28
	;; [unrolled: 1-line block ×3, first 2 shown]
	v_pk_add_f32 v[12:13], v[12:13], v[24:25] neg_lo:[0,1] neg_hi:[0,1]
	v_mov_b32_e32 v23, v8
	v_pk_add_f32 v[8:9], v[22:23], v[12:13] neg_lo:[0,1] neg_hi:[0,1]
	v_mov_b32_e32 v30, v26
	v_pk_add_f32 v[12:13], v[30:31], v[8:9]
	s_nop 0
	v_mov_b32_e32 v20, v13
	v_pk_add_f32 v[22:23], v[12:13], v[20:21]
	s_nop 0
	v_pk_add_f32 v[14:15], v[14:15], v[22:23]
	v_mov_b32_e32 v9, v22
	v_mov_b32_e32 v13, v14
	v_pk_add_f32 v[24:25], v[12:13], v[26:27] neg_lo:[0,1] neg_hi:[0,1]
	s_nop 0
	v_sub_f32_e32 v12, v12, v24
	v_pk_add_f32 v[8:9], v[8:9], v[24:25] neg_lo:[0,1] neg_hi:[0,1]
	v_sub_f32_e32 v12, v26, v12
	v_add_f32_e32 v8, v8, v12
	v_add_f32_e32 v8, v8, v9
	;; [unrolled: 1-line block ×3, first 2 shown]
	v_cndmask_b32_e32 v61, v8, v32, vcc
.LBB23_101:                             ;   in Loop: Header=BB23_13 Depth=1
	s_or_b64 exec, exec, s[52:53]
	v_and_b32_e32 v8, 0xffff0000, v10
	v_readlane_b32 s0, v95, 2
	s_nop 1
	v_add_f32_e32 v62, s0, v8
	v_cmp_ge_f32_e32 vcc, s6, v62
	s_and_b64 s[2:3], s[4:5], vcc
	s_and_saveexec_b64 s[52:53], s[2:3]
	s_cbranch_execz .LBB23_103
; %bb.102:                              ;   in Loop: Header=BB23_13 Depth=1
	v_mul_f32_e32 v8, 0x3fb8aa3b, v62
	v_rndne_f32_e32 v9, v8
	v_sub_f32_e32 v10, v8, v9
	v_fma_f32 v8, v62, s7, -v8
	v_fmac_f32_e32 v8, 0x32a5705f, v62
	v_add_f32_e32 v8, v10, v8
	v_cvt_i32_f32_e32 v9, v9
	v_exp_f32_e32 v8, v8
	v_cmp_ngt_f32_e32 vcc, s8, v62
	v_ldexp_f32 v8, v8, v9
	s_nop 0
	v_cndmask_b32_e32 v8, 0, v8, vcc
	v_cmp_nlt_f32_e32 vcc, s9, v62
	s_nop 1
	v_cndmask_b32_e32 v20, v41, v8, vcc
	v_add_f32_e32 v10, 1.0, v20
	v_add_f32_e32 v8, -1.0, v10
	v_sub_f32_e32 v9, v8, v10
	v_add_f32_e32 v9, 1.0, v9
	v_sub_f32_e32 v8, v20, v8
	v_add_f32_e32 v12, v8, v9
	v_frexp_mant_f32_e32 v13, v10
	v_cvt_f64_f32_e32 v[8:9], v10
	v_frexp_exp_i32_f64_e32 v8, v[8:9]
	v_cmp_gt_f32_e32 vcc, s11, v13
	v_cmp_gt_f32_e64 s[2:3], s54, v20
	s_nop 0
	v_subbrev_co_u32_e32 v24, vcc, 0, v8, vcc
	v_sub_u32_e32 v8, 0, v24
	v_ldexp_f32 v9, v10, v8
	v_add_f32_e32 v10, -1.0, v9
	v_add_f32_e32 v13, 1.0, v9
	v_ldexp_f32 v8, v12, v8
	v_add_f32_e32 v12, 1.0, v10
	v_add_f32_e32 v14, -1.0, v13
	v_sub_f32_e32 v12, v9, v12
	v_sub_f32_e32 v9, v9, v14
	v_add_f32_e32 v12, v8, v12
	v_add_f32_e32 v8, v8, v9
	;; [unrolled: 1-line block ×3, first 2 shown]
	v_rcp_f32_e32 v27, v25
	v_sub_f32_e32 v9, v13, v25
	v_add_f32_e32 v26, v8, v9
	v_add_f32_e32 v9, v10, v12
	v_sub_f32_e32 v8, v10, v9
	v_mul_f32_e32 v28, v9, v27
	v_add_f32_e32 v10, v12, v8
	v_mul_f32_e32 v12, v25, v28
	v_fma_f32 v14, v28, v25, -v12
	v_fmac_f32_e32 v14, v28, v26
	v_add_f32_e32 v8, v12, v14
	v_sub_f32_e32 v13, v9, v8
	v_pk_add_f32 v[22:23], v[8:9], v[12:13] neg_lo:[0,1] neg_hi:[0,1]
	v_mov_b32_e32 v15, v8
	v_pk_add_f32 v[8:9], v[22:23], v[14:15] neg_lo:[0,1] neg_hi:[0,1]
	v_cmp_eq_f32_e32 vcc, s10, v20
	v_add_f32_e32 v9, v10, v9
	v_add_f32_e32 v8, v8, v9
	;; [unrolled: 1-line block ×3, first 2 shown]
	v_mul_f32_e32 v10, v27, v9
	v_mul_f32_e32 v12, v25, v10
	v_fma_f32 v14, v10, v25, -v12
	v_fmac_f32_e32 v14, v10, v26
	v_sub_f32_e32 v13, v13, v9
	v_add_f32_e32 v25, v8, v13
	v_add_f32_e32 v8, v12, v14
	v_sub_f32_e32 v13, v9, v8
	v_pk_add_f32 v[22:23], v[8:9], v[12:13] neg_lo:[0,1] neg_hi:[0,1]
	v_mov_b32_e32 v15, v8
	v_pk_add_f32 v[8:9], v[22:23], v[14:15] neg_lo:[0,1] neg_hi:[0,1]
	s_or_b64 vcc, s[2:3], vcc
	v_add_f32_e32 v9, v25, v9
	v_add_f32_e32 v8, v8, v9
	;; [unrolled: 1-line block ×4, first 2 shown]
	v_sub_f32_e32 v12, v9, v28
	v_mul_f32_e32 v8, v27, v8
	v_sub_f32_e32 v10, v10, v12
	v_add_f32_e32 v10, v10, v8
	v_add_f32_e32 v12, v9, v10
	v_mul_f32_e32 v14, v12, v12
	v_fmamk_f32 v8, v14, 0x3e9b6dac, v40
	v_fmaak_f32 v43, v14, v8, 0x3f2aaada
	v_cvt_f32_i32_e32 v8, v24
	v_sub_f32_e32 v9, v12, v9
	v_sub_f32_e32 v9, v10, v9
	v_ldexp_f32 v10, v9, 1
	v_mul_f32_e32 v9, v12, v14
	v_pk_mul_f32 v[14:15], v[8:9], v[42:43]
	v_ldexp_f32 v13, v12, 1
	v_fma_f32 v12, v8, s33, -v14
	v_fmac_f32_e32 v12, 0xb102e308, v8
	v_pk_add_f32 v[8:9], v[14:15], v[12:13]
	v_mov_b32_e32 v22, v14
	v_sub_f32_e32 v13, v9, v13
	v_sub_f32_e32 v13, v15, v13
	v_add_f32_e32 v23, v10, v13
	v_pk_add_f32 v[14:15], v[8:9], v[14:15] neg_lo:[0,1] neg_hi:[0,1]
	v_pk_add_f32 v[24:25], v[8:9], v[22:23]
	v_mov_b32_e32 v13, v8
	v_mov_b32_e32 v15, v25
	v_pk_add_f32 v[26:27], v[12:13], v[14:15] neg_lo:[0,1] neg_hi:[0,1]
	v_pk_add_f32 v[12:13], v[12:13], v[14:15]
	s_nop 0
	v_mov_b32_e32 v10, v13
	v_pk_add_f32 v[14:15], v[10:11], v[8:9] neg_lo:[0,1] neg_hi:[0,1]
	v_mov_b32_e32 v12, v25
	v_mov_b32_e32 v15, v14
	v_pk_add_f32 v[28:29], v[24:25], v[14:15] neg_lo:[0,1] neg_hi:[0,1]
	v_mov_b32_e32 v24, v9
	v_mov_b32_e32 v25, v14
	;; [unrolled: 1-line block ×3, first 2 shown]
	v_pk_add_f32 v[12:13], v[12:13], v[24:25] neg_lo:[0,1] neg_hi:[0,1]
	v_mov_b32_e32 v14, v23
	v_mov_b32_e32 v15, v8
	v_pk_add_f32 v[8:9], v[14:15], v[12:13] neg_lo:[0,1] neg_hi:[0,1]
	v_mov_b32_e32 v28, v26
	v_pk_add_f32 v[12:13], v[28:29], v[8:9]
	s_nop 0
	v_mov_b32_e32 v14, v13
	v_pk_add_f32 v[14:15], v[12:13], v[14:15]
	s_nop 0
	v_pk_add_f32 v[22:23], v[10:11], v[14:15]
	v_mov_b32_e32 v9, v14
	v_mov_b32_e32 v13, v22
	v_pk_add_f32 v[24:25], v[12:13], v[26:27] neg_lo:[0,1] neg_hi:[0,1]
	s_nop 0
	v_sub_f32_e32 v10, v12, v24
	v_pk_add_f32 v[8:9], v[8:9], v[24:25] neg_lo:[0,1] neg_hi:[0,1]
	v_sub_f32_e32 v10, v26, v10
	v_add_f32_e32 v8, v8, v10
	v_add_f32_e32 v8, v8, v9
	;; [unrolled: 1-line block ×3, first 2 shown]
	v_cndmask_b32_e32 v62, v8, v20, vcc
.LBB23_103:                             ;   in Loop: Header=BB23_13 Depth=1
	s_or_b64 exec, exec, s[52:53]
	v_lshlrev_b32_e32 v8, 16, v11
	v_readlane_b32 s0, v95, 2
	s_nop 1
	v_add_f32_e32 v63, s0, v8
	v_cmp_ge_f32_e32 vcc, s6, v63
	s_and_b64 s[2:3], s[4:5], vcc
	s_and_saveexec_b64 s[52:53], s[2:3]
	s_cbranch_execz .LBB23_105
; %bb.104:                              ;   in Loop: Header=BB23_13 Depth=1
	v_mul_f32_e32 v8, 0x3fb8aa3b, v63
	v_rndne_f32_e32 v9, v8
	v_sub_f32_e32 v10, v8, v9
	v_fma_f32 v8, v63, s7, -v8
	v_fmac_f32_e32 v8, 0x32a5705f, v63
	v_add_f32_e32 v8, v10, v8
	v_cvt_i32_f32_e32 v9, v9
	v_exp_f32_e32 v8, v8
	v_cmp_ngt_f32_e32 vcc, s8, v63
	v_ldexp_f32 v8, v8, v9
	s_nop 0
	v_cndmask_b32_e32 v8, 0, v8, vcc
	v_cmp_nlt_f32_e32 vcc, s9, v63
	s_nop 1
	v_cndmask_b32_e32 v20, v41, v8, vcc
	v_add_f32_e32 v10, 1.0, v20
	v_add_f32_e32 v8, -1.0, v10
	v_sub_f32_e32 v9, v8, v10
	v_add_f32_e32 v9, 1.0, v9
	v_sub_f32_e32 v8, v20, v8
	v_add_f32_e32 v12, v8, v9
	v_frexp_mant_f32_e32 v13, v10
	v_cvt_f64_f32_e32 v[8:9], v10
	v_frexp_exp_i32_f64_e32 v8, v[8:9]
	v_cmp_gt_f32_e32 vcc, s11, v13
	v_cmp_gt_f32_e64 s[2:3], s54, v20
	s_nop 0
	v_subbrev_co_u32_e32 v24, vcc, 0, v8, vcc
	v_sub_u32_e32 v8, 0, v24
	v_ldexp_f32 v9, v10, v8
	v_add_f32_e32 v10, -1.0, v9
	v_add_f32_e32 v13, 1.0, v9
	v_ldexp_f32 v8, v12, v8
	v_add_f32_e32 v12, 1.0, v10
	v_add_f32_e32 v14, -1.0, v13
	v_sub_f32_e32 v12, v9, v12
	v_sub_f32_e32 v9, v9, v14
	v_add_f32_e32 v12, v8, v12
	v_add_f32_e32 v8, v8, v9
	;; [unrolled: 1-line block ×3, first 2 shown]
	v_rcp_f32_e32 v27, v25
	v_sub_f32_e32 v9, v13, v25
	v_add_f32_e32 v26, v8, v9
	v_add_f32_e32 v9, v10, v12
	v_sub_f32_e32 v8, v10, v9
	v_mul_f32_e32 v28, v9, v27
	v_add_f32_e32 v10, v12, v8
	v_mul_f32_e32 v12, v25, v28
	v_fma_f32 v14, v28, v25, -v12
	v_fmac_f32_e32 v14, v28, v26
	v_add_f32_e32 v8, v12, v14
	v_sub_f32_e32 v13, v9, v8
	v_pk_add_f32 v[22:23], v[8:9], v[12:13] neg_lo:[0,1] neg_hi:[0,1]
	v_mov_b32_e32 v15, v8
	v_pk_add_f32 v[8:9], v[22:23], v[14:15] neg_lo:[0,1] neg_hi:[0,1]
	v_cmp_eq_f32_e32 vcc, s10, v20
	v_add_f32_e32 v9, v10, v9
	v_add_f32_e32 v8, v8, v9
	;; [unrolled: 1-line block ×3, first 2 shown]
	v_mul_f32_e32 v10, v27, v9
	v_mul_f32_e32 v12, v25, v10
	v_fma_f32 v14, v10, v25, -v12
	v_fmac_f32_e32 v14, v10, v26
	v_sub_f32_e32 v13, v13, v9
	v_add_f32_e32 v25, v8, v13
	v_add_f32_e32 v8, v12, v14
	v_sub_f32_e32 v13, v9, v8
	v_pk_add_f32 v[22:23], v[8:9], v[12:13] neg_lo:[0,1] neg_hi:[0,1]
	v_mov_b32_e32 v15, v8
	v_pk_add_f32 v[8:9], v[22:23], v[14:15] neg_lo:[0,1] neg_hi:[0,1]
	s_or_b64 vcc, s[2:3], vcc
	v_add_f32_e32 v9, v25, v9
	v_add_f32_e32 v8, v8, v9
	;; [unrolled: 1-line block ×4, first 2 shown]
	v_sub_f32_e32 v12, v9, v28
	v_mul_f32_e32 v8, v27, v8
	v_sub_f32_e32 v10, v10, v12
	v_add_f32_e32 v10, v10, v8
	v_add_f32_e32 v12, v9, v10
	v_mul_f32_e32 v14, v12, v12
	v_fmamk_f32 v8, v14, 0x3e9b6dac, v40
	v_fmaak_f32 v43, v14, v8, 0x3f2aaada
	v_cvt_f32_i32_e32 v8, v24
	v_sub_f32_e32 v9, v12, v9
	v_sub_f32_e32 v9, v10, v9
	v_ldexp_f32 v10, v9, 1
	v_mul_f32_e32 v9, v12, v14
	v_pk_mul_f32 v[14:15], v[8:9], v[42:43]
	v_ldexp_f32 v13, v12, 1
	v_fma_f32 v12, v8, s33, -v14
	v_fmac_f32_e32 v12, 0xb102e308, v8
	v_pk_add_f32 v[8:9], v[14:15], v[12:13]
	v_mov_b32_e32 v22, v14
	v_sub_f32_e32 v13, v9, v13
	v_sub_f32_e32 v13, v15, v13
	v_add_f32_e32 v23, v10, v13
	v_pk_add_f32 v[14:15], v[8:9], v[14:15] neg_lo:[0,1] neg_hi:[0,1]
	v_pk_add_f32 v[24:25], v[8:9], v[22:23]
	v_mov_b32_e32 v13, v8
	v_mov_b32_e32 v15, v25
	v_pk_add_f32 v[26:27], v[12:13], v[14:15] neg_lo:[0,1] neg_hi:[0,1]
	v_pk_add_f32 v[12:13], v[12:13], v[14:15]
	s_nop 0
	v_mov_b32_e32 v10, v13
	v_pk_add_f32 v[14:15], v[10:11], v[8:9] neg_lo:[0,1] neg_hi:[0,1]
	v_mov_b32_e32 v12, v25
	v_mov_b32_e32 v15, v14
	v_pk_add_f32 v[28:29], v[24:25], v[14:15] neg_lo:[0,1] neg_hi:[0,1]
	v_mov_b32_e32 v24, v9
	v_mov_b32_e32 v25, v14
	;; [unrolled: 1-line block ×3, first 2 shown]
	v_pk_add_f32 v[12:13], v[12:13], v[24:25] neg_lo:[0,1] neg_hi:[0,1]
	v_mov_b32_e32 v14, v23
	v_mov_b32_e32 v15, v8
	v_pk_add_f32 v[8:9], v[14:15], v[12:13] neg_lo:[0,1] neg_hi:[0,1]
	v_mov_b32_e32 v28, v26
	v_pk_add_f32 v[12:13], v[28:29], v[8:9]
	s_nop 0
	v_mov_b32_e32 v14, v13
	v_pk_add_f32 v[14:15], v[12:13], v[14:15]
	s_nop 0
	v_pk_add_f32 v[22:23], v[10:11], v[14:15]
	v_mov_b32_e32 v9, v14
	v_mov_b32_e32 v13, v22
	v_pk_add_f32 v[24:25], v[12:13], v[26:27] neg_lo:[0,1] neg_hi:[0,1]
	s_nop 0
	v_sub_f32_e32 v10, v12, v24
	v_pk_add_f32 v[8:9], v[8:9], v[24:25] neg_lo:[0,1] neg_hi:[0,1]
	v_sub_f32_e32 v10, v26, v10
	v_add_f32_e32 v8, v8, v10
	v_add_f32_e32 v8, v8, v9
	;; [unrolled: 1-line block ×3, first 2 shown]
	v_cndmask_b32_e32 v63, v8, v20, vcc
.LBB23_105:                             ;   in Loop: Header=BB23_13 Depth=1
	s_or_b64 exec, exec, s[52:53]
	v_and_b32_e32 v8, 0xffff0000, v11
	v_readlane_b32 s0, v95, 2
	s_nop 1
	v_add_f32_e32 v23, s0, v8
	v_cmp_ge_f32_e32 vcc, s6, v23
	s_and_b64 s[2:3], s[4:5], vcc
	s_and_saveexec_b64 s[52:53], s[2:3]
	s_cbranch_execz .LBB23_107
; %bb.106:                              ;   in Loop: Header=BB23_13 Depth=1
	v_mul_f32_e32 v8, 0x3fb8aa3b, v23
	v_rndne_f32_e32 v9, v8
	v_sub_f32_e32 v10, v8, v9
	v_fma_f32 v8, v23, s7, -v8
	v_fmac_f32_e32 v8, 0x32a5705f, v23
	v_add_f32_e32 v8, v10, v8
	v_cvt_i32_f32_e32 v9, v9
	v_exp_f32_e32 v8, v8
	v_cmp_ngt_f32_e32 vcc, s8, v23
	v_ldexp_f32 v8, v8, v9
	s_nop 0
	v_cndmask_b32_e32 v8, 0, v8, vcc
	v_cmp_nlt_f32_e32 vcc, s9, v23
	s_nop 1
	v_cndmask_b32_e32 v20, v41, v8, vcc
	v_add_f32_e32 v10, 1.0, v20
	v_add_f32_e32 v8, -1.0, v10
	v_sub_f32_e32 v9, v8, v10
	v_add_f32_e32 v9, 1.0, v9
	v_sub_f32_e32 v8, v20, v8
	v_add_f32_e32 v11, v8, v9
	v_frexp_mant_f32_e32 v12, v10
	v_cvt_f64_f32_e32 v[8:9], v10
	v_frexp_exp_i32_f64_e32 v8, v[8:9]
	v_cmp_gt_f32_e32 vcc, s11, v12
	v_cmp_gt_f32_e64 s[2:3], s54, v20
	s_nop 0
	v_subbrev_co_u32_e32 v22, vcc, 0, v8, vcc
	v_sub_u32_e32 v8, 0, v22
	v_ldexp_f32 v9, v10, v8
	v_add_f32_e32 v10, -1.0, v9
	v_add_f32_e32 v12, 1.0, v9
	v_ldexp_f32 v8, v11, v8
	v_add_f32_e32 v11, 1.0, v10
	v_add_f32_e32 v13, -1.0, v12
	v_sub_f32_e32 v11, v9, v11
	v_sub_f32_e32 v9, v9, v13
	v_add_f32_e32 v11, v8, v11
	v_add_f32_e32 v8, v8, v9
	;; [unrolled: 1-line block ×3, first 2 shown]
	v_rcp_f32_e32 v25, v23
	v_sub_f32_e32 v9, v12, v23
	v_add_f32_e32 v24, v8, v9
	v_add_f32_e32 v9, v10, v11
	v_mul_f32_e32 v27, v9, v25
	v_sub_f32_e32 v8, v10, v9
	v_mul_f32_e32 v10, v23, v27
	v_fma_f32 v12, v27, v23, -v10
	v_fmac_f32_e32 v12, v27, v24
	v_add_f32_e32 v26, v11, v8
	v_add_f32_e32 v8, v10, v12
	v_sub_f32_e32 v11, v9, v8
	v_pk_add_f32 v[14:15], v[8:9], v[10:11] neg_lo:[0,1] neg_hi:[0,1]
	v_mov_b32_e32 v13, v8
	v_pk_add_f32 v[8:9], v[14:15], v[12:13] neg_lo:[0,1] neg_hi:[0,1]
	v_cmp_eq_f32_e32 vcc, s10, v20
	v_add_f32_e32 v9, v26, v9
	v_add_f32_e32 v8, v8, v9
	;; [unrolled: 1-line block ×3, first 2 shown]
	v_mul_f32_e32 v26, v25, v9
	v_mul_f32_e32 v10, v23, v26
	v_fma_f32 v12, v26, v23, -v10
	v_fmac_f32_e32 v12, v26, v24
	v_sub_f32_e32 v11, v11, v9
	v_add_f32_e32 v23, v8, v11
	v_add_f32_e32 v8, v10, v12
	v_sub_f32_e32 v11, v9, v8
	v_pk_add_f32 v[14:15], v[8:9], v[10:11] neg_lo:[0,1] neg_hi:[0,1]
	v_mov_b32_e32 v13, v8
	v_pk_add_f32 v[8:9], v[14:15], v[12:13] neg_lo:[0,1] neg_hi:[0,1]
	s_or_b64 vcc, s[2:3], vcc
	v_add_f32_e32 v9, v23, v9
	v_add_f32_e32 v8, v8, v9
	;; [unrolled: 1-line block ×4, first 2 shown]
	v_sub_f32_e32 v10, v9, v27
	v_mul_f32_e32 v8, v25, v8
	v_sub_f32_e32 v10, v26, v10
	v_add_f32_e32 v10, v10, v8
	v_add_f32_e32 v12, v9, v10
	v_mul_f32_e32 v13, v12, v12
	v_fmamk_f32 v8, v13, 0x3e9b6dac, v40
	v_fmaak_f32 v43, v13, v8, 0x3f2aaada
	v_cvt_f32_i32_e32 v8, v22
	v_sub_f32_e32 v9, v12, v9
	v_sub_f32_e32 v9, v10, v9
	v_ldexp_f32 v14, v9, 1
	v_mul_f32_e32 v9, v12, v13
	v_ldexp_f32 v11, v12, 1
	v_pk_mul_f32 v[12:13], v[8:9], v[42:43]
	s_nop 0
	v_fma_f32 v10, v8, s33, -v12
	v_fmac_f32_e32 v10, 0xb102e308, v8
	v_pk_add_f32 v[8:9], v[12:13], v[10:11]
	s_nop 0
	v_sub_f32_e32 v11, v9, v11
	v_sub_f32_e32 v11, v13, v11
	v_add_f32_e32 v15, v14, v11
	v_mov_b32_e32 v14, v12
	v_pk_add_f32 v[12:13], v[8:9], v[12:13] neg_lo:[0,1] neg_hi:[0,1]
	v_pk_add_f32 v[22:23], v[8:9], v[14:15]
	v_mov_b32_e32 v11, v8
	v_mov_b32_e32 v13, v23
	v_pk_add_f32 v[24:25], v[10:11], v[12:13] neg_lo:[0,1] neg_hi:[0,1]
	v_pk_add_f32 v[10:11], v[10:11], v[12:13]
	v_mov_b32_e32 v14, v15
	v_mov_b32_e32 v12, v11
	v_pk_add_f32 v[26:27], v[12:13], v[8:9] neg_lo:[0,1] neg_hi:[0,1]
	v_mov_b32_e32 v10, v23
	v_mov_b32_e32 v13, v26
	v_pk_add_f32 v[28:29], v[22:23], v[12:13] neg_lo:[0,1] neg_hi:[0,1]
	v_mov_b32_e32 v22, v9
	v_mov_b32_e32 v23, v26
	;; [unrolled: 1-line block ×3, first 2 shown]
	v_pk_add_f32 v[10:11], v[10:11], v[22:23] neg_lo:[0,1] neg_hi:[0,1]
	v_mov_b32_e32 v15, v8
	v_pk_add_f32 v[8:9], v[14:15], v[10:11] neg_lo:[0,1] neg_hi:[0,1]
	v_mov_b32_e32 v28, v24
	v_pk_add_f32 v[10:11], v[28:29], v[8:9]
	s_nop 0
	v_mov_b32_e32 v14, v11
	v_pk_add_f32 v[14:15], v[10:11], v[14:15]
	s_nop 0
	v_pk_add_f32 v[12:13], v[12:13], v[14:15]
	v_mov_b32_e32 v9, v14
	v_mov_b32_e32 v11, v12
	v_pk_add_f32 v[22:23], v[10:11], v[24:25] neg_lo:[0,1] neg_hi:[0,1]
	s_nop 0
	v_sub_f32_e32 v10, v10, v22
	v_pk_add_f32 v[8:9], v[8:9], v[22:23] neg_lo:[0,1] neg_hi:[0,1]
	v_sub_f32_e32 v10, v24, v10
	v_add_f32_e32 v8, v8, v10
	v_add_f32_e32 v8, v8, v9
	;; [unrolled: 1-line block ×3, first 2 shown]
	v_cndmask_b32_e32 v23, v8, v20, vcc
.LBB23_107:                             ;   in Loop: Header=BB23_13 Depth=1
	s_or_b64 exec, exec, s[52:53]
	v_lshlrev_b32_e32 v8, 16, v7
	v_readlane_b32 s0, v95, 3
	v_and_b32_e32 v13, 0xffff0000, v7
	v_and_b32_e32 v7, 0xffff0000, v6
	v_lshlrev_b32_e32 v6, 16, v6
	v_and_b32_e32 v9, 0xffff0000, v5
	v_lshlrev_b32_e32 v5, 16, v5
	;; [unrolled: 2-line block ×7, first 2 shown]
	v_mul_f32_e32 v24, s0, v8
	v_mul_f32_e32 v27, s0, v7
	;; [unrolled: 1-line block ×16, first 2 shown]
	v_readlane_b32 s0, v95, 29
	v_readlane_b32 s1, v95, 30
	s_and_b64 vcc, exec, s[0:1]
	s_waitcnt lgkmcnt(0)
	; wave barrier
	s_cbranch_vccz .LBB23_200
; %bb.108:                              ;   in Loop: Header=BB23_13 Depth=1
	v_mul_f32_e32 v82, v21, v0
	scratch_load_dword v0, off, off offset:252 ; 4-byte Folded Reload
	v_readlane_b32 s0, v95, 7
	v_readlane_b32 s1, v95, 8
	scratch_store_dwordx2 off, v[42:43], off offset:168 ; 8-byte Folded Spill
	v_mul_f32_e32 v6, v61, v6
	v_lshl_add_u64 v[40:41], s[0:1], 0, v[16:17]
	v_readlane_b32 s0, v95, 21
	v_readlane_b32 s1, v95, 22
	v_mul_f32_e32 v5, v59, v5
	s_mov_b32 s88, 0
	v_lshl_add_u64 v[42:43], s[0:1], 0, v[16:17]
	v_readlane_b32 s1, v95, 51
	s_cmp_lg_u32 s1, 0
	v_readlane_b32 s0, v95, 44
	s_cselect_b64 s[2:3], -1, 0
	s_cmp_eq_u32 s1, s0
	v_readlane_b32 s0, v95, 33
	v_readlane_b32 s1, v95, 34
	s_cselect_b64 s[94:95], -1, 0
	v_mul_f32_e32 v13, v23, v13
	v_mul_f32_e32 v8, v63, v8
	;; [unrolled: 1-line block ×3, first 2 shown]
	scratch_store_dword off, v6, off offset:80 ; 4-byte Folded Spill
	v_mul_f32_e32 v6, v60, v9
	scratch_store_dword off, v5, off offset:88 ; 4-byte Folded Spill
	v_mul_f32_e32 v5, v58, v10
	v_mul_f32_e32 v4, v94, v4
	;; [unrolled: 1-line block ×9, first 2 shown]
	s_mov_b32 s86, s88
	s_mov_b32 s98, s88
	;; [unrolled: 1-line block ×3, first 2 shown]
	v_readlane_b32 s90, v95, 47
	scratch_store_dword off, v13, off offset:68 ; 4-byte Folded Spill
	scratch_store_dword off, v8, off offset:72 ; 4-byte Folded Spill
	;; [unrolled: 1-line block ×6, first 2 shown]
	s_waitcnt vmcnt(9)
	v_cmp_gt_u32_e32 vcc, s82, v0
	scratch_load_dword v0, off, off offset:256 ; 4-byte Folded Reload
	s_or_b64 s[52:53], s[0:1], vcc
	s_waitcnt vmcnt(0)
	v_cmp_gt_u32_e32 vcc, s82, v0
	scratch_load_dword v0, off, off offset:260 ; 4-byte Folded Reload
	s_or_b64 s[54:55], s[0:1], vcc
	;; [unrolled: 4-line block ×15, first 2 shown]
	s_waitcnt vmcnt(0)
	v_cmp_gt_u32_e32 vcc, s82, v0
	s_or_b64 s[82:83], s[0:1], vcc
	v_readlane_b32 s0, v95, 31
	v_readlane_b32 s1, v95, 32
	s_mov_b32 s33, s1
	s_branch .LBB23_110
.LBB23_109:                             ;   in Loop: Header=BB23_110 Depth=2
	s_or_b64 exec, exec, s[92:93]
	v_mul_f32_e32 v20, v83, v20
	v_fma_f32 v45, v83, v74, v8
	v_cndmask_b32_e64 v8, v45, v8, s[16:17]
	v_cndmask_b32_e64 v20, v20, v83, s[16:17]
	s_waitcnt lgkmcnt(0)
	v_fmac_f32_e32 v8, v44, v20
	v_fmac_f32_e32 v9, v8, v84
	;; [unrolled: 1-line block ×10, first 2 shown]
	v_readlane_b32 s4, v95, 23
	v_fmac_f32_e32 v52, v51, v64
	v_readlane_b32 s5, v95, 24
	v_readlane_b32 s6, v95, 25
	;; [unrolled: 1-line block ×3, first 2 shown]
	v_fmac_f32_e32 v53, v52, v16
	s_add_i32 s96, s96, s6
	v_readlane_b32 s4, v95, 17
	v_fmac_f32_e32 v14, v53, v65
	v_readlane_b32 s5, v95, 18
	v_readlane_b32 s6, v95, 19
	;; [unrolled: 1-line block ×3, first 2 shown]
	v_fmac_f32_e32 v15, v14, v66
	s_add_i32 s98, s98, s4
	v_readlane_b32 s4, v95, 9
	v_fmac_f32_e32 v54, v15, v67
	v_readlane_b32 s5, v95, 10
	v_readlane_b32 s8, v95, 13
	v_fmac_f32_e32 v55, v54, v68
	v_and_b32_e32 v45, 0xffff0000, v4
	v_and_b32_e32 v47, 0xffff0000, v5
	v_lshlrev_b32_e32 v44, 16, v4
	v_lshlrev_b32_e32 v46, 16, v5
	v_and_b32_e32 v5, 0xffff0000, v6
	v_and_b32_e32 v57, 0xffff0000, v7
	v_lshlrev_b32_e32 v4, 16, v6
	v_lshlrev_b32_e32 v56, 16, v7
	;; [unrolled: 4-line block ×4, first 2 shown]
	s_add_i32 s90, s90, 8
	s_add_i32 s33, s33, -1
	s_add_i32 s86, s86, s8
	s_add_i32 s88, s88, s5
	v_pk_fma_f32 v[36:37], v[10:11], v[46:47], v[36:37]
	v_pk_fma_f32 v[38:39], v[8:9], v[44:45], v[38:39]
	;; [unrolled: 1-line block ×7, first 2 shown]
	s_cmp_eq_u32 s33, 0
	v_pk_fma_f32 v[26:27], v[14:15], v[0:1], v[26:27]
	v_readlane_b32 s6, v95, 11
	v_readlane_b32 s7, v95, 12
	;; [unrolled: 1-line block ×5, first 2 shown]
	s_cbranch_scc1 .LBB23_199
.LBB23_110:                             ;   Parent Loop BB23_13 Depth=1
                                        ; =>  This Inner Loop Header: Depth=2
	s_lshl_b64 s[92:93], s[88:89], 2
	s_add_u32 s92, s97, s92
	v_readlane_b32 s0, v95, 6
	s_addc_u32 s93, s0, s93
	global_load_dword v44, v17, s[92:93]
	s_mov_b32 s87, s89
	v_lshl_add_u64 v[0:1], s[86:87], 1, v[40:41]
	v_mov_b32_e32 v2, 0
	v_mov_b32_e32 v3, 0
	s_and_saveexec_b64 s[92:93], s[18:19]
	s_cbranch_execz .LBB23_112
; %bb.111:                              ;   in Loop: Header=BB23_110 Depth=2
	global_load_ushort v3, v[0:1], off
.LBB23_112:                             ;   in Loop: Header=BB23_110 Depth=2
	s_or_b64 exec, exec, s[92:93]
	s_and_saveexec_b64 s[92:93], s[20:21]
	s_cbranch_execz .LBB23_114
; %bb.113:                              ;   in Loop: Header=BB23_110 Depth=2
	global_load_ushort v2, v[0:1], off offset:128
.LBB23_114:                             ;   in Loop: Header=BB23_110 Depth=2
	s_or_b64 exec, exec, s[92:93]
	v_mov_b32_e32 v4, 0
	v_mov_b32_e32 v5, 0
	s_and_saveexec_b64 s[92:93], s[22:23]
	s_cbranch_execz .LBB23_116
; %bb.115:                              ;   in Loop: Header=BB23_110 Depth=2
	global_load_ushort v5, v[0:1], off offset:256
.LBB23_116:                             ;   in Loop: Header=BB23_110 Depth=2
	s_or_b64 exec, exec, s[92:93]
	s_and_saveexec_b64 s[92:93], s[24:25]
	s_cbranch_execz .LBB23_118
; %bb.117:                              ;   in Loop: Header=BB23_110 Depth=2
	global_load_ushort v4, v[0:1], off offset:384
.LBB23_118:                             ;   in Loop: Header=BB23_110 Depth=2
	s_or_b64 exec, exec, s[92:93]
	v_mov_b32_e32 v6, 0
	v_mov_b32_e32 v7, 0
	s_and_saveexec_b64 s[92:93], s[26:27]
	s_cbranch_execz .LBB23_120
; %bb.119:                              ;   in Loop: Header=BB23_110 Depth=2
	global_load_ushort v7, v[0:1], off offset:512
.LBB23_120:                             ;   in Loop: Header=BB23_110 Depth=2
	;; [unrolled: 14-line block ×7, first 2 shown]
	s_or_b64 exec, exec, s[92:93]
	s_and_saveexec_b64 s[92:93], s[50:51]
	s_cbranch_execz .LBB23_142
; %bb.141:                              ;   in Loop: Header=BB23_110 Depth=2
	global_load_ushort v16, v[0:1], off offset:1920
.LBB23_142:                             ;   in Loop: Header=BB23_110 Depth=2
	s_or_b64 exec, exec, s[92:93]
	scratch_load_dword v0, off, off offset:4 ; 4-byte Folded Reload
	s_mov_b32 s99, s89
	s_waitcnt vmcnt(0)
	ds_write_b16 v0, v3
	scratch_load_dword v0, off, off offset:8 ; 4-byte Folded Reload
	v_mov_b32_e32 v3, 0
	s_waitcnt vmcnt(0)
	ds_write_b16 v0, v2 offset:128
	scratch_load_dword v0, off, off offset:12 ; 4-byte Folded Reload
	v_mov_b32_e32 v2, 0
	s_waitcnt vmcnt(0)
	ds_write_b16 v0, v5 offset:256
	scratch_load_dword v0, off, off offset:16 ; 4-byte Folded Reload
	s_waitcnt vmcnt(0)
	ds_write_b16 v0, v4 offset:384
	scratch_load_dword v0, off, off offset:20 ; 4-byte Folded Reload
	;; [unrolled: 3-line block ×13, first 2 shown]
	s_waitcnt vmcnt(0)
	ds_write_b16 v0, v16 offset:1920
	; wave barrier
	scratch_load_dword v0, off, off         ; 4-byte Folded Reload
	s_waitcnt vmcnt(0)
	ds_read_b128 v[12:15], v0
	ds_read_b128 v[8:11], v0 offset:16
	v_lshl_add_u64 v[0:1], s[98:99], 1, v[42:43]
	s_and_saveexec_b64 s[92:93], s[18:19]
	s_cbranch_execz .LBB23_144
; %bb.143:                              ;   in Loop: Header=BB23_110 Depth=2
	global_load_ushort v3, v[0:1], off
.LBB23_144:                             ;   in Loop: Header=BB23_110 Depth=2
	s_or_b64 exec, exec, s[92:93]
	s_and_saveexec_b64 s[92:93], s[20:21]
	s_cbranch_execz .LBB23_146
; %bb.145:                              ;   in Loop: Header=BB23_110 Depth=2
	global_load_ushort v2, v[0:1], off offset:128
.LBB23_146:                             ;   in Loop: Header=BB23_110 Depth=2
	s_or_b64 exec, exec, s[92:93]
	v_mov_b32_e32 v4, 0
	v_mov_b32_e32 v5, 0
	s_and_saveexec_b64 s[92:93], s[22:23]
	s_cbranch_execz .LBB23_148
; %bb.147:                              ;   in Loop: Header=BB23_110 Depth=2
	global_load_ushort v5, v[0:1], off offset:256
.LBB23_148:                             ;   in Loop: Header=BB23_110 Depth=2
	s_or_b64 exec, exec, s[92:93]
	s_and_saveexec_b64 s[92:93], s[24:25]
	s_cbranch_execz .LBB23_150
; %bb.149:                              ;   in Loop: Header=BB23_110 Depth=2
	global_load_ushort v4, v[0:1], off offset:384
.LBB23_150:                             ;   in Loop: Header=BB23_110 Depth=2
	s_or_b64 exec, exec, s[92:93]
	v_mov_b32_e32 v6, 0
	v_mov_b32_e32 v7, 0
	s_and_saveexec_b64 s[92:93], s[26:27]
	s_cbranch_execz .LBB23_152
; %bb.151:                              ;   in Loop: Header=BB23_110 Depth=2
	global_load_ushort v7, v[0:1], off offset:512
.LBB23_152:                             ;   in Loop: Header=BB23_110 Depth=2
	;; [unrolled: 14-line block ×7, first 2 shown]
	s_or_b64 exec, exec, s[92:93]
	s_and_saveexec_b64 s[92:93], s[50:51]
	s_cbranch_execz .LBB23_174
; %bb.173:                              ;   in Loop: Header=BB23_110 Depth=2
	global_load_ushort v50, v[0:1], off offset:1920
.LBB23_174:                             ;   in Loop: Header=BB23_110 Depth=2
	s_or_b64 exec, exec, s[92:93]
	scratch_load_dword v0, off, off offset:4 ; 4-byte Folded Reload
	s_andn2_b64 vcc, exec, s[2:3]
	s_waitcnt vmcnt(0)
	ds_write_b16 v0, v3 offset:2112
	scratch_load_dword v0, off, off offset:100 ; 4-byte Folded Reload
	s_waitcnt vmcnt(0)
	ds_write_b16 v0, v2 offset:128
	scratch_load_dword v0, off, off offset:104 ; 4-byte Folded Reload
	;; [unrolled: 3-line block ×15, first 2 shown]
	s_waitcnt vmcnt(0)
	ds_write_b16 v0, v50 offset:1920
	; wave barrier
	scratch_load_dword v0, off, off         ; 4-byte Folded Reload
	s_waitcnt vmcnt(0)
	ds_read_b128 v[4:7], v0 offset:2112
	scratch_load_dword v0, off, off offset:160 ; 4-byte Folded Reload
	s_waitcnt vmcnt(0)
	ds_read_b128 v[0:3], v0 offset:16
	s_cbranch_vccnz .LBB23_176
; %bb.175:                              ;   in Loop: Header=BB23_110 Depth=2
	v_mov_b32_e32 v16, s90
	ds_read_b64 v[46:47], v16
	s_waitcnt lgkmcnt(0)
	v_mov_b32_e32 v45, v47
	s_cbranch_execz .LBB23_177
	s_branch .LBB23_180
.LBB23_176:                             ;   in Loop: Header=BB23_110 Depth=2
                                        ; implicit-def: $vgpr46
                                        ; implicit-def: $vgpr45
.LBB23_177:                             ;   in Loop: Header=BB23_110 Depth=2
	v_readlane_b32 s0, v95, 0
	v_readlane_b32 s1, v95, 1
	s_andn2_b64 vcc, exec, s[0:1]
	v_mov_b32_e32 v45, 0
	s_cbranch_vccnz .LBB23_179
; %bb.178:                              ;   in Loop: Header=BB23_110 Depth=2
	s_mov_b32 s97, s89
	s_lshl_b64 s[92:93], s[96:97], 1
	v_readlane_b32 s0, v95, 27
	s_add_u32 s92, s0, s92
	v_readlane_b32 s0, v95, 28
	s_addc_u32 s93, s0, s93
	global_load_ushort v16, v17, s[92:93]
	v_readlane_b32 s97, v95, 48
	s_waitcnt vmcnt(0)
	v_lshlrev_b32_e32 v45, 16, v16
.LBB23_179:                             ;   in Loop: Header=BB23_110 Depth=2
	v_mov_b32_e32 v46, 1.0
.LBB23_180:                             ;   in Loop: Header=BB23_110 Depth=2
	s_waitcnt lgkmcnt(14)
	v_lshlrev_b32_e32 v48, 16, v15
	v_and_b32_e32 v15, 0xffff0000, v15
	v_mul_f32_e32 v15, v75, v15
	v_cndmask_b32_e64 v49, 0, v15, s[66:67]
	scratch_load_dword v15, off, off offset:96 ; 4-byte Folded Reload
	v_lshlrev_b32_e32 v50, 16, v8
	v_and_b32_e32 v51, 0xffff0000, v8
	v_lshlrev_b32_e32 v52, 16, v9
	v_mul_f32_e32 v44, 0x3fb8aa3b, v44
	v_mul_f32_e32 v8, v44, v21
	v_cmp_gt_f32_e32 vcc, s91, v8
	v_lshlrev_b32_e32 v54, 16, v10
	v_and_b32_e32 v55, 0xffff0000, v10
	v_cndmask_b32_e32 v8, 0, v72, vcc
	v_mul_f32_e32 v10, v44, v18
	v_and_b32_e32 v53, 0xffff0000, v9
	v_fmac_f32_e32 v8, v44, v21
	v_cndmask_b32_e32 v9, 1.0, v19, vcc
	v_cmp_gt_f32_e32 vcc, s91, v10
	v_exp_f32_e32 v8, v8
	v_lshlrev_b32_e32 v56, 16, v11
	v_cndmask_b32_e32 v10, 0, v72, vcc
	v_fmac_f32_e32 v10, v44, v18
	v_exp_f32_e32 v10, v10
	v_and_b32_e32 v47, 0xffff0000, v11
	v_mul_f32_e32 v9, v8, v9
	v_mul_f32_e32 v11, v44, v70
	v_lshlrev_b32_e32 v16, 16, v12
	v_and_b32_e32 v12, 0xffff0000, v12
	v_cndmask_b32_e64 v83, 1.0, v9, s[52:53]
	v_cndmask_b32_e32 v9, 1.0, v19, vcc
	v_cmp_gt_f32_e32 vcc, s91, v11
	v_mul_f32_e32 v10, v10, v9
	v_mul_f32_e32 v9, v81, v12
	v_cndmask_b32_e32 v11, 0, v72, vcc
	v_mul_f32_e32 v12, v44, v71
	v_fmac_f32_e32 v11, v44, v70
	v_cndmask_b32_e64 v84, 1.0, v10, s[54:55]
	v_cndmask_b32_e32 v10, 1.0, v19, vcc
	v_cmp_gt_f32_e32 vcc, s91, v12
	v_exp_f32_e32 v11, v11
	v_lshlrev_b32_e32 v20, 16, v13
	v_cndmask_b32_e32 v12, 0, v72, vcc
	v_fmac_f32_e32 v12, v44, v71
	v_exp_f32_e32 v12, v12
	v_mul_f32_e32 v11, v11, v10
	v_and_b32_e32 v13, 0xffff0000, v13
	v_cndmask_b32_e64 v85, 1.0, v11, s[56:57]
	v_cndmask_b32_e32 v11, 1.0, v19, vcc
	v_mul_f32_e32 v12, v12, v11
	v_mul_f32_e32 v11, v79, v13
	;; [unrolled: 1-line block ×3, first 2 shown]
	v_cmp_gt_f32_e32 vcc, s91, v13
	v_mul_f32_e32 v8, v82, v16
	v_mul_f32_e32 v16, v44, v91
	v_cndmask_b32_e32 v13, 0, v72, vcc
	v_fmac_f32_e32 v13, v44, v90
	v_cndmask_b32_e64 v86, 1.0, v12, s[58:59]
	v_cndmask_b32_e32 v12, 1.0, v19, vcc
	v_cmp_gt_f32_e32 vcc, s91, v16
	v_exp_f32_e32 v13, v13
	v_lshlrev_b32_e32 v22, 16, v14
	v_cndmask_b32_e32 v16, 0, v72, vcc
	v_fmac_f32_e32 v16, v44, v91
	v_exp_f32_e32 v16, v16
	v_mul_f32_e32 v13, v13, v12
	v_and_b32_e32 v14, 0xffff0000, v14
	v_cndmask_b32_e64 v87, 1.0, v13, s[60:61]
	v_cndmask_b32_e32 v13, 1.0, v19, vcc
	v_mul_f32_e32 v16, v16, v13
	v_mul_f32_e32 v13, v77, v14
	v_mul_f32_e32 v14, v44, v92
	v_cmp_gt_f32_e32 vcc, s91, v14
	v_mul_f32_e32 v10, v80, v20
	v_cndmask_b32_e64 v88, 1.0, v16, s[62:63]
	v_cndmask_b32_e32 v14, 0, v72, vcc
	v_fmac_f32_e32 v14, v44, v92
	v_exp_f32_e32 v14, v14
	v_cndmask_b32_e32 v16, 1.0, v19, vcc
	v_mul_f32_e32 v20, v44, v93
	v_cmp_gt_f32_e32 vcc, s91, v20
	v_mul_f32_e32 v14, v14, v16
	v_mul_f32_e32 v16, v76, v48
	v_cndmask_b32_e32 v20, 0, v72, vcc
	s_waitcnt vmcnt(0)
	v_mul_f32_e32 v15, v15, v50
	v_cndmask_b32_e64 v50, 0, v15, s[68:69]
	scratch_load_dword v15, off, off offset:92 ; 4-byte Folded Reload
	v_cndmask_b32_e64 v48, 0, v16, s[64:65]
	v_mul_f32_e32 v16, v44, v94
	v_fmac_f32_e32 v20, v44, v93
	v_cndmask_b32_e64 v69, 1.0, v14, s[64:65]
	v_cndmask_b32_e32 v14, 1.0, v19, vcc
	v_cmp_gt_f32_e32 vcc, s91, v16
	v_exp_f32_e32 v20, v20
	v_mul_f32_e32 v12, v78, v22
	v_cndmask_b32_e32 v16, 0, v72, vcc
	v_fmac_f32_e32 v16, v44, v94
	v_exp_f32_e32 v16, v16
	v_mul_f32_e32 v14, v20, v14
	v_cndmask_b32_e64 v73, 1.0, v14, s[66:67]
	v_cndmask_b32_e32 v14, 1.0, v19, vcc
	v_mul_f32_e32 v14, v16, v14
	v_mul_f32_e32 v16, v44, v58
	v_cmp_gt_f32_e32 vcc, s91, v16
	v_cndmask_b32_e64 v22, 1.0, v14, s[68:69]
	v_cndmask_b32_e64 v8, 0, v8, s[52:53]
	v_cndmask_b32_e32 v16, 0, v72, vcc
	v_fmac_f32_e32 v16, v44, v58
	v_exp_f32_e32 v16, v16
	v_cndmask_b32_e32 v14, 1.0, v19, vcc
	v_cndmask_b32_e64 v9, 0, v9, s[54:55]
	v_cndmask_b32_e64 v10, 0, v10, s[56:57]
	v_mul_f32_e32 v14, v16, v14
	v_mul_f32_e32 v16, v44, v59
	v_cmp_gt_f32_e32 vcc, s91, v16
	v_cndmask_b32_e64 v89, 1.0, v14, s[70:71]
	v_cndmask_b32_e64 v11, 0, v11, s[58:59]
	v_cndmask_b32_e32 v16, 0, v72, vcc
	v_fmac_f32_e32 v16, v44, v59
	v_exp_f32_e32 v16, v16
	v_cndmask_b32_e32 v14, 1.0, v19, vcc
	v_cndmask_b32_e64 v12, 0, v12, s[60:61]
	v_cndmask_b32_e64 v13, 0, v13, s[62:63]
	v_mul_f32_e32 v14, v16, v14
	v_mul_f32_e32 v16, v44, v60
	v_cmp_gt_f32_e32 vcc, s91, v16
	v_cndmask_b32_e64 v64, 1.0, v14, s[72:73]
	v_readlane_b32 s0, v95, 35
	v_cndmask_b32_e32 v16, 0, v72, vcc
	v_fmac_f32_e32 v16, v44, v60
	v_exp_f32_e32 v16, v16
	v_cndmask_b32_e32 v14, 1.0, v19, vcc
	v_readlane_b32 s1, v95, 36
	v_mul_f32_e32 v14, v16, v14
	v_mul_f32_e32 v16, v44, v61
	v_cmp_gt_f32_e32 vcc, s91, v16
	s_waitcnt vmcnt(0)
	v_mul_f32_e32 v15, v15, v51
	v_cndmask_b32_e64 v51, 0, v15, s[70:71]
	scratch_load_dword v15, off, off offset:88 ; 4-byte Folded Reload
	v_cndmask_b32_e32 v16, 0, v72, vcc
	v_fmac_f32_e32 v16, v44, v61
	v_exp_f32_e32 v20, v16
	v_cndmask_b32_e64 v16, 1.0, v14, s[74:75]
	v_cndmask_b32_e32 v14, 1.0, v19, vcc
	s_waitcnt vmcnt(0)
	v_mul_f32_e32 v15, v15, v52
	v_cndmask_b32_e64 v52, 0, v15, s[72:73]
	scratch_load_dword v15, off, off offset:84 ; 4-byte Folded Reload
	s_waitcnt vmcnt(0)
	v_mul_f32_e32 v15, v15, v53
	v_cndmask_b32_e64 v53, 0, v15, s[74:75]
	v_mul_f32_e32 v15, v20, v14
	scratch_load_dword v14, off, off offset:80 ; 4-byte Folded Reload
	v_mul_f32_e32 v20, v44, v62
	v_cmp_gt_f32_e32 vcc, s91, v20
	v_cndmask_b32_e64 v65, 1.0, v15, s[76:77]
	s_nop 0
	v_cndmask_b32_e32 v20, 0, v72, vcc
	v_fmac_f32_e32 v20, v44, v62
	v_exp_f32_e32 v20, v20
	v_cndmask_b32_e32 v15, 1.0, v19, vcc
	v_mul_f32_e32 v20, v20, v15
	scratch_load_dword v15, off, off offset:76 ; 4-byte Folded Reload
	v_cndmask_b32_e64 v66, 1.0, v20, s[78:79]
	s_waitcnt vmcnt(1)
	v_mul_f32_e32 v14, v14, v54
	v_mul_f32_e32 v54, v44, v63
	v_cmp_gt_f32_e32 vcc, s91, v54
	v_cndmask_b32_e64 v14, 0, v14, s[76:77]
	s_nop 0
	v_cndmask_b32_e32 v54, 0, v72, vcc
	v_fmac_f32_e32 v54, v44, v63
	v_exp_f32_e32 v54, v54
	v_cndmask_b32_e32 v20, 1.0, v19, vcc
	v_mul_f32_e32 v20, v54, v20
	scratch_load_dword v54, off, off offset:72 ; 4-byte Folded Reload
	s_waitcnt vmcnt(1)
	v_mul_f32_e32 v15, v15, v55
	v_mul_f32_e32 v55, v44, v23
	v_cmp_gt_f32_e32 vcc, s91, v55
	v_cndmask_b32_e64 v67, 1.0, v20, s[80:81]
	v_cndmask_b32_e64 v15, 0, v15, s[78:79]
	v_cndmask_b32_e32 v55, 0, v72, vcc
	v_fmac_f32_e32 v55, v44, v23
	v_exp_f32_e32 v44, v55
	v_cndmask_b32_e32 v20, 1.0, v19, vcc
	v_mul_f32_e32 v20, v44, v20
	scratch_load_dword v44, off, off offset:68 ; 4-byte Folded Reload
	v_cndmask_b32_e64 v68, 1.0, v20, s[82:83]
	v_mul_f32_e32 v20, v84, v83
	v_mul_f32_e32 v20, v20, v85
	;; [unrolled: 1-line block ×14, first 2 shown]
	s_waitcnt vmcnt(1)
	v_mul_f32_e32 v54, v54, v56
	v_cndmask_b32_e64 v54, 0, v54, s[80:81]
	s_waitcnt vmcnt(0)
	v_mul_f32_e32 v44, v44, v47
	v_cndmask_b32_e64 v55, 0, v44, s[82:83]
	v_fma_f32 v44, v84, v8, v9
	v_fma_f32 v44, v44, v85, v10
	;; [unrolled: 1-line block ×14, first 2 shown]
	v_mul_f32_e32 v47, v20, v68
	v_fma_f32 v44, v44, v68, v55
	s_nop 0
	v_mov_b32_dpp v56, v47 row_shr:1 row_mask:0xf bank_mask:0xf
	v_mov_b32_dpp v20, v44 row_shr:1 row_mask:0xf bank_mask:0xf
	s_and_saveexec_b64 s[92:93], s[0:1]
; %bb.181:                              ;   in Loop: Header=BB23_110 Depth=2
	v_mul_f32_e32 v56, v47, v56
	v_fmac_f32_e32 v44, v47, v20
	v_mov_b32_e32 v47, v56
; %bb.182:                              ;   in Loop: Header=BB23_110 Depth=2
	s_or_b64 exec, exec, s[92:93]
	v_readlane_b32 s0, v95, 37
	v_mov_b32_dpp v20, v47 row_shr:2 row_mask:0xf bank_mask:0xf
	v_mov_b32_dpp v56, v44 row_shr:2 row_mask:0xf bank_mask:0xf
	v_readlane_b32 s1, v95, 38
	s_and_saveexec_b64 s[92:93], s[0:1]
; %bb.183:                              ;   in Loop: Header=BB23_110 Depth=2
	v_fmac_f32_e32 v44, v47, v56
	v_mul_f32_e32 v47, v47, v20
; %bb.184:                              ;   in Loop: Header=BB23_110 Depth=2
	s_or_b64 exec, exec, s[92:93]
	s_nop 0
	v_mov_b32_dpp v20, v47 row_shr:4 row_mask:0xf bank_mask:0xf
	v_mov_b32_dpp v56, v44 row_shr:4 row_mask:0xf bank_mask:0xf
	s_and_saveexec_b64 s[92:93], s[84:85]
; %bb.185:                              ;   in Loop: Header=BB23_110 Depth=2
	v_fmac_f32_e32 v44, v47, v56
	v_mul_f32_e32 v47, v47, v20
; %bb.186:                              ;   in Loop: Header=BB23_110 Depth=2
	s_or_b64 exec, exec, s[92:93]
	v_readlane_b32 s0, v95, 39
	v_mov_b32_dpp v20, v47 row_shr:8 row_mask:0xf bank_mask:0xf
	v_mov_b32_dpp v56, v44 row_shr:8 row_mask:0xf bank_mask:0xf
	v_readlane_b32 s1, v95, 40
	s_and_saveexec_b64 s[92:93], s[0:1]
; %bb.187:                              ;   in Loop: Header=BB23_110 Depth=2
	v_fmac_f32_e32 v44, v47, v56
	v_mul_f32_e32 v47, v47, v20
; %bb.188:                              ;   in Loop: Header=BB23_110 Depth=2
	s_or_b64 exec, exec, s[92:93]
	v_readlane_b32 s0, v95, 41
	v_mov_b32_dpp v20, v47 row_bcast:15 row_mask:0xf bank_mask:0xf
	v_mov_b32_dpp v56, v44 row_bcast:15 row_mask:0xf bank_mask:0xf
	v_readlane_b32 s1, v95, 42
	s_and_saveexec_b64 s[92:93], s[0:1]
; %bb.189:                              ;   in Loop: Header=BB23_110 Depth=2
	v_fmac_f32_e32 v44, v47, v56
	v_mul_f32_e32 v47, v47, v20
; %bb.190:                              ;   in Loop: Header=BB23_110 Depth=2
	s_or_b64 exec, exec, s[92:93]
	s_nop 0
	v_mov_b32_dpp v20, v47 row_bcast:31 row_mask:0xf bank_mask:0xf
	v_mov_b32_dpp v56, v44 row_bcast:31 row_mask:0xf bank_mask:0xf
	v_mov_b32_e32 v57, v44
	v_mul_f32_e32 v20, v47, v20
	v_fmac_f32_e32 v57, v47, v56
	v_readlane_b32 s0, v95, 45
	v_cndmask_b32_e64 v56, v47, v20, s[12:13]
	v_cndmask_b32_e64 v57, v44, v57, s[12:13]
	v_readlane_b32 s1, v95, 46
	s_and_saveexec_b64 s[92:93], s[0:1]
	s_cbranch_execz .LBB23_192
; %bb.191:                              ;   in Loop: Header=BB23_110 Depth=2
	ds_write_b64 v17, v[56:57] offset:4224
.LBB23_192:                             ;   in Loop: Header=BB23_110 Depth=2
	s_or_b64 exec, exec, s[92:93]
	scratch_load_dword v44, off, off offset:164 ; 4-byte Folded Reload
	s_waitcnt lgkmcnt(0)
	; wave barrier
	s_waitcnt vmcnt(0) lgkmcnt(0)
	ds_bpermute_b32 v20, v44, v56
	ds_bpermute_b32 v74, v44, v57
	s_and_saveexec_b64 s[92:93], s[14:15]
	s_cbranch_execz .LBB23_196
; %bb.193:                              ;   in Loop: Header=BB23_110 Depth=2
	ds_read_b64 v[56:57], v17 offset:4224
	s_and_saveexec_b64 vcc, s[16:17]
	s_cbranch_execz .LBB23_195
; %bb.194:                              ;   in Loop: Header=BB23_110 Depth=2
	v_mov_b32_e32 v47, v45
	ds_write_b64 v17, v[46:47] offset:4224
.LBB23_195:                             ;   in Loop: Header=BB23_110 Depth=2
	s_or_b64 exec, exec, vcc
	s_waitcnt lgkmcnt(0)
	v_mul_f32_e32 v47, v56, v45
	v_pk_add_f32 v[44:45], v[46:47], v[56:57]
	v_mul_f32_e32 v46, v46, v56
.LBB23_196:                             ;   in Loop: Header=BB23_110 Depth=2
	s_or_b64 exec, exec, s[92:93]
	s_waitcnt lgkmcnt(0)
	; wave barrier
	s_waitcnt lgkmcnt(0)
	ds_read_b32 v44, v17 offset:4228
	s_and_saveexec_b64 s[92:93], s[16:17]
	s_cbranch_execz .LBB23_109
; %bb.197:                              ;   in Loop: Header=BB23_110 Depth=2
	v_mov_b32_e32 v47, v45
	v_mov_b32_e32 v56, s90
	s_andn2_b64 vcc, exec, s[94:95]
	ds_write_b64 v56, v[46:47]
	s_cbranch_vccnz .LBB23_109
; %bb.198:                              ;   in Loop: Header=BB23_110 Depth=2
	v_bfe_u32 v46, v45, 16, 1
	s_movk_i32 s0, 0x7fff
	s_mov_b32 s97, s89
	v_add3_u32 v46, v45, v46, s0
	s_lshl_b64 s[0:1], s[96:97], 1
	v_readlane_b32 s4, v95, 27
	v_lshrrev_b32_e32 v46, 16, v46
	v_cmp_o_f32_e32 vcc, v45, v45
	v_mov_b32_e32 v45, 0x7fc0
	s_add_u32 s0, s4, s0
	v_readlane_b32 s4, v95, 28
	v_cndmask_b32_e32 v45, v45, v46, vcc
	v_readlane_b32 s97, v95, 48
	s_addc_u32 s1, s4, s1
	global_store_short v17, v45, s[0:1]
	s_branch .LBB23_109
.LBB23_199:                             ;   in Loop: Header=BB23_13 Depth=1
	scratch_load_dwordx2 v[42:43], off, off offset:168 ; 8-byte Folded Reload
	v_readlane_b32 s4, v95, 49
	v_readlane_b32 s5, v95, 50
	s_mov_b32 s6, 0x41a00000
	s_mov_b32 s7, 0x3fb8aa3b
	;; [unrolled: 1-line block ×8, first 2 shown]
	v_mov_b32_e32 v40, 0x3ecc95a3
	v_mov_b32_e32 v41, 0x7f800000
.LBB23_200:                             ;   in Loop: Header=BB23_13 Depth=1
	s_waitcnt lgkmcnt(0)
	; wave barrier
	scratch_load_dword v9, off, off         ; 4-byte Folded Reload
	v_bfe_u32 v0, v38, 16, 1
	s_movk_i32 s0, 0x7fff
	v_bfe_u32 v1, v39, 16, 1
	v_add3_u32 v0, v38, v0, s0
	v_bfe_u32 v2, v36, 16, 1
	v_add3_u32 v1, v39, v1, s0
	v_lshrrev_b32_e32 v0, 16, v0
	v_cmp_o_f32_e32 vcc, v38, v38
	v_mov_b32_e32 v10, 0x7fc0
	v_bfe_u32 v3, v37, 16, 1
	v_add3_u32 v2, v36, v2, s0
	v_lshrrev_b32_e32 v1, 16, v1
	v_cndmask_b32_e32 v0, v10, v0, vcc
	v_cmp_o_f32_e32 vcc, v39, v39
	v_add3_u32 v3, v37, v3, s0
	v_lshrrev_b32_e32 v2, 16, v2
	v_cndmask_b32_e32 v4, v10, v1, vcc
	v_cmp_o_f32_e32 vcc, v36, v36
	v_lshrrev_b32_e32 v3, 16, v3
	v_bfe_u32 v6, v32, 16, 1
	v_cndmask_b32_e32 v1, v10, v2, vcc
	v_cmp_o_f32_e32 vcc, v37, v37
	v_bfe_u32 v2, v34, 16, 1
	v_add3_u32 v2, v34, v2, s0
	v_cndmask_b32_e32 v5, v10, v3, vcc
	v_bfe_u32 v3, v35, 16, 1
	v_add3_u32 v3, v35, v3, s0
	v_lshrrev_b32_e32 v2, 16, v2
	v_cmp_o_f32_e32 vcc, v34, v34
	v_bfe_u32 v7, v33, 16, 1
	v_add3_u32 v6, v32, v6, s0
	v_lshrrev_b32_e32 v3, 16, v3
	v_cndmask_b32_e32 v2, v10, v2, vcc
	v_cmp_o_f32_e32 vcc, v35, v35
	v_add3_u32 v7, v33, v7, s0
	v_lshrrev_b32_e32 v6, 16, v6
	v_cndmask_b32_e32 v8, v10, v3, vcc
	v_cmp_o_f32_e32 vcc, v32, v32
	v_lshrrev_b32_e32 v7, 16, v7
	s_mov_b32 s1, 0x5040100
	v_cndmask_b32_e32 v3, v10, v6, vcc
	v_cmp_o_f32_e32 vcc, v33, v33
	v_perm_b32 v2, v8, v2, s1
	v_perm_b32 v1, v5, v1, s1
	v_cndmask_b32_e32 v6, v10, v7, vcc
	v_perm_b32 v3, v6, v3, s1
	v_perm_b32 v0, v4, v0, s1
	v_cmp_o_f32_e32 vcc, v30, v30
	v_bfe_u32 v6, v24, 16, 1
	v_bfe_u32 v7, v25, 16, 1
	v_add3_u32 v6, v24, v6, s0
	v_add3_u32 v7, v25, v7, s0
	v_lshrrev_b32_e32 v6, 16, v6
	v_lshrrev_b32_e32 v7, 16, v7
	s_waitcnt vmcnt(0)
	ds_write_b128 v9, v[0:3]
	v_bfe_u32 v0, v30, 16, 1
	v_bfe_u32 v1, v31, 16, 1
	v_add3_u32 v0, v30, v0, s0
	v_bfe_u32 v2, v28, 16, 1
	v_add3_u32 v1, v31, v1, s0
	v_lshrrev_b32_e32 v0, 16, v0
	v_bfe_u32 v3, v29, 16, 1
	v_add3_u32 v2, v28, v2, s0
	v_lshrrev_b32_e32 v1, 16, v1
	v_cndmask_b32_e32 v0, v10, v0, vcc
	v_cmp_o_f32_e32 vcc, v31, v31
	v_add3_u32 v3, v29, v3, s0
	v_lshrrev_b32_e32 v2, 16, v2
	v_cndmask_b32_e32 v4, v10, v1, vcc
	v_cmp_o_f32_e32 vcc, v28, v28
	v_lshrrev_b32_e32 v3, 16, v3
	v_perm_b32 v0, v4, v0, s1
	v_cndmask_b32_e32 v1, v10, v2, vcc
	v_cmp_o_f32_e32 vcc, v29, v29
	v_bfe_u32 v2, v26, 16, 1
	v_add3_u32 v2, v26, v2, s0
	v_cndmask_b32_e32 v5, v10, v3, vcc
	v_bfe_u32 v3, v27, 16, 1
	v_add3_u32 v3, v27, v3, s0
	v_lshrrev_b32_e32 v2, 16, v2
	v_cmp_o_f32_e32 vcc, v26, v26
	v_lshrrev_b32_e32 v3, 16, v3
	v_perm_b32 v1, v5, v1, s1
	v_cndmask_b32_e32 v2, v10, v2, vcc
	v_cmp_o_f32_e32 vcc, v27, v27
	s_nop 1
	v_cndmask_b32_e32 v8, v10, v3, vcc
	v_cmp_o_f32_e32 vcc, v24, v24
	v_perm_b32 v2, v8, v2, s1
	s_nop 0
	v_cndmask_b32_e32 v3, v10, v6, vcc
	v_cmp_o_f32_e32 vcc, v25, v25
	s_nop 1
	v_cndmask_b32_e32 v6, v10, v7, vcc
	v_perm_b32 v3, v6, v3, s1
	ds_write_b128 v9, v[0:3] offset:16
	; wave barrier
	scratch_load_dword v0, off, off offset:8 ; 4-byte Folded Reload
	v_readlane_b32 s0, v95, 52
	v_readlane_b32 s1, v95, 53
	s_mov_b32 s1, s89
	s_waitcnt vmcnt(0)
	ds_read_u16 v16, v0 offset:128
	scratch_load_dword v0, off, off offset:12 ; 4-byte Folded Reload
	s_waitcnt vmcnt(0)
	ds_read_u16 v15, v0 offset:256
	scratch_load_dword v0, off, off offset:16 ; 4-byte Folded Reload
	s_waitcnt vmcnt(0)
	ds_read_u16 v14, v0 offset:384
	scratch_load_dword v0, off, off offset:20 ; 4-byte Folded Reload
	s_waitcnt vmcnt(0)
	ds_read_u16 v13, v0 offset:512
	scratch_load_dword v0, off, off offset:24 ; 4-byte Folded Reload
	s_waitcnt vmcnt(0)
	ds_read_u16 v12, v0 offset:640
	scratch_load_dword v0, off, off offset:28 ; 4-byte Folded Reload
	s_waitcnt vmcnt(0)
	ds_read_u16 v11, v0 offset:768
	scratch_load_dword v0, off, off offset:32 ; 4-byte Folded Reload
	s_waitcnt vmcnt(0)
	ds_read_u16 v10, v0 offset:896
	scratch_load_dword v0, off, off offset:36 ; 4-byte Folded Reload
	s_waitcnt vmcnt(0)
	ds_read_u16 v9, v0 offset:1024
	scratch_load_dword v0, off, off offset:40 ; 4-byte Folded Reload
	s_waitcnt vmcnt(0)
	ds_read_u16 v8, v0 offset:1152
	scratch_load_dword v0, off, off offset:44 ; 4-byte Folded Reload
	s_waitcnt vmcnt(0)
	ds_read_u16 v7, v0 offset:1280
	scratch_load_dword v0, off, off offset:48 ; 4-byte Folded Reload
	s_waitcnt vmcnt(0)
	ds_read_u16 v6, v0 offset:1408
	scratch_load_dword v0, off, off offset:52 ; 4-byte Folded Reload
	s_waitcnt vmcnt(0)
	ds_read_u16 v5, v0 offset:1536
	scratch_load_dword v0, off, off offset:56 ; 4-byte Folded Reload
	s_waitcnt vmcnt(0)
	ds_read_u16 v4, v0 offset:1664
	scratch_load_dword v0, off, off offset:60 ; 4-byte Folded Reload
	s_waitcnt vmcnt(0)
	ds_read_u16 v3, v0 offset:1792
	scratch_load_dword v0, off, off offset:64 ; 4-byte Folded Reload
	s_waitcnt vmcnt(0)
	ds_read_u16 v2, v0 offset:1920
	scratch_load_dwordx2 v[0:1], off, off offset:244 ; 8-byte Folded Reload
	s_waitcnt vmcnt(0)
	v_lshl_add_u64 v[0:1], s[0:1], 1, v[0:1]
	s_and_saveexec_b64 s[2:3], s[18:19]
	s_cbranch_execnz .LBB23_218
; %bb.201:                              ;   in Loop: Header=BB23_13 Depth=1
	s_or_b64 exec, exec, s[2:3]
	s_and_saveexec_b64 s[2:3], s[20:21]
	s_cbranch_execnz .LBB23_219
.LBB23_202:                             ;   in Loop: Header=BB23_13 Depth=1
	s_or_b64 exec, exec, s[2:3]
	s_and_saveexec_b64 s[2:3], s[22:23]
	s_cbranch_execnz .LBB23_220
.LBB23_203:                             ;   in Loop: Header=BB23_13 Depth=1
	s_or_b64 exec, exec, s[2:3]
	s_and_saveexec_b64 s[2:3], s[24:25]
	s_cbranch_execnz .LBB23_221
.LBB23_204:                             ;   in Loop: Header=BB23_13 Depth=1
	s_or_b64 exec, exec, s[2:3]
	s_and_saveexec_b64 s[2:3], s[26:27]
	s_cbranch_execnz .LBB23_222
.LBB23_205:                             ;   in Loop: Header=BB23_13 Depth=1
	s_or_b64 exec, exec, s[2:3]
	s_and_saveexec_b64 s[2:3], s[28:29]
	s_cbranch_execnz .LBB23_223
.LBB23_206:                             ;   in Loop: Header=BB23_13 Depth=1
	s_or_b64 exec, exec, s[2:3]
	s_and_saveexec_b64 s[2:3], s[30:31]
	s_cbranch_execnz .LBB23_224
.LBB23_207:                             ;   in Loop: Header=BB23_13 Depth=1
	s_or_b64 exec, exec, s[2:3]
	s_and_saveexec_b64 s[2:3], s[34:35]
	s_cbranch_execnz .LBB23_225
.LBB23_208:                             ;   in Loop: Header=BB23_13 Depth=1
	s_or_b64 exec, exec, s[2:3]
	s_and_saveexec_b64 s[2:3], s[36:37]
	s_cbranch_execnz .LBB23_226
.LBB23_209:                             ;   in Loop: Header=BB23_13 Depth=1
	s_or_b64 exec, exec, s[2:3]
	s_and_saveexec_b64 s[2:3], s[38:39]
	s_cbranch_execnz .LBB23_227
.LBB23_210:                             ;   in Loop: Header=BB23_13 Depth=1
	s_or_b64 exec, exec, s[2:3]
	s_and_saveexec_b64 s[2:3], s[40:41]
	s_cbranch_execnz .LBB23_228
.LBB23_211:                             ;   in Loop: Header=BB23_13 Depth=1
	s_or_b64 exec, exec, s[2:3]
	s_and_saveexec_b64 s[2:3], s[42:43]
	s_cbranch_execnz .LBB23_229
.LBB23_212:                             ;   in Loop: Header=BB23_13 Depth=1
	s_or_b64 exec, exec, s[2:3]
	s_and_saveexec_b64 s[2:3], s[44:45]
	s_cbranch_execnz .LBB23_230
.LBB23_213:                             ;   in Loop: Header=BB23_13 Depth=1
	s_or_b64 exec, exec, s[2:3]
	s_and_saveexec_b64 s[2:3], s[46:47]
	s_cbranch_execnz .LBB23_231
.LBB23_214:                             ;   in Loop: Header=BB23_13 Depth=1
	s_or_b64 exec, exec, s[2:3]
	s_and_saveexec_b64 s[2:3], s[48:49]
	s_cbranch_execnz .LBB23_232
.LBB23_215:                             ;   in Loop: Header=BB23_13 Depth=1
	s_or_b64 exec, exec, s[2:3]
	s_and_saveexec_b64 s[2:3], s[50:51]
	s_cbranch_execz .LBB23_12
	s_branch .LBB23_233
.LBB23_216:                             ;   in Loop: Header=BB23_13 Depth=1
	global_load_ushort v27, v[8:9], off offset:1664
	s_or_b64 exec, exec, s[2:3]
	s_and_saveexec_b64 s[2:3], s[48:49]
	s_cbranch_execz .LBB23_73
.LBB23_217:                             ;   in Loop: Header=BB23_13 Depth=1
	global_load_ushort v26, v[8:9], off offset:1792
	s_or_b64 exec, exec, s[2:3]
	v_mov_b32_e32 v28, 0
	s_and_saveexec_b64 s[2:3], s[50:51]
	s_cbranch_execnz .LBB23_74
	s_branch .LBB23_75
.LBB23_218:                             ;   in Loop: Header=BB23_13 Depth=1
	scratch_load_dword v18, off, off offset:4 ; 4-byte Folded Reload
	s_waitcnt vmcnt(0)
	ds_read_u16 v18, v18
	s_waitcnt lgkmcnt(0)
	global_store_short v[0:1], v18, off
	s_or_b64 exec, exec, s[2:3]
	s_and_saveexec_b64 s[2:3], s[20:21]
	s_cbranch_execz .LBB23_202
.LBB23_219:                             ;   in Loop: Header=BB23_13 Depth=1
	s_waitcnt lgkmcnt(14)
	global_store_short v[0:1], v16, off offset:128
	s_or_b64 exec, exec, s[2:3]
	s_and_saveexec_b64 s[2:3], s[22:23]
	s_cbranch_execz .LBB23_203
.LBB23_220:                             ;   in Loop: Header=BB23_13 Depth=1
	s_waitcnt lgkmcnt(13)
	global_store_short v[0:1], v15, off offset:256
	s_or_b64 exec, exec, s[2:3]
	s_and_saveexec_b64 s[2:3], s[24:25]
	s_cbranch_execz .LBB23_204
.LBB23_221:                             ;   in Loop: Header=BB23_13 Depth=1
	s_waitcnt lgkmcnt(12)
	global_store_short v[0:1], v14, off offset:384
	s_or_b64 exec, exec, s[2:3]
	s_and_saveexec_b64 s[2:3], s[26:27]
	s_cbranch_execz .LBB23_205
.LBB23_222:                             ;   in Loop: Header=BB23_13 Depth=1
	s_waitcnt lgkmcnt(11)
	global_store_short v[0:1], v13, off offset:512
	s_or_b64 exec, exec, s[2:3]
	s_and_saveexec_b64 s[2:3], s[28:29]
	s_cbranch_execz .LBB23_206
.LBB23_223:                             ;   in Loop: Header=BB23_13 Depth=1
	s_waitcnt lgkmcnt(10)
	global_store_short v[0:1], v12, off offset:640
	s_or_b64 exec, exec, s[2:3]
	s_and_saveexec_b64 s[2:3], s[30:31]
	s_cbranch_execz .LBB23_207
.LBB23_224:                             ;   in Loop: Header=BB23_13 Depth=1
	s_waitcnt lgkmcnt(9)
	global_store_short v[0:1], v11, off offset:768
	s_or_b64 exec, exec, s[2:3]
	s_and_saveexec_b64 s[2:3], s[34:35]
	s_cbranch_execz .LBB23_208
.LBB23_225:                             ;   in Loop: Header=BB23_13 Depth=1
	s_waitcnt lgkmcnt(8)
	global_store_short v[0:1], v10, off offset:896
	s_or_b64 exec, exec, s[2:3]
	s_and_saveexec_b64 s[2:3], s[36:37]
	s_cbranch_execz .LBB23_209
.LBB23_226:                             ;   in Loop: Header=BB23_13 Depth=1
	s_waitcnt lgkmcnt(7)
	global_store_short v[0:1], v9, off offset:1024
	s_or_b64 exec, exec, s[2:3]
	s_and_saveexec_b64 s[2:3], s[38:39]
	s_cbranch_execz .LBB23_210
.LBB23_227:                             ;   in Loop: Header=BB23_13 Depth=1
	s_waitcnt lgkmcnt(6)
	global_store_short v[0:1], v8, off offset:1152
	s_or_b64 exec, exec, s[2:3]
	s_and_saveexec_b64 s[2:3], s[40:41]
	s_cbranch_execz .LBB23_211
.LBB23_228:                             ;   in Loop: Header=BB23_13 Depth=1
	s_waitcnt lgkmcnt(5)
	global_store_short v[0:1], v7, off offset:1280
	s_or_b64 exec, exec, s[2:3]
	s_and_saveexec_b64 s[2:3], s[42:43]
	s_cbranch_execz .LBB23_212
.LBB23_229:                             ;   in Loop: Header=BB23_13 Depth=1
	s_waitcnt lgkmcnt(4)
	global_store_short v[0:1], v6, off offset:1408
	s_or_b64 exec, exec, s[2:3]
	s_and_saveexec_b64 s[2:3], s[44:45]
	s_cbranch_execz .LBB23_213
.LBB23_230:                             ;   in Loop: Header=BB23_13 Depth=1
	s_waitcnt lgkmcnt(3)
	global_store_short v[0:1], v5, off offset:1536
	s_or_b64 exec, exec, s[2:3]
	s_and_saveexec_b64 s[2:3], s[46:47]
	s_cbranch_execz .LBB23_214
.LBB23_231:                             ;   in Loop: Header=BB23_13 Depth=1
	s_waitcnt lgkmcnt(2)
	global_store_short v[0:1], v4, off offset:1664
	s_or_b64 exec, exec, s[2:3]
	s_and_saveexec_b64 s[2:3], s[48:49]
	s_cbranch_execz .LBB23_215
.LBB23_232:                             ;   in Loop: Header=BB23_13 Depth=1
	s_waitcnt lgkmcnt(1)
	global_store_short v[0:1], v3, off offset:1792
	s_or_b64 exec, exec, s[2:3]
	s_and_saveexec_b64 s[2:3], s[50:51]
	s_cbranch_execz .LBB23_12
.LBB23_233:                             ;   in Loop: Header=BB23_13 Depth=1
	s_waitcnt lgkmcnt(0)
	global_store_short v[0:1], v2, off offset:1920
	s_branch .LBB23_12
.LBB23_234:
	s_endpgm
	.section	.rodata,"a",@progbits
	.p2align	6, 0x0
	.amdhsa_kernel _Z25selective_scan_fwd_kernelI32Selective_Scan_fwd_kernel_traitsILi64ELi16ELi1ELb0ELb1ELb1ELb0ELb0EN3c108BFloat16EfS2_EEv13SSMParamsBase
		.amdhsa_group_segment_fixed_size 0
		.amdhsa_private_segment_fixed_size 320
		.amdhsa_kernarg_size 248
		.amdhsa_user_sgpr_count 2
		.amdhsa_user_sgpr_dispatch_ptr 0
		.amdhsa_user_sgpr_queue_ptr 0
		.amdhsa_user_sgpr_kernarg_segment_ptr 1
		.amdhsa_user_sgpr_dispatch_id 0
		.amdhsa_user_sgpr_kernarg_preload_length 0
		.amdhsa_user_sgpr_kernarg_preload_offset 0
		.amdhsa_user_sgpr_private_segment_size 0
		.amdhsa_uses_dynamic_stack 0
		.amdhsa_enable_private_segment 1
		.amdhsa_system_sgpr_workgroup_id_x 1
		.amdhsa_system_sgpr_workgroup_id_y 1
		.amdhsa_system_sgpr_workgroup_id_z 0
		.amdhsa_system_sgpr_workgroup_info 0
		.amdhsa_system_vgpr_workitem_id 0
		.amdhsa_next_free_vgpr 96
		.amdhsa_next_free_sgpr 100
		.amdhsa_accum_offset 96
		.amdhsa_reserve_vcc 1
		.amdhsa_float_round_mode_32 0
		.amdhsa_float_round_mode_16_64 0
		.amdhsa_float_denorm_mode_32 3
		.amdhsa_float_denorm_mode_16_64 3
		.amdhsa_dx10_clamp 1
		.amdhsa_ieee_mode 1
		.amdhsa_fp16_overflow 0
		.amdhsa_tg_split 0
		.amdhsa_exception_fp_ieee_invalid_op 0
		.amdhsa_exception_fp_denorm_src 0
		.amdhsa_exception_fp_ieee_div_zero 0
		.amdhsa_exception_fp_ieee_overflow 0
		.amdhsa_exception_fp_ieee_underflow 0
		.amdhsa_exception_fp_ieee_inexact 0
		.amdhsa_exception_int_div_zero 0
	.end_amdhsa_kernel
	.section	.text._Z25selective_scan_fwd_kernelI32Selective_Scan_fwd_kernel_traitsILi64ELi16ELi1ELb0ELb1ELb1ELb0ELb0EN3c108BFloat16EfS2_EEv13SSMParamsBase,"axG",@progbits,_Z25selective_scan_fwd_kernelI32Selective_Scan_fwd_kernel_traitsILi64ELi16ELi1ELb0ELb1ELb1ELb0ELb0EN3c108BFloat16EfS2_EEv13SSMParamsBase,comdat
.Lfunc_end23:
	.size	_Z25selective_scan_fwd_kernelI32Selective_Scan_fwd_kernel_traitsILi64ELi16ELi1ELb0ELb1ELb1ELb0ELb0EN3c108BFloat16EfS2_EEv13SSMParamsBase, .Lfunc_end23-_Z25selective_scan_fwd_kernelI32Selective_Scan_fwd_kernel_traitsILi64ELi16ELi1ELb0ELb1ELb1ELb0ELb0EN3c108BFloat16EfS2_EEv13SSMParamsBase
                                        ; -- End function
	.section	.AMDGPU.csdata,"",@progbits
; Kernel info:
; codeLenInByte = 22316
; NumSgprs: 106
; NumVgprs: 96
; NumAgprs: 0
; TotalNumVgprs: 96
; ScratchSize: 320
; MemoryBound: 0
; FloatMode: 240
; IeeeMode: 1
; LDSByteSize: 0 bytes/workgroup (compile time only)
; SGPRBlocks: 13
; VGPRBlocks: 11
; NumSGPRsForWavesPerEU: 106
; NumVGPRsForWavesPerEU: 96
; AccumOffset: 96
; Occupancy: 5
; WaveLimiterHint : 0
; COMPUTE_PGM_RSRC2:SCRATCH_EN: 1
; COMPUTE_PGM_RSRC2:USER_SGPR: 2
; COMPUTE_PGM_RSRC2:TRAP_HANDLER: 0
; COMPUTE_PGM_RSRC2:TGID_X_EN: 1
; COMPUTE_PGM_RSRC2:TGID_Y_EN: 1
; COMPUTE_PGM_RSRC2:TGID_Z_EN: 0
; COMPUTE_PGM_RSRC2:TIDIG_COMP_CNT: 0
; COMPUTE_PGM_RSRC3_GFX90A:ACCUM_OFFSET: 23
; COMPUTE_PGM_RSRC3_GFX90A:TG_SPLIT: 0
	.section	.text._Z25selective_scan_fwd_kernelI32Selective_Scan_fwd_kernel_traitsILi128ELi16ELi1ELb1ELb1ELb1ELb1ELb1EN3c108BFloat16EfS2_EEv13SSMParamsBase,"axG",@progbits,_Z25selective_scan_fwd_kernelI32Selective_Scan_fwd_kernel_traitsILi128ELi16ELi1ELb1ELb1ELb1ELb1ELb1EN3c108BFloat16EfS2_EEv13SSMParamsBase,comdat
	.protected	_Z25selective_scan_fwd_kernelI32Selective_Scan_fwd_kernel_traitsILi128ELi16ELi1ELb1ELb1ELb1ELb1ELb1EN3c108BFloat16EfS2_EEv13SSMParamsBase ; -- Begin function _Z25selective_scan_fwd_kernelI32Selective_Scan_fwd_kernel_traitsILi128ELi16ELi1ELb1ELb1ELb1ELb1ELb1EN3c108BFloat16EfS2_EEv13SSMParamsBase
	.globl	_Z25selective_scan_fwd_kernelI32Selective_Scan_fwd_kernel_traitsILi128ELi16ELi1ELb1ELb1ELb1ELb1ELb1EN3c108BFloat16EfS2_EEv13SSMParamsBase
	.p2align	8
	.type	_Z25selective_scan_fwd_kernelI32Selective_Scan_fwd_kernel_traitsILi128ELi16ELi1ELb1ELb1ELb1ELb1ELb1EN3c108BFloat16EfS2_EEv13SSMParamsBase,@function
_Z25selective_scan_fwd_kernelI32Selective_Scan_fwd_kernel_traitsILi128ELi16ELi1ELb1ELb1ELb1ELb1ELb1EN3c108BFloat16EfS2_EEv13SSMParamsBase: ; @_Z25selective_scan_fwd_kernelI32Selective_Scan_fwd_kernel_traitsILi128ELi16ELi1ELb1ELb1ELb1ELb1ELb1EN3c108BFloat16EfS2_EEv13SSMParamsBase
; %bb.0:
	s_load_dword s15, s[0:1], 0x18
	s_load_dwordx4 s[4:7], s[0:1], 0xe8
	s_load_dwordx8 s[20:27], s[0:1], 0xc8
	s_mov_b32 s8, s3
	s_ashr_i32 s3, s2, 31
	s_lshl_b64 s[12:13], s[2:3], 2
	s_waitcnt lgkmcnt(0)
	s_abs_i32 s14, s15
	v_cvt_f32_u32_e32 v1, s14
	s_add_u32 s10, s26, s12
	s_addc_u32 s11, s27, s13
	s_cmp_eq_u64 s[6:7], 0
	v_rcp_iflag_f32_e32 v1, v1
                                        ; implicit-def: $vgpr166 : SGPR spill to VGPR lane
	s_nop 0
	v_mul_f32_e32 v1, 0x4f7ffffe, v1
	v_cvt_u32_f32_e32 v1, v1
	s_nop 0
	v_readfirstlane_b32 s16, v1
	s_cbranch_scc1 .LBB24_2
; %bb.1:
	s_add_u32 s6, s6, s2
	s_addc_u32 s7, s7, s3
	v_mov_b32_e32 v1, 0
	global_load_ubyte v1, v1, s[6:7]
	s_waitcnt vmcnt(0)
	v_and_b32_e32 v1, 1, v1
	v_cmp_eq_u32_e64 s[6:7], 1, v1
	s_branch .LBB24_3
.LBB24_2:
	s_mov_b64 s[6:7], 0
.LBB24_3:
	s_nop 0
	v_writelane_b32 v166, s6, 0
	s_cmp_eq_u64 s[4:5], 0
	s_nop 0
	v_writelane_b32 v166, s7, 1
	s_load_dwordx2 s[6:7], s[0:1], 0x20
	s_cbranch_scc1 .LBB24_5
; %bb.4:
	s_add_u32 s2, s4, s12
	s_addc_u32 s3, s5, s13
	s_load_dword s2, s[2:3], 0x0
	s_waitcnt lgkmcnt(0)
	s_ashr_i32 s3, s2, 31
.LBB24_5:
	s_waitcnt lgkmcnt(0)
	s_cmp_eq_u64 s[6:7], s[2:3]
	s_cbranch_scc1 .LBB24_302
; %bb.6:
	s_load_dwordx16 s[36:51], s[0:1], 0x88
	s_load_dwordx2 s[4:5], s[10:11], 0x0
	s_mov_b32 s3, 0
	v_writelane_b32 v166, s3, 2
	v_writelane_b32 v166, s3, 3
	s_waitcnt lgkmcnt(0)
	s_cmp_eq_u64 s[42:43], 0
	s_cbranch_scc1 .LBB24_8
; %bb.7:
	s_ashr_i32 s9, s8, 31
	s_lshl_b64 s[6:7], s[8:9], 2
	s_add_u32 s6, s42, s6
	s_addc_u32 s7, s43, s7
	s_load_dword s3, s[6:7], 0x0
	s_waitcnt lgkmcnt(0)
	v_writelane_b32 v166, s3, 3
.LBB24_8:
	s_cmp_eq_u64 s[48:49], 0
	s_cbranch_scc1 .LBB24_10
; %bb.9:
	s_ashr_i32 s9, s8, 31
	s_lshl_b64 s[6:7], s[8:9], 2
	s_add_u32 s6, s48, s6
	s_addc_u32 s7, s49, s7
	s_load_dword s3, s[6:7], 0x0
	s_waitcnt lgkmcnt(0)
	v_writelane_b32 v166, s3, 2
.LBB24_10:
	s_sub_i32 s17, s5, s4
	s_cmp_lt_i32 s17, 1
	s_cbranch_scc1 .LBB24_302
; %bb.11:
	s_sub_i32 s3, 0, s14
	s_mul_i32 s3, s3, s16
	s_mul_hi_u32 s3, s16, s3
	s_add_i32 s16, s16, s3
	s_load_dword s3, s[0:1], 0x84
	s_abs_i32 s5, s8
	s_load_dwordx8 s[52:59], s[0:1], 0x2c
	s_load_dwordx2 s[10:11], s[0:1], 0x7c
	s_load_dwordx4 s[28:31], s[0:1], 0x6c
	s_load_dwordx8 s[60:67], s[0:1], 0x4c
	s_load_dword s13, s[0:1], 0xc
	s_load_dword s9, s[0:1], 0x28
	s_ashr_i32 s0, s8, 31
	s_waitcnt lgkmcnt(0)
	v_writelane_b32 v166, s3, 4
	s_mul_hi_u32 s3, s5, s16
	s_ashr_i32 s1, s15, 31
	s_xor_b32 s0, s0, s1
	s_mul_i32 s1, s3, s14
	s_sub_i32 s1, s5, s1
	s_add_i32 s5, s3, 1
	s_sub_i32 s6, s1, s14
	s_cmp_ge_u32 s1, s14
	s_cselect_b32 s3, s5, s3
	s_cselect_b32 s1, s6, s1
	s_add_i32 s5, s3, 1
	s_cmp_ge_u32 s1, s14
	s_cselect_b32 s1, s5, s3
	s_xor_b32 s1, s1, s0
	s_mul_i32 s6, s4, s62
	s_mov_b32 s7, 0
	s_sub_i32 s3, s1, s0
	s_lshl_b64 s[0:1], s[6:7], 1
	s_add_u32 s5, s44, s0
	s_mul_i32 s6, s63, s8
	s_addc_u32 s12, s45, s1
	s_lshl_b64 s[0:1], s[6:7], 1
	s_add_u32 s14, s5, s0
	s_mul_i32 s6, s4, s64
	s_addc_u32 s15, s12, s1
	;; [unrolled: 4-line block ×3, first 2 shown]
	s_lshl_b64 s[0:1], s[6:7], 1
	s_add_u32 s0, s5, s0
	s_addc_u32 s1, s12, s1
	v_writelane_b32 v166, s0, 5
	s_mul_i32 s6, s52, s8
	v_mbcnt_lo_u32_b32 v1, -1, 0
	v_writelane_b32 v166, s1, 6
	s_lshl_b64 s[0:1], s[6:7], 2
	s_add_u32 s0, s36, s0
	v_writelane_b32 v166, s0, 7
	s_addc_u32 s0, s37, s1
	s_mul_i32 s6, s4, s54
	v_writelane_b32 v166, s0, 8
	s_lshl_b64 s[0:1], s[6:7], 1
	s_add_u32 s5, s38, s0
	s_mul_i32 s6, s3, s57
	s_addc_u32 s12, s39, s1
	s_lshl_b64 s[0:1], s[6:7], 1
	s_add_u32 s0, s5, s0
	s_addc_u32 s1, s12, s1
	v_writelane_b32 v166, s0, 9
	v_lshlrev_b32_e32 v19, 4, v0
	v_mbcnt_hi_u32_b32 v18, -1, v1
	v_writelane_b32 v166, s1, 10
	v_writelane_b32 v166, s52, 11
	v_and_b32_e32 v2, 0x400, v19
	v_or_b32_e32 v74, v18, v2
	v_writelane_b32 v166, s53, 12
	v_writelane_b32 v166, s54, 13
	s_mul_i32 s6, s4, s58
	v_lshrrev_b32_e32 v1, 5, v74
	v_writelane_b32 v166, s55, 14
	s_lshl_b64 s[0:1], s[6:7], 1
	v_and_b32_e32 v1, 34, v1
	v_writelane_b32 v166, s56, 15
	s_add_u32 s5, s40, s0
	s_mul_i32 s6, s3, s61
	v_add_u32_e32 v3, 64, v74
	v_or_b32_e32 v4, 0x80, v74
	v_add_u32_e32 v5, 0xc0, v74
	v_add_u32_e32 v1, v1, v74
	v_writelane_b32 v166, s57, 16
	s_addc_u32 s12, s41, s1
	s_lshl_b64 s[0:1], s[6:7], 1
	v_lshl_add_u32 v90, v1, 1, 0
	v_lshrrev_b32_e32 v1, 5, v3
	v_lshrrev_b32_e32 v3, 5, v4
	;; [unrolled: 1-line block ×3, first 2 shown]
	v_writelane_b32 v166, s58, 17
	s_add_u32 s0, s5, s0
	v_or_b32_e32 v6, 0x100, v74
	v_and_b32_e32 v4, 46, v4
	v_writelane_b32 v166, s59, 18
	s_addc_u32 s1, s12, s1
	v_add_lshl_u32 v8, v4, v74, 1
	v_lshrrev_b32_e32 v4, 5, v6
	v_writelane_b32 v166, s0, 19
	s_mul_i32 s6, s2, s10
	v_add_u32_e32 v7, 0x140, v74
	v_and_b32_e32 v4, 42, v4
	v_writelane_b32 v166, s1, 20
	s_lshl_b64 s[0:1], s[6:7], 1
	v_add_lshl_u32 v9, v4, v74, 1
	v_lshrrev_b32_e32 v4, 5, v7
	s_add_u32 s2, s20, s0
	s_mul_i32 s6, s11, s8
	v_or_b32_e32 v11, 0x180, v74
	v_and_b32_e32 v4, 46, v4
	s_addc_u32 s3, s21, s1
	s_lshl_b64 s[0:1], s[6:7], 1
	v_add_lshl_u32 v10, v4, v74, 1
	v_lshrrev_b32_e32 v4, 5, v11
	s_add_u32 s0, s2, s0
	v_add_u32_e32 v12, 0x1c0, v74
	v_and_b32_e32 v4, 46, v4
	v_writelane_b32 v166, s0, 21
	s_addc_u32 s0, s3, s1
	v_add_lshl_u32 v11, v4, v74, 1
	v_lshrrev_b32_e32 v4, 5, v12
	v_writelane_b32 v166, s0, 22
	s_add_i32 s0, s17, 0x7ff
	v_or_b32_e32 v82, 0x200, v74
	v_and_b32_e32 v4, 62, v4
	s_lshr_b32 s0, s0, 11
	v_add_lshl_u32 v12, v4, v74, 1
	v_lshrrev_b32_e32 v4, 5, v82
	v_add_u32_e32 v83, 0x240, v74
	v_and_b32_e32 v4, 50, v4
	s_bitcmp1_b32 s9, 0
	v_add_lshl_u32 v13, v4, v74, 1
	v_lshrrev_b32_e32 v4, 5, v83
	s_cselect_b64 s[2:3], -1, 0
	v_or_b32_e32 v84, 0x280, v74
	v_and_b32_e32 v4, 54, v4
	v_writelane_b32 v166, s2, 23
	v_add_lshl_u32 v14, v4, v74, 1
	v_lshrrev_b32_e32 v4, 5, v84
	v_writelane_b32 v166, s3, 24
	s_cmp_gt_i32 s13, 0
	v_add_u32_e32 v85, 0x2c0, v74
	v_and_b32_e32 v4, 54, v4
	v_writelane_b32 v166, s13, 25
	s_cselect_b64 s[2:3], -1, 0
	v_add_lshl_u32 v15, v4, v74, 1
	v_lshrrev_b32_e32 v4, 5, v85
	v_writelane_b32 v166, s2, 26
	v_or_b32_e32 v86, 0x300, v74
	v_and_b32_e32 v4, 62, v4
	v_writelane_b32 v166, s3, 27
	v_add_lshl_u32 v26, v4, v74, 1
	v_lshrrev_b32_e32 v4, 5, v86
	v_writelane_b32 v166, s17, 28
	v_add_u32_e32 v87, 0x340, v74
	v_and_b32_e32 v4, 58, v4
	v_writelane_b32 v166, s0, 29
	s_add_i32 s0, s0, -1
	s_mul_i32 s6, s4, s28
	v_add_lshl_u32 v27, v4, v74, 1
	v_lshrrev_b32_e32 v4, 5, v87
	s_add_i32 s9, 0, 0x1080
	s_and_b32 s10, s17, 0x7ff
	v_writelane_b32 v166, s0, 30
	s_lshl_b64 s[0:1], s[6:7], 1
	v_or_b32_e32 v88, 0x380, v74
	v_and_b32_e32 v4, 62, v4
	s_add_u32 s2, s50, s0
	s_mul_i32 s6, s29, s8
	v_add_lshl_u32 v28, v4, v74, 1
	v_lshrrev_b32_e32 v4, 5, v88
	s_addc_u32 s3, s51, s1
	s_lshl_b64 s[0:1], s[6:7], 1
	s_mul_i32 s6, s4, s66
	v_writelane_b32 v166, s60, 31
	v_and_b32_e32 v4, 62, v4
	v_add_lshl_u32 v29, v4, v74, 1
	v_writelane_b32 v166, s61, 32
	v_and_b32_e32 v4, 64, v0
	v_writelane_b32 v166, s62, 33
	v_add_u16_e32 v6, v18, v4
	s_add_u32 s2, s2, s0
	v_writelane_b32 v166, s63, 34
	v_lshrrev_b16_e32 v6, 1, v6
	s_addc_u32 s3, s3, s1
	s_lshl_b64 s[0:1], s[6:7], 1
	v_writelane_b32 v166, s64, 35
	v_add_lshl_u32 v5, v18, v4, 4
	v_and_b32_e32 v6, 0x7e, v6
	s_add_u32 s5, s22, s0
	v_writelane_b32 v166, s65, 36
	s_mul_i32 s6, s67, s8
	v_add_lshl_u32 v30, v6, v5, 1
	s_addc_u32 s11, s23, s1
	v_writelane_b32 v166, s66, 37
	s_lshl_b64 s[0:1], s[6:7], 1
	v_and_b32_e32 v5, 15, v18
	v_writelane_b32 v166, s67, 38
	s_add_u32 s12, s5, s0
	s_mul_i32 s6, s4, s30
	v_cmp_lt_u32_e64 s[16:17], 1, v5
	s_addc_u32 s13, s11, s1
	s_lshl_b64 s[0:1], s[6:7], 1
	v_writelane_b32 v166, s16, 39
	s_add_u32 s4, s24, s0
	s_mul_i32 s6, s31, s8
	v_writelane_b32 v166, s17, 40
	v_cmp_lt_u32_e64 s[16:17], 3, v5
	s_addc_u32 s5, s25, s1
	s_lshl_b64 s[0:1], s[6:7], 1
	v_writelane_b32 v166, s16, 41
	s_add_u32 s4, s4, s0
	s_addc_u32 s5, s5, s1
	v_writelane_b32 v166, s17, 42
	v_cmp_lt_u32_e64 s[16:17], 7, v5
	v_cmp_eq_u32_e64 s[0:1], 0, v5
	v_and_b32_e32 v5, 16, v18
	v_writelane_b32 v166, s16, 43
	v_or_b32_e32 v4, 63, v4
	v_mov_b32_e32 v17, 0
	v_writelane_b32 v166, s17, 44
	v_cmp_ne_u32_e64 s[16:17], 0, v5
	v_lshlrev_b32_e32 v16, 1, v18
	s_cmp_eq_u32 s10, 0
	v_writelane_b32 v166, s16, 45
	v_lshlrev_b32_e32 v6, 1, v2
	v_mov_b32_e32 v7, v17
	v_writelane_b32 v166, s17, 46
	v_cmp_eq_u32_e64 s[16:17], v4, v0
	v_and_b32_e32 v4, 1, v18
	v_add_u32_e32 v89, 0x3c0, v74
	v_writelane_b32 v166, s16, 47
	v_and_b32_e32 v1, 38, v1
	v_add_lshl_u32 v1, v1, v74, 1
	v_writelane_b32 v166, s17, 48
	v_cmp_eq_u32_e64 s[16:17], 0, v4
	v_lshl_add_u64 v[4:5], s[2:3], 0, v[16:17]
	s_cselect_b64 s[2:3], -1, 0
	v_writelane_b32 v166, s16, 49
	v_lshl_add_u64 v[20:21], v[4:5], 0, v[6:7]
	v_lshl_add_u64 v[4:5], s[12:13], 0, v[16:17]
	v_writelane_b32 v166, s17, 50
	v_writelane_b32 v166, s2, 51
	v_lshl_add_u64 v[22:23], v[4:5], 0, v[6:7]
	v_lshl_add_u64 v[4:5], s[4:5], 0, v[16:17]
	v_writelane_b32 v166, s3, 52
	v_cmp_lt_u32_e64 s[2:3], 31, v18
	v_lshl_add_u64 v[24:25], v[4:5], 0, v[6:7]
	v_add_u32_e32 v4, -1, v18
	v_writelane_b32 v166, s2, 53
	v_and_b32_e32 v5, 64, v18
	v_lshrrev_b32_e32 v6, 5, v89
	v_writelane_b32 v166, s3, 54
	v_cmp_gt_u32_e64 s[2:3], 2, v0
	v_add_u32_e32 v91, 0, v1
	v_and_b32_e32 v3, 38, v3
	v_writelane_b32 v166, s2, 55
	v_and_b32_e32 v6, 0x7e, v6
	v_add_u32_e32 v103, s9, v1
	v_writelane_b32 v166, s3, 56
	v_cmp_gt_u32_e64 s[2:3], 64, v0
	v_lshrrev_b32_e32 v1, 3, v0
	v_cmp_lt_i32_e32 vcc, v4, v5
	v_writelane_b32 v166, s2, 57
	v_add_lshl_u32 v3, v3, v74, 1
	v_add_lshl_u32 v6, v6, v74, 1
	v_and_b32_e32 v1, 8, v1
	v_writelane_b32 v166, s3, 58
	v_cmp_lt_u32_e64 s[20:21], 63, v0
	v_cmp_eq_u32_e64 s[22:23], 0, v0
	v_lshl_add_u32 v124, v0, 3, 0
	v_cndmask_b32_e32 v0, v4, v18, vcc
	s_add_i32 s2, 0, 0x2110
	v_add_u32_e32 v92, 0, v3
	v_add_u32_e32 v93, 0, v8
	;; [unrolled: 1-line block ×31, first 2 shown]
	v_lshlrev_b32_e32 v125, 2, v0
	v_cmp_eq_u32_e64 s[24:25], 0, v18
	v_lshlrev_b32_e32 v26, 1, v2
	s_mov_b32 s6, 0x41a00000
	s_mov_b32 s8, 0x3fb8aa3b
	;; [unrolled: 1-line block ×8, first 2 shown]
	v_writelane_b32 v166, s2, 59
	s_mov_b32 s33, 0xc2fc0000
	s_mov_b32 s3, 0
	v_mov_b32_e32 v141, 0x3ecc95a3
	v_mov_b32_e32 v142, 0x7f800000
	;; [unrolled: 1-line block ×6, first 2 shown]
                                        ; implicit-def: $vgpr0
	s_branch .LBB24_13
.LBB24_12:                              ;   in Loop: Header=BB24_13 Depth=1
	s_or_b64 exec, exec, s[2:3]
	v_readlane_b32 s2, v166, 5
	v_readlane_b32 s3, v166, 6
	s_add_u32 s2, s2, 0x1000
	s_addc_u32 s3, s3, 0
	v_writelane_b32 v166, s2, 5
	s_nop 1
	v_writelane_b32 v166, s3, 6
	s_nop 0
	v_readlane_b32 s14, v166, 63
	v_readlane_b32 s15, v167, 0
	s_add_u32 s14, s14, 0x1000
	s_addc_u32 s15, s15, 0
	v_readlane_b32 s2, v166, 9
	v_readlane_b32 s3, v166, 10
	s_add_u32 s2, s2, 0x1000
	s_addc_u32 s3, s3, 0
	v_writelane_b32 v166, s2, 9
	s_nop 1
	v_writelane_b32 v166, s3, 10
	s_nop 0
	v_readlane_b32 s2, v166, 19
	v_readlane_b32 s3, v166, 20
	s_add_u32 s2, s2, 0x1000
	s_addc_u32 s3, s3, 0
	v_writelane_b32 v166, s2, 19
	s_nop 1
	v_writelane_b32 v166, s3, 20
	s_nop 0
	v_readlane_b32 s3, v166, 60
	s_add_i32 s3, s3, 1
	v_readlane_b32 s2, v166, 29
	s_cmp_lg_u32 s3, s2
	s_cbranch_scc0 .LBB24_302
.LBB24_13:                              ; =>This Loop Header: Depth=1
                                        ;     Child Loop BB24_110 Depth 2
	s_lshl_b32 s18, s3, 11
	v_writelane_b32 v166, s3, 60
	s_mov_b32 s4, s18
	v_readlane_b32 s2, v166, 28
	v_writelane_b32 v166, s4, 61
	s_waitcnt lgkmcnt(14)
	v_lshlrev_b32_e32 v16, 1, v18
	s_sub_i32 s88, s2, s18
	v_writelane_b32 v166, s5, 62
                                        ; implicit-def: $vgpr167 : SGPR spill to VGPR lane
	v_writelane_b32 v166, s14, 63
	v_mov_b32_e32 v27, v17
	v_cmp_gt_u32_e64 s[26:27], s88, v74
	v_lshl_add_u64 v[0:1], s[14:15], 0, v[16:17]
	v_writelane_b32 v167, s15, 0
	v_lshl_add_u64 v[0:1], v[0:1], 0, v[26:27]
	s_waitcnt lgkmcnt(0)
	v_mov_b32_e32 v2, 0
	s_barrier
	s_and_saveexec_b64 s[2:3], s[26:27]
	s_cbranch_execz .LBB24_15
; %bb.14:                               ;   in Loop: Header=BB24_13 Depth=1
	global_load_ushort v2, v[0:1], off
.LBB24_15:                              ;   in Loop: Header=BB24_13 Depth=1
	s_or_b64 exec, exec, s[2:3]
	v_add_u32_e32 v3, 64, v74
	v_cmp_gt_u32_e64 s[28:29], s88, v3
	v_mov_b32_e32 v3, 0
	v_mov_b32_e32 v4, 0
	s_and_saveexec_b64 s[2:3], s[28:29]
	s_cbranch_execz .LBB24_17
; %bb.16:                               ;   in Loop: Header=BB24_13 Depth=1
	global_load_ushort v4, v[0:1], off offset:128
.LBB24_17:                              ;   in Loop: Header=BB24_13 Depth=1
	s_or_b64 exec, exec, s[2:3]
	v_or_b32_e32 v5, 0x80, v74
	v_cmp_gt_u32_e64 s[30:31], s88, v5
	s_and_saveexec_b64 s[2:3], s[30:31]
	s_cbranch_execz .LBB24_19
; %bb.18:                               ;   in Loop: Header=BB24_13 Depth=1
	global_load_ushort v3, v[0:1], off offset:256
.LBB24_19:                              ;   in Loop: Header=BB24_13 Depth=1
	s_or_b64 exec, exec, s[2:3]
	v_add_u32_e32 v5, 0xc0, v74
	v_cmp_gt_u32_e64 s[34:35], s88, v5
	v_mov_b32_e32 v5, 0
	v_mov_b32_e32 v6, 0
	s_and_saveexec_b64 s[2:3], s[34:35]
	s_cbranch_execz .LBB24_21
; %bb.20:                               ;   in Loop: Header=BB24_13 Depth=1
	global_load_ushort v6, v[0:1], off offset:384
.LBB24_21:                              ;   in Loop: Header=BB24_13 Depth=1
	s_or_b64 exec, exec, s[2:3]
	v_or_b32_e32 v7, 0x100, v74
	v_cmp_gt_u32_e64 s[36:37], s88, v7
	s_and_saveexec_b64 s[2:3], s[36:37]
	s_cbranch_execz .LBB24_23
; %bb.22:                               ;   in Loop: Header=BB24_13 Depth=1
	global_load_ushort v5, v[0:1], off offset:512
.LBB24_23:                              ;   in Loop: Header=BB24_13 Depth=1
	;; [unrolled: 18-line block ×3, first 2 shown]
	s_or_b64 exec, exec, s[2:3]
	v_add_u32_e32 v9, 0x1c0, v74
	v_cmp_gt_u32_e64 s[42:43], s88, v9
	v_mov_b32_e32 v9, 0
	v_mov_b32_e32 v11, 0
	s_and_saveexec_b64 s[2:3], s[42:43]
	s_cbranch_execz .LBB24_29
; %bb.28:                               ;   in Loop: Header=BB24_13 Depth=1
	global_load_ushort v11, v[0:1], off offset:896
.LBB24_29:                              ;   in Loop: Header=BB24_13 Depth=1
	s_or_b64 exec, exec, s[2:3]
	v_cmp_gt_u32_e64 s[44:45], s88, v82
	s_and_saveexec_b64 s[2:3], s[44:45]
	s_cbranch_execz .LBB24_31
; %bb.30:                               ;   in Loop: Header=BB24_13 Depth=1
	global_load_ushort v9, v[0:1], off offset:1024
.LBB24_31:                              ;   in Loop: Header=BB24_13 Depth=1
	s_or_b64 exec, exec, s[2:3]
	v_cmp_gt_u32_e64 s[46:47], s88, v83
	v_mov_b32_e32 v12, 0
	v_mov_b32_e32 v13, 0
	s_and_saveexec_b64 s[2:3], s[46:47]
	s_cbranch_execz .LBB24_33
; %bb.32:                               ;   in Loop: Header=BB24_13 Depth=1
	global_load_ushort v13, v[0:1], off offset:1152
.LBB24_33:                              ;   in Loop: Header=BB24_13 Depth=1
	s_or_b64 exec, exec, s[2:3]
	v_cmp_gt_u32_e64 s[48:49], s88, v84
	s_and_saveexec_b64 s[2:3], s[48:49]
	s_cbranch_execz .LBB24_35
; %bb.34:                               ;   in Loop: Header=BB24_13 Depth=1
	global_load_ushort v12, v[0:1], off offset:1280
.LBB24_35:                              ;   in Loop: Header=BB24_13 Depth=1
	s_or_b64 exec, exec, s[2:3]
	;; [unrolled: 16-line block ×4, first 2 shown]
	v_cmp_gt_u32_e64 s[58:59], s88, v89
	v_mov_b32_e32 v10, 0
	v_mov_b32_e32 v30, 0
	s_and_saveexec_b64 s[2:3], s[58:59]
	s_cbranch_execz .LBB24_45
; %bb.44:                               ;   in Loop: Header=BB24_13 Depth=1
	global_load_ushort v30, v[0:1], off offset:1920
.LBB24_45:                              ;   in Loop: Header=BB24_13 Depth=1
	s_or_b64 exec, exec, s[2:3]
	s_waitcnt vmcnt(0)
	ds_write_b16 v90, v2
	ds_write_b16 v91, v4 offset:128
	ds_write_b16 v92, v3 offset:256
	;; [unrolled: 1-line block ×15, first 2 shown]
	; wave barrier
	ds_read_b128 v[0:3], v121
	ds_read_b128 v[4:7], v121 offset:16
	v_readlane_b32 s2, v166, 5
	v_readlane_b32 s3, v166, 6
	v_mov_b32_e32 v27, v17
	s_waitcnt lgkmcnt(0)
	v_lshl_add_u64 v[8:9], s[2:3], 0, v[16:17]
	v_lshl_add_u64 v[8:9], v[8:9], 0, v[26:27]
	s_barrier
	s_and_saveexec_b64 s[2:3], s[26:27]
	s_cbranch_execz .LBB24_47
; %bb.46:                               ;   in Loop: Header=BB24_13 Depth=1
	global_load_ushort v10, v[8:9], off
.LBB24_47:                              ;   in Loop: Header=BB24_13 Depth=1
	s_or_b64 exec, exec, s[2:3]
	v_mov_b32_e32 v11, 0
	v_mov_b32_e32 v12, 0
	s_and_saveexec_b64 s[2:3], s[28:29]
	s_cbranch_execz .LBB24_49
; %bb.48:                               ;   in Loop: Header=BB24_13 Depth=1
	global_load_ushort v12, v[8:9], off offset:128
.LBB24_49:                              ;   in Loop: Header=BB24_13 Depth=1
	s_or_b64 exec, exec, s[2:3]
	s_and_saveexec_b64 s[2:3], s[30:31]
	s_cbranch_execz .LBB24_51
; %bb.50:                               ;   in Loop: Header=BB24_13 Depth=1
	global_load_ushort v11, v[8:9], off offset:256
.LBB24_51:                              ;   in Loop: Header=BB24_13 Depth=1
	s_or_b64 exec, exec, s[2:3]
	v_mov_b32_e32 v13, 0
	v_mov_b32_e32 v14, 0
	s_and_saveexec_b64 s[2:3], s[34:35]
	s_cbranch_execz .LBB24_53
; %bb.52:                               ;   in Loop: Header=BB24_13 Depth=1
	global_load_ushort v14, v[8:9], off offset:384
.LBB24_53:                              ;   in Loop: Header=BB24_13 Depth=1
	s_or_b64 exec, exec, s[2:3]
	s_and_saveexec_b64 s[2:3], s[36:37]
	s_cbranch_execz .LBB24_55
; %bb.54:                               ;   in Loop: Header=BB24_13 Depth=1
	global_load_ushort v13, v[8:9], off offset:512
.LBB24_55:                              ;   in Loop: Header=BB24_13 Depth=1
	;; [unrolled: 14-line block ×6, first 2 shown]
	s_or_b64 exec, exec, s[2:3]
	v_mov_b32_e32 v35, 0
	v_mov_b32_e32 v36, 0
	s_and_saveexec_b64 s[2:3], s[54:55]
	s_cbranch_execnz .LBB24_269
; %bb.72:                               ;   in Loop: Header=BB24_13 Depth=1
	s_or_b64 exec, exec, s[2:3]
	s_and_saveexec_b64 s[2:3], s[56:57]
	s_cbranch_execnz .LBB24_270
.LBB24_73:                              ;   in Loop: Header=BB24_13 Depth=1
	s_or_b64 exec, exec, s[2:3]
	v_mov_b32_e32 v37, 0
	s_and_saveexec_b64 s[2:3], s[58:59]
	s_cbranch_execz .LBB24_75
.LBB24_74:                              ;   in Loop: Header=BB24_13 Depth=1
	global_load_ushort v37, v[8:9], off offset:1920
.LBB24_75:                              ;   in Loop: Header=BB24_13 Depth=1
	s_or_b64 exec, exec, s[2:3]
	s_waitcnt vmcnt(0)
	ds_write_b16 v90, v10
	ds_write_b16 v91, v12 offset:128
	ds_write_b16 v92, v11 offset:256
	;; [unrolled: 1-line block ×15, first 2 shown]
	; wave barrier
	ds_read_b128 v[12:15], v121
	ds_read_b128 v[8:11], v121 offset:16
	v_readlane_b32 s2, v166, 2
	s_waitcnt lgkmcnt(1)
	v_lshlrev_b32_e32 v27, 16, v12
	v_add_f32_e32 v146, s2, v27
	v_readlane_b32 s2, v166, 23
	v_cmp_ge_f32_e32 vcc, s6, v146
	v_readlane_b32 s3, v166, 24
	s_and_b64 s[2:3], s[2:3], vcc
	s_and_saveexec_b64 s[4:5], s[2:3]
	s_cbranch_execz .LBB24_77
; %bb.76:                               ;   in Loop: Header=BB24_13 Depth=1
	v_mul_f32_e32 v27, 0x3fb8aa3b, v146
	v_rndne_f32_e32 v29, v27
	v_sub_f32_e32 v30, v27, v29
	v_fma_f32 v27, v146, s8, -v27
	v_fmac_f32_e32 v27, 0x32a5705f, v146
	v_add_f32_e32 v27, v30, v27
	v_cvt_i32_f32_e32 v29, v29
	v_exp_f32_e32 v27, v27
	v_cmp_ngt_f32_e32 vcc, s9, v146
	v_ldexp_f32 v27, v27, v29
	s_nop 0
	v_cndmask_b32_e32 v27, 0, v27, vcc
	v_cmp_nlt_f32_e32 vcc, s10, v146
	s_nop 1
	v_cndmask_b32_e32 v46, v142, v27, vcc
	v_add_f32_e32 v27, 1.0, v46
	v_add_f32_e32 v29, -1.0, v27
	v_sub_f32_e32 v30, v29, v27
	v_add_f32_e32 v30, 1.0, v30
	v_sub_f32_e32 v29, v46, v29
	v_add_f32_e32 v29, v29, v30
	v_frexp_mant_f32_e32 v32, v27
	v_cvt_f64_f32_e32 v[30:31], v27
	v_frexp_exp_i32_f64_e32 v30, v[30:31]
	v_cmp_gt_f32_e32 vcc, s12, v32
	v_cmp_gt_f32_e64 s[60:61], s16, v46
	s_nop 0
	v_subbrev_co_u32_e32 v38, vcc, 0, v30, vcc
	v_sub_u32_e32 v30, 0, v38
	v_ldexp_f32 v27, v27, v30
	v_ldexp_f32 v29, v29, v30
	v_add_f32_e32 v30, -1.0, v27
	v_add_f32_e32 v31, 1.0, v30
	v_sub_f32_e32 v31, v27, v31
	v_add_f32_e32 v32, v29, v31
	v_add_f32_e32 v31, 1.0, v27
	v_add_f32_e32 v33, -1.0, v31
	v_sub_f32_e32 v27, v27, v33
	v_add_f32_e32 v27, v29, v27
	v_add_f32_e32 v29, v31, v27
	v_rcp_f32_e32 v39, v29
	v_sub_f32_e32 v31, v31, v29
	v_add_f32_e32 v27, v27, v31
	v_add_f32_e32 v31, v30, v32
	v_sub_f32_e32 v30, v30, v31
	v_mul_f32_e32 v41, v31, v39
	v_add_f32_e32 v40, v32, v30
	v_mul_f32_e32 v32, v29, v41
	v_fma_f32 v34, v41, v29, -v32
	v_fmac_f32_e32 v34, v41, v27
	v_add_f32_e32 v30, v32, v34
	v_sub_f32_e32 v33, v31, v30
	v_pk_add_f32 v[36:37], v[30:31], v[32:33] neg_lo:[0,1] neg_hi:[0,1]
	v_mov_b32_e32 v35, v30
	v_pk_add_f32 v[30:31], v[36:37], v[34:35] neg_lo:[0,1] neg_hi:[0,1]
	v_cmp_eq_f32_e32 vcc, s11, v46
	v_add_f32_e32 v31, v40, v31
	v_add_f32_e32 v30, v30, v31
	;; [unrolled: 1-line block ×3, first 2 shown]
	v_mul_f32_e32 v40, v39, v31
	v_mul_f32_e32 v32, v29, v40
	v_fma_f32 v34, v40, v29, -v32
	v_fmac_f32_e32 v34, v40, v27
	v_sub_f32_e32 v27, v33, v31
	v_add_f32_e32 v27, v30, v27
	v_add_f32_e32 v30, v32, v34
	v_sub_f32_e32 v33, v31, v30
	v_pk_add_f32 v[36:37], v[30:31], v[32:33] neg_lo:[0,1] neg_hi:[0,1]
	v_mov_b32_e32 v35, v30
	v_pk_add_f32 v[30:31], v[36:37], v[34:35] neg_lo:[0,1] neg_hi:[0,1]
	s_or_b64 vcc, s[60:61], vcc
	v_add_f32_e32 v27, v27, v31
	v_add_f32_e32 v27, v30, v27
	;; [unrolled: 1-line block ×4, first 2 shown]
	v_sub_f32_e32 v29, v31, v41
	v_mul_f32_e32 v27, v39, v27
	v_sub_f32_e32 v29, v40, v29
	v_add_f32_e32 v27, v29, v27
	v_add_f32_e32 v32, v31, v27
	v_cvt_f32_i32_e32 v30, v38
	v_mul_f32_e32 v34, v32, v32
	v_fmamk_f32 v29, v34, 0x3e9b6dac, v141
	v_sub_f32_e32 v31, v32, v31
	v_fmaak_f32 v29, v34, v29, 0x3f2aaada
	v_sub_f32_e32 v27, v27, v31
	v_mul_f32_e32 v31, v32, v34
	v_pk_mul_f32 v[34:35], v[30:31], v[28:29]
	v_ldexp_f32 v33, v32, 1
	v_fma_f32 v32, v30, s13, -v34
	v_fmac_f32_e32 v32, 0xb102e308, v30
	v_pk_add_f32 v[30:31], v[34:35], v[32:33]
	v_ldexp_f32 v27, v27, 1
	v_sub_f32_e32 v29, v31, v33
	v_sub_f32_e32 v29, v35, v29
	v_add_f32_e32 v37, v27, v29
	v_mov_b32_e32 v36, v34
	v_pk_add_f32 v[34:35], v[30:31], v[34:35] neg_lo:[0,1] neg_hi:[0,1]
	v_pk_add_f32 v[38:39], v[30:31], v[36:37]
	v_mov_b32_e32 v33, v30
	v_mov_b32_e32 v35, v39
	v_pk_add_f32 v[40:41], v[32:33], v[34:35] neg_lo:[0,1] neg_hi:[0,1]
	v_pk_add_f32 v[32:33], v[32:33], v[34:35]
	v_mov_b32_e32 v36, v37
	v_mov_b32_e32 v34, v33
	v_pk_add_f32 v[42:43], v[34:35], v[30:31] neg_lo:[0,1] neg_hi:[0,1]
	v_mov_b32_e32 v32, v39
	v_mov_b32_e32 v27, v42
	v_pk_add_f32 v[44:45], v[38:39], v[26:27] neg_lo:[0,1] neg_hi:[0,1]
	v_mov_b32_e32 v38, v31
	v_mov_b32_e32 v39, v42
	;; [unrolled: 1-line block ×3, first 2 shown]
	v_pk_add_f32 v[32:33], v[32:33], v[38:39] neg_lo:[0,1] neg_hi:[0,1]
	v_mov_b32_e32 v37, v30
	v_pk_add_f32 v[30:31], v[36:37], v[32:33] neg_lo:[0,1] neg_hi:[0,1]
	v_mov_b32_e32 v44, v40
	v_pk_add_f32 v[32:33], v[44:45], v[30:31]
	s_nop 0
	v_mov_b32_e32 v36, v33
	v_pk_add_f32 v[36:37], v[32:33], v[36:37]
	s_nop 0
	v_pk_add_f32 v[34:35], v[34:35], v[36:37]
	v_mov_b32_e32 v31, v36
	v_mov_b32_e32 v33, v34
	v_pk_add_f32 v[38:39], v[32:33], v[40:41] neg_lo:[0,1] neg_hi:[0,1]
	s_nop 0
	v_sub_f32_e32 v27, v32, v38
	v_pk_add_f32 v[30:31], v[30:31], v[38:39] neg_lo:[0,1] neg_hi:[0,1]
	v_sub_f32_e32 v27, v40, v27
	v_add_f32_e32 v27, v30, v27
	v_add_f32_e32 v27, v27, v31
	;; [unrolled: 1-line block ×3, first 2 shown]
	v_cndmask_b32_e32 v146, v27, v46, vcc
.LBB24_77:                              ;   in Loop: Header=BB24_13 Depth=1
	s_or_b64 exec, exec, s[4:5]
	v_and_b32_e32 v12, 0xffff0000, v12
	v_readlane_b32 s2, v166, 2
	s_nop 1
	v_add_f32_e32 v147, s2, v12
	v_readlane_b32 s2, v166, 23
	v_cmp_ge_f32_e32 vcc, s6, v147
	v_readlane_b32 s3, v166, 24
	s_and_b64 s[2:3], s[2:3], vcc
	s_and_saveexec_b64 s[4:5], s[2:3]
	s_cbranch_execz .LBB24_79
; %bb.78:                               ;   in Loop: Header=BB24_13 Depth=1
	v_mul_f32_e32 v12, 0x3fb8aa3b, v147
	v_rndne_f32_e32 v27, v12
	v_sub_f32_e32 v29, v12, v27
	v_fma_f32 v12, v147, s8, -v12
	v_fmac_f32_e32 v12, 0x32a5705f, v147
	v_add_f32_e32 v12, v29, v12
	v_cvt_i32_f32_e32 v27, v27
	v_exp_f32_e32 v12, v12
	v_cmp_ngt_f32_e32 vcc, s9, v147
	v_ldexp_f32 v12, v12, v27
	s_nop 0
	v_cndmask_b32_e32 v12, 0, v12, vcc
	v_cmp_nlt_f32_e32 vcc, s10, v147
	s_nop 1
	v_cndmask_b32_e32 v44, v142, v12, vcc
	v_add_f32_e32 v12, 1.0, v44
	v_add_f32_e32 v27, -1.0, v12
	v_sub_f32_e32 v29, v27, v12
	v_add_f32_e32 v29, 1.0, v29
	v_sub_f32_e32 v27, v44, v27
	v_add_f32_e32 v27, v27, v29
	v_frexp_mant_f32_e32 v29, v12
	v_cvt_f64_f32_e32 v[30:31], v12
	v_frexp_exp_i32_f64_e32 v30, v[30:31]
	v_cmp_gt_f32_e32 vcc, s12, v29
	v_cmp_gt_f32_e64 s[60:61], s16, v44
	s_nop 0
	v_subbrev_co_u32_e32 v38, vcc, 0, v30, vcc
	v_sub_u32_e32 v29, 0, v38
	v_ldexp_f32 v12, v12, v29
	v_ldexp_f32 v27, v27, v29
	v_add_f32_e32 v29, -1.0, v12
	v_add_f32_e32 v31, 1.0, v12
	v_add_f32_e32 v30, 1.0, v29
	v_add_f32_e32 v32, -1.0, v31
	v_sub_f32_e32 v30, v12, v30
	v_sub_f32_e32 v12, v12, v32
	v_add_f32_e32 v12, v27, v12
	v_add_f32_e32 v30, v27, v30
	;; [unrolled: 1-line block ×3, first 2 shown]
	v_rcp_f32_e32 v39, v27
	v_sub_f32_e32 v31, v31, v27
	v_add_f32_e32 v12, v12, v31
	v_add_f32_e32 v31, v29, v30
	v_mul_f32_e32 v40, v31, v39
	v_mul_f32_e32 v32, v27, v40
	v_fma_f32 v34, v40, v27, -v32
	v_sub_f32_e32 v29, v29, v31
	v_fmac_f32_e32 v34, v40, v12
	v_add_f32_e32 v29, v30, v29
	v_add_f32_e32 v30, v32, v34
	v_sub_f32_e32 v33, v31, v30
	v_pk_add_f32 v[36:37], v[30:31], v[32:33] neg_lo:[0,1] neg_hi:[0,1]
	v_mov_b32_e32 v35, v30
	v_pk_add_f32 v[30:31], v[36:37], v[34:35] neg_lo:[0,1] neg_hi:[0,1]
	v_cmp_eq_f32_e32 vcc, s11, v44
	v_add_f32_e32 v29, v29, v31
	v_add_f32_e32 v29, v30, v29
	;; [unrolled: 1-line block ×3, first 2 shown]
	v_mul_f32_e32 v41, v39, v31
	v_mul_f32_e32 v32, v27, v41
	v_fma_f32 v34, v41, v27, -v32
	v_fmac_f32_e32 v34, v41, v12
	v_add_f32_e32 v30, v32, v34
	v_sub_f32_e32 v12, v33, v31
	v_sub_f32_e32 v33, v31, v30
	v_pk_add_f32 v[36:37], v[30:31], v[32:33] neg_lo:[0,1] neg_hi:[0,1]
	v_mov_b32_e32 v35, v30
	v_add_f32_e32 v12, v29, v12
	v_pk_add_f32 v[30:31], v[36:37], v[34:35] neg_lo:[0,1] neg_hi:[0,1]
	v_add_f32_e32 v27, v40, v41
	v_add_f32_e32 v12, v12, v31
	;; [unrolled: 1-line block ×4, first 2 shown]
	v_sub_f32_e32 v29, v27, v40
	v_mul_f32_e32 v12, v39, v12
	v_sub_f32_e32 v29, v41, v29
	v_add_f32_e32 v12, v29, v12
	v_add_f32_e32 v31, v27, v12
	v_cvt_f32_i32_e32 v30, v38
	v_mul_f32_e32 v32, v31, v31
	v_fmamk_f32 v29, v32, 0x3e9b6dac, v141
	v_fmaak_f32 v29, v32, v29, 0x3f2aaada
	v_sub_f32_e32 v27, v31, v27
	v_ldexp_f32 v33, v31, 1
	v_mul_f32_e32 v31, v31, v32
	v_pk_mul_f32 v[34:35], v[30:31], v[28:29]
	v_sub_f32_e32 v12, v12, v27
	v_fma_f32 v32, v30, s13, -v34
	v_fmac_f32_e32 v32, 0xb102e308, v30
	v_pk_add_f32 v[30:31], v[34:35], v[32:33]
	v_ldexp_f32 v12, v12, 1
	v_sub_f32_e32 v27, v31, v33
	v_sub_f32_e32 v27, v35, v27
	v_add_f32_e32 v37, v12, v27
	v_mov_b32_e32 v36, v34
	v_pk_add_f32 v[34:35], v[30:31], v[34:35] neg_lo:[0,1] neg_hi:[0,1]
	v_pk_add_f32 v[38:39], v[30:31], v[36:37]
	v_mov_b32_e32 v33, v30
	v_mov_b32_e32 v35, v39
	v_pk_add_f32 v[40:41], v[32:33], v[34:35] neg_lo:[0,1] neg_hi:[0,1]
	v_pk_add_f32 v[32:33], v[32:33], v[34:35]
	s_or_b64 vcc, s[60:61], vcc
	v_mov_b32_e32 v12, v33
	v_pk_add_f32 v[34:35], v[12:13], v[30:31] neg_lo:[0,1] neg_hi:[0,1]
	v_mov_b32_e32 v32, v39
	v_mov_b32_e32 v27, v34
	v_pk_add_f32 v[42:43], v[38:39], v[26:27] neg_lo:[0,1] neg_hi:[0,1]
	v_mov_b32_e32 v38, v31
	v_mov_b32_e32 v39, v34
	;; [unrolled: 1-line block ×3, first 2 shown]
	v_pk_add_f32 v[32:33], v[32:33], v[38:39] neg_lo:[0,1] neg_hi:[0,1]
	v_mov_b32_e32 v34, v37
	v_mov_b32_e32 v35, v30
	v_pk_add_f32 v[30:31], v[34:35], v[32:33] neg_lo:[0,1] neg_hi:[0,1]
	v_mov_b32_e32 v42, v40
	v_pk_add_f32 v[32:33], v[42:43], v[30:31]
	s_nop 0
	v_mov_b32_e32 v34, v33
	v_pk_add_f32 v[34:35], v[32:33], v[34:35]
	s_nop 0
	v_pk_add_f32 v[36:37], v[12:13], v[34:35]
	v_mov_b32_e32 v31, v34
	v_mov_b32_e32 v33, v36
	v_pk_add_f32 v[38:39], v[32:33], v[40:41] neg_lo:[0,1] neg_hi:[0,1]
	s_nop 0
	v_sub_f32_e32 v12, v32, v38
	v_pk_add_f32 v[30:31], v[30:31], v[38:39] neg_lo:[0,1] neg_hi:[0,1]
	v_sub_f32_e32 v12, v40, v12
	v_add_f32_e32 v12, v30, v12
	v_add_f32_e32 v12, v12, v31
	;; [unrolled: 1-line block ×3, first 2 shown]
	v_cndmask_b32_e32 v147, v12, v44, vcc
.LBB24_79:                              ;   in Loop: Header=BB24_13 Depth=1
	s_or_b64 exec, exec, s[4:5]
	v_lshlrev_b32_e32 v12, 16, v13
	v_readlane_b32 s2, v166, 2
	s_nop 1
	v_add_f32_e32 v148, s2, v12
	v_readlane_b32 s2, v166, 23
	v_cmp_ge_f32_e32 vcc, s6, v148
	v_readlane_b32 s3, v166, 24
	s_and_b64 s[2:3], s[2:3], vcc
	s_and_saveexec_b64 s[4:5], s[2:3]
	s_cbranch_execz .LBB24_81
; %bb.80:                               ;   in Loop: Header=BB24_13 Depth=1
	v_mul_f32_e32 v12, 0x3fb8aa3b, v148
	v_rndne_f32_e32 v27, v12
	v_sub_f32_e32 v29, v12, v27
	v_fma_f32 v12, v148, s8, -v12
	v_fmac_f32_e32 v12, 0x32a5705f, v148
	v_add_f32_e32 v12, v29, v12
	v_cvt_i32_f32_e32 v27, v27
	v_exp_f32_e32 v12, v12
	v_cmp_ngt_f32_e32 vcc, s9, v148
	v_ldexp_f32 v12, v12, v27
	s_nop 0
	v_cndmask_b32_e32 v12, 0, v12, vcc
	v_cmp_nlt_f32_e32 vcc, s10, v148
	s_nop 1
	v_cndmask_b32_e32 v44, v142, v12, vcc
	v_add_f32_e32 v12, 1.0, v44
	v_add_f32_e32 v27, -1.0, v12
	v_sub_f32_e32 v29, v27, v12
	v_add_f32_e32 v29, 1.0, v29
	v_sub_f32_e32 v27, v44, v27
	v_add_f32_e32 v27, v27, v29
	v_frexp_mant_f32_e32 v29, v12
	v_cvt_f64_f32_e32 v[30:31], v12
	v_frexp_exp_i32_f64_e32 v30, v[30:31]
	v_cmp_gt_f32_e32 vcc, s12, v29
	v_cmp_gt_f32_e64 s[60:61], s16, v44
	s_nop 0
	v_subbrev_co_u32_e32 v38, vcc, 0, v30, vcc
	v_sub_u32_e32 v29, 0, v38
	v_ldexp_f32 v12, v12, v29
	v_ldexp_f32 v27, v27, v29
	v_add_f32_e32 v29, -1.0, v12
	v_add_f32_e32 v31, 1.0, v12
	v_add_f32_e32 v30, 1.0, v29
	v_add_f32_e32 v32, -1.0, v31
	v_sub_f32_e32 v30, v12, v30
	v_sub_f32_e32 v12, v12, v32
	v_add_f32_e32 v12, v27, v12
	v_add_f32_e32 v30, v27, v30
	;; [unrolled: 1-line block ×3, first 2 shown]
	v_rcp_f32_e32 v39, v27
	v_sub_f32_e32 v31, v31, v27
	v_add_f32_e32 v12, v12, v31
	v_add_f32_e32 v31, v29, v30
	v_mul_f32_e32 v40, v31, v39
	v_mul_f32_e32 v32, v27, v40
	v_fma_f32 v34, v40, v27, -v32
	v_sub_f32_e32 v29, v29, v31
	v_fmac_f32_e32 v34, v40, v12
	v_add_f32_e32 v29, v30, v29
	v_add_f32_e32 v30, v32, v34
	v_sub_f32_e32 v33, v31, v30
	v_pk_add_f32 v[36:37], v[30:31], v[32:33] neg_lo:[0,1] neg_hi:[0,1]
	v_mov_b32_e32 v35, v30
	v_pk_add_f32 v[30:31], v[36:37], v[34:35] neg_lo:[0,1] neg_hi:[0,1]
	v_cmp_eq_f32_e32 vcc, s11, v44
	v_add_f32_e32 v29, v29, v31
	v_add_f32_e32 v29, v30, v29
	;; [unrolled: 1-line block ×3, first 2 shown]
	v_mul_f32_e32 v41, v39, v31
	v_mul_f32_e32 v32, v27, v41
	v_fma_f32 v34, v41, v27, -v32
	v_fmac_f32_e32 v34, v41, v12
	v_add_f32_e32 v30, v32, v34
	v_sub_f32_e32 v12, v33, v31
	v_sub_f32_e32 v33, v31, v30
	v_pk_add_f32 v[36:37], v[30:31], v[32:33] neg_lo:[0,1] neg_hi:[0,1]
	v_mov_b32_e32 v35, v30
	v_add_f32_e32 v12, v29, v12
	v_pk_add_f32 v[30:31], v[36:37], v[34:35] neg_lo:[0,1] neg_hi:[0,1]
	v_add_f32_e32 v27, v40, v41
	v_add_f32_e32 v12, v12, v31
	;; [unrolled: 1-line block ×4, first 2 shown]
	v_sub_f32_e32 v29, v27, v40
	v_mul_f32_e32 v12, v39, v12
	v_sub_f32_e32 v29, v41, v29
	v_add_f32_e32 v12, v29, v12
	v_add_f32_e32 v31, v27, v12
	v_cvt_f32_i32_e32 v30, v38
	v_mul_f32_e32 v32, v31, v31
	v_fmamk_f32 v29, v32, 0x3e9b6dac, v141
	v_fmaak_f32 v29, v32, v29, 0x3f2aaada
	v_sub_f32_e32 v27, v31, v27
	v_ldexp_f32 v33, v31, 1
	v_mul_f32_e32 v31, v31, v32
	v_pk_mul_f32 v[34:35], v[30:31], v[28:29]
	v_sub_f32_e32 v12, v12, v27
	v_fma_f32 v32, v30, s13, -v34
	v_fmac_f32_e32 v32, 0xb102e308, v30
	v_pk_add_f32 v[30:31], v[34:35], v[32:33]
	v_ldexp_f32 v12, v12, 1
	v_sub_f32_e32 v27, v31, v33
	v_sub_f32_e32 v27, v35, v27
	v_add_f32_e32 v37, v12, v27
	v_mov_b32_e32 v36, v34
	v_pk_add_f32 v[34:35], v[30:31], v[34:35] neg_lo:[0,1] neg_hi:[0,1]
	v_pk_add_f32 v[38:39], v[30:31], v[36:37]
	v_mov_b32_e32 v33, v30
	v_mov_b32_e32 v35, v39
	v_pk_add_f32 v[40:41], v[32:33], v[34:35] neg_lo:[0,1] neg_hi:[0,1]
	v_pk_add_f32 v[32:33], v[32:33], v[34:35]
	s_or_b64 vcc, s[60:61], vcc
	v_mov_b32_e32 v12, v33
	v_pk_add_f32 v[34:35], v[12:13], v[30:31] neg_lo:[0,1] neg_hi:[0,1]
	v_mov_b32_e32 v32, v39
	v_mov_b32_e32 v27, v34
	v_pk_add_f32 v[42:43], v[38:39], v[26:27] neg_lo:[0,1] neg_hi:[0,1]
	v_mov_b32_e32 v38, v31
	v_mov_b32_e32 v39, v34
	;; [unrolled: 1-line block ×3, first 2 shown]
	v_pk_add_f32 v[32:33], v[32:33], v[38:39] neg_lo:[0,1] neg_hi:[0,1]
	v_mov_b32_e32 v34, v37
	v_mov_b32_e32 v35, v30
	v_pk_add_f32 v[30:31], v[34:35], v[32:33] neg_lo:[0,1] neg_hi:[0,1]
	v_mov_b32_e32 v42, v40
	v_pk_add_f32 v[32:33], v[42:43], v[30:31]
	s_nop 0
	v_mov_b32_e32 v34, v33
	v_pk_add_f32 v[34:35], v[32:33], v[34:35]
	s_nop 0
	v_pk_add_f32 v[36:37], v[12:13], v[34:35]
	v_mov_b32_e32 v31, v34
	v_mov_b32_e32 v33, v36
	v_pk_add_f32 v[38:39], v[32:33], v[40:41] neg_lo:[0,1] neg_hi:[0,1]
	s_nop 0
	v_sub_f32_e32 v12, v32, v38
	v_pk_add_f32 v[30:31], v[30:31], v[38:39] neg_lo:[0,1] neg_hi:[0,1]
	v_sub_f32_e32 v12, v40, v12
	v_add_f32_e32 v12, v30, v12
	v_add_f32_e32 v12, v12, v31
	;; [unrolled: 1-line block ×3, first 2 shown]
	v_cndmask_b32_e32 v148, v12, v44, vcc
.LBB24_81:                              ;   in Loop: Header=BB24_13 Depth=1
	s_or_b64 exec, exec, s[4:5]
	v_and_b32_e32 v12, 0xffff0000, v13
	v_readlane_b32 s2, v166, 2
	s_nop 1
	v_add_f32_e32 v149, s2, v12
	v_readlane_b32 s2, v166, 23
	v_cmp_ge_f32_e32 vcc, s6, v149
	v_readlane_b32 s3, v166, 24
	s_and_b64 s[2:3], s[2:3], vcc
	s_and_saveexec_b64 s[4:5], s[2:3]
	s_cbranch_execz .LBB24_83
; %bb.82:                               ;   in Loop: Header=BB24_13 Depth=1
	v_mul_f32_e32 v12, 0x3fb8aa3b, v149
	v_rndne_f32_e32 v13, v12
	v_sub_f32_e32 v27, v12, v13
	v_fma_f32 v12, v149, s8, -v12
	v_fmac_f32_e32 v12, 0x32a5705f, v149
	v_add_f32_e32 v12, v27, v12
	v_cvt_i32_f32_e32 v13, v13
	v_exp_f32_e32 v12, v12
	v_cmp_ngt_f32_e32 vcc, s9, v149
	v_ldexp_f32 v12, v12, v13
	s_nop 0
	v_cndmask_b32_e32 v12, 0, v12, vcc
	v_cmp_nlt_f32_e32 vcc, s10, v149
	s_nop 1
	v_cndmask_b32_e32 v44, v142, v12, vcc
	v_add_f32_e32 v27, 1.0, v44
	v_add_f32_e32 v12, -1.0, v27
	v_sub_f32_e32 v13, v12, v27
	v_add_f32_e32 v13, 1.0, v13
	v_sub_f32_e32 v12, v44, v12
	v_add_f32_e32 v29, v12, v13
	v_frexp_mant_f32_e32 v30, v27
	v_cvt_f64_f32_e32 v[12:13], v27
	v_frexp_exp_i32_f64_e32 v12, v[12:13]
	v_cmp_gt_f32_e32 vcc, s12, v30
	v_cmp_gt_f32_e64 s[60:61], s16, v44
	s_nop 0
	v_subbrev_co_u32_e32 v36, vcc, 0, v12, vcc
	v_sub_u32_e32 v12, 0, v36
	v_ldexp_f32 v13, v27, v12
	v_add_f32_e32 v27, -1.0, v13
	v_add_f32_e32 v30, 1.0, v13
	v_ldexp_f32 v12, v29, v12
	v_add_f32_e32 v29, 1.0, v27
	v_add_f32_e32 v31, -1.0, v30
	v_sub_f32_e32 v29, v13, v29
	v_sub_f32_e32 v13, v13, v31
	v_add_f32_e32 v29, v12, v29
	v_add_f32_e32 v12, v12, v13
	;; [unrolled: 1-line block ×3, first 2 shown]
	v_rcp_f32_e32 v39, v37
	v_sub_f32_e32 v13, v30, v37
	v_add_f32_e32 v38, v12, v13
	v_add_f32_e32 v13, v27, v29
	v_sub_f32_e32 v12, v27, v13
	v_add_f32_e32 v27, v29, v12
	v_mul_f32_e32 v29, v13, v39
	v_mul_f32_e32 v30, v37, v29
	v_fma_f32 v32, v29, v37, -v30
	v_fmac_f32_e32 v32, v29, v38
	v_add_f32_e32 v12, v30, v32
	v_sub_f32_e32 v31, v13, v12
	v_pk_add_f32 v[34:35], v[12:13], v[30:31] neg_lo:[0,1] neg_hi:[0,1]
	v_mov_b32_e32 v33, v12
	v_pk_add_f32 v[12:13], v[34:35], v[32:33] neg_lo:[0,1] neg_hi:[0,1]
	v_cmp_eq_f32_e32 vcc, s11, v44
	v_add_f32_e32 v13, v27, v13
	v_add_f32_e32 v12, v12, v13
	;; [unrolled: 1-line block ×3, first 2 shown]
	v_mul_f32_e32 v27, v39, v13
	v_mul_f32_e32 v30, v37, v27
	v_fma_f32 v32, v27, v37, -v30
	v_fmac_f32_e32 v32, v27, v38
	v_sub_f32_e32 v31, v31, v13
	v_add_f32_e32 v37, v12, v31
	v_add_f32_e32 v12, v30, v32
	v_sub_f32_e32 v31, v13, v12
	v_pk_add_f32 v[34:35], v[12:13], v[30:31] neg_lo:[0,1] neg_hi:[0,1]
	v_mov_b32_e32 v33, v12
	v_pk_add_f32 v[12:13], v[34:35], v[32:33] neg_lo:[0,1] neg_hi:[0,1]
	s_or_b64 vcc, s[60:61], vcc
	v_add_f32_e32 v13, v37, v13
	v_add_f32_e32 v12, v12, v13
	;; [unrolled: 1-line block ×4, first 2 shown]
	v_sub_f32_e32 v29, v13, v29
	v_mul_f32_e32 v12, v39, v12
	v_sub_f32_e32 v27, v27, v29
	v_add_f32_e32 v27, v27, v12
	v_add_f32_e32 v30, v13, v27
	v_mul_f32_e32 v32, v30, v30
	v_fmamk_f32 v12, v32, 0x3e9b6dac, v141
	v_fmaak_f32 v29, v32, v12, 0x3f2aaada
	v_cvt_f32_i32_e32 v12, v36
	v_sub_f32_e32 v13, v30, v13
	v_sub_f32_e32 v13, v27, v13
	v_ldexp_f32 v27, v13, 1
	v_mul_f32_e32 v13, v30, v32
	v_pk_mul_f32 v[32:33], v[12:13], v[28:29]
	v_ldexp_f32 v31, v30, 1
	v_fma_f32 v30, v12, s13, -v32
	v_fmac_f32_e32 v30, 0xb102e308, v12
	v_pk_add_f32 v[12:13], v[32:33], v[30:31]
	v_mov_b32_e32 v34, v32
	v_sub_f32_e32 v29, v13, v31
	v_sub_f32_e32 v29, v33, v29
	v_add_f32_e32 v35, v27, v29
	v_pk_add_f32 v[32:33], v[12:13], v[32:33] neg_lo:[0,1] neg_hi:[0,1]
	v_pk_add_f32 v[36:37], v[12:13], v[34:35]
	v_mov_b32_e32 v31, v12
	v_mov_b32_e32 v33, v37
	v_pk_add_f32 v[38:39], v[30:31], v[32:33] neg_lo:[0,1] neg_hi:[0,1]
	v_pk_add_f32 v[30:31], v[30:31], v[32:33]
	v_mov_b32_e32 v34, v35
	v_mov_b32_e32 v32, v31
	v_pk_add_f32 v[40:41], v[32:33], v[12:13] neg_lo:[0,1] neg_hi:[0,1]
	v_mov_b32_e32 v30, v37
	v_mov_b32_e32 v27, v40
	v_pk_add_f32 v[42:43], v[36:37], v[26:27] neg_lo:[0,1] neg_hi:[0,1]
	v_mov_b32_e32 v36, v13
	v_mov_b32_e32 v37, v40
	;; [unrolled: 1-line block ×3, first 2 shown]
	v_pk_add_f32 v[30:31], v[30:31], v[36:37] neg_lo:[0,1] neg_hi:[0,1]
	v_mov_b32_e32 v35, v12
	v_pk_add_f32 v[12:13], v[34:35], v[30:31] neg_lo:[0,1] neg_hi:[0,1]
	v_mov_b32_e32 v42, v38
	v_pk_add_f32 v[30:31], v[42:43], v[12:13]
	s_nop 0
	v_mov_b32_e32 v34, v31
	v_pk_add_f32 v[34:35], v[30:31], v[34:35]
	s_nop 0
	v_pk_add_f32 v[32:33], v[32:33], v[34:35]
	v_mov_b32_e32 v13, v34
	v_mov_b32_e32 v31, v32
	v_pk_add_f32 v[36:37], v[30:31], v[38:39] neg_lo:[0,1] neg_hi:[0,1]
	s_nop 0
	v_sub_f32_e32 v27, v30, v36
	v_pk_add_f32 v[12:13], v[12:13], v[36:37] neg_lo:[0,1] neg_hi:[0,1]
	v_sub_f32_e32 v27, v38, v27
	v_add_f32_e32 v12, v12, v27
	v_add_f32_e32 v12, v12, v13
	v_add_f32_e32 v12, v32, v12
	v_cndmask_b32_e32 v149, v12, v44, vcc
.LBB24_83:                              ;   in Loop: Header=BB24_13 Depth=1
	s_or_b64 exec, exec, s[4:5]
	v_lshlrev_b32_e32 v12, 16, v14
	v_readlane_b32 s2, v166, 2
	s_nop 1
	v_add_f32_e32 v150, s2, v12
	v_readlane_b32 s2, v166, 23
	v_cmp_ge_f32_e32 vcc, s6, v150
	v_readlane_b32 s3, v166, 24
	s_and_b64 s[2:3], s[2:3], vcc
	s_and_saveexec_b64 s[4:5], s[2:3]
	s_cbranch_execz .LBB24_85
; %bb.84:                               ;   in Loop: Header=BB24_13 Depth=1
	v_mul_f32_e32 v12, 0x3fb8aa3b, v150
	v_rndne_f32_e32 v13, v12
	v_sub_f32_e32 v27, v12, v13
	v_fma_f32 v12, v150, s8, -v12
	v_fmac_f32_e32 v12, 0x32a5705f, v150
	v_add_f32_e32 v12, v27, v12
	v_cvt_i32_f32_e32 v13, v13
	v_exp_f32_e32 v12, v12
	v_cmp_ngt_f32_e32 vcc, s9, v150
	v_ldexp_f32 v12, v12, v13
	s_nop 0
	v_cndmask_b32_e32 v12, 0, v12, vcc
	v_cmp_nlt_f32_e32 vcc, s10, v150
	s_nop 1
	v_cndmask_b32_e32 v44, v142, v12, vcc
	v_add_f32_e32 v27, 1.0, v44
	v_add_f32_e32 v12, -1.0, v27
	v_sub_f32_e32 v13, v12, v27
	v_add_f32_e32 v13, 1.0, v13
	v_sub_f32_e32 v12, v44, v12
	v_add_f32_e32 v29, v12, v13
	v_frexp_mant_f32_e32 v30, v27
	v_cvt_f64_f32_e32 v[12:13], v27
	v_frexp_exp_i32_f64_e32 v12, v[12:13]
	v_cmp_gt_f32_e32 vcc, s12, v30
	v_cmp_gt_f32_e64 s[60:61], s16, v44
	s_nop 0
	v_subbrev_co_u32_e32 v36, vcc, 0, v12, vcc
	v_sub_u32_e32 v12, 0, v36
	v_ldexp_f32 v13, v27, v12
	v_add_f32_e32 v27, -1.0, v13
	v_add_f32_e32 v30, 1.0, v13
	v_ldexp_f32 v12, v29, v12
	v_add_f32_e32 v29, 1.0, v27
	v_add_f32_e32 v31, -1.0, v30
	v_sub_f32_e32 v29, v13, v29
	v_sub_f32_e32 v13, v13, v31
	v_add_f32_e32 v29, v12, v29
	v_add_f32_e32 v12, v12, v13
	;; [unrolled: 1-line block ×3, first 2 shown]
	v_rcp_f32_e32 v39, v37
	v_sub_f32_e32 v13, v30, v37
	v_add_f32_e32 v38, v12, v13
	v_add_f32_e32 v13, v27, v29
	v_sub_f32_e32 v12, v27, v13
	v_add_f32_e32 v27, v29, v12
	v_mul_f32_e32 v29, v13, v39
	v_mul_f32_e32 v30, v37, v29
	v_fma_f32 v32, v29, v37, -v30
	v_fmac_f32_e32 v32, v29, v38
	v_add_f32_e32 v12, v30, v32
	v_sub_f32_e32 v31, v13, v12
	v_pk_add_f32 v[34:35], v[12:13], v[30:31] neg_lo:[0,1] neg_hi:[0,1]
	v_mov_b32_e32 v33, v12
	v_pk_add_f32 v[12:13], v[34:35], v[32:33] neg_lo:[0,1] neg_hi:[0,1]
	v_cmp_eq_f32_e32 vcc, s11, v44
	v_add_f32_e32 v13, v27, v13
	v_add_f32_e32 v12, v12, v13
	;; [unrolled: 1-line block ×3, first 2 shown]
	v_mul_f32_e32 v27, v39, v13
	v_mul_f32_e32 v30, v37, v27
	v_fma_f32 v32, v27, v37, -v30
	v_fmac_f32_e32 v32, v27, v38
	v_sub_f32_e32 v31, v31, v13
	v_add_f32_e32 v37, v12, v31
	v_add_f32_e32 v12, v30, v32
	v_sub_f32_e32 v31, v13, v12
	v_pk_add_f32 v[34:35], v[12:13], v[30:31] neg_lo:[0,1] neg_hi:[0,1]
	v_mov_b32_e32 v33, v12
	v_pk_add_f32 v[12:13], v[34:35], v[32:33] neg_lo:[0,1] neg_hi:[0,1]
	s_or_b64 vcc, s[60:61], vcc
	v_add_f32_e32 v13, v37, v13
	v_add_f32_e32 v12, v12, v13
	v_add_f32_e32 v13, v29, v27
	v_add_f32_e32 v12, v31, v12
	v_sub_f32_e32 v29, v13, v29
	v_mul_f32_e32 v12, v39, v12
	v_sub_f32_e32 v27, v27, v29
	v_add_f32_e32 v27, v27, v12
	v_add_f32_e32 v30, v13, v27
	v_mul_f32_e32 v32, v30, v30
	v_fmamk_f32 v12, v32, 0x3e9b6dac, v141
	v_fmaak_f32 v29, v32, v12, 0x3f2aaada
	v_cvt_f32_i32_e32 v12, v36
	v_sub_f32_e32 v13, v30, v13
	v_sub_f32_e32 v13, v27, v13
	v_ldexp_f32 v27, v13, 1
	v_mul_f32_e32 v13, v30, v32
	v_pk_mul_f32 v[32:33], v[12:13], v[28:29]
	v_ldexp_f32 v31, v30, 1
	v_fma_f32 v30, v12, s13, -v32
	v_fmac_f32_e32 v30, 0xb102e308, v12
	v_pk_add_f32 v[12:13], v[32:33], v[30:31]
	v_mov_b32_e32 v34, v32
	v_sub_f32_e32 v29, v13, v31
	v_sub_f32_e32 v29, v33, v29
	v_add_f32_e32 v35, v27, v29
	v_pk_add_f32 v[32:33], v[12:13], v[32:33] neg_lo:[0,1] neg_hi:[0,1]
	v_pk_add_f32 v[36:37], v[12:13], v[34:35]
	v_mov_b32_e32 v31, v12
	v_mov_b32_e32 v33, v37
	v_pk_add_f32 v[38:39], v[30:31], v[32:33] neg_lo:[0,1] neg_hi:[0,1]
	v_pk_add_f32 v[30:31], v[30:31], v[32:33]
	v_mov_b32_e32 v34, v35
	v_mov_b32_e32 v32, v31
	v_pk_add_f32 v[40:41], v[32:33], v[12:13] neg_lo:[0,1] neg_hi:[0,1]
	v_mov_b32_e32 v30, v37
	v_mov_b32_e32 v27, v40
	v_pk_add_f32 v[42:43], v[36:37], v[26:27] neg_lo:[0,1] neg_hi:[0,1]
	v_mov_b32_e32 v36, v13
	v_mov_b32_e32 v37, v40
	;; [unrolled: 1-line block ×3, first 2 shown]
	v_pk_add_f32 v[30:31], v[30:31], v[36:37] neg_lo:[0,1] neg_hi:[0,1]
	v_mov_b32_e32 v35, v12
	v_pk_add_f32 v[12:13], v[34:35], v[30:31] neg_lo:[0,1] neg_hi:[0,1]
	v_mov_b32_e32 v42, v38
	v_pk_add_f32 v[30:31], v[42:43], v[12:13]
	s_nop 0
	v_mov_b32_e32 v34, v31
	v_pk_add_f32 v[34:35], v[30:31], v[34:35]
	s_nop 0
	v_pk_add_f32 v[32:33], v[32:33], v[34:35]
	v_mov_b32_e32 v13, v34
	v_mov_b32_e32 v31, v32
	v_pk_add_f32 v[36:37], v[30:31], v[38:39] neg_lo:[0,1] neg_hi:[0,1]
	s_nop 0
	v_sub_f32_e32 v27, v30, v36
	v_pk_add_f32 v[12:13], v[12:13], v[36:37] neg_lo:[0,1] neg_hi:[0,1]
	v_sub_f32_e32 v27, v38, v27
	v_add_f32_e32 v12, v12, v27
	v_add_f32_e32 v12, v12, v13
	;; [unrolled: 1-line block ×3, first 2 shown]
	v_cndmask_b32_e32 v150, v12, v44, vcc
.LBB24_85:                              ;   in Loop: Header=BB24_13 Depth=1
	s_or_b64 exec, exec, s[4:5]
	v_and_b32_e32 v12, 0xffff0000, v14
	v_readlane_b32 s2, v166, 2
	s_nop 1
	v_add_f32_e32 v151, s2, v12
	v_readlane_b32 s2, v166, 23
	v_cmp_ge_f32_e32 vcc, s6, v151
	v_readlane_b32 s3, v166, 24
	s_and_b64 s[2:3], s[2:3], vcc
	s_and_saveexec_b64 s[4:5], s[2:3]
	s_cbranch_execz .LBB24_87
; %bb.86:                               ;   in Loop: Header=BB24_13 Depth=1
	v_mul_f32_e32 v12, 0x3fb8aa3b, v151
	v_rndne_f32_e32 v13, v12
	v_sub_f32_e32 v14, v12, v13
	v_fma_f32 v12, v151, s8, -v12
	v_fmac_f32_e32 v12, 0x32a5705f, v151
	v_add_f32_e32 v12, v14, v12
	v_cvt_i32_f32_e32 v13, v13
	v_exp_f32_e32 v12, v12
	v_cmp_ngt_f32_e32 vcc, s9, v151
	v_ldexp_f32 v12, v12, v13
	s_nop 0
	v_cndmask_b32_e32 v12, 0, v12, vcc
	v_cmp_nlt_f32_e32 vcc, s10, v151
	s_nop 1
	v_cndmask_b32_e32 v42, v142, v12, vcc
	v_add_f32_e32 v14, 1.0, v42
	v_add_f32_e32 v12, -1.0, v14
	v_sub_f32_e32 v13, v12, v14
	v_add_f32_e32 v13, 1.0, v13
	v_sub_f32_e32 v12, v42, v12
	v_add_f32_e32 v27, v12, v13
	v_frexp_mant_f32_e32 v29, v14
	v_cvt_f64_f32_e32 v[12:13], v14
	v_frexp_exp_i32_f64_e32 v12, v[12:13]
	v_cmp_gt_f32_e32 vcc, s12, v29
	v_cmp_gt_f32_e64 s[60:61], s16, v42
	s_nop 0
	v_subbrev_co_u32_e32 v36, vcc, 0, v12, vcc
	v_sub_u32_e32 v12, 0, v36
	v_ldexp_f32 v13, v14, v12
	v_add_f32_e32 v14, -1.0, v13
	v_add_f32_e32 v29, 1.0, v13
	v_ldexp_f32 v12, v27, v12
	v_add_f32_e32 v27, 1.0, v14
	v_add_f32_e32 v30, -1.0, v29
	v_sub_f32_e32 v27, v13, v27
	v_sub_f32_e32 v13, v13, v30
	v_add_f32_e32 v27, v12, v27
	v_add_f32_e32 v12, v12, v13
	;; [unrolled: 1-line block ×3, first 2 shown]
	v_rcp_f32_e32 v38, v37
	v_sub_f32_e32 v13, v29, v37
	v_add_f32_e32 v29, v12, v13
	v_add_f32_e32 v13, v14, v27
	v_sub_f32_e32 v12, v14, v13
	v_add_f32_e32 v14, v27, v12
	v_mul_f32_e32 v27, v13, v38
	v_mul_f32_e32 v30, v37, v27
	v_fma_f32 v32, v27, v37, -v30
	v_fmac_f32_e32 v32, v27, v29
	v_add_f32_e32 v12, v30, v32
	v_sub_f32_e32 v31, v13, v12
	v_pk_add_f32 v[34:35], v[12:13], v[30:31] neg_lo:[0,1] neg_hi:[0,1]
	v_mov_b32_e32 v33, v12
	v_pk_add_f32 v[12:13], v[34:35], v[32:33] neg_lo:[0,1] neg_hi:[0,1]
	v_cmp_eq_f32_e32 vcc, s11, v42
	v_add_f32_e32 v13, v14, v13
	v_add_f32_e32 v12, v12, v13
	;; [unrolled: 1-line block ×3, first 2 shown]
	v_mul_f32_e32 v14, v38, v13
	v_mul_f32_e32 v30, v37, v14
	v_fma_f32 v32, v14, v37, -v30
	v_fmac_f32_e32 v32, v14, v29
	v_sub_f32_e32 v29, v31, v13
	v_add_f32_e32 v29, v12, v29
	v_add_f32_e32 v12, v30, v32
	v_sub_f32_e32 v31, v13, v12
	v_pk_add_f32 v[34:35], v[12:13], v[30:31] neg_lo:[0,1] neg_hi:[0,1]
	v_mov_b32_e32 v33, v12
	v_pk_add_f32 v[12:13], v[34:35], v[32:33] neg_lo:[0,1] neg_hi:[0,1]
	s_or_b64 vcc, s[60:61], vcc
	v_add_f32_e32 v13, v29, v13
	v_add_f32_e32 v12, v12, v13
	v_add_f32_e32 v13, v27, v14
	v_add_f32_e32 v12, v31, v12
	v_sub_f32_e32 v27, v13, v27
	v_mul_f32_e32 v12, v38, v12
	v_sub_f32_e32 v14, v14, v27
	v_add_f32_e32 v14, v14, v12
	v_add_f32_e32 v27, v13, v14
	v_mul_f32_e32 v30, v27, v27
	v_fmamk_f32 v12, v30, 0x3e9b6dac, v141
	v_fmaak_f32 v29, v30, v12, 0x3f2aaada
	v_cvt_f32_i32_e32 v12, v36
	v_sub_f32_e32 v13, v27, v13
	v_sub_f32_e32 v13, v14, v13
	v_ldexp_f32 v14, v13, 1
	v_mul_f32_e32 v13, v27, v30
	v_pk_mul_f32 v[32:33], v[12:13], v[28:29]
	v_ldexp_f32 v31, v27, 1
	v_fma_f32 v30, v12, s13, -v32
	v_fmac_f32_e32 v30, 0xb102e308, v12
	v_pk_add_f32 v[12:13], v[32:33], v[30:31]
	v_mov_b32_e32 v34, v32
	v_sub_f32_e32 v27, v13, v31
	v_sub_f32_e32 v27, v33, v27
	v_add_f32_e32 v35, v14, v27
	v_pk_add_f32 v[32:33], v[12:13], v[32:33] neg_lo:[0,1] neg_hi:[0,1]
	v_pk_add_f32 v[36:37], v[12:13], v[34:35]
	v_mov_b32_e32 v31, v12
	v_mov_b32_e32 v33, v37
	v_pk_add_f32 v[38:39], v[30:31], v[32:33] neg_lo:[0,1] neg_hi:[0,1]
	v_pk_add_f32 v[30:31], v[30:31], v[32:33]
	s_nop 0
	v_mov_b32_e32 v14, v31
	v_pk_add_f32 v[32:33], v[14:15], v[12:13] neg_lo:[0,1] neg_hi:[0,1]
	v_mov_b32_e32 v30, v37
	v_mov_b32_e32 v27, v32
	v_pk_add_f32 v[40:41], v[36:37], v[26:27] neg_lo:[0,1] neg_hi:[0,1]
	v_mov_b32_e32 v36, v13
	v_mov_b32_e32 v37, v32
	;; [unrolled: 1-line block ×3, first 2 shown]
	v_pk_add_f32 v[30:31], v[30:31], v[36:37] neg_lo:[0,1] neg_hi:[0,1]
	v_mov_b32_e32 v32, v35
	v_mov_b32_e32 v33, v12
	v_pk_add_f32 v[12:13], v[32:33], v[30:31] neg_lo:[0,1] neg_hi:[0,1]
	v_mov_b32_e32 v40, v38
	v_pk_add_f32 v[30:31], v[40:41], v[12:13]
	s_nop 0
	v_mov_b32_e32 v32, v31
	v_pk_add_f32 v[32:33], v[30:31], v[32:33]
	s_nop 0
	v_pk_add_f32 v[34:35], v[14:15], v[32:33]
	v_mov_b32_e32 v13, v32
	v_mov_b32_e32 v31, v34
	v_pk_add_f32 v[36:37], v[30:31], v[38:39] neg_lo:[0,1] neg_hi:[0,1]
	s_nop 0
	v_sub_f32_e32 v14, v30, v36
	v_pk_add_f32 v[12:13], v[12:13], v[36:37] neg_lo:[0,1] neg_hi:[0,1]
	v_sub_f32_e32 v14, v38, v14
	v_add_f32_e32 v12, v12, v14
	v_add_f32_e32 v12, v12, v13
	;; [unrolled: 1-line block ×3, first 2 shown]
	v_cndmask_b32_e32 v151, v12, v42, vcc
.LBB24_87:                              ;   in Loop: Header=BB24_13 Depth=1
	s_or_b64 exec, exec, s[4:5]
	v_lshlrev_b32_e32 v12, 16, v15
	v_readlane_b32 s2, v166, 2
	s_nop 1
	v_add_f32_e32 v152, s2, v12
	v_readlane_b32 s2, v166, 23
	v_cmp_ge_f32_e32 vcc, s6, v152
	v_readlane_b32 s3, v166, 24
	s_and_b64 s[2:3], s[2:3], vcc
	s_and_saveexec_b64 s[4:5], s[2:3]
	s_cbranch_execz .LBB24_89
; %bb.88:                               ;   in Loop: Header=BB24_13 Depth=1
	v_mul_f32_e32 v12, 0x3fb8aa3b, v152
	v_rndne_f32_e32 v13, v12
	v_sub_f32_e32 v14, v12, v13
	v_fma_f32 v12, v152, s8, -v12
	v_fmac_f32_e32 v12, 0x32a5705f, v152
	v_add_f32_e32 v12, v14, v12
	v_cvt_i32_f32_e32 v13, v13
	v_exp_f32_e32 v12, v12
	v_cmp_ngt_f32_e32 vcc, s9, v152
	v_ldexp_f32 v12, v12, v13
	s_nop 0
	v_cndmask_b32_e32 v12, 0, v12, vcc
	v_cmp_nlt_f32_e32 vcc, s10, v152
	s_nop 1
	v_cndmask_b32_e32 v42, v142, v12, vcc
	v_add_f32_e32 v14, 1.0, v42
	v_add_f32_e32 v12, -1.0, v14
	v_sub_f32_e32 v13, v12, v14
	v_add_f32_e32 v13, 1.0, v13
	v_sub_f32_e32 v12, v42, v12
	v_add_f32_e32 v27, v12, v13
	v_frexp_mant_f32_e32 v29, v14
	v_cvt_f64_f32_e32 v[12:13], v14
	v_frexp_exp_i32_f64_e32 v12, v[12:13]
	v_cmp_gt_f32_e32 vcc, s12, v29
	v_cmp_gt_f32_e64 s[60:61], s16, v42
	s_nop 0
	v_subbrev_co_u32_e32 v36, vcc, 0, v12, vcc
	v_sub_u32_e32 v12, 0, v36
	v_ldexp_f32 v13, v14, v12
	v_add_f32_e32 v14, -1.0, v13
	v_add_f32_e32 v29, 1.0, v13
	v_ldexp_f32 v12, v27, v12
	v_add_f32_e32 v27, 1.0, v14
	v_add_f32_e32 v30, -1.0, v29
	v_sub_f32_e32 v27, v13, v27
	v_sub_f32_e32 v13, v13, v30
	v_add_f32_e32 v27, v12, v27
	v_add_f32_e32 v12, v12, v13
	;; [unrolled: 1-line block ×3, first 2 shown]
	v_rcp_f32_e32 v38, v37
	v_sub_f32_e32 v13, v29, v37
	v_add_f32_e32 v29, v12, v13
	v_add_f32_e32 v13, v14, v27
	v_sub_f32_e32 v12, v14, v13
	v_add_f32_e32 v14, v27, v12
	v_mul_f32_e32 v27, v13, v38
	v_mul_f32_e32 v30, v37, v27
	v_fma_f32 v32, v27, v37, -v30
	v_fmac_f32_e32 v32, v27, v29
	v_add_f32_e32 v12, v30, v32
	v_sub_f32_e32 v31, v13, v12
	v_pk_add_f32 v[34:35], v[12:13], v[30:31] neg_lo:[0,1] neg_hi:[0,1]
	v_mov_b32_e32 v33, v12
	v_pk_add_f32 v[12:13], v[34:35], v[32:33] neg_lo:[0,1] neg_hi:[0,1]
	v_cmp_eq_f32_e32 vcc, s11, v42
	v_add_f32_e32 v13, v14, v13
	v_add_f32_e32 v12, v12, v13
	;; [unrolled: 1-line block ×3, first 2 shown]
	v_mul_f32_e32 v14, v38, v13
	v_mul_f32_e32 v30, v37, v14
	v_fma_f32 v32, v14, v37, -v30
	v_fmac_f32_e32 v32, v14, v29
	v_sub_f32_e32 v29, v31, v13
	v_add_f32_e32 v29, v12, v29
	v_add_f32_e32 v12, v30, v32
	v_sub_f32_e32 v31, v13, v12
	v_pk_add_f32 v[34:35], v[12:13], v[30:31] neg_lo:[0,1] neg_hi:[0,1]
	v_mov_b32_e32 v33, v12
	v_pk_add_f32 v[12:13], v[34:35], v[32:33] neg_lo:[0,1] neg_hi:[0,1]
	s_or_b64 vcc, s[60:61], vcc
	v_add_f32_e32 v13, v29, v13
	v_add_f32_e32 v12, v12, v13
	;; [unrolled: 1-line block ×4, first 2 shown]
	v_sub_f32_e32 v27, v13, v27
	v_mul_f32_e32 v12, v38, v12
	v_sub_f32_e32 v14, v14, v27
	v_add_f32_e32 v14, v14, v12
	v_add_f32_e32 v27, v13, v14
	v_mul_f32_e32 v30, v27, v27
	v_fmamk_f32 v12, v30, 0x3e9b6dac, v141
	v_fmaak_f32 v29, v30, v12, 0x3f2aaada
	v_cvt_f32_i32_e32 v12, v36
	v_sub_f32_e32 v13, v27, v13
	v_sub_f32_e32 v13, v14, v13
	v_ldexp_f32 v14, v13, 1
	v_mul_f32_e32 v13, v27, v30
	v_pk_mul_f32 v[32:33], v[12:13], v[28:29]
	v_ldexp_f32 v31, v27, 1
	v_fma_f32 v30, v12, s13, -v32
	v_fmac_f32_e32 v30, 0xb102e308, v12
	v_pk_add_f32 v[12:13], v[32:33], v[30:31]
	v_mov_b32_e32 v34, v32
	v_sub_f32_e32 v27, v13, v31
	v_sub_f32_e32 v27, v33, v27
	v_add_f32_e32 v35, v14, v27
	v_pk_add_f32 v[32:33], v[12:13], v[32:33] neg_lo:[0,1] neg_hi:[0,1]
	v_pk_add_f32 v[36:37], v[12:13], v[34:35]
	v_mov_b32_e32 v31, v12
	v_mov_b32_e32 v33, v37
	v_pk_add_f32 v[38:39], v[30:31], v[32:33] neg_lo:[0,1] neg_hi:[0,1]
	v_pk_add_f32 v[30:31], v[30:31], v[32:33]
	s_nop 0
	v_mov_b32_e32 v14, v31
	v_pk_add_f32 v[32:33], v[14:15], v[12:13] neg_lo:[0,1] neg_hi:[0,1]
	v_mov_b32_e32 v30, v37
	v_mov_b32_e32 v27, v32
	v_pk_add_f32 v[40:41], v[36:37], v[26:27] neg_lo:[0,1] neg_hi:[0,1]
	v_mov_b32_e32 v36, v13
	v_mov_b32_e32 v37, v32
	;; [unrolled: 1-line block ×3, first 2 shown]
	v_pk_add_f32 v[30:31], v[30:31], v[36:37] neg_lo:[0,1] neg_hi:[0,1]
	v_mov_b32_e32 v32, v35
	v_mov_b32_e32 v33, v12
	v_pk_add_f32 v[12:13], v[32:33], v[30:31] neg_lo:[0,1] neg_hi:[0,1]
	v_mov_b32_e32 v40, v38
	v_pk_add_f32 v[30:31], v[40:41], v[12:13]
	s_nop 0
	v_mov_b32_e32 v32, v31
	v_pk_add_f32 v[32:33], v[30:31], v[32:33]
	s_nop 0
	v_pk_add_f32 v[34:35], v[14:15], v[32:33]
	v_mov_b32_e32 v13, v32
	v_mov_b32_e32 v31, v34
	v_pk_add_f32 v[36:37], v[30:31], v[38:39] neg_lo:[0,1] neg_hi:[0,1]
	s_nop 0
	v_sub_f32_e32 v14, v30, v36
	v_pk_add_f32 v[12:13], v[12:13], v[36:37] neg_lo:[0,1] neg_hi:[0,1]
	v_sub_f32_e32 v14, v38, v14
	v_add_f32_e32 v12, v12, v14
	v_add_f32_e32 v12, v12, v13
	;; [unrolled: 1-line block ×3, first 2 shown]
	v_cndmask_b32_e32 v152, v12, v42, vcc
.LBB24_89:                              ;   in Loop: Header=BB24_13 Depth=1
	s_or_b64 exec, exec, s[4:5]
	v_and_b32_e32 v12, 0xffff0000, v15
	v_readlane_b32 s2, v166, 2
	s_nop 1
	v_add_f32_e32 v153, s2, v12
	v_readlane_b32 s2, v166, 23
	v_cmp_ge_f32_e32 vcc, s6, v153
	v_readlane_b32 s3, v166, 24
	s_and_b64 s[2:3], s[2:3], vcc
	s_and_saveexec_b64 s[4:5], s[2:3]
	s_cbranch_execz .LBB24_91
; %bb.90:                               ;   in Loop: Header=BB24_13 Depth=1
	v_mul_f32_e32 v12, 0x3fb8aa3b, v153
	v_rndne_f32_e32 v13, v12
	v_sub_f32_e32 v14, v12, v13
	v_fma_f32 v12, v153, s8, -v12
	v_fmac_f32_e32 v12, 0x32a5705f, v153
	v_add_f32_e32 v12, v14, v12
	v_cvt_i32_f32_e32 v13, v13
	v_exp_f32_e32 v12, v12
	v_cmp_ngt_f32_e32 vcc, s9, v153
	v_ldexp_f32 v12, v12, v13
	s_nop 0
	v_cndmask_b32_e32 v12, 0, v12, vcc
	v_cmp_nlt_f32_e32 vcc, s10, v153
	s_nop 1
	v_cndmask_b32_e32 v42, v142, v12, vcc
	v_add_f32_e32 v14, 1.0, v42
	v_add_f32_e32 v12, -1.0, v14
	v_sub_f32_e32 v13, v12, v14
	v_add_f32_e32 v13, 1.0, v13
	v_sub_f32_e32 v12, v42, v12
	v_add_f32_e32 v15, v12, v13
	v_frexp_mant_f32_e32 v27, v14
	v_cvt_f64_f32_e32 v[12:13], v14
	v_frexp_exp_i32_f64_e32 v12, v[12:13]
	v_cmp_gt_f32_e32 vcc, s12, v27
	v_cmp_gt_f32_e64 s[60:61], s16, v42
	s_nop 0
	v_subbrev_co_u32_e32 v27, vcc, 0, v12, vcc
	v_sub_u32_e32 v12, 0, v27
	v_ldexp_f32 v13, v14, v12
	v_add_f32_e32 v14, -1.0, v13
	v_add_f32_e32 v29, 1.0, v13
	v_ldexp_f32 v12, v15, v12
	v_add_f32_e32 v15, 1.0, v14
	v_add_f32_e32 v30, -1.0, v29
	v_sub_f32_e32 v15, v13, v15
	v_sub_f32_e32 v13, v13, v30
	v_add_f32_e32 v15, v12, v15
	v_add_f32_e32 v12, v12, v13
	v_add_f32_e32 v34, v29, v12
	v_rcp_f32_e32 v35, v34
	v_sub_f32_e32 v13, v29, v34
	v_add_f32_e32 v29, v12, v13
	v_add_f32_e32 v13, v14, v15
	v_mul_f32_e32 v37, v13, v35
	v_sub_f32_e32 v12, v14, v13
	v_mul_f32_e32 v14, v34, v37
	v_fma_f32 v30, v37, v34, -v14
	v_fmac_f32_e32 v30, v37, v29
	v_add_f32_e32 v36, v15, v12
	v_add_f32_e32 v12, v14, v30
	v_sub_f32_e32 v15, v13, v12
	v_pk_add_f32 v[32:33], v[12:13], v[14:15] neg_lo:[0,1] neg_hi:[0,1]
	v_mov_b32_e32 v31, v12
	v_pk_add_f32 v[12:13], v[32:33], v[30:31] neg_lo:[0,1] neg_hi:[0,1]
	v_cmp_eq_f32_e32 vcc, s11, v42
	v_add_f32_e32 v13, v36, v13
	v_add_f32_e32 v12, v12, v13
	;; [unrolled: 1-line block ×3, first 2 shown]
	v_mul_f32_e32 v36, v35, v13
	v_mul_f32_e32 v14, v34, v36
	v_fma_f32 v30, v36, v34, -v14
	v_fmac_f32_e32 v30, v36, v29
	v_sub_f32_e32 v15, v15, v13
	v_add_f32_e32 v29, v12, v15
	v_add_f32_e32 v12, v14, v30
	v_sub_f32_e32 v15, v13, v12
	v_pk_add_f32 v[32:33], v[12:13], v[14:15] neg_lo:[0,1] neg_hi:[0,1]
	v_mov_b32_e32 v31, v12
	v_pk_add_f32 v[12:13], v[32:33], v[30:31] neg_lo:[0,1] neg_hi:[0,1]
	s_or_b64 vcc, s[60:61], vcc
	v_add_f32_e32 v13, v29, v13
	v_add_f32_e32 v12, v12, v13
	;; [unrolled: 1-line block ×4, first 2 shown]
	v_sub_f32_e32 v14, v13, v37
	v_mul_f32_e32 v12, v35, v12
	v_sub_f32_e32 v14, v36, v14
	v_add_f32_e32 v14, v14, v12
	v_add_f32_e32 v30, v13, v14
	v_mul_f32_e32 v31, v30, v30
	v_fmamk_f32 v12, v31, 0x3e9b6dac, v141
	v_fmaak_f32 v29, v31, v12, 0x3f2aaada
	v_cvt_f32_i32_e32 v12, v27
	v_sub_f32_e32 v13, v30, v13
	v_sub_f32_e32 v13, v14, v13
	v_ldexp_f32 v27, v13, 1
	v_mul_f32_e32 v13, v30, v31
	v_ldexp_f32 v15, v30, 1
	v_pk_mul_f32 v[30:31], v[12:13], v[28:29]
	s_nop 0
	v_fma_f32 v14, v12, s13, -v30
	v_fmac_f32_e32 v14, 0xb102e308, v12
	v_pk_add_f32 v[12:13], v[30:31], v[14:15]
	v_mov_b32_e32 v32, v30
	v_sub_f32_e32 v15, v13, v15
	v_sub_f32_e32 v15, v31, v15
	v_add_f32_e32 v33, v27, v15
	v_pk_add_f32 v[30:31], v[12:13], v[30:31] neg_lo:[0,1] neg_hi:[0,1]
	v_pk_add_f32 v[34:35], v[12:13], v[32:33]
	v_mov_b32_e32 v15, v12
	v_mov_b32_e32 v31, v35
	v_pk_add_f32 v[36:37], v[14:15], v[30:31] neg_lo:[0,1] neg_hi:[0,1]
	v_pk_add_f32 v[14:15], v[14:15], v[30:31]
	v_mov_b32_e32 v32, v33
	v_mov_b32_e32 v30, v15
	v_pk_add_f32 v[38:39], v[30:31], v[12:13] neg_lo:[0,1] neg_hi:[0,1]
	v_mov_b32_e32 v14, v35
	v_mov_b32_e32 v27, v38
	v_pk_add_f32 v[40:41], v[34:35], v[26:27] neg_lo:[0,1] neg_hi:[0,1]
	v_mov_b32_e32 v34, v13
	v_mov_b32_e32 v35, v38
	;; [unrolled: 1-line block ×3, first 2 shown]
	v_pk_add_f32 v[14:15], v[14:15], v[34:35] neg_lo:[0,1] neg_hi:[0,1]
	v_mov_b32_e32 v33, v12
	v_pk_add_f32 v[12:13], v[32:33], v[14:15] neg_lo:[0,1] neg_hi:[0,1]
	v_mov_b32_e32 v40, v36
	v_pk_add_f32 v[14:15], v[40:41], v[12:13]
	s_nop 0
	v_mov_b32_e32 v32, v15
	v_pk_add_f32 v[32:33], v[14:15], v[32:33]
	s_nop 0
	v_pk_add_f32 v[30:31], v[30:31], v[32:33]
	v_mov_b32_e32 v13, v32
	v_mov_b32_e32 v15, v30
	v_pk_add_f32 v[34:35], v[14:15], v[36:37] neg_lo:[0,1] neg_hi:[0,1]
	s_nop 0
	v_sub_f32_e32 v14, v14, v34
	v_pk_add_f32 v[12:13], v[12:13], v[34:35] neg_lo:[0,1] neg_hi:[0,1]
	v_sub_f32_e32 v14, v36, v14
	v_add_f32_e32 v12, v12, v14
	v_add_f32_e32 v12, v12, v13
	;; [unrolled: 1-line block ×3, first 2 shown]
	v_cndmask_b32_e32 v153, v12, v42, vcc
.LBB24_91:                              ;   in Loop: Header=BB24_13 Depth=1
	s_or_b64 exec, exec, s[4:5]
	s_waitcnt lgkmcnt(0)
	v_lshlrev_b32_e32 v12, 16, v8
	v_readlane_b32 s2, v166, 2
	s_nop 1
	v_add_f32_e32 v154, s2, v12
	v_readlane_b32 s2, v166, 23
	v_cmp_ge_f32_e32 vcc, s6, v154
	v_readlane_b32 s3, v166, 24
	s_and_b64 s[2:3], s[2:3], vcc
	s_and_saveexec_b64 s[4:5], s[2:3]
	s_cbranch_execz .LBB24_93
; %bb.92:                               ;   in Loop: Header=BB24_13 Depth=1
	v_mul_f32_e32 v12, 0x3fb8aa3b, v154
	v_rndne_f32_e32 v13, v12
	v_sub_f32_e32 v14, v12, v13
	v_fma_f32 v12, v154, s8, -v12
	v_fmac_f32_e32 v12, 0x32a5705f, v154
	v_add_f32_e32 v12, v14, v12
	v_cvt_i32_f32_e32 v13, v13
	v_exp_f32_e32 v12, v12
	v_cmp_ngt_f32_e32 vcc, s9, v154
	v_ldexp_f32 v12, v12, v13
	s_nop 0
	v_cndmask_b32_e32 v12, 0, v12, vcc
	v_cmp_nlt_f32_e32 vcc, s10, v154
	s_nop 1
	v_cndmask_b32_e32 v42, v142, v12, vcc
	v_add_f32_e32 v14, 1.0, v42
	v_add_f32_e32 v12, -1.0, v14
	v_sub_f32_e32 v13, v12, v14
	v_add_f32_e32 v13, 1.0, v13
	v_sub_f32_e32 v12, v42, v12
	v_add_f32_e32 v15, v12, v13
	v_frexp_mant_f32_e32 v27, v14
	v_cvt_f64_f32_e32 v[12:13], v14
	v_frexp_exp_i32_f64_e32 v12, v[12:13]
	v_cmp_gt_f32_e32 vcc, s12, v27
	v_cmp_gt_f32_e64 s[60:61], s16, v42
	s_nop 0
	v_subbrev_co_u32_e32 v27, vcc, 0, v12, vcc
	v_sub_u32_e32 v12, 0, v27
	v_ldexp_f32 v13, v14, v12
	v_add_f32_e32 v14, -1.0, v13
	v_add_f32_e32 v29, 1.0, v13
	v_ldexp_f32 v12, v15, v12
	v_add_f32_e32 v15, 1.0, v14
	v_add_f32_e32 v30, -1.0, v29
	v_sub_f32_e32 v15, v13, v15
	v_sub_f32_e32 v13, v13, v30
	v_add_f32_e32 v15, v12, v15
	v_add_f32_e32 v12, v12, v13
	;; [unrolled: 1-line block ×3, first 2 shown]
	v_rcp_f32_e32 v35, v34
	v_sub_f32_e32 v13, v29, v34
	v_add_f32_e32 v29, v12, v13
	v_add_f32_e32 v13, v14, v15
	v_mul_f32_e32 v37, v13, v35
	v_sub_f32_e32 v12, v14, v13
	v_mul_f32_e32 v14, v34, v37
	v_fma_f32 v30, v37, v34, -v14
	v_fmac_f32_e32 v30, v37, v29
	v_add_f32_e32 v36, v15, v12
	v_add_f32_e32 v12, v14, v30
	v_sub_f32_e32 v15, v13, v12
	v_pk_add_f32 v[32:33], v[12:13], v[14:15] neg_lo:[0,1] neg_hi:[0,1]
	v_mov_b32_e32 v31, v12
	v_pk_add_f32 v[12:13], v[32:33], v[30:31] neg_lo:[0,1] neg_hi:[0,1]
	v_cmp_eq_f32_e32 vcc, s11, v42
	v_add_f32_e32 v13, v36, v13
	v_add_f32_e32 v12, v12, v13
	v_add_f32_e32 v13, v15, v12
	v_mul_f32_e32 v36, v35, v13
	v_mul_f32_e32 v14, v34, v36
	v_fma_f32 v30, v36, v34, -v14
	v_fmac_f32_e32 v30, v36, v29
	v_sub_f32_e32 v15, v15, v13
	v_add_f32_e32 v29, v12, v15
	v_add_f32_e32 v12, v14, v30
	v_sub_f32_e32 v15, v13, v12
	v_pk_add_f32 v[32:33], v[12:13], v[14:15] neg_lo:[0,1] neg_hi:[0,1]
	v_mov_b32_e32 v31, v12
	v_pk_add_f32 v[12:13], v[32:33], v[30:31] neg_lo:[0,1] neg_hi:[0,1]
	s_or_b64 vcc, s[60:61], vcc
	v_add_f32_e32 v13, v29, v13
	v_add_f32_e32 v12, v12, v13
	;; [unrolled: 1-line block ×4, first 2 shown]
	v_sub_f32_e32 v14, v13, v37
	v_mul_f32_e32 v12, v35, v12
	v_sub_f32_e32 v14, v36, v14
	v_add_f32_e32 v14, v14, v12
	v_add_f32_e32 v30, v13, v14
	v_mul_f32_e32 v31, v30, v30
	v_fmamk_f32 v12, v31, 0x3e9b6dac, v141
	v_fmaak_f32 v29, v31, v12, 0x3f2aaada
	v_cvt_f32_i32_e32 v12, v27
	v_sub_f32_e32 v13, v30, v13
	v_sub_f32_e32 v13, v14, v13
	v_ldexp_f32 v27, v13, 1
	v_mul_f32_e32 v13, v30, v31
	v_ldexp_f32 v15, v30, 1
	v_pk_mul_f32 v[30:31], v[12:13], v[28:29]
	s_nop 0
	v_fma_f32 v14, v12, s13, -v30
	v_fmac_f32_e32 v14, 0xb102e308, v12
	v_pk_add_f32 v[12:13], v[30:31], v[14:15]
	v_mov_b32_e32 v32, v30
	v_sub_f32_e32 v15, v13, v15
	v_sub_f32_e32 v15, v31, v15
	v_add_f32_e32 v33, v27, v15
	v_pk_add_f32 v[30:31], v[12:13], v[30:31] neg_lo:[0,1] neg_hi:[0,1]
	v_pk_add_f32 v[34:35], v[12:13], v[32:33]
	v_mov_b32_e32 v15, v12
	v_mov_b32_e32 v31, v35
	v_pk_add_f32 v[36:37], v[14:15], v[30:31] neg_lo:[0,1] neg_hi:[0,1]
	v_pk_add_f32 v[14:15], v[14:15], v[30:31]
	v_mov_b32_e32 v32, v33
	v_mov_b32_e32 v30, v15
	v_pk_add_f32 v[38:39], v[30:31], v[12:13] neg_lo:[0,1] neg_hi:[0,1]
	v_mov_b32_e32 v14, v35
	v_mov_b32_e32 v27, v38
	v_pk_add_f32 v[40:41], v[34:35], v[26:27] neg_lo:[0,1] neg_hi:[0,1]
	v_mov_b32_e32 v34, v13
	v_mov_b32_e32 v35, v38
	;; [unrolled: 1-line block ×3, first 2 shown]
	v_pk_add_f32 v[14:15], v[14:15], v[34:35] neg_lo:[0,1] neg_hi:[0,1]
	v_mov_b32_e32 v33, v12
	v_pk_add_f32 v[12:13], v[32:33], v[14:15] neg_lo:[0,1] neg_hi:[0,1]
	v_mov_b32_e32 v40, v36
	v_pk_add_f32 v[14:15], v[40:41], v[12:13]
	s_nop 0
	v_mov_b32_e32 v32, v15
	v_pk_add_f32 v[32:33], v[14:15], v[32:33]
	s_nop 0
	v_pk_add_f32 v[30:31], v[30:31], v[32:33]
	v_mov_b32_e32 v13, v32
	v_mov_b32_e32 v15, v30
	v_pk_add_f32 v[34:35], v[14:15], v[36:37] neg_lo:[0,1] neg_hi:[0,1]
	s_nop 0
	v_sub_f32_e32 v14, v14, v34
	v_pk_add_f32 v[12:13], v[12:13], v[34:35] neg_lo:[0,1] neg_hi:[0,1]
	v_sub_f32_e32 v14, v36, v14
	v_add_f32_e32 v12, v12, v14
	v_add_f32_e32 v12, v12, v13
	;; [unrolled: 1-line block ×3, first 2 shown]
	v_cndmask_b32_e32 v154, v12, v42, vcc
.LBB24_93:                              ;   in Loop: Header=BB24_13 Depth=1
	s_or_b64 exec, exec, s[4:5]
	v_and_b32_e32 v8, 0xffff0000, v8
	v_readlane_b32 s2, v166, 2
	s_nop 1
	v_add_f32_e32 v155, s2, v8
	v_readlane_b32 s2, v166, 23
	v_cmp_ge_f32_e32 vcc, s6, v155
	v_readlane_b32 s3, v166, 24
	s_and_b64 s[2:3], s[2:3], vcc
	s_and_saveexec_b64 s[4:5], s[2:3]
	s_cbranch_execz .LBB24_95
; %bb.94:                               ;   in Loop: Header=BB24_13 Depth=1
	v_mul_f32_e32 v8, 0x3fb8aa3b, v155
	v_rndne_f32_e32 v12, v8
	v_sub_f32_e32 v13, v8, v12
	v_fma_f32 v8, v155, s8, -v8
	v_fmac_f32_e32 v8, 0x32a5705f, v155
	v_add_f32_e32 v8, v13, v8
	v_cvt_i32_f32_e32 v12, v12
	v_exp_f32_e32 v8, v8
	v_cmp_ngt_f32_e32 vcc, s9, v155
	v_ldexp_f32 v8, v8, v12
	s_nop 0
	v_cndmask_b32_e32 v8, 0, v8, vcc
	v_cmp_nlt_f32_e32 vcc, s10, v155
	s_nop 1
	v_cndmask_b32_e32 v40, v142, v8, vcc
	v_add_f32_e32 v8, 1.0, v40
	v_add_f32_e32 v12, -1.0, v8
	v_sub_f32_e32 v13, v12, v8
	v_add_f32_e32 v13, 1.0, v13
	v_sub_f32_e32 v12, v40, v12
	v_add_f32_e32 v14, v12, v13
	v_frexp_mant_f32_e32 v15, v8
	v_cvt_f64_f32_e32 v[12:13], v8
	v_frexp_exp_i32_f64_e32 v12, v[12:13]
	v_cmp_gt_f32_e32 vcc, s12, v15
	v_cmp_gt_f32_e64 s[60:61], s16, v40
	s_nop 0
	v_subbrev_co_u32_e32 v27, vcc, 0, v12, vcc
	v_sub_u32_e32 v12, 0, v27
	v_ldexp_f32 v8, v8, v12
	v_ldexp_f32 v12, v14, v12
	v_add_f32_e32 v14, -1.0, v8
	v_add_f32_e32 v13, 1.0, v14
	v_sub_f32_e32 v13, v8, v13
	v_add_f32_e32 v15, v12, v13
	v_add_f32_e32 v13, 1.0, v8
	v_add_f32_e32 v29, -1.0, v13
	v_sub_f32_e32 v8, v8, v29
	v_add_f32_e32 v8, v12, v8
	v_add_f32_e32 v29, v13, v8
	v_rcp_f32_e32 v34, v29
	v_sub_f32_e32 v12, v13, v29
	v_add_f32_e32 v13, v14, v15
	v_add_f32_e32 v8, v8, v12
	v_mul_f32_e32 v36, v13, v34
	v_sub_f32_e32 v12, v14, v13
	v_mul_f32_e32 v14, v29, v36
	v_fma_f32 v30, v36, v29, -v14
	v_fmac_f32_e32 v30, v36, v8
	v_add_f32_e32 v35, v15, v12
	v_add_f32_e32 v12, v14, v30
	v_sub_f32_e32 v15, v13, v12
	v_pk_add_f32 v[32:33], v[12:13], v[14:15] neg_lo:[0,1] neg_hi:[0,1]
	v_mov_b32_e32 v31, v12
	v_pk_add_f32 v[12:13], v[32:33], v[30:31] neg_lo:[0,1] neg_hi:[0,1]
	v_cmp_eq_f32_e32 vcc, s11, v40
	v_add_f32_e32 v13, v35, v13
	v_add_f32_e32 v12, v12, v13
	;; [unrolled: 1-line block ×3, first 2 shown]
	v_mul_f32_e32 v35, v34, v13
	v_mul_f32_e32 v14, v29, v35
	v_fma_f32 v30, v35, v29, -v14
	v_fmac_f32_e32 v30, v35, v8
	v_sub_f32_e32 v8, v15, v13
	v_add_f32_e32 v8, v12, v8
	v_add_f32_e32 v12, v14, v30
	v_sub_f32_e32 v15, v13, v12
	v_pk_add_f32 v[32:33], v[12:13], v[14:15] neg_lo:[0,1] neg_hi:[0,1]
	v_mov_b32_e32 v31, v12
	v_pk_add_f32 v[12:13], v[32:33], v[30:31] neg_lo:[0,1] neg_hi:[0,1]
	s_or_b64 vcc, s[60:61], vcc
	v_add_f32_e32 v8, v8, v13
	v_add_f32_e32 v8, v12, v8
	;; [unrolled: 1-line block ×4, first 2 shown]
	v_sub_f32_e32 v12, v13, v36
	v_mul_f32_e32 v8, v34, v8
	v_sub_f32_e32 v12, v35, v12
	v_add_f32_e32 v8, v12, v8
	v_add_f32_e32 v14, v13, v8
	v_mul_f32_e32 v30, v14, v14
	v_fmamk_f32 v12, v30, 0x3e9b6dac, v141
	v_fmaak_f32 v29, v30, v12, 0x3f2aaada
	v_cvt_f32_i32_e32 v12, v27
	v_sub_f32_e32 v13, v14, v13
	v_sub_f32_e32 v8, v8, v13
	v_mul_f32_e32 v13, v14, v30
	v_pk_mul_f32 v[30:31], v[12:13], v[28:29]
	v_ldexp_f32 v15, v14, 1
	v_fma_f32 v14, v12, s13, -v30
	v_fmac_f32_e32 v14, 0xb102e308, v12
	v_pk_add_f32 v[12:13], v[30:31], v[14:15]
	v_ldexp_f32 v8, v8, 1
	v_sub_f32_e32 v15, v13, v15
	v_sub_f32_e32 v15, v31, v15
	v_add_f32_e32 v33, v8, v15
	v_mov_b32_e32 v32, v30
	v_pk_add_f32 v[30:31], v[12:13], v[30:31] neg_lo:[0,1] neg_hi:[0,1]
	v_pk_add_f32 v[34:35], v[12:13], v[32:33]
	v_mov_b32_e32 v15, v12
	v_mov_b32_e32 v31, v35
	v_pk_add_f32 v[36:37], v[14:15], v[30:31] neg_lo:[0,1] neg_hi:[0,1]
	v_pk_add_f32 v[14:15], v[14:15], v[30:31]
	s_nop 0
	v_mov_b32_e32 v8, v15
	v_pk_add_f32 v[30:31], v[8:9], v[12:13] neg_lo:[0,1] neg_hi:[0,1]
	v_mov_b32_e32 v14, v35
	v_mov_b32_e32 v27, v30
	v_pk_add_f32 v[38:39], v[34:35], v[26:27] neg_lo:[0,1] neg_hi:[0,1]
	v_mov_b32_e32 v34, v13
	v_mov_b32_e32 v35, v30
	;; [unrolled: 1-line block ×3, first 2 shown]
	v_pk_add_f32 v[14:15], v[14:15], v[34:35] neg_lo:[0,1] neg_hi:[0,1]
	v_mov_b32_e32 v30, v33
	v_mov_b32_e32 v31, v12
	v_pk_add_f32 v[12:13], v[30:31], v[14:15] neg_lo:[0,1] neg_hi:[0,1]
	v_mov_b32_e32 v38, v36
	v_pk_add_f32 v[14:15], v[38:39], v[12:13]
	s_nop 0
	v_mov_b32_e32 v30, v15
	v_pk_add_f32 v[30:31], v[14:15], v[30:31]
	s_nop 0
	v_pk_add_f32 v[32:33], v[8:9], v[30:31]
	v_mov_b32_e32 v13, v30
	v_mov_b32_e32 v15, v32
	v_pk_add_f32 v[34:35], v[14:15], v[36:37] neg_lo:[0,1] neg_hi:[0,1]
	s_nop 0
	v_sub_f32_e32 v8, v14, v34
	v_pk_add_f32 v[12:13], v[12:13], v[34:35] neg_lo:[0,1] neg_hi:[0,1]
	v_sub_f32_e32 v8, v36, v8
	v_add_f32_e32 v8, v12, v8
	v_add_f32_e32 v8, v8, v13
	;; [unrolled: 1-line block ×3, first 2 shown]
	v_cndmask_b32_e32 v155, v8, v40, vcc
.LBB24_95:                              ;   in Loop: Header=BB24_13 Depth=1
	s_or_b64 exec, exec, s[4:5]
	v_lshlrev_b32_e32 v8, 16, v9
	v_readlane_b32 s2, v166, 2
	s_nop 1
	v_add_f32_e32 v156, s2, v8
	v_readlane_b32 s2, v166, 23
	v_cmp_ge_f32_e32 vcc, s6, v156
	v_readlane_b32 s3, v166, 24
	s_and_b64 s[2:3], s[2:3], vcc
	s_and_saveexec_b64 s[4:5], s[2:3]
	s_cbranch_execz .LBB24_97
; %bb.96:                               ;   in Loop: Header=BB24_13 Depth=1
	v_mul_f32_e32 v8, 0x3fb8aa3b, v156
	v_rndne_f32_e32 v12, v8
	v_sub_f32_e32 v13, v8, v12
	v_fma_f32 v8, v156, s8, -v8
	v_fmac_f32_e32 v8, 0x32a5705f, v156
	v_add_f32_e32 v8, v13, v8
	v_cvt_i32_f32_e32 v12, v12
	v_exp_f32_e32 v8, v8
	v_cmp_ngt_f32_e32 vcc, s9, v156
	v_ldexp_f32 v8, v8, v12
	s_nop 0
	v_cndmask_b32_e32 v8, 0, v8, vcc
	v_cmp_nlt_f32_e32 vcc, s10, v156
	s_nop 1
	v_cndmask_b32_e32 v40, v142, v8, vcc
	v_add_f32_e32 v8, 1.0, v40
	v_add_f32_e32 v12, -1.0, v8
	v_sub_f32_e32 v13, v12, v8
	v_add_f32_e32 v13, 1.0, v13
	v_sub_f32_e32 v12, v40, v12
	v_add_f32_e32 v14, v12, v13
	v_frexp_mant_f32_e32 v15, v8
	v_cvt_f64_f32_e32 v[12:13], v8
	v_frexp_exp_i32_f64_e32 v12, v[12:13]
	v_cmp_gt_f32_e32 vcc, s12, v15
	v_cmp_gt_f32_e64 s[60:61], s16, v40
	s_nop 0
	v_subbrev_co_u32_e32 v27, vcc, 0, v12, vcc
	v_sub_u32_e32 v12, 0, v27
	v_ldexp_f32 v8, v8, v12
	v_ldexp_f32 v12, v14, v12
	v_add_f32_e32 v14, -1.0, v8
	v_add_f32_e32 v13, 1.0, v14
	v_sub_f32_e32 v13, v8, v13
	v_add_f32_e32 v15, v12, v13
	v_add_f32_e32 v13, 1.0, v8
	v_add_f32_e32 v29, -1.0, v13
	v_sub_f32_e32 v8, v8, v29
	v_add_f32_e32 v8, v12, v8
	v_add_f32_e32 v29, v13, v8
	v_rcp_f32_e32 v34, v29
	v_sub_f32_e32 v12, v13, v29
	v_add_f32_e32 v13, v14, v15
	v_add_f32_e32 v8, v8, v12
	v_mul_f32_e32 v36, v13, v34
	v_sub_f32_e32 v12, v14, v13
	v_mul_f32_e32 v14, v29, v36
	v_fma_f32 v30, v36, v29, -v14
	v_fmac_f32_e32 v30, v36, v8
	v_add_f32_e32 v35, v15, v12
	v_add_f32_e32 v12, v14, v30
	v_sub_f32_e32 v15, v13, v12
	v_pk_add_f32 v[32:33], v[12:13], v[14:15] neg_lo:[0,1] neg_hi:[0,1]
	v_mov_b32_e32 v31, v12
	v_pk_add_f32 v[12:13], v[32:33], v[30:31] neg_lo:[0,1] neg_hi:[0,1]
	v_cmp_eq_f32_e32 vcc, s11, v40
	v_add_f32_e32 v13, v35, v13
	v_add_f32_e32 v12, v12, v13
	;; [unrolled: 1-line block ×3, first 2 shown]
	v_mul_f32_e32 v35, v34, v13
	v_mul_f32_e32 v14, v29, v35
	v_fma_f32 v30, v35, v29, -v14
	v_fmac_f32_e32 v30, v35, v8
	v_sub_f32_e32 v8, v15, v13
	v_add_f32_e32 v8, v12, v8
	v_add_f32_e32 v12, v14, v30
	v_sub_f32_e32 v15, v13, v12
	v_pk_add_f32 v[32:33], v[12:13], v[14:15] neg_lo:[0,1] neg_hi:[0,1]
	v_mov_b32_e32 v31, v12
	v_pk_add_f32 v[12:13], v[32:33], v[30:31] neg_lo:[0,1] neg_hi:[0,1]
	s_or_b64 vcc, s[60:61], vcc
	v_add_f32_e32 v8, v8, v13
	v_add_f32_e32 v8, v12, v8
	v_add_f32_e32 v13, v36, v35
	v_add_f32_e32 v8, v15, v8
	v_sub_f32_e32 v12, v13, v36
	v_mul_f32_e32 v8, v34, v8
	v_sub_f32_e32 v12, v35, v12
	v_add_f32_e32 v8, v12, v8
	v_add_f32_e32 v14, v13, v8
	v_mul_f32_e32 v30, v14, v14
	v_fmamk_f32 v12, v30, 0x3e9b6dac, v141
	v_fmaak_f32 v29, v30, v12, 0x3f2aaada
	v_cvt_f32_i32_e32 v12, v27
	v_sub_f32_e32 v13, v14, v13
	v_sub_f32_e32 v8, v8, v13
	v_mul_f32_e32 v13, v14, v30
	v_pk_mul_f32 v[30:31], v[12:13], v[28:29]
	v_ldexp_f32 v15, v14, 1
	v_fma_f32 v14, v12, s13, -v30
	v_fmac_f32_e32 v14, 0xb102e308, v12
	v_pk_add_f32 v[12:13], v[30:31], v[14:15]
	v_ldexp_f32 v8, v8, 1
	v_sub_f32_e32 v15, v13, v15
	v_sub_f32_e32 v15, v31, v15
	v_add_f32_e32 v33, v8, v15
	v_mov_b32_e32 v32, v30
	v_pk_add_f32 v[30:31], v[12:13], v[30:31] neg_lo:[0,1] neg_hi:[0,1]
	v_pk_add_f32 v[34:35], v[12:13], v[32:33]
	v_mov_b32_e32 v15, v12
	v_mov_b32_e32 v31, v35
	v_pk_add_f32 v[36:37], v[14:15], v[30:31] neg_lo:[0,1] neg_hi:[0,1]
	v_pk_add_f32 v[14:15], v[14:15], v[30:31]
	s_nop 0
	v_mov_b32_e32 v8, v15
	v_pk_add_f32 v[30:31], v[8:9], v[12:13] neg_lo:[0,1] neg_hi:[0,1]
	v_mov_b32_e32 v14, v35
	v_mov_b32_e32 v27, v30
	v_pk_add_f32 v[38:39], v[34:35], v[26:27] neg_lo:[0,1] neg_hi:[0,1]
	v_mov_b32_e32 v34, v13
	v_mov_b32_e32 v35, v30
	;; [unrolled: 1-line block ×3, first 2 shown]
	v_pk_add_f32 v[14:15], v[14:15], v[34:35] neg_lo:[0,1] neg_hi:[0,1]
	v_mov_b32_e32 v30, v33
	v_mov_b32_e32 v31, v12
	v_pk_add_f32 v[12:13], v[30:31], v[14:15] neg_lo:[0,1] neg_hi:[0,1]
	v_mov_b32_e32 v38, v36
	v_pk_add_f32 v[14:15], v[38:39], v[12:13]
	s_nop 0
	v_mov_b32_e32 v30, v15
	v_pk_add_f32 v[30:31], v[14:15], v[30:31]
	s_nop 0
	v_pk_add_f32 v[32:33], v[8:9], v[30:31]
	v_mov_b32_e32 v13, v30
	v_mov_b32_e32 v15, v32
	v_pk_add_f32 v[34:35], v[14:15], v[36:37] neg_lo:[0,1] neg_hi:[0,1]
	s_nop 0
	v_sub_f32_e32 v8, v14, v34
	v_pk_add_f32 v[12:13], v[12:13], v[34:35] neg_lo:[0,1] neg_hi:[0,1]
	v_sub_f32_e32 v8, v36, v8
	v_add_f32_e32 v8, v12, v8
	v_add_f32_e32 v8, v8, v13
	;; [unrolled: 1-line block ×3, first 2 shown]
	v_cndmask_b32_e32 v156, v8, v40, vcc
.LBB24_97:                              ;   in Loop: Header=BB24_13 Depth=1
	s_or_b64 exec, exec, s[4:5]
	v_and_b32_e32 v8, 0xffff0000, v9
	v_readlane_b32 s2, v166, 2
	s_nop 1
	v_add_f32_e32 v157, s2, v8
	v_readlane_b32 s2, v166, 23
	v_cmp_ge_f32_e32 vcc, s6, v157
	v_readlane_b32 s3, v166, 24
	s_and_b64 s[2:3], s[2:3], vcc
	s_and_saveexec_b64 s[4:5], s[2:3]
	s_cbranch_execz .LBB24_99
; %bb.98:                               ;   in Loop: Header=BB24_13 Depth=1
	v_mul_f32_e32 v8, 0x3fb8aa3b, v157
	v_rndne_f32_e32 v9, v8
	v_sub_f32_e32 v12, v8, v9
	v_fma_f32 v8, v157, s8, -v8
	v_fmac_f32_e32 v8, 0x32a5705f, v157
	v_add_f32_e32 v8, v12, v8
	v_cvt_i32_f32_e32 v9, v9
	v_exp_f32_e32 v8, v8
	v_cmp_ngt_f32_e32 vcc, s9, v157
	v_ldexp_f32 v8, v8, v9
	s_nop 0
	v_cndmask_b32_e32 v8, 0, v8, vcc
	v_cmp_nlt_f32_e32 vcc, s10, v157
	s_nop 1
	v_cndmask_b32_e32 v27, v142, v8, vcc
	v_add_f32_e32 v12, 1.0, v27
	v_add_f32_e32 v8, -1.0, v12
	v_sub_f32_e32 v9, v8, v12
	v_add_f32_e32 v9, 1.0, v9
	v_sub_f32_e32 v8, v27, v8
	v_add_f32_e32 v13, v8, v9
	v_frexp_mant_f32_e32 v14, v12
	v_cvt_f64_f32_e32 v[8:9], v12
	v_frexp_exp_i32_f64_e32 v8, v[8:9]
	v_cmp_gt_f32_e32 vcc, s12, v14
	v_cmp_gt_f32_e64 s[60:61], s16, v27
	s_nop 0
	v_subbrev_co_u32_e32 v32, vcc, 0, v8, vcc
	v_sub_u32_e32 v8, 0, v32
	v_ldexp_f32 v9, v12, v8
	v_add_f32_e32 v12, -1.0, v9
	v_add_f32_e32 v14, 1.0, v9
	v_ldexp_f32 v8, v13, v8
	v_add_f32_e32 v13, 1.0, v12
	v_add_f32_e32 v15, -1.0, v14
	v_sub_f32_e32 v13, v9, v13
	v_sub_f32_e32 v9, v9, v15
	v_add_f32_e32 v13, v8, v13
	v_add_f32_e32 v8, v8, v9
	;; [unrolled: 1-line block ×3, first 2 shown]
	v_rcp_f32_e32 v34, v29
	v_sub_f32_e32 v9, v14, v29
	v_add_f32_e32 v33, v8, v9
	v_add_f32_e32 v9, v12, v13
	v_mul_f32_e32 v36, v9, v34
	v_sub_f32_e32 v8, v12, v9
	v_mul_f32_e32 v12, v29, v36
	v_fma_f32 v14, v36, v29, -v12
	v_fmac_f32_e32 v14, v36, v33
	v_add_f32_e32 v35, v13, v8
	v_add_f32_e32 v8, v12, v14
	v_sub_f32_e32 v13, v9, v8
	v_pk_add_f32 v[30:31], v[8:9], v[12:13] neg_lo:[0,1] neg_hi:[0,1]
	v_mov_b32_e32 v15, v8
	v_pk_add_f32 v[8:9], v[30:31], v[14:15] neg_lo:[0,1] neg_hi:[0,1]
	v_cmp_eq_f32_e32 vcc, s11, v27
	v_add_f32_e32 v9, v35, v9
	v_add_f32_e32 v8, v8, v9
	;; [unrolled: 1-line block ×3, first 2 shown]
	v_mul_f32_e32 v35, v34, v9
	v_mul_f32_e32 v12, v29, v35
	v_fma_f32 v14, v35, v29, -v12
	v_fmac_f32_e32 v14, v35, v33
	v_sub_f32_e32 v13, v13, v9
	v_add_f32_e32 v29, v8, v13
	v_add_f32_e32 v8, v12, v14
	v_sub_f32_e32 v13, v9, v8
	v_pk_add_f32 v[30:31], v[8:9], v[12:13] neg_lo:[0,1] neg_hi:[0,1]
	v_mov_b32_e32 v15, v8
	v_pk_add_f32 v[8:9], v[30:31], v[14:15] neg_lo:[0,1] neg_hi:[0,1]
	s_or_b64 vcc, s[60:61], vcc
	v_add_f32_e32 v9, v29, v9
	v_add_f32_e32 v8, v8, v9
	;; [unrolled: 1-line block ×4, first 2 shown]
	v_sub_f32_e32 v12, v9, v36
	v_mul_f32_e32 v8, v34, v8
	v_sub_f32_e32 v12, v35, v12
	v_add_f32_e32 v12, v12, v8
	v_add_f32_e32 v14, v9, v12
	v_mul_f32_e32 v15, v14, v14
	v_fmamk_f32 v8, v15, 0x3e9b6dac, v141
	v_fmaak_f32 v29, v15, v8, 0x3f2aaada
	v_cvt_f32_i32_e32 v8, v32
	v_sub_f32_e32 v9, v14, v9
	v_sub_f32_e32 v9, v12, v9
	v_ldexp_f32 v30, v9, 1
	v_mul_f32_e32 v9, v14, v15
	v_ldexp_f32 v13, v14, 1
	v_pk_mul_f32 v[14:15], v[8:9], v[28:29]
	s_nop 0
	v_fma_f32 v12, v8, s13, -v14
	v_fmac_f32_e32 v12, 0xb102e308, v8
	v_pk_add_f32 v[8:9], v[14:15], v[12:13]
	s_nop 0
	v_sub_f32_e32 v13, v9, v13
	v_sub_f32_e32 v13, v15, v13
	v_add_f32_e32 v31, v30, v13
	v_mov_b32_e32 v30, v14
	v_pk_add_f32 v[14:15], v[8:9], v[14:15] neg_lo:[0,1] neg_hi:[0,1]
	v_pk_add_f32 v[32:33], v[8:9], v[30:31]
	v_mov_b32_e32 v13, v8
	v_mov_b32_e32 v15, v33
	v_pk_add_f32 v[34:35], v[12:13], v[14:15] neg_lo:[0,1] neg_hi:[0,1]
	v_pk_add_f32 v[12:13], v[12:13], v[14:15]
	v_mov_b32_e32 v30, v31
	v_mov_b32_e32 v14, v13
	v_pk_add_f32 v[36:37], v[14:15], v[8:9] neg_lo:[0,1] neg_hi:[0,1]
	v_mov_b32_e32 v12, v33
	v_mov_b32_e32 v15, v36
	v_pk_add_f32 v[38:39], v[32:33], v[14:15] neg_lo:[0,1] neg_hi:[0,1]
	v_mov_b32_e32 v32, v9
	v_mov_b32_e32 v33, v36
	;; [unrolled: 1-line block ×3, first 2 shown]
	v_pk_add_f32 v[12:13], v[12:13], v[32:33] neg_lo:[0,1] neg_hi:[0,1]
	v_mov_b32_e32 v31, v8
	v_pk_add_f32 v[8:9], v[30:31], v[12:13] neg_lo:[0,1] neg_hi:[0,1]
	v_mov_b32_e32 v38, v34
	v_pk_add_f32 v[12:13], v[38:39], v[8:9]
	s_nop 0
	v_mov_b32_e32 v30, v13
	v_pk_add_f32 v[30:31], v[12:13], v[30:31]
	s_nop 0
	v_pk_add_f32 v[14:15], v[14:15], v[30:31]
	v_mov_b32_e32 v9, v30
	v_mov_b32_e32 v13, v14
	v_pk_add_f32 v[32:33], v[12:13], v[34:35] neg_lo:[0,1] neg_hi:[0,1]
	s_nop 0
	v_sub_f32_e32 v12, v12, v32
	v_pk_add_f32 v[8:9], v[8:9], v[32:33] neg_lo:[0,1] neg_hi:[0,1]
	v_sub_f32_e32 v12, v34, v12
	v_add_f32_e32 v8, v8, v12
	v_add_f32_e32 v8, v8, v9
	;; [unrolled: 1-line block ×3, first 2 shown]
	v_cndmask_b32_e32 v157, v8, v27, vcc
.LBB24_99:                              ;   in Loop: Header=BB24_13 Depth=1
	s_or_b64 exec, exec, s[4:5]
	v_lshlrev_b32_e32 v8, 16, v10
	v_readlane_b32 s2, v166, 2
	s_nop 1
	v_add_f32_e32 v158, s2, v8
	v_readlane_b32 s2, v166, 23
	v_cmp_ge_f32_e32 vcc, s6, v158
	v_readlane_b32 s3, v166, 24
	s_and_b64 s[2:3], s[2:3], vcc
	s_and_saveexec_b64 s[4:5], s[2:3]
	s_cbranch_execz .LBB24_101
; %bb.100:                              ;   in Loop: Header=BB24_13 Depth=1
	v_mul_f32_e32 v8, 0x3fb8aa3b, v158
	v_rndne_f32_e32 v9, v8
	v_sub_f32_e32 v12, v8, v9
	v_fma_f32 v8, v158, s8, -v8
	v_fmac_f32_e32 v8, 0x32a5705f, v158
	v_add_f32_e32 v8, v12, v8
	v_cvt_i32_f32_e32 v9, v9
	v_exp_f32_e32 v8, v8
	v_cmp_ngt_f32_e32 vcc, s9, v158
	v_ldexp_f32 v8, v8, v9
	s_nop 0
	v_cndmask_b32_e32 v8, 0, v8, vcc
	v_cmp_nlt_f32_e32 vcc, s10, v158
	s_nop 1
	v_cndmask_b32_e32 v27, v142, v8, vcc
	v_add_f32_e32 v12, 1.0, v27
	v_add_f32_e32 v8, -1.0, v12
	v_sub_f32_e32 v9, v8, v12
	v_add_f32_e32 v9, 1.0, v9
	v_sub_f32_e32 v8, v27, v8
	v_add_f32_e32 v13, v8, v9
	v_frexp_mant_f32_e32 v14, v12
	v_cvt_f64_f32_e32 v[8:9], v12
	v_frexp_exp_i32_f64_e32 v8, v[8:9]
	v_cmp_gt_f32_e32 vcc, s12, v14
	v_cmp_gt_f32_e64 s[60:61], s16, v27
	s_nop 0
	v_subbrev_co_u32_e32 v32, vcc, 0, v8, vcc
	v_sub_u32_e32 v8, 0, v32
	v_ldexp_f32 v9, v12, v8
	v_add_f32_e32 v12, -1.0, v9
	v_add_f32_e32 v14, 1.0, v9
	v_ldexp_f32 v8, v13, v8
	v_add_f32_e32 v13, 1.0, v12
	v_add_f32_e32 v15, -1.0, v14
	v_sub_f32_e32 v13, v9, v13
	v_sub_f32_e32 v9, v9, v15
	v_add_f32_e32 v13, v8, v13
	v_add_f32_e32 v8, v8, v9
	;; [unrolled: 1-line block ×3, first 2 shown]
	v_rcp_f32_e32 v34, v29
	v_sub_f32_e32 v9, v14, v29
	v_add_f32_e32 v33, v8, v9
	v_add_f32_e32 v9, v12, v13
	v_mul_f32_e32 v36, v9, v34
	v_sub_f32_e32 v8, v12, v9
	v_mul_f32_e32 v12, v29, v36
	v_fma_f32 v14, v36, v29, -v12
	v_fmac_f32_e32 v14, v36, v33
	v_add_f32_e32 v35, v13, v8
	v_add_f32_e32 v8, v12, v14
	v_sub_f32_e32 v13, v9, v8
	v_pk_add_f32 v[30:31], v[8:9], v[12:13] neg_lo:[0,1] neg_hi:[0,1]
	v_mov_b32_e32 v15, v8
	v_pk_add_f32 v[8:9], v[30:31], v[14:15] neg_lo:[0,1] neg_hi:[0,1]
	v_cmp_eq_f32_e32 vcc, s11, v27
	v_add_f32_e32 v9, v35, v9
	v_add_f32_e32 v8, v8, v9
	;; [unrolled: 1-line block ×3, first 2 shown]
	v_mul_f32_e32 v35, v34, v9
	v_mul_f32_e32 v12, v29, v35
	v_fma_f32 v14, v35, v29, -v12
	v_fmac_f32_e32 v14, v35, v33
	v_sub_f32_e32 v13, v13, v9
	v_add_f32_e32 v29, v8, v13
	v_add_f32_e32 v8, v12, v14
	v_sub_f32_e32 v13, v9, v8
	v_pk_add_f32 v[30:31], v[8:9], v[12:13] neg_lo:[0,1] neg_hi:[0,1]
	v_mov_b32_e32 v15, v8
	v_pk_add_f32 v[8:9], v[30:31], v[14:15] neg_lo:[0,1] neg_hi:[0,1]
	s_or_b64 vcc, s[60:61], vcc
	v_add_f32_e32 v9, v29, v9
	v_add_f32_e32 v8, v8, v9
	;; [unrolled: 1-line block ×4, first 2 shown]
	v_sub_f32_e32 v12, v9, v36
	v_mul_f32_e32 v8, v34, v8
	v_sub_f32_e32 v12, v35, v12
	v_add_f32_e32 v12, v12, v8
	v_add_f32_e32 v14, v9, v12
	v_mul_f32_e32 v15, v14, v14
	v_fmamk_f32 v8, v15, 0x3e9b6dac, v141
	v_fmaak_f32 v29, v15, v8, 0x3f2aaada
	v_cvt_f32_i32_e32 v8, v32
	v_sub_f32_e32 v9, v14, v9
	v_sub_f32_e32 v9, v12, v9
	v_ldexp_f32 v30, v9, 1
	v_mul_f32_e32 v9, v14, v15
	v_ldexp_f32 v13, v14, 1
	v_pk_mul_f32 v[14:15], v[8:9], v[28:29]
	s_nop 0
	v_fma_f32 v12, v8, s13, -v14
	v_fmac_f32_e32 v12, 0xb102e308, v8
	v_pk_add_f32 v[8:9], v[14:15], v[12:13]
	s_nop 0
	v_sub_f32_e32 v13, v9, v13
	v_sub_f32_e32 v13, v15, v13
	v_add_f32_e32 v31, v30, v13
	v_mov_b32_e32 v30, v14
	v_pk_add_f32 v[14:15], v[8:9], v[14:15] neg_lo:[0,1] neg_hi:[0,1]
	v_pk_add_f32 v[32:33], v[8:9], v[30:31]
	v_mov_b32_e32 v13, v8
	v_mov_b32_e32 v15, v33
	v_pk_add_f32 v[34:35], v[12:13], v[14:15] neg_lo:[0,1] neg_hi:[0,1]
	v_pk_add_f32 v[12:13], v[12:13], v[14:15]
	v_mov_b32_e32 v30, v31
	v_mov_b32_e32 v14, v13
	v_pk_add_f32 v[36:37], v[14:15], v[8:9] neg_lo:[0,1] neg_hi:[0,1]
	v_mov_b32_e32 v12, v33
	v_mov_b32_e32 v15, v36
	v_pk_add_f32 v[38:39], v[32:33], v[14:15] neg_lo:[0,1] neg_hi:[0,1]
	v_mov_b32_e32 v32, v9
	v_mov_b32_e32 v33, v36
	;; [unrolled: 1-line block ×3, first 2 shown]
	v_pk_add_f32 v[12:13], v[12:13], v[32:33] neg_lo:[0,1] neg_hi:[0,1]
	v_mov_b32_e32 v31, v8
	v_pk_add_f32 v[8:9], v[30:31], v[12:13] neg_lo:[0,1] neg_hi:[0,1]
	v_mov_b32_e32 v38, v34
	v_pk_add_f32 v[12:13], v[38:39], v[8:9]
	s_nop 0
	v_mov_b32_e32 v30, v13
	v_pk_add_f32 v[30:31], v[12:13], v[30:31]
	s_nop 0
	v_pk_add_f32 v[14:15], v[14:15], v[30:31]
	v_mov_b32_e32 v9, v30
	v_mov_b32_e32 v13, v14
	v_pk_add_f32 v[32:33], v[12:13], v[34:35] neg_lo:[0,1] neg_hi:[0,1]
	s_nop 0
	v_sub_f32_e32 v12, v12, v32
	v_pk_add_f32 v[8:9], v[8:9], v[32:33] neg_lo:[0,1] neg_hi:[0,1]
	v_sub_f32_e32 v12, v34, v12
	v_add_f32_e32 v8, v8, v12
	v_add_f32_e32 v8, v8, v9
	;; [unrolled: 1-line block ×3, first 2 shown]
	v_cndmask_b32_e32 v158, v8, v27, vcc
.LBB24_101:                             ;   in Loop: Header=BB24_13 Depth=1
	s_or_b64 exec, exec, s[4:5]
	v_and_b32_e32 v8, 0xffff0000, v10
	v_readlane_b32 s2, v166, 2
	s_nop 1
	v_add_f32_e32 v159, s2, v8
	v_readlane_b32 s2, v166, 23
	v_cmp_ge_f32_e32 vcc, s6, v159
	v_readlane_b32 s3, v166, 24
	s_and_b64 s[2:3], s[2:3], vcc
	s_and_saveexec_b64 s[4:5], s[2:3]
	s_cbranch_execz .LBB24_103
; %bb.102:                              ;   in Loop: Header=BB24_13 Depth=1
	v_mul_f32_e32 v8, 0x3fb8aa3b, v159
	v_rndne_f32_e32 v9, v8
	v_sub_f32_e32 v10, v8, v9
	v_fma_f32 v8, v159, s8, -v8
	v_fmac_f32_e32 v8, 0x32a5705f, v159
	v_add_f32_e32 v8, v10, v8
	v_cvt_i32_f32_e32 v9, v9
	v_exp_f32_e32 v8, v8
	v_cmp_ngt_f32_e32 vcc, s9, v159
	v_ldexp_f32 v8, v8, v9
	s_nop 0
	v_cndmask_b32_e32 v8, 0, v8, vcc
	v_cmp_nlt_f32_e32 vcc, s10, v159
	s_nop 1
	v_cndmask_b32_e32 v27, v142, v8, vcc
	v_add_f32_e32 v10, 1.0, v27
	v_add_f32_e32 v8, -1.0, v10
	v_sub_f32_e32 v9, v8, v10
	v_add_f32_e32 v9, 1.0, v9
	v_sub_f32_e32 v8, v27, v8
	v_add_f32_e32 v12, v8, v9
	v_frexp_mant_f32_e32 v13, v10
	v_cvt_f64_f32_e32 v[8:9], v10
	v_frexp_exp_i32_f64_e32 v8, v[8:9]
	v_cmp_gt_f32_e32 vcc, s12, v13
	v_cmp_gt_f32_e64 s[60:61], s16, v27
	s_nop 0
	v_subbrev_co_u32_e32 v32, vcc, 0, v8, vcc
	v_sub_u32_e32 v8, 0, v32
	v_ldexp_f32 v9, v10, v8
	v_add_f32_e32 v10, -1.0, v9
	v_add_f32_e32 v13, 1.0, v9
	v_ldexp_f32 v8, v12, v8
	v_add_f32_e32 v12, 1.0, v10
	v_add_f32_e32 v14, -1.0, v13
	v_sub_f32_e32 v12, v9, v12
	v_sub_f32_e32 v9, v9, v14
	v_add_f32_e32 v12, v8, v12
	v_add_f32_e32 v8, v8, v9
	;; [unrolled: 1-line block ×3, first 2 shown]
	v_rcp_f32_e32 v34, v29
	v_sub_f32_e32 v9, v13, v29
	v_add_f32_e32 v33, v8, v9
	v_add_f32_e32 v9, v10, v12
	v_sub_f32_e32 v8, v10, v9
	v_mul_f32_e32 v35, v9, v34
	v_add_f32_e32 v10, v12, v8
	v_mul_f32_e32 v12, v29, v35
	v_fma_f32 v14, v35, v29, -v12
	v_fmac_f32_e32 v14, v35, v33
	v_add_f32_e32 v8, v12, v14
	v_sub_f32_e32 v13, v9, v8
	v_pk_add_f32 v[30:31], v[8:9], v[12:13] neg_lo:[0,1] neg_hi:[0,1]
	v_mov_b32_e32 v15, v8
	v_pk_add_f32 v[8:9], v[30:31], v[14:15] neg_lo:[0,1] neg_hi:[0,1]
	v_cmp_eq_f32_e32 vcc, s11, v27
	v_add_f32_e32 v9, v10, v9
	v_add_f32_e32 v8, v8, v9
	;; [unrolled: 1-line block ×3, first 2 shown]
	v_mul_f32_e32 v10, v34, v9
	v_mul_f32_e32 v12, v29, v10
	v_fma_f32 v14, v10, v29, -v12
	v_fmac_f32_e32 v14, v10, v33
	v_sub_f32_e32 v13, v13, v9
	v_add_f32_e32 v29, v8, v13
	v_add_f32_e32 v8, v12, v14
	v_sub_f32_e32 v13, v9, v8
	v_pk_add_f32 v[30:31], v[8:9], v[12:13] neg_lo:[0,1] neg_hi:[0,1]
	v_mov_b32_e32 v15, v8
	v_pk_add_f32 v[8:9], v[30:31], v[14:15] neg_lo:[0,1] neg_hi:[0,1]
	s_or_b64 vcc, s[60:61], vcc
	v_add_f32_e32 v9, v29, v9
	v_add_f32_e32 v8, v8, v9
	;; [unrolled: 1-line block ×4, first 2 shown]
	v_sub_f32_e32 v12, v9, v35
	v_mul_f32_e32 v8, v34, v8
	v_sub_f32_e32 v10, v10, v12
	v_add_f32_e32 v10, v10, v8
	v_add_f32_e32 v12, v9, v10
	v_mul_f32_e32 v14, v12, v12
	v_fmamk_f32 v8, v14, 0x3e9b6dac, v141
	v_fmaak_f32 v29, v14, v8, 0x3f2aaada
	v_cvt_f32_i32_e32 v8, v32
	v_sub_f32_e32 v9, v12, v9
	v_sub_f32_e32 v9, v10, v9
	v_ldexp_f32 v10, v9, 1
	v_mul_f32_e32 v9, v12, v14
	v_pk_mul_f32 v[14:15], v[8:9], v[28:29]
	v_ldexp_f32 v13, v12, 1
	v_fma_f32 v12, v8, s13, -v14
	v_fmac_f32_e32 v12, 0xb102e308, v8
	v_pk_add_f32 v[8:9], v[14:15], v[12:13]
	v_mov_b32_e32 v30, v14
	v_sub_f32_e32 v13, v9, v13
	v_sub_f32_e32 v13, v15, v13
	v_add_f32_e32 v31, v10, v13
	v_pk_add_f32 v[14:15], v[8:9], v[14:15] neg_lo:[0,1] neg_hi:[0,1]
	v_pk_add_f32 v[32:33], v[8:9], v[30:31]
	v_mov_b32_e32 v13, v8
	v_mov_b32_e32 v15, v33
	v_pk_add_f32 v[34:35], v[12:13], v[14:15] neg_lo:[0,1] neg_hi:[0,1]
	v_pk_add_f32 v[12:13], v[12:13], v[14:15]
	s_nop 0
	v_mov_b32_e32 v10, v13
	v_pk_add_f32 v[14:15], v[10:11], v[8:9] neg_lo:[0,1] neg_hi:[0,1]
	v_mov_b32_e32 v12, v33
	v_mov_b32_e32 v15, v14
	v_pk_add_f32 v[36:37], v[32:33], v[14:15] neg_lo:[0,1] neg_hi:[0,1]
	v_mov_b32_e32 v32, v9
	v_mov_b32_e32 v33, v14
	;; [unrolled: 1-line block ×3, first 2 shown]
	v_pk_add_f32 v[12:13], v[12:13], v[32:33] neg_lo:[0,1] neg_hi:[0,1]
	v_mov_b32_e32 v14, v31
	v_mov_b32_e32 v15, v8
	v_pk_add_f32 v[8:9], v[14:15], v[12:13] neg_lo:[0,1] neg_hi:[0,1]
	v_mov_b32_e32 v36, v34
	v_pk_add_f32 v[12:13], v[36:37], v[8:9]
	s_nop 0
	v_mov_b32_e32 v14, v13
	v_pk_add_f32 v[14:15], v[12:13], v[14:15]
	s_nop 0
	v_pk_add_f32 v[30:31], v[10:11], v[14:15]
	v_mov_b32_e32 v9, v14
	v_mov_b32_e32 v13, v30
	v_pk_add_f32 v[32:33], v[12:13], v[34:35] neg_lo:[0,1] neg_hi:[0,1]
	s_nop 0
	v_sub_f32_e32 v10, v12, v32
	v_pk_add_f32 v[8:9], v[8:9], v[32:33] neg_lo:[0,1] neg_hi:[0,1]
	v_sub_f32_e32 v10, v34, v10
	v_add_f32_e32 v8, v8, v10
	v_add_f32_e32 v8, v8, v9
	;; [unrolled: 1-line block ×3, first 2 shown]
	v_cndmask_b32_e32 v159, v8, v27, vcc
.LBB24_103:                             ;   in Loop: Header=BB24_13 Depth=1
	s_or_b64 exec, exec, s[4:5]
	v_lshlrev_b32_e32 v8, 16, v11
	v_readlane_b32 s2, v166, 2
	s_nop 1
	v_add_f32_e32 v46, s2, v8
	v_readlane_b32 s2, v166, 23
	v_cmp_ge_f32_e32 vcc, s6, v46
	v_readlane_b32 s3, v166, 24
	s_and_b64 s[2:3], s[2:3], vcc
	s_and_saveexec_b64 s[4:5], s[2:3]
	s_cbranch_execz .LBB24_105
; %bb.104:                              ;   in Loop: Header=BB24_13 Depth=1
	v_mul_f32_e32 v8, 0x3fb8aa3b, v46
	v_rndne_f32_e32 v9, v8
	v_sub_f32_e32 v10, v8, v9
	v_fma_f32 v8, v46, s8, -v8
	v_fmac_f32_e32 v8, 0x32a5705f, v46
	v_add_f32_e32 v8, v10, v8
	v_cvt_i32_f32_e32 v9, v9
	v_exp_f32_e32 v8, v8
	v_cmp_ngt_f32_e32 vcc, s9, v46
	v_ldexp_f32 v8, v8, v9
	s_nop 0
	v_cndmask_b32_e32 v8, 0, v8, vcc
	v_cmp_nlt_f32_e32 vcc, s10, v46
	s_nop 1
	v_cndmask_b32_e32 v27, v142, v8, vcc
	v_add_f32_e32 v10, 1.0, v27
	v_add_f32_e32 v8, -1.0, v10
	v_sub_f32_e32 v9, v8, v10
	v_add_f32_e32 v9, 1.0, v9
	v_sub_f32_e32 v8, v27, v8
	v_add_f32_e32 v12, v8, v9
	v_frexp_mant_f32_e32 v13, v10
	v_cvt_f64_f32_e32 v[8:9], v10
	v_frexp_exp_i32_f64_e32 v8, v[8:9]
	v_cmp_gt_f32_e32 vcc, s12, v13
	v_cmp_gt_f32_e64 s[60:61], s16, v27
	s_nop 0
	v_subbrev_co_u32_e32 v32, vcc, 0, v8, vcc
	v_sub_u32_e32 v8, 0, v32
	v_ldexp_f32 v9, v10, v8
	v_add_f32_e32 v10, -1.0, v9
	v_add_f32_e32 v13, 1.0, v9
	v_ldexp_f32 v8, v12, v8
	v_add_f32_e32 v12, 1.0, v10
	v_add_f32_e32 v14, -1.0, v13
	v_sub_f32_e32 v12, v9, v12
	v_sub_f32_e32 v9, v9, v14
	v_add_f32_e32 v12, v8, v12
	v_add_f32_e32 v8, v8, v9
	;; [unrolled: 1-line block ×3, first 2 shown]
	v_rcp_f32_e32 v34, v29
	v_sub_f32_e32 v9, v13, v29
	v_add_f32_e32 v33, v8, v9
	v_add_f32_e32 v9, v10, v12
	v_sub_f32_e32 v8, v10, v9
	v_mul_f32_e32 v35, v9, v34
	v_add_f32_e32 v10, v12, v8
	v_mul_f32_e32 v12, v29, v35
	v_fma_f32 v14, v35, v29, -v12
	v_fmac_f32_e32 v14, v35, v33
	v_add_f32_e32 v8, v12, v14
	v_sub_f32_e32 v13, v9, v8
	v_pk_add_f32 v[30:31], v[8:9], v[12:13] neg_lo:[0,1] neg_hi:[0,1]
	v_mov_b32_e32 v15, v8
	v_pk_add_f32 v[8:9], v[30:31], v[14:15] neg_lo:[0,1] neg_hi:[0,1]
	v_cmp_eq_f32_e32 vcc, s11, v27
	v_add_f32_e32 v9, v10, v9
	v_add_f32_e32 v8, v8, v9
	;; [unrolled: 1-line block ×3, first 2 shown]
	v_mul_f32_e32 v10, v34, v9
	v_mul_f32_e32 v12, v29, v10
	v_fma_f32 v14, v10, v29, -v12
	v_fmac_f32_e32 v14, v10, v33
	v_sub_f32_e32 v13, v13, v9
	v_add_f32_e32 v29, v8, v13
	v_add_f32_e32 v8, v12, v14
	v_sub_f32_e32 v13, v9, v8
	v_pk_add_f32 v[30:31], v[8:9], v[12:13] neg_lo:[0,1] neg_hi:[0,1]
	v_mov_b32_e32 v15, v8
	v_pk_add_f32 v[8:9], v[30:31], v[14:15] neg_lo:[0,1] neg_hi:[0,1]
	s_or_b64 vcc, s[60:61], vcc
	v_add_f32_e32 v9, v29, v9
	v_add_f32_e32 v8, v8, v9
	;; [unrolled: 1-line block ×4, first 2 shown]
	v_sub_f32_e32 v12, v9, v35
	v_mul_f32_e32 v8, v34, v8
	v_sub_f32_e32 v10, v10, v12
	v_add_f32_e32 v10, v10, v8
	v_add_f32_e32 v12, v9, v10
	v_mul_f32_e32 v14, v12, v12
	v_fmamk_f32 v8, v14, 0x3e9b6dac, v141
	v_fmaak_f32 v29, v14, v8, 0x3f2aaada
	v_cvt_f32_i32_e32 v8, v32
	v_sub_f32_e32 v9, v12, v9
	v_sub_f32_e32 v9, v10, v9
	v_ldexp_f32 v10, v9, 1
	v_mul_f32_e32 v9, v12, v14
	v_pk_mul_f32 v[14:15], v[8:9], v[28:29]
	v_ldexp_f32 v13, v12, 1
	v_fma_f32 v12, v8, s13, -v14
	v_fmac_f32_e32 v12, 0xb102e308, v8
	v_pk_add_f32 v[8:9], v[14:15], v[12:13]
	v_mov_b32_e32 v30, v14
	v_sub_f32_e32 v13, v9, v13
	v_sub_f32_e32 v13, v15, v13
	v_add_f32_e32 v31, v10, v13
	v_pk_add_f32 v[14:15], v[8:9], v[14:15] neg_lo:[0,1] neg_hi:[0,1]
	v_pk_add_f32 v[32:33], v[8:9], v[30:31]
	v_mov_b32_e32 v13, v8
	v_mov_b32_e32 v15, v33
	v_pk_add_f32 v[34:35], v[12:13], v[14:15] neg_lo:[0,1] neg_hi:[0,1]
	v_pk_add_f32 v[12:13], v[12:13], v[14:15]
	s_nop 0
	v_mov_b32_e32 v10, v13
	v_pk_add_f32 v[14:15], v[10:11], v[8:9] neg_lo:[0,1] neg_hi:[0,1]
	v_mov_b32_e32 v12, v33
	v_mov_b32_e32 v15, v14
	v_pk_add_f32 v[36:37], v[32:33], v[14:15] neg_lo:[0,1] neg_hi:[0,1]
	v_mov_b32_e32 v32, v9
	v_mov_b32_e32 v33, v14
	;; [unrolled: 1-line block ×3, first 2 shown]
	v_pk_add_f32 v[12:13], v[12:13], v[32:33] neg_lo:[0,1] neg_hi:[0,1]
	v_mov_b32_e32 v14, v31
	v_mov_b32_e32 v15, v8
	v_pk_add_f32 v[8:9], v[14:15], v[12:13] neg_lo:[0,1] neg_hi:[0,1]
	v_mov_b32_e32 v36, v34
	v_pk_add_f32 v[12:13], v[36:37], v[8:9]
	s_nop 0
	v_mov_b32_e32 v14, v13
	v_pk_add_f32 v[14:15], v[12:13], v[14:15]
	s_nop 0
	v_pk_add_f32 v[30:31], v[10:11], v[14:15]
	v_mov_b32_e32 v9, v14
	v_mov_b32_e32 v13, v30
	v_pk_add_f32 v[32:33], v[12:13], v[34:35] neg_lo:[0,1] neg_hi:[0,1]
	s_nop 0
	v_sub_f32_e32 v10, v12, v32
	v_pk_add_f32 v[8:9], v[8:9], v[32:33] neg_lo:[0,1] neg_hi:[0,1]
	v_sub_f32_e32 v10, v34, v10
	v_add_f32_e32 v8, v8, v10
	v_add_f32_e32 v8, v8, v9
	;; [unrolled: 1-line block ×3, first 2 shown]
	v_cndmask_b32_e32 v46, v8, v27, vcc
.LBB24_105:                             ;   in Loop: Header=BB24_13 Depth=1
	s_or_b64 exec, exec, s[4:5]
	v_and_b32_e32 v8, 0xffff0000, v11
	v_readlane_b32 s2, v166, 2
	s_nop 1
	v_add_f32_e32 v47, s2, v8
	v_readlane_b32 s2, v166, 23
	v_cmp_ge_f32_e32 vcc, s6, v47
	v_readlane_b32 s3, v166, 24
	s_and_b64 s[2:3], s[2:3], vcc
	s_and_saveexec_b64 s[4:5], s[2:3]
	s_cbranch_execz .LBB24_107
; %bb.106:                              ;   in Loop: Header=BB24_13 Depth=1
	v_mul_f32_e32 v8, 0x3fb8aa3b, v47
	v_rndne_f32_e32 v9, v8
	v_sub_f32_e32 v10, v8, v9
	v_fma_f32 v8, v47, s8, -v8
	v_fmac_f32_e32 v8, 0x32a5705f, v47
	v_add_f32_e32 v8, v10, v8
	v_cvt_i32_f32_e32 v9, v9
	v_exp_f32_e32 v8, v8
	v_cmp_ngt_f32_e32 vcc, s9, v47
	v_ldexp_f32 v8, v8, v9
	s_nop 0
	v_cndmask_b32_e32 v8, 0, v8, vcc
	v_cmp_nlt_f32_e32 vcc, s10, v47
	s_nop 1
	v_cndmask_b32_e32 v27, v142, v8, vcc
	v_add_f32_e32 v10, 1.0, v27
	v_add_f32_e32 v8, -1.0, v10
	v_sub_f32_e32 v9, v8, v10
	v_add_f32_e32 v9, 1.0, v9
	v_sub_f32_e32 v8, v27, v8
	v_add_f32_e32 v11, v8, v9
	v_frexp_mant_f32_e32 v12, v10
	v_cvt_f64_f32_e32 v[8:9], v10
	v_frexp_exp_i32_f64_e32 v8, v[8:9]
	v_cmp_gt_f32_e32 vcc, s12, v12
	v_cmp_gt_f32_e64 s[60:61], s16, v27
	s_nop 0
	v_subbrev_co_u32_e32 v30, vcc, 0, v8, vcc
	v_sub_u32_e32 v8, 0, v30
	v_ldexp_f32 v9, v10, v8
	v_add_f32_e32 v10, -1.0, v9
	v_add_f32_e32 v12, 1.0, v9
	v_ldexp_f32 v8, v11, v8
	v_add_f32_e32 v11, 1.0, v10
	v_add_f32_e32 v13, -1.0, v12
	v_sub_f32_e32 v11, v9, v11
	v_sub_f32_e32 v9, v9, v13
	v_add_f32_e32 v11, v8, v11
	v_add_f32_e32 v8, v8, v9
	;; [unrolled: 1-line block ×3, first 2 shown]
	v_rcp_f32_e32 v32, v29
	v_sub_f32_e32 v9, v12, v29
	v_add_f32_e32 v31, v8, v9
	v_add_f32_e32 v9, v10, v11
	v_mul_f32_e32 v34, v9, v32
	v_sub_f32_e32 v8, v10, v9
	v_mul_f32_e32 v10, v29, v34
	v_fma_f32 v12, v34, v29, -v10
	v_fmac_f32_e32 v12, v34, v31
	v_add_f32_e32 v33, v11, v8
	v_add_f32_e32 v8, v10, v12
	v_sub_f32_e32 v11, v9, v8
	v_pk_add_f32 v[14:15], v[8:9], v[10:11] neg_lo:[0,1] neg_hi:[0,1]
	v_mov_b32_e32 v13, v8
	v_pk_add_f32 v[8:9], v[14:15], v[12:13] neg_lo:[0,1] neg_hi:[0,1]
	v_cmp_eq_f32_e32 vcc, s11, v27
	v_add_f32_e32 v9, v33, v9
	v_add_f32_e32 v8, v8, v9
	;; [unrolled: 1-line block ×3, first 2 shown]
	v_mul_f32_e32 v33, v32, v9
	v_mul_f32_e32 v10, v29, v33
	v_fma_f32 v12, v33, v29, -v10
	v_fmac_f32_e32 v12, v33, v31
	v_sub_f32_e32 v11, v11, v9
	v_add_f32_e32 v29, v8, v11
	v_add_f32_e32 v8, v10, v12
	v_sub_f32_e32 v11, v9, v8
	v_pk_add_f32 v[14:15], v[8:9], v[10:11] neg_lo:[0,1] neg_hi:[0,1]
	v_mov_b32_e32 v13, v8
	v_pk_add_f32 v[8:9], v[14:15], v[12:13] neg_lo:[0,1] neg_hi:[0,1]
	s_or_b64 vcc, s[60:61], vcc
	v_add_f32_e32 v9, v29, v9
	v_add_f32_e32 v8, v8, v9
	;; [unrolled: 1-line block ×4, first 2 shown]
	v_sub_f32_e32 v10, v9, v34
	v_mul_f32_e32 v8, v32, v8
	v_sub_f32_e32 v10, v33, v10
	v_add_f32_e32 v10, v10, v8
	v_add_f32_e32 v12, v9, v10
	v_mul_f32_e32 v13, v12, v12
	v_fmamk_f32 v8, v13, 0x3e9b6dac, v141
	v_fmaak_f32 v29, v13, v8, 0x3f2aaada
	v_cvt_f32_i32_e32 v8, v30
	v_sub_f32_e32 v9, v12, v9
	v_sub_f32_e32 v9, v10, v9
	v_ldexp_f32 v14, v9, 1
	v_mul_f32_e32 v9, v12, v13
	v_ldexp_f32 v11, v12, 1
	v_pk_mul_f32 v[12:13], v[8:9], v[28:29]
	s_nop 0
	v_fma_f32 v10, v8, s13, -v12
	v_fmac_f32_e32 v10, 0xb102e308, v8
	v_pk_add_f32 v[8:9], v[12:13], v[10:11]
	s_nop 0
	v_sub_f32_e32 v11, v9, v11
	v_sub_f32_e32 v11, v13, v11
	v_add_f32_e32 v15, v14, v11
	v_mov_b32_e32 v14, v12
	v_pk_add_f32 v[12:13], v[8:9], v[12:13] neg_lo:[0,1] neg_hi:[0,1]
	v_pk_add_f32 v[30:31], v[8:9], v[14:15]
	v_mov_b32_e32 v11, v8
	v_mov_b32_e32 v13, v31
	v_pk_add_f32 v[32:33], v[10:11], v[12:13] neg_lo:[0,1] neg_hi:[0,1]
	v_pk_add_f32 v[10:11], v[10:11], v[12:13]
	v_mov_b32_e32 v14, v15
	v_mov_b32_e32 v12, v11
	v_pk_add_f32 v[34:35], v[12:13], v[8:9] neg_lo:[0,1] neg_hi:[0,1]
	v_mov_b32_e32 v10, v31
	v_mov_b32_e32 v13, v34
	v_pk_add_f32 v[36:37], v[30:31], v[12:13] neg_lo:[0,1] neg_hi:[0,1]
	v_mov_b32_e32 v30, v9
	v_mov_b32_e32 v31, v34
	;; [unrolled: 1-line block ×3, first 2 shown]
	v_pk_add_f32 v[10:11], v[10:11], v[30:31] neg_lo:[0,1] neg_hi:[0,1]
	v_mov_b32_e32 v15, v8
	v_pk_add_f32 v[8:9], v[14:15], v[10:11] neg_lo:[0,1] neg_hi:[0,1]
	v_mov_b32_e32 v36, v32
	v_pk_add_f32 v[10:11], v[36:37], v[8:9]
	s_nop 0
	v_mov_b32_e32 v14, v11
	v_pk_add_f32 v[14:15], v[10:11], v[14:15]
	s_nop 0
	v_pk_add_f32 v[12:13], v[12:13], v[14:15]
	v_mov_b32_e32 v9, v14
	v_mov_b32_e32 v11, v12
	v_pk_add_f32 v[30:31], v[10:11], v[32:33] neg_lo:[0,1] neg_hi:[0,1]
	s_nop 0
	v_sub_f32_e32 v10, v10, v30
	v_pk_add_f32 v[8:9], v[8:9], v[30:31] neg_lo:[0,1] neg_hi:[0,1]
	v_sub_f32_e32 v10, v32, v10
	v_add_f32_e32 v8, v8, v10
	v_add_f32_e32 v8, v8, v9
	;; [unrolled: 1-line block ×3, first 2 shown]
	v_cndmask_b32_e32 v47, v8, v27, vcc
.LBB24_107:                             ;   in Loop: Header=BB24_13 Depth=1
	s_or_b64 exec, exec, s[4:5]
	v_lshlrev_b32_e32 v8, 16, v7
	v_readlane_b32 s2, v166, 3
	v_and_b32_e32 v15, 0xffff0000, v7
	v_and_b32_e32 v7, 0xffff0000, v6
	v_lshlrev_b32_e32 v6, 16, v6
	v_and_b32_e32 v9, 0xffff0000, v5
	v_lshlrev_b32_e32 v5, 16, v5
	;; [unrolled: 2-line block ×7, first 2 shown]
	v_mul_f32_e32 v30, s2, v8
	v_mul_f32_e32 v33, s2, v7
	;; [unrolled: 1-line block ×16, first 2 shown]
	v_readlane_b32 s2, v166, 26
	v_readlane_b32 s3, v166, 27
	s_and_b64 vcc, exec, s[2:3]
	s_barrier
	s_cbranch_vccz .LBB24_204
; %bb.108:                              ;   in Loop: Header=BB24_13 Depth=1
	v_readlane_b32 s2, v166, 9
	v_readlane_b32 s3, v166, 10
	v_mul_f32_e32 v132, v146, v0
	v_cmp_gt_u32_e32 vcc, s88, v19
	v_lshl_add_u64 v[48:49], s[2:3], 0, v[16:17]
	v_readlane_b32 s2, v166, 19
	v_readlane_b32 s3, v166, 20
	v_or_b32_e32 v0, 1, v19
	v_mov_b32_e32 v27, v17
	v_lshl_add_u64 v[50:51], s[2:3], 0, v[16:17]
	v_readlane_b32 s3, v166, 60
	s_cmp_lg_u32 s3, 0
	v_readlane_b32 s2, v166, 30
	s_cselect_b64 s[94:95], -1, 0
	s_cmp_eq_u32 s3, s2
	v_readlane_b32 s2, v166, 51
	v_readlane_b32 s3, v166, 52
	s_cselect_b64 s[96:97], -1, 0
	s_or_b64 s[60:61], s[2:3], vcc
	v_cmp_gt_u32_e32 vcc, s88, v0
	v_or_b32_e32 v0, 2, v19
	s_or_b64 s[62:63], s[2:3], vcc
	v_cmp_gt_u32_e32 vcc, s88, v0
	v_or_b32_e32 v0, 3, v19
	;; [unrolled: 3-line block ×14, first 2 shown]
	s_mov_b32 s6, 0
	v_cmp_gt_u32_e64 s[88:89], s88, v0
	v_mul_f32_e32 v29, v47, v15
	v_lshl_add_u64 v[48:49], v[48:49], 0, v[26:27]
	v_lshl_add_u64 v[50:51], v[50:51], 0, v[26:27]
	v_mul_f32_e32 v16, v46, v8
	v_mul_f32_e32 v27, v159, v7
	;; [unrolled: 1-line block ×14, first 2 shown]
	s_or_b64 s[88:89], s[2:3], s[88:89]
	s_or_b64 s[90:91], s[2:3], vcc
	s_mov_b32 s92, s6
	s_mov_b32 s98, s6
	;; [unrolled: 1-line block ×3, first 2 shown]
	v_readlane_b32 s8, v166, 25
	v_readlane_b32 s9, v166, 59
	s_branch .LBB24_110
.LBB24_109:                             ;   in Loop: Header=BB24_110 Depth=2
	s_or_b64 exec, exec, s[2:3]
	v_cndmask_b32_e64 v8, v8, v73, s[24:25]
	v_cndmask_b32_e64 v53, v64, v72, s[24:25]
	v_mul_f32_e32 v53, v53, v134
	v_fma_f32 v8, v8, v134, v133
	v_cndmask_b32_e64 v8, v8, v133, s[22:23]
	v_cndmask_b32_e64 v53, v53, v134, s[22:23]
	s_waitcnt lgkmcnt(0)
	v_fmac_f32_e32 v8, v52, v53
	v_fmac_f32_e32 v9, v8, v135
	;; [unrolled: 1-line block ×12, first 2 shown]
	v_readlane_b32 s12, v166, 31
	v_fmac_f32_e32 v58, v61, v66
	v_readlane_b32 s13, v166, 32
	v_readlane_b32 s14, v166, 33
	;; [unrolled: 1-line block ×7, first 2 shown]
	v_fmac_f32_e32 v59, v58, v62
	s_add_i32 s98, s98, s12
	v_readlane_b32 s12, v166, 11
	v_fmac_f32_e32 v63, v59, v68
	v_readlane_b32 s2, v166, 4
	v_readlane_b32 s13, v166, 12
	;; [unrolled: 1-line block ×3, first 2 shown]
	v_fmac_f32_e32 v65, v63, v69
	v_and_b32_e32 v53, 0xffff0000, v4
	v_and_b32_e32 v55, 0xffff0000, v5
	v_lshlrev_b32_e32 v52, 16, v4
	v_lshlrev_b32_e32 v54, 16, v5
	v_and_b32_e32 v5, 0xffff0000, v6
	v_and_b32_e32 v67, 0xffff0000, v7
	v_lshlrev_b32_e32 v4, 16, v6
	v_lshlrev_b32_e32 v66, 16, v7
	;; [unrolled: 4-line block ×4, first 2 shown]
	v_mov_b32_e32 v64, v63
	s_add_i32 s9, s9, 8
	s_add_i32 s8, s8, -1
	s_add_i32 s4, s4, s2
	s_add_i32 s92, s92, s16
	;; [unrolled: 1-line block ×3, first 2 shown]
	v_pk_fma_f32 v[42:43], v[10:11], v[54:55], v[42:43]
	v_pk_fma_f32 v[44:45], v[8:9], v[52:53], v[44:45]
	;; [unrolled: 1-line block ×7, first 2 shown]
	s_cmp_eq_u32 s8, 0
	v_pk_fma_f32 v[32:33], v[58:59], v[0:1], v[32:33]
	v_readlane_b32 s14, v166, 13
	v_readlane_b32 s15, v166, 14
	;; [unrolled: 1-line block ×5, first 2 shown]
	s_cbranch_scc1 .LBB24_203
.LBB24_110:                             ;   Parent Loop BB24_13 Depth=1
                                        ; =>  This Inner Loop Header: Depth=2
	s_lshl_b64 s[2:3], s[6:7], 2
	v_readlane_b32 s5, v166, 7
	s_add_u32 s2, s5, s2
	v_readlane_b32 s5, v166, 8
	s_addc_u32 s3, s5, s3
	global_load_dword v52, v17, s[2:3]
	s_mov_b32 s93, s7
	v_lshl_add_u64 v[0:1], s[92:93], 1, v[48:49]
	v_mov_b32_e32 v2, 0
	v_mov_b32_e32 v3, 0
	s_and_saveexec_b64 s[2:3], s[26:27]
	s_cbranch_execz .LBB24_112
; %bb.111:                              ;   in Loop: Header=BB24_110 Depth=2
	global_load_ushort v3, v[0:1], off
.LBB24_112:                             ;   in Loop: Header=BB24_110 Depth=2
	s_or_b64 exec, exec, s[2:3]
	s_and_saveexec_b64 s[2:3], s[28:29]
	s_cbranch_execz .LBB24_114
; %bb.113:                              ;   in Loop: Header=BB24_110 Depth=2
	global_load_ushort v2, v[0:1], off offset:128
.LBB24_114:                             ;   in Loop: Header=BB24_110 Depth=2
	s_or_b64 exec, exec, s[2:3]
	v_mov_b32_e32 v4, 0
	v_mov_b32_e32 v5, 0
	s_and_saveexec_b64 s[2:3], s[30:31]
	s_cbranch_execz .LBB24_116
; %bb.115:                              ;   in Loop: Header=BB24_110 Depth=2
	global_load_ushort v5, v[0:1], off offset:256
.LBB24_116:                             ;   in Loop: Header=BB24_110 Depth=2
	s_or_b64 exec, exec, s[2:3]
	s_and_saveexec_b64 s[2:3], s[34:35]
	s_cbranch_execz .LBB24_118
; %bb.117:                              ;   in Loop: Header=BB24_110 Depth=2
	global_load_ushort v4, v[0:1], off offset:384
.LBB24_118:                             ;   in Loop: Header=BB24_110 Depth=2
	s_or_b64 exec, exec, s[2:3]
	v_mov_b32_e32 v6, 0
	v_mov_b32_e32 v7, 0
	s_and_saveexec_b64 s[2:3], s[36:37]
	s_cbranch_execz .LBB24_120
; %bb.119:                              ;   in Loop: Header=BB24_110 Depth=2
	global_load_ushort v7, v[0:1], off offset:512
.LBB24_120:                             ;   in Loop: Header=BB24_110 Depth=2
	;; [unrolled: 14-line block ×7, first 2 shown]
	s_or_b64 exec, exec, s[2:3]
	s_and_saveexec_b64 s[2:3], s[58:59]
	s_cbranch_execz .LBB24_142
; %bb.141:                              ;   in Loop: Header=BB24_110 Depth=2
	global_load_ushort v53, v[0:1], off offset:1920
.LBB24_142:                             ;   in Loop: Header=BB24_110 Depth=2
	s_or_b64 exec, exec, s[2:3]
	s_waitcnt vmcnt(0)
	ds_write_b16 v90, v3
	ds_write_b16 v91, v2 offset:128
	ds_write_b16 v92, v5 offset:256
	;; [unrolled: 1-line block ×15, first 2 shown]
	; wave barrier
	ds_read_b128 v[12:15], v121
	ds_read_b128 v[8:11], v121 offset:16
	s_mov_b32 s99, s7
	v_lshl_add_u64 v[0:1], s[98:99], 1, v[50:51]
	v_mov_b32_e32 v2, 0
	v_mov_b32_e32 v3, 0
	s_and_saveexec_b64 s[2:3], s[26:27]
	s_cbranch_execz .LBB24_144
; %bb.143:                              ;   in Loop: Header=BB24_110 Depth=2
	global_load_ushort v3, v[0:1], off
.LBB24_144:                             ;   in Loop: Header=BB24_110 Depth=2
	s_or_b64 exec, exec, s[2:3]
	s_and_saveexec_b64 s[2:3], s[28:29]
	s_cbranch_execz .LBB24_146
; %bb.145:                              ;   in Loop: Header=BB24_110 Depth=2
	global_load_ushort v2, v[0:1], off offset:128
.LBB24_146:                             ;   in Loop: Header=BB24_110 Depth=2
	s_or_b64 exec, exec, s[2:3]
	v_mov_b32_e32 v4, 0
	v_mov_b32_e32 v5, 0
	s_and_saveexec_b64 s[2:3], s[30:31]
	s_cbranch_execz .LBB24_148
; %bb.147:                              ;   in Loop: Header=BB24_110 Depth=2
	global_load_ushort v5, v[0:1], off offset:256
.LBB24_148:                             ;   in Loop: Header=BB24_110 Depth=2
	s_or_b64 exec, exec, s[2:3]
	s_and_saveexec_b64 s[2:3], s[34:35]
	s_cbranch_execz .LBB24_150
; %bb.149:                              ;   in Loop: Header=BB24_110 Depth=2
	global_load_ushort v4, v[0:1], off offset:384
.LBB24_150:                             ;   in Loop: Header=BB24_110 Depth=2
	s_or_b64 exec, exec, s[2:3]
	v_mov_b32_e32 v6, 0
	v_mov_b32_e32 v7, 0
	s_and_saveexec_b64 s[2:3], s[36:37]
	s_cbranch_execz .LBB24_152
; %bb.151:                              ;   in Loop: Header=BB24_110 Depth=2
	global_load_ushort v7, v[0:1], off offset:512
.LBB24_152:                             ;   in Loop: Header=BB24_110 Depth=2
	;; [unrolled: 14-line block ×7, first 2 shown]
	s_or_b64 exec, exec, s[2:3]
	s_and_saveexec_b64 s[2:3], s[58:59]
	s_cbranch_execz .LBB24_174
; %bb.173:                              ;   in Loop: Header=BB24_110 Depth=2
	global_load_ushort v61, v[0:1], off offset:1920
.LBB24_174:                             ;   in Loop: Header=BB24_110 Depth=2
	s_or_b64 exec, exec, s[2:3]
	s_waitcnt vmcnt(0)
	ds_write_b16 v90, v3 offset:4224
	ds_write_b16 v103, v2 offset:128
	;; [unrolled: 1-line block ×16, first 2 shown]
	; wave barrier
	ds_read_b128 v[4:7], v121 offset:4224
	ds_read_b128 v[0:3], v122 offset:16
	s_andn2_b64 vcc, exec, s[94:95]
	s_cbranch_vccnz .LBB24_176
; %bb.175:                              ;   in Loop: Header=BB24_110 Depth=2
	v_mov_b32_e32 v53, s9
	ds_read_b64 v[54:55], v53
	s_waitcnt lgkmcnt(0)
	v_mov_b32_e32 v53, v55
	s_cbranch_execz .LBB24_177
	s_branch .LBB24_180
.LBB24_176:                             ;   in Loop: Header=BB24_110 Depth=2
                                        ; implicit-def: $vgpr54
                                        ; implicit-def: $vgpr53
.LBB24_177:                             ;   in Loop: Header=BB24_110 Depth=2
	v_readlane_b32 s2, v166, 0
	v_readlane_b32 s3, v166, 1
	s_andn2_b64 vcc, exec, s[2:3]
	v_mov_b32_e32 v53, 0
	s_cbranch_vccnz .LBB24_179
; %bb.178:                              ;   in Loop: Header=BB24_110 Depth=2
	s_mov_b32 s5, s7
	s_lshl_b64 s[2:3], s[4:5], 1
	v_readlane_b32 s5, v166, 21
	s_add_u32 s2, s5, s2
	v_readlane_b32 s5, v166, 22
	s_addc_u32 s3, s5, s3
	global_load_ushort v53, v17, s[2:3]
	s_waitcnt vmcnt(0)
	v_lshlrev_b32_e32 v53, 16, v53
.LBB24_179:                             ;   in Loop: Header=BB24_110 Depth=2
	v_mov_b32_e32 v54, 1.0
.LBB24_180:                             ;   in Loop: Header=BB24_110 Depth=2
	s_waitcnt lgkmcnt(14)
	v_lshlrev_b32_e32 v60, 16, v8
	v_and_b32_e32 v61, 0xffff0000, v8
	v_mul_f32_e32 v8, 0x3fb8aa3b, v52
	v_lshlrev_b32_e32 v62, 16, v9
	v_and_b32_e32 v63, 0xffff0000, v9
	v_mul_f32_e32 v9, v8, v146
	v_cmp_gt_f32_e32 vcc, s33, v9
	v_lshlrev_b32_e32 v64, 16, v10
	v_and_b32_e32 v65, 0xffff0000, v10
	v_cndmask_b32_e32 v9, 0, v143, vcc
	v_fmac_f32_e32 v9, v8, v146
	v_exp_f32_e32 v9, v9
	v_cndmask_b32_e32 v10, 1.0, v144, vcc
	v_lshlrev_b32_e32 v56, 16, v12
	v_lshlrev_b32_e32 v67, 16, v11
	v_mul_f32_e32 v9, v9, v10
	v_cndmask_b32_e64 v134, 1.0, v9, s[60:61]
	v_mul_f32_e32 v9, v8, v147
	v_cmp_gt_f32_e32 vcc, s33, v9
	v_mul_f32_e32 v10, v132, v56
	v_cndmask_b32_e64 v133, 0, v10, s[60:61]
	v_cndmask_b32_e32 v9, 0, v143, vcc
	v_fmac_f32_e32 v9, v8, v147
	v_exp_f32_e32 v9, v9
	v_cndmask_b32_e32 v10, 1.0, v144, vcc
	v_and_b32_e32 v55, 0xffff0000, v11
	v_and_b32_e32 v12, 0xffff0000, v12
	v_mul_f32_e32 v10, v9, v10
	v_cndmask_b32_e64 v135, 1.0, v10, s[62:63]
	v_mul_f32_e32 v10, v8, v148
	v_cmp_gt_f32_e32 vcc, s33, v10
	v_mul_f32_e32 v9, v131, v12
	v_lshlrev_b32_e32 v57, 16, v13
	v_cndmask_b32_e32 v10, 0, v143, vcc
	v_fmac_f32_e32 v10, v8, v148
	v_exp_f32_e32 v10, v10
	v_cndmask_b32_e32 v11, 1.0, v144, vcc
	v_and_b32_e32 v13, 0xffff0000, v13
	v_lshlrev_b32_e32 v58, 16, v14
	v_mul_f32_e32 v11, v10, v11
	v_cndmask_b32_e64 v136, 1.0, v11, s[64:65]
	v_mul_f32_e32 v11, v8, v149
	v_cmp_gt_f32_e32 vcc, s33, v11
	v_and_b32_e32 v14, 0xffff0000, v14
	v_mul_f32_e32 v10, v130, v57
	v_cndmask_b32_e32 v11, 0, v143, vcc
	v_fmac_f32_e32 v11, v8, v149
	v_exp_f32_e32 v11, v11
	v_cndmask_b32_e32 v12, 1.0, v144, vcc
	v_lshlrev_b32_e32 v59, 16, v15
	v_cndmask_b32_e64 v9, 0, v9, s[62:63]
	v_mul_f32_e32 v12, v11, v12
	v_cndmask_b32_e64 v137, 1.0, v12, s[66:67]
	v_mul_f32_e32 v12, v8, v150
	v_cmp_gt_f32_e32 vcc, s33, v12
	v_mul_f32_e32 v11, v129, v13
	v_cndmask_b32_e64 v10, 0, v10, s[64:65]
	v_cndmask_b32_e32 v12, 0, v143, vcc
	v_fmac_f32_e32 v12, v8, v150
	v_exp_f32_e32 v12, v12
	v_cndmask_b32_e32 v13, 1.0, v144, vcc
	v_cndmask_b32_e64 v11, 0, v11, s[66:67]
	v_and_b32_e32 v15, 0xffff0000, v15
	v_mul_f32_e32 v13, v12, v13
	v_cndmask_b32_e64 v138, 1.0, v13, s[68:69]
	v_mul_f32_e32 v13, v8, v151
	v_cmp_gt_f32_e32 vcc, s33, v13
	v_mul_f32_e32 v12, v128, v58
	v_cndmask_b32_e64 v12, 0, v12, s[68:69]
	v_cndmask_b32_e32 v13, 0, v143, vcc
	v_fmac_f32_e32 v13, v8, v151
	v_exp_f32_e32 v13, v13
	v_cndmask_b32_e32 v52, 1.0, v144, vcc
	v_mul_f32_e32 v15, v165, v15
	v_cndmask_b32_e64 v15, 0, v15, s[74:75]
	v_mul_f32_e32 v52, v13, v52
	v_mul_f32_e32 v13, v127, v14
	;; [unrolled: 1-line block ×3, first 2 shown]
	v_cmp_gt_f32_e32 vcc, s33, v14
	v_cndmask_b32_e64 v139, 1.0, v52, s[70:71]
	v_cndmask_b32_e64 v13, 0, v13, s[70:71]
	v_cndmask_b32_e32 v14, 0, v143, vcc
	v_fmac_f32_e32 v14, v8, v152
	v_exp_f32_e32 v14, v14
	v_cndmask_b32_e32 v52, 1.0, v144, vcc
	v_mul_f32_e32 v55, v29, v55
	v_readlane_b32 s10, v166, 39
	v_mul_f32_e32 v52, v14, v52
	v_cndmask_b32_e64 v140, 1.0, v52, s[72:73]
	v_mul_f32_e32 v52, v8, v153
	v_cmp_gt_f32_e32 vcc, s33, v52
	v_mul_f32_e32 v14, v126, v59
	v_cndmask_b32_e64 v14, 0, v14, s[72:73]
	v_cndmask_b32_e32 v52, 0, v143, vcc
	v_fmac_f32_e32 v52, v8, v153
	v_exp_f32_e32 v52, v52
	v_cndmask_b32_e32 v56, 1.0, v144, vcc
	v_readlane_b32 s11, v166, 40
	v_mul_f32_e32 v52, v52, v56
	v_cndmask_b32_e64 v75, 1.0, v52, s[74:75]
	v_mul_f32_e32 v52, v8, v154
	v_cmp_gt_f32_e32 vcc, s33, v52
	s_nop 1
	v_cndmask_b32_e32 v52, 0, v143, vcc
	v_fmac_f32_e32 v52, v8, v154
	v_exp_f32_e32 v52, v52
	v_cndmask_b32_e32 v56, 1.0, v144, vcc
	v_mul_f32_e32 v52, v52, v56
	v_cndmask_b32_e64 v76, 1.0, v52, s[76:77]
	v_mul_f32_e32 v52, v8, v155
	v_cmp_gt_f32_e32 vcc, s33, v52
	v_mul_f32_e32 v56, v164, v60
	v_cndmask_b32_e64 v56, 0, v56, s[76:77]
	v_cndmask_b32_e32 v52, 0, v143, vcc
	v_fmac_f32_e32 v52, v8, v155
	v_exp_f32_e32 v52, v52
	v_cndmask_b32_e32 v57, 1.0, v144, vcc
	v_mul_f32_e32 v52, v52, v57
	v_cndmask_b32_e64 v77, 1.0, v52, s[78:79]
	v_mul_f32_e32 v52, v8, v156
	v_cmp_gt_f32_e32 vcc, s33, v52
	v_mul_f32_e32 v57, v163, v61
	v_cndmask_b32_e64 v57, 0, v57, s[78:79]
	v_cndmask_b32_e32 v52, 0, v143, vcc
	v_fmac_f32_e32 v52, v8, v156
	v_exp_f32_e32 v52, v52
	v_cndmask_b32_e32 v58, 1.0, v144, vcc
	v_mul_f32_e32 v52, v52, v58
	v_cndmask_b32_e64 v78, 1.0, v52, s[80:81]
	v_mul_f32_e32 v52, v8, v157
	v_cmp_gt_f32_e32 vcc, s33, v52
	v_mul_f32_e32 v58, v162, v62
	v_cndmask_b32_e64 v60, 0, v58, s[80:81]
	v_cndmask_b32_e32 v52, 0, v143, vcc
	v_fmac_f32_e32 v52, v8, v157
	v_exp_f32_e32 v52, v52
	v_cndmask_b32_e32 v58, 1.0, v144, vcc
	v_mul_f32_e32 v52, v52, v58
	v_cndmask_b32_e64 v79, 1.0, v52, s[82:83]
	v_mul_f32_e32 v52, v8, v158
	v_cmp_gt_f32_e32 vcc, s33, v52
	v_mul_f32_e32 v58, v161, v63
	v_cndmask_b32_e64 v61, 0, v58, s[82:83]
	v_cndmask_b32_e32 v52, 0, v143, vcc
	v_fmac_f32_e32 v52, v8, v158
	v_exp_f32_e32 v52, v52
	v_cndmask_b32_e32 v58, 1.0, v144, vcc
	v_mul_f32_e32 v52, v52, v58
	v_cndmask_b32_e64 v66, 1.0, v52, s[84:85]
	v_mul_f32_e32 v52, v8, v159
	v_cmp_gt_f32_e32 vcc, s33, v52
	v_mul_f32_e32 v58, v160, v64
	v_cndmask_b32_e64 v58, 0, v58, s[84:85]
	v_cndmask_b32_e32 v52, 0, v143, vcc
	v_fmac_f32_e32 v52, v8, v159
	v_exp_f32_e32 v52, v52
	v_cndmask_b32_e32 v59, 1.0, v144, vcc
	v_mul_f32_e32 v52, v52, v59
	v_mul_f32_e32 v59, v27, v65
	v_pk_mul_f32 v[64:65], v[8:9], v[46:47] op_sel_hi:[0,1]
	v_mul_f32_e32 v8, v16, v67
	v_cmp_gt_f32_e32 vcc, s33, v64
	v_cndmask_b32_e64 v63, 0, v8, s[90:91]
	v_cndmask_b32_e64 v62, 1.0, v52, s[86:87]
	v_cndmask_b32_e32 v8, 0, v143, vcc
	v_add_f32_e32 v8, v64, v8
	v_exp_f32_e32 v8, v8
	v_cndmask_b32_e32 v52, 1.0, v144, vcc
	v_cmp_gt_f32_e32 vcc, s33, v65
	v_cndmask_b32_e64 v59, 0, v59, s[86:87]
	v_mul_f32_e32 v8, v8, v52
	v_cndmask_b32_e32 v52, 0, v143, vcc
	v_add_f32_e32 v52, v65, v52
	v_exp_f32_e32 v52, v52
	v_cndmask_b32_e32 v64, 1.0, v144, vcc
	v_cndmask_b32_e64 v68, 1.0, v8, s[90:91]
	v_mul_f32_e32 v8, v135, v134
	v_mul_f32_e32 v52, v52, v64
	v_cndmask_b32_e64 v69, 1.0, v52, s[88:89]
	v_fma_f32 v52, v135, v133, v9
	v_mul_f32_e32 v8, v8, v136
	v_fma_f32 v52, v52, v136, v10
	v_mul_f32_e32 v8, v8, v137
	;; [unrolled: 2-line block ×10, first 2 shown]
	v_fma_f32 v8, v52, v79, v61
	v_fma_f32 v8, v8, v66, v58
	;; [unrolled: 1-line block ×3, first 2 shown]
	v_mov_b32_e32 v67, v68
	v_pk_mul_f32 v[80:81], v[70:71], v[66:67]
	v_pk_fma_f32 v[70:71], v[70:71], v[66:67], v[62:63]
	v_pk_mul_f32 v[80:81], v[80:81], v[62:63]
	v_cndmask_b32_e64 v65, 0, v55, s[88:89]
	v_mov_b32_e32 v81, v71
	v_mov_b32_e32 v72, v69
	;; [unrolled: 1-line block ×3, first 2 shown]
	v_pk_mul_f32 v[70:71], v[80:81], v[68:69]
	v_mov_b32_e32 v64, v69
	v_pk_mul_f32 v[72:73], v[70:71], v[72:73]
	v_pk_fma_f32 v[70:71], v[80:81], v[68:69], v[64:65]
	s_nop 0
	v_mov_b32_dpp v8, v72 row_shr:1 row_mask:0xf bank_mask:0xf
	v_mov_b32_dpp v52, v71 row_shr:1 row_mask:0xf bank_mask:0xf
	v_mul_f32_e32 v55, v72, v8
	v_fma_f32 v52, v72, v52, v71
	v_cndmask_b32_e64 v70, v55, v72, s[0:1]
	v_cndmask_b32_e64 v73, v52, v71, s[0:1]
	;; [unrolled: 1-line block ×4, first 2 shown]
	v_mov_b32_dpp v55, v73 row_shr:2 row_mask:0xf bank_mask:0xf
	v_mov_b32_dpp v52, v72 row_shr:2 row_mask:0xf bank_mask:0xf
	s_and_saveexec_b64 s[2:3], s[10:11]
; %bb.181:                              ;   in Loop: Header=BB24_110 Depth=2
	v_fmac_f32_e32 v73, v72, v55
	v_mul_f32_e32 v72, v72, v52
	v_mov_b32_e32 v70, v72
	v_mov_b32_e32 v8, v73
; %bb.182:                              ;   in Loop: Header=BB24_110 Depth=2
	s_or_b64 exec, exec, s[2:3]
	v_readlane_b32 s10, v166, 41
	v_mov_b32_dpp v52, v72 row_shr:4 row_mask:0xf bank_mask:0xf
	v_mov_b32_dpp v55, v73 row_shr:4 row_mask:0xf bank_mask:0xf
	v_readlane_b32 s11, v166, 42
	s_and_saveexec_b64 s[2:3], s[10:11]
; %bb.183:                              ;   in Loop: Header=BB24_110 Depth=2
	v_fmac_f32_e32 v73, v72, v55
	v_mul_f32_e32 v72, v72, v52
	v_mov_b32_e32 v70, v72
	v_mov_b32_e32 v8, v73
; %bb.184:                              ;   in Loop: Header=BB24_110 Depth=2
	s_or_b64 exec, exec, s[2:3]
	v_readlane_b32 s10, v166, 43
	v_mov_b32_dpp v52, v72 row_shr:8 row_mask:0xf bank_mask:0xf
	v_mov_b32_dpp v55, v73 row_shr:8 row_mask:0xf bank_mask:0xf
	v_readlane_b32 s11, v166, 44
	s_and_saveexec_b64 s[2:3], s[10:11]
; %bb.185:                              ;   in Loop: Header=BB24_110 Depth=2
	v_fmac_f32_e32 v73, v72, v55
	v_mul_f32_e32 v72, v72, v52
	v_mov_b32_e32 v70, v72
	v_mov_b32_e32 v8, v73
; %bb.186:                              ;   in Loop: Header=BB24_110 Depth=2
	s_or_b64 exec, exec, s[2:3]
	v_readlane_b32 s10, v166, 45
	v_mov_b32_dpp v52, v72 row_bcast:15 row_mask:0xf bank_mask:0xf
	v_mov_b32_dpp v55, v73 row_bcast:15 row_mask:0xf bank_mask:0xf
	v_readlane_b32 s11, v166, 46
	s_and_saveexec_b64 s[2:3], s[10:11]
; %bb.187:                              ;   in Loop: Header=BB24_110 Depth=2
	v_fmac_f32_e32 v73, v72, v55
	v_mul_f32_e32 v72, v72, v52
	v_mov_b32_e32 v70, v72
	v_mov_b32_e32 v8, v73
; %bb.188:                              ;   in Loop: Header=BB24_110 Depth=2
	s_or_b64 exec, exec, s[2:3]
	v_readlane_b32 s10, v166, 53
	v_mov_b32_dpp v55, v72 row_bcast:31 row_mask:0xf bank_mask:0xf
	v_mov_b32_dpp v52, v73 row_bcast:31 row_mask:0xf bank_mask:0xf
	v_readlane_b32 s11, v166, 54
	s_and_saveexec_b64 s[2:3], s[10:11]
; %bb.189:                              ;   in Loop: Header=BB24_110 Depth=2
	v_fmac_f32_e32 v73, v72, v52
	v_mul_f32_e32 v70, v72, v55
	v_mov_b32_e32 v71, v73
	v_mov_b32_e32 v8, v73
	v_mov_b64_e32 v[72:73], v[70:71]
; %bb.190:                              ;   in Loop: Header=BB24_110 Depth=2
	s_or_b64 exec, exec, s[2:3]
	v_readlane_b32 s10, v166, 47
	v_readlane_b32 s11, v166, 48
	s_and_saveexec_b64 s[2:3], s[10:11]
	s_cbranch_execz .LBB24_192
; %bb.191:                              ;   in Loop: Header=BB24_110 Depth=2
	ds_write_b64 v123, v[72:73] offset:8448
.LBB24_192:                             ;   in Loop: Header=BB24_110 Depth=2
	s_or_b64 exec, exec, s[2:3]
	v_readlane_b32 s10, v166, 55
	v_readlane_b32 s11, v166, 56
	s_waitcnt lgkmcnt(0)
	s_barrier
	s_and_saveexec_b64 s[2:3], s[10:11]
	s_cbranch_execz .LBB24_194
; %bb.193:                              ;   in Loop: Header=BB24_110 Depth=2
	ds_read_b64 v[72:73], v124 offset:8448
	v_readlane_b32 s10, v166, 49
	v_readlane_b32 s11, v166, 50
	s_waitcnt lgkmcnt(0)
	v_mov_b32_dpp v52, v72 row_shr:1 row_mask:0xf bank_mask:0xf
	v_mov_b32_dpp v55, v73 row_shr:1 row_mask:0xf bank_mask:0xf
	v_fma_f32 v55, v72, v55, v73
	v_mul_f32_e32 v52, v72, v52
	v_cndmask_b32_e64 v72, v52, v72, s[10:11]
	v_cndmask_b32_e64 v73, v55, v73, s[10:11]
	ds_write_b64 v124, v[72:73] offset:8448
.LBB24_194:                             ;   in Loop: Header=BB24_110 Depth=2
	s_or_b64 exec, exec, s[2:3]
	s_waitcnt lgkmcnt(0)
	s_barrier
	s_waitcnt lgkmcnt(0)
                                        ; implicit-def: $vgpr72
	s_and_saveexec_b64 s[2:3], s[20:21]
	s_cbranch_execz .LBB24_196
; %bb.195:                              ;   in Loop: Header=BB24_110 Depth=2
	ds_read_b64 v[72:73], v123 offset:8440
	s_waitcnt lgkmcnt(0)
	v_mul_f32_e32 v52, v70, v72
	v_fmac_f32_e32 v8, v70, v73
	v_mov_b32_e32 v70, v52
.LBB24_196:                             ;   in Loop: Header=BB24_110 Depth=2
	s_or_b64 exec, exec, s[2:3]
	ds_bpermute_b32 v64, v125, v70
	ds_bpermute_b32 v8, v125, v8
	v_readlane_b32 s10, v166, 57
	v_readlane_b32 s11, v166, 58
	s_and_saveexec_b64 s[2:3], s[10:11]
	s_cbranch_execz .LBB24_200
; %bb.197:                              ;   in Loop: Header=BB24_110 Depth=2
	ds_read_b64 v[70:71], v17 offset:8456
	s_and_saveexec_b64 vcc, s[22:23]
	s_cbranch_execz .LBB24_199
; %bb.198:                              ;   in Loop: Header=BB24_110 Depth=2
	v_mov_b32_e32 v55, v53
	ds_write_b64 v17, v[54:55] offset:8456
.LBB24_199:                             ;   in Loop: Header=BB24_110 Depth=2
	s_or_b64 exec, exec, vcc
	s_waitcnt lgkmcnt(0)
	v_mul_f32_e32 v55, v70, v53
	v_pk_add_f32 v[52:53], v[54:55], v[70:71]
	v_mul_f32_e32 v54, v54, v70
.LBB24_200:                             ;   in Loop: Header=BB24_110 Depth=2
	s_or_b64 exec, exec, s[2:3]
	s_waitcnt lgkmcnt(0)
	s_barrier
	ds_read_b32 v52, v17 offset:8460
	s_and_saveexec_b64 s[2:3], s[22:23]
	s_cbranch_execz .LBB24_109
; %bb.201:                              ;   in Loop: Header=BB24_110 Depth=2
	v_mov_b32_e32 v55, v53
	v_mov_b32_e32 v67, s9
	s_andn2_b64 vcc, exec, s[96:97]
	ds_write_b64 v67, v[54:55]
	s_cbranch_vccnz .LBB24_109
; %bb.202:                              ;   in Loop: Header=BB24_110 Depth=2
	v_bfe_u32 v54, v53, 16, 1
	s_movk_i32 s5, 0x7fff
	v_add3_u32 v54, v53, v54, s5
	s_mov_b32 s5, s7
	s_lshl_b64 s[10:11], s[4:5], 1
	v_readlane_b32 s5, v166, 21
	v_lshrrev_b32_e32 v54, 16, v54
	v_cmp_o_f32_e32 vcc, v53, v53
	s_add_u32 s10, s5, s10
	v_readlane_b32 s5, v166, 22
	v_cndmask_b32_e32 v53, v145, v54, vcc
	s_addc_u32 s11, s5, s11
	global_store_short v17, v53, s[10:11]
	s_branch .LBB24_109
.LBB24_203:                             ;   in Loop: Header=BB24_13 Depth=1
	s_mov_b32 s6, 0x41a00000
	s_mov_b32 s8, 0x3fb8aa3b
	s_mov_b32 s9, 0xc2ce8ed0
	s_mov_b32 s10, 0x42b17218
	s_mov_b32 s11, 0x7f800000
	s_mov_b32 s12, 0x3f2aaaab
	s_mov_b32 s13, 0x3f317218
	s_mov_b32 s16, 0x33800000
.LBB24_204:                             ;   in Loop: Header=BB24_13 Depth=1
	v_bfe_u32 v0, v44, 16, 1
	s_movk_i32 s2, 0x7fff
	v_bfe_u32 v1, v45, 16, 1
	v_add3_u32 v0, v44, v0, s2
	v_bfe_u32 v2, v42, 16, 1
	v_add3_u32 v1, v45, v1, s2
	v_lshrrev_b32_e32 v0, 16, v0
	v_cmp_o_f32_e32 vcc, v44, v44
	v_bfe_u32 v3, v43, 16, 1
	v_add3_u32 v2, v42, v2, s2
	v_lshrrev_b32_e32 v1, 16, v1
	v_cndmask_b32_e32 v0, v145, v0, vcc
	v_cmp_o_f32_e32 vcc, v45, v45
	v_add3_u32 v3, v43, v3, s2
	v_lshrrev_b32_e32 v2, 16, v2
	v_cndmask_b32_e32 v4, v145, v1, vcc
	v_cmp_o_f32_e32 vcc, v42, v42
	v_lshrrev_b32_e32 v3, 16, v3
	v_bfe_u32 v6, v38, 16, 1
	v_cndmask_b32_e32 v1, v145, v2, vcc
	v_cmp_o_f32_e32 vcc, v43, v43
	v_bfe_u32 v2, v40, 16, 1
	v_add3_u32 v2, v40, v2, s2
	v_cndmask_b32_e32 v5, v145, v3, vcc
	v_bfe_u32 v3, v41, 16, 1
	v_add3_u32 v3, v41, v3, s2
	v_lshrrev_b32_e32 v2, 16, v2
	v_cmp_o_f32_e32 vcc, v40, v40
	v_bfe_u32 v7, v39, 16, 1
	v_add3_u32 v6, v38, v6, s2
	v_lshrrev_b32_e32 v3, 16, v3
	v_cndmask_b32_e32 v2, v145, v2, vcc
	v_cmp_o_f32_e32 vcc, v41, v41
	v_add3_u32 v7, v39, v7, s2
	v_lshrrev_b32_e32 v6, 16, v6
	v_cndmask_b32_e32 v8, v145, v3, vcc
	v_cmp_o_f32_e32 vcc, v38, v38
	v_lshrrev_b32_e32 v7, 16, v7
	s_mov_b32 s3, 0x5040100
	v_cndmask_b32_e32 v3, v145, v6, vcc
	v_cmp_o_f32_e32 vcc, v39, v39
	v_perm_b32 v2, v8, v2, s3
	v_perm_b32 v1, v5, v1, s3
	v_cndmask_b32_e32 v6, v145, v7, vcc
	v_perm_b32 v3, v6, v3, s3
	v_perm_b32 v0, v4, v0, s3
	s_barrier
	ds_write_b128 v121, v[0:3]
	v_bfe_u32 v0, v36, 16, 1
	v_bfe_u32 v1, v37, 16, 1
	v_add3_u32 v0, v36, v0, s2
	v_bfe_u32 v2, v34, 16, 1
	v_add3_u32 v1, v37, v1, s2
	v_lshrrev_b32_e32 v0, 16, v0
	v_cmp_o_f32_e32 vcc, v36, v36
	v_bfe_u32 v3, v35, 16, 1
	v_add3_u32 v2, v34, v2, s2
	v_lshrrev_b32_e32 v1, 16, v1
	v_cndmask_b32_e32 v0, v145, v0, vcc
	v_cmp_o_f32_e32 vcc, v37, v37
	v_add3_u32 v3, v35, v3, s2
	v_lshrrev_b32_e32 v2, 16, v2
	v_cndmask_b32_e32 v4, v145, v1, vcc
	v_cmp_o_f32_e32 vcc, v34, v34
	v_lshrrev_b32_e32 v3, 16, v3
	v_bfe_u32 v6, v30, 16, 1
	v_cndmask_b32_e32 v1, v145, v2, vcc
	v_cmp_o_f32_e32 vcc, v35, v35
	v_bfe_u32 v2, v32, 16, 1
	v_add3_u32 v2, v32, v2, s2
	v_cndmask_b32_e32 v5, v145, v3, vcc
	v_bfe_u32 v3, v33, 16, 1
	v_add3_u32 v3, v33, v3, s2
	v_lshrrev_b32_e32 v2, 16, v2
	v_cmp_o_f32_e32 vcc, v32, v32
	v_bfe_u32 v7, v31, 16, 1
	v_add3_u32 v6, v30, v6, s2
	v_lshrrev_b32_e32 v3, 16, v3
	v_cndmask_b32_e32 v2, v145, v2, vcc
	v_cmp_o_f32_e32 vcc, v33, v33
	v_add3_u32 v7, v31, v7, s2
	v_lshrrev_b32_e32 v6, 16, v6
	v_cndmask_b32_e32 v8, v145, v3, vcc
	v_cmp_o_f32_e32 vcc, v30, v30
	v_lshrrev_b32_e32 v7, 16, v7
	v_perm_b32 v2, v8, v2, s3
	v_cndmask_b32_e32 v3, v145, v6, vcc
	v_cmp_o_f32_e32 vcc, v31, v31
	v_perm_b32 v1, v5, v1, s3
	v_perm_b32 v0, v4, v0, s3
	v_cndmask_b32_e32 v6, v145, v7, vcc
	v_perm_b32 v3, v6, v3, s3
	ds_write_b128 v121, v[0:3] offset:16
	; wave barrier
	ds_read_u16 v16, v91 offset:128
	ds_read_u16 v15, v92 offset:256
	;; [unrolled: 1-line block ×15, first 2 shown]
	v_readlane_b32 s2, v166, 61
	v_readlane_b32 s3, v166, 62
	s_mov_b32 s3, s7
	s_mov_b64 s[18:19], s[2:3]
	v_lshl_add_u64 v[0:1], s[2:3], 1, v[20:21]
	s_and_saveexec_b64 s[2:3], s[26:27]
	s_cbranch_execnz .LBB24_271
; %bb.205:                              ;   in Loop: Header=BB24_13 Depth=1
	s_or_b64 exec, exec, s[2:3]
	s_and_saveexec_b64 s[2:3], s[28:29]
	s_cbranch_execnz .LBB24_272
.LBB24_206:                             ;   in Loop: Header=BB24_13 Depth=1
	s_or_b64 exec, exec, s[2:3]
	s_and_saveexec_b64 s[2:3], s[30:31]
	s_cbranch_execnz .LBB24_273
.LBB24_207:                             ;   in Loop: Header=BB24_13 Depth=1
	s_or_b64 exec, exec, s[2:3]
	s_and_saveexec_b64 s[2:3], s[34:35]
	s_cbranch_execnz .LBB24_274
.LBB24_208:                             ;   in Loop: Header=BB24_13 Depth=1
	s_or_b64 exec, exec, s[2:3]
	s_and_saveexec_b64 s[2:3], s[36:37]
	s_cbranch_execnz .LBB24_275
.LBB24_209:                             ;   in Loop: Header=BB24_13 Depth=1
	s_or_b64 exec, exec, s[2:3]
	s_and_saveexec_b64 s[2:3], s[38:39]
	s_cbranch_execnz .LBB24_276
.LBB24_210:                             ;   in Loop: Header=BB24_13 Depth=1
	s_or_b64 exec, exec, s[2:3]
	s_and_saveexec_b64 s[2:3], s[40:41]
	s_cbranch_execnz .LBB24_277
.LBB24_211:                             ;   in Loop: Header=BB24_13 Depth=1
	s_or_b64 exec, exec, s[2:3]
	s_and_saveexec_b64 s[2:3], s[42:43]
	s_cbranch_execnz .LBB24_278
.LBB24_212:                             ;   in Loop: Header=BB24_13 Depth=1
	s_or_b64 exec, exec, s[2:3]
	s_and_saveexec_b64 s[2:3], s[44:45]
	s_cbranch_execnz .LBB24_279
.LBB24_213:                             ;   in Loop: Header=BB24_13 Depth=1
	s_or_b64 exec, exec, s[2:3]
	s_and_saveexec_b64 s[2:3], s[46:47]
	s_cbranch_execnz .LBB24_280
.LBB24_214:                             ;   in Loop: Header=BB24_13 Depth=1
	s_or_b64 exec, exec, s[2:3]
	s_and_saveexec_b64 s[2:3], s[48:49]
	s_cbranch_execnz .LBB24_281
.LBB24_215:                             ;   in Loop: Header=BB24_13 Depth=1
	s_or_b64 exec, exec, s[2:3]
	s_and_saveexec_b64 s[2:3], s[50:51]
	s_cbranch_execnz .LBB24_282
.LBB24_216:                             ;   in Loop: Header=BB24_13 Depth=1
	s_or_b64 exec, exec, s[2:3]
	s_and_saveexec_b64 s[2:3], s[52:53]
	s_cbranch_execnz .LBB24_283
.LBB24_217:                             ;   in Loop: Header=BB24_13 Depth=1
	s_or_b64 exec, exec, s[2:3]
	s_and_saveexec_b64 s[2:3], s[54:55]
	s_cbranch_execnz .LBB24_284
.LBB24_218:                             ;   in Loop: Header=BB24_13 Depth=1
	s_or_b64 exec, exec, s[2:3]
	s_and_saveexec_b64 s[2:3], s[56:57]
	s_cbranch_execnz .LBB24_285
.LBB24_219:                             ;   in Loop: Header=BB24_13 Depth=1
	s_or_b64 exec, exec, s[2:3]
	s_and_saveexec_b64 s[2:3], s[58:59]
	s_cbranch_execz .LBB24_221
.LBB24_220:                             ;   in Loop: Header=BB24_13 Depth=1
	s_waitcnt lgkmcnt(0)
	global_store_short v[0:1], v2, off offset:1920
.LBB24_221:                             ;   in Loop: Header=BB24_13 Depth=1
	s_or_b64 exec, exec, s[2:3]
	v_lshl_add_u64 v[0:1], s[18:19], 1, v[22:23]
	s_waitcnt lgkmcnt(0)
	v_mov_b32_e32 v2, 0
	v_mov_b32_e32 v3, 0
	s_barrier
	s_and_saveexec_b64 s[2:3], s[26:27]
	s_cbranch_execz .LBB24_223
; %bb.222:                              ;   in Loop: Header=BB24_13 Depth=1
	global_load_ushort v3, v[0:1], off
.LBB24_223:                             ;   in Loop: Header=BB24_13 Depth=1
	s_or_b64 exec, exec, s[2:3]
	s_and_saveexec_b64 s[2:3], s[28:29]
	s_cbranch_execz .LBB24_225
; %bb.224:                              ;   in Loop: Header=BB24_13 Depth=1
	global_load_ushort v2, v[0:1], off offset:128
.LBB24_225:                             ;   in Loop: Header=BB24_13 Depth=1
	s_or_b64 exec, exec, s[2:3]
	v_mov_b32_e32 v4, 0
	v_mov_b32_e32 v5, 0
	s_and_saveexec_b64 s[2:3], s[30:31]
	s_cbranch_execz .LBB24_227
; %bb.226:                              ;   in Loop: Header=BB24_13 Depth=1
	global_load_ushort v5, v[0:1], off offset:256
.LBB24_227:                             ;   in Loop: Header=BB24_13 Depth=1
	s_or_b64 exec, exec, s[2:3]
	s_and_saveexec_b64 s[2:3], s[34:35]
	s_cbranch_execz .LBB24_229
; %bb.228:                              ;   in Loop: Header=BB24_13 Depth=1
	global_load_ushort v4, v[0:1], off offset:384
.LBB24_229:                             ;   in Loop: Header=BB24_13 Depth=1
	s_or_b64 exec, exec, s[2:3]
	v_mov_b32_e32 v6, 0
	v_mov_b32_e32 v7, 0
	s_and_saveexec_b64 s[2:3], s[36:37]
	s_cbranch_execz .LBB24_231
; %bb.230:                              ;   in Loop: Header=BB24_13 Depth=1
	global_load_ushort v7, v[0:1], off offset:512
.LBB24_231:                             ;   in Loop: Header=BB24_13 Depth=1
	s_or_b64 exec, exec, s[2:3]
	s_and_saveexec_b64 s[2:3], s[38:39]
	s_cbranch_execz .LBB24_233
; %bb.232:                              ;   in Loop: Header=BB24_13 Depth=1
	global_load_ushort v6, v[0:1], off offset:640
.LBB24_233:                             ;   in Loop: Header=BB24_13 Depth=1
	s_or_b64 exec, exec, s[2:3]
	v_mov_b32_e32 v8, 0
	v_mov_b32_e32 v9, 0
	s_and_saveexec_b64 s[2:3], s[40:41]
	s_cbranch_execz .LBB24_235
; %bb.234:                              ;   in Loop: Header=BB24_13 Depth=1
	global_load_ushort v9, v[0:1], off offset:768
.LBB24_235:                             ;   in Loop: Header=BB24_13 Depth=1
	s_or_b64 exec, exec, s[2:3]
	s_and_saveexec_b64 s[2:3], s[42:43]
	s_cbranch_execz .LBB24_237
; %bb.236:                              ;   in Loop: Header=BB24_13 Depth=1
	global_load_ushort v8, v[0:1], off offset:896
.LBB24_237:                             ;   in Loop: Header=BB24_13 Depth=1
	s_or_b64 exec, exec, s[2:3]
	v_mov_b32_e32 v10, 0
	v_mov_b32_e32 v11, 0
	s_and_saveexec_b64 s[2:3], s[44:45]
	s_cbranch_execz .LBB24_239
; %bb.238:                              ;   in Loop: Header=BB24_13 Depth=1
	global_load_ushort v11, v[0:1], off offset:1024
.LBB24_239:                             ;   in Loop: Header=BB24_13 Depth=1
	s_or_b64 exec, exec, s[2:3]
	s_and_saveexec_b64 s[2:3], s[46:47]
	s_cbranch_execz .LBB24_241
; %bb.240:                              ;   in Loop: Header=BB24_13 Depth=1
	global_load_ushort v10, v[0:1], off offset:1152
.LBB24_241:                             ;   in Loop: Header=BB24_13 Depth=1
	s_or_b64 exec, exec, s[2:3]
	v_mov_b32_e32 v12, 0
	v_mov_b32_e32 v13, 0
	s_and_saveexec_b64 s[2:3], s[48:49]
	s_cbranch_execz .LBB24_243
; %bb.242:                              ;   in Loop: Header=BB24_13 Depth=1
	global_load_ushort v13, v[0:1], off offset:1280
.LBB24_243:                             ;   in Loop: Header=BB24_13 Depth=1
	s_or_b64 exec, exec, s[2:3]
	s_and_saveexec_b64 s[2:3], s[50:51]
	s_cbranch_execz .LBB24_245
; %bb.244:                              ;   in Loop: Header=BB24_13 Depth=1
	global_load_ushort v12, v[0:1], off offset:1408
.LBB24_245:                             ;   in Loop: Header=BB24_13 Depth=1
	s_or_b64 exec, exec, s[2:3]
	v_mov_b32_e32 v14, 0
	v_mov_b32_e32 v15, 0
	s_and_saveexec_b64 s[2:3], s[52:53]
	s_cbranch_execz .LBB24_247
; %bb.246:                              ;   in Loop: Header=BB24_13 Depth=1
	global_load_ushort v15, v[0:1], off offset:1536
.LBB24_247:                             ;   in Loop: Header=BB24_13 Depth=1
	s_or_b64 exec, exec, s[2:3]
	s_and_saveexec_b64 s[2:3], s[54:55]
	s_cbranch_execz .LBB24_249
; %bb.248:                              ;   in Loop: Header=BB24_13 Depth=1
	global_load_ushort v14, v[0:1], off offset:1664
.LBB24_249:                             ;   in Loop: Header=BB24_13 Depth=1
	s_or_b64 exec, exec, s[2:3]
	v_mov_b32_e32 v16, 0
	v_mov_b32_e32 v27, 0
	s_and_saveexec_b64 s[2:3], s[56:57]
	s_cbranch_execz .LBB24_251
; %bb.250:                              ;   in Loop: Header=BB24_13 Depth=1
	global_load_ushort v27, v[0:1], off offset:1792
.LBB24_251:                             ;   in Loop: Header=BB24_13 Depth=1
	s_or_b64 exec, exec, s[2:3]
	s_and_saveexec_b64 s[2:3], s[58:59]
	s_cbranch_execz .LBB24_253
; %bb.252:                              ;   in Loop: Header=BB24_13 Depth=1
	global_load_ushort v16, v[0:1], off offset:1920
.LBB24_253:                             ;   in Loop: Header=BB24_13 Depth=1
	s_or_b64 exec, exec, s[2:3]
	s_waitcnt vmcnt(0)
	ds_write_b16 v90, v3
	ds_write_b16 v91, v2 offset:128
	ds_write_b16 v92, v5 offset:256
	;; [unrolled: 1-line block ×15, first 2 shown]
	; wave barrier
	ds_read_b128 v[4:7], v121
	ds_read_b128 v[0:3], v121 offset:16
	s_mov_b32 s5, 0xbfb8aa3b
	s_mov_b32 s14, 0x42ce8ed0
	;; [unrolled: 1-line block ×3, first 2 shown]
	s_waitcnt lgkmcnt(1)
	v_and_b32_e32 v11, 0xffff0000, v5
	v_and_b32_e32 v10, 0xffff0000, v4
	v_lshlrev_b32_e32 v12, 16, v4
	v_mul_f32_e32 v4, 0xbfb8aa3b, v11
	v_lshlrev_b32_e32 v13, 16, v5
	v_fma_f32 v5, v11, s5, -v4
	v_rndne_f32_e32 v8, v4
	v_fmac_f32_e32 v5, 0xb2a5705f, v11
	v_sub_f32_e32 v4, v4, v8
	v_add_f32_e32 v4, v4, v5
	v_exp_f32_e32 v4, v4
	v_cvt_i32_f32_e32 v5, v8
	v_cmp_nlt_f32_e32 vcc, s14, v11
	s_movk_i32 s4, 0x7fff
	s_waitcnt lgkmcnt(0)
	v_ldexp_f32 v4, v4, v5
	v_cndmask_b32_e32 v4, 0, v4, vcc
	v_cmp_ngt_f32_e32 vcc, s15, v11
	s_barrier
	s_nop 0
	v_cndmask_b32_e32 v5, v142, v4, vcc
	v_mul_f32_e32 v4, 0xbfb8aa3b, v10
	v_fma_f32 v8, v10, s5, -v4
	v_rndne_f32_e32 v9, v4
	v_fmac_f32_e32 v8, 0xb2a5705f, v10
	v_sub_f32_e32 v4, v4, v9
	v_add_f32_e32 v4, v4, v8
	v_exp_f32_e32 v4, v4
	v_cvt_i32_f32_e32 v8, v9
	v_cmp_nlt_f32_e32 vcc, s14, v10
	v_ldexp_f32 v4, v4, v8
	s_nop 0
	v_cndmask_b32_e32 v4, 0, v4, vcc
	v_cmp_ngt_f32_e32 vcc, s15, v10
	s_nop 1
	v_cndmask_b32_e32 v9, v142, v4, vcc
	v_mul_f32_e32 v4, 0xbfb8aa3b, v13
	v_rndne_f32_e32 v8, v4
	v_sub_f32_e32 v14, v4, v8
	v_fma_f32 v4, v13, s5, -v4
	v_fmac_f32_e32 v4, 0xb2a5705f, v13
	v_add_f32_e32 v4, v14, v4
	v_exp_f32_e32 v4, v4
	v_cvt_i32_f32_e32 v8, v8
	v_cmp_nlt_f32_e32 vcc, s14, v13
	v_ldexp_f32 v4, v4, v8
	v_mul_f32_e32 v8, 0xbfb8aa3b, v12
	v_rndne_f32_e32 v14, v8
	v_sub_f32_e32 v15, v8, v14
	v_fma_f32 v8, v12, s5, -v8
	v_fmac_f32_e32 v8, 0xb2a5705f, v12
	v_add_f32_e32 v8, v15, v8
	v_exp_f32_e32 v8, v8
	v_cvt_i32_f32_e32 v14, v14
	v_cndmask_b32_e32 v4, 0, v4, vcc
	v_cmp_ngt_f32_e32 vcc, s15, v13
	v_ldexp_f32 v8, v8, v14
	s_nop 0
	v_cndmask_b32_e32 v4, v142, v4, vcc
	v_pk_add_f32 v[4:5], v[4:5], 1.0 op_sel_hi:[1,0]
	v_cmp_nlt_f32_e32 vcc, s14, v12
	v_div_scale_f32 v14, s[2:3], v5, v5, v11
	v_rcp_f32_e32 v15, v14
	v_cndmask_b32_e32 v8, 0, v8, vcc
	v_cmp_ngt_f32_e32 vcc, s15, v12
	v_fma_f32 v16, -v14, v15, 1.0
	s_nop 0
	v_cndmask_b32_e32 v8, v142, v8, vcc
	v_fmac_f32_e32 v15, v16, v15
	v_div_scale_f32 v16, vcc, v11, v5, v11
	v_mul_f32_e32 v27, v16, v15
	v_fma_f32 v29, -v14, v27, v16
	v_fmac_f32_e32 v27, v29, v15
	v_fma_f32 v14, -v14, v27, v16
	v_div_fmas_f32 v14, v14, v15, v27
	v_div_fixup_f32 v5, v14, v5, v11
	v_div_scale_f32 v11, s[2:3], v4, v4, v13
	v_rcp_f32_e32 v14, v11
	v_pk_add_f32 v[8:9], v[8:9], 1.0 op_sel_hi:[1,0]
	v_fma_f32 v15, -v11, v14, 1.0
	v_fmac_f32_e32 v14, v15, v14
	v_div_scale_f32 v15, vcc, v13, v4, v13
	v_mul_f32_e32 v16, v15, v14
	v_fma_f32 v27, -v11, v16, v15
	v_fmac_f32_e32 v16, v27, v14
	v_fma_f32 v11, -v11, v16, v15
	v_div_fmas_f32 v11, v11, v14, v16
	v_div_fixup_f32 v4, v11, v4, v13
	v_div_scale_f32 v11, s[2:3], v9, v9, v10
	v_rcp_f32_e32 v13, v11
	s_nop 0
	v_fma_f32 v14, -v11, v13, 1.0
	v_fmac_f32_e32 v13, v14, v13
	v_div_scale_f32 v14, vcc, v10, v9, v10
	v_mul_f32_e32 v15, v14, v13
	v_fma_f32 v16, -v11, v15, v14
	v_fmac_f32_e32 v15, v16, v13
	v_fma_f32 v11, -v11, v15, v14
	v_div_fmas_f32 v11, v11, v13, v15
	v_div_fixup_f32 v9, v11, v9, v10
	v_div_scale_f32 v10, s[2:3], v8, v8, v12
	v_rcp_f32_e32 v11, v10
	s_nop 0
	v_fma_f32 v13, -v10, v11, 1.0
	v_fmac_f32_e32 v11, v13, v11
	v_div_scale_f32 v13, vcc, v12, v8, v12
	v_mul_f32_e32 v14, v13, v11
	v_fma_f32 v15, -v10, v14, v13
	v_fmac_f32_e32 v14, v15, v11
	v_fma_f32 v10, -v10, v14, v13
	v_div_fmas_f32 v10, v10, v11, v14
	v_div_fixup_f32 v8, v10, v8, v12
	v_pk_mul_f32 v[8:9], v[44:45], v[8:9]
	v_pk_mul_f32 v[10:11], v[42:43], v[4:5]
	v_bfe_u32 v4, v8, 16, 1
	v_bfe_u32 v5, v9, 16, 1
	v_add3_u32 v4, v8, v4, s4
	v_bfe_u32 v12, v10, 16, 1
	v_add3_u32 v5, v9, v5, s4
	v_lshrrev_b32_e32 v4, 16, v4
	v_cmp_o_f32_e32 vcc, v8, v8
	v_bfe_u32 v13, v11, 16, 1
	v_add3_u32 v12, v10, v12, s4
	v_lshrrev_b32_e32 v5, 16, v5
	v_cndmask_b32_e32 v4, v145, v4, vcc
	v_cmp_o_f32_e32 vcc, v9, v9
	v_add3_u32 v13, v11, v13, s4
	v_lshrrev_b32_e32 v12, 16, v12
	v_cndmask_b32_e32 v5, v145, v5, vcc
	v_cmp_o_f32_e32 vcc, v10, v10
	v_lshrrev_b32_e32 v13, 16, v13
	v_lshlrev_b32_e32 v14, 16, v6
	v_cndmask_b32_e32 v8, v145, v12, vcc
	v_cmp_o_f32_e32 vcc, v11, v11
	v_and_b32_e32 v12, 0xffff0000, v6
	v_lshlrev_b32_e32 v15, 16, v7
	v_cndmask_b32_e32 v9, v145, v13, vcc
	v_and_b32_e32 v13, 0xffff0000, v7
	v_mul_f32_e32 v6, 0xbfb8aa3b, v13
	v_fma_f32 v7, v13, s5, -v6
	v_rndne_f32_e32 v10, v6
	v_fmac_f32_e32 v7, 0xb2a5705f, v13
	v_sub_f32_e32 v6, v6, v10
	v_add_f32_e32 v6, v6, v7
	v_exp_f32_e32 v6, v6
	v_cvt_i32_f32_e32 v7, v10
	v_cmp_nlt_f32_e32 vcc, s14, v13
	v_ldexp_f32 v6, v6, v7
	s_nop 0
	v_cndmask_b32_e32 v6, 0, v6, vcc
	v_cmp_ngt_f32_e32 vcc, s15, v13
	s_nop 1
	v_cndmask_b32_e32 v7, v142, v6, vcc
	v_mul_f32_e32 v6, 0xbfb8aa3b, v12
	v_fma_f32 v10, v12, s5, -v6
	v_rndne_f32_e32 v11, v6
	v_fmac_f32_e32 v10, 0xb2a5705f, v12
	v_sub_f32_e32 v6, v6, v11
	v_add_f32_e32 v6, v6, v10
	v_exp_f32_e32 v6, v6
	v_cvt_i32_f32_e32 v10, v11
	v_cmp_nlt_f32_e32 vcc, s14, v12
	v_ldexp_f32 v6, v6, v10
	s_nop 0
	v_cndmask_b32_e32 v6, 0, v6, vcc
	v_cmp_ngt_f32_e32 vcc, s15, v12
	s_nop 1
	v_cndmask_b32_e32 v11, v142, v6, vcc
	v_mul_f32_e32 v6, 0xbfb8aa3b, v15
	v_rndne_f32_e32 v10, v6
	v_sub_f32_e32 v16, v6, v10
	v_fma_f32 v6, v15, s5, -v6
	v_fmac_f32_e32 v6, 0xb2a5705f, v15
	v_add_f32_e32 v6, v16, v6
	v_exp_f32_e32 v6, v6
	v_cvt_i32_f32_e32 v10, v10
	v_cmp_nlt_f32_e32 vcc, s14, v15
	v_ldexp_f32 v6, v6, v10
	v_mul_f32_e32 v10, 0xbfb8aa3b, v14
	v_rndne_f32_e32 v16, v10
	v_sub_f32_e32 v27, v10, v16
	v_fma_f32 v10, v14, s5, -v10
	v_fmac_f32_e32 v10, 0xb2a5705f, v14
	v_add_f32_e32 v10, v27, v10
	v_exp_f32_e32 v10, v10
	v_cvt_i32_f32_e32 v16, v16
	v_cndmask_b32_e32 v6, 0, v6, vcc
	v_cmp_ngt_f32_e32 vcc, s15, v15
	v_ldexp_f32 v10, v10, v16
	s_nop 0
	v_cndmask_b32_e32 v6, v142, v6, vcc
	v_pk_add_f32 v[6:7], v[6:7], 1.0 op_sel_hi:[1,0]
	v_cmp_nlt_f32_e32 vcc, s14, v14
	v_div_scale_f32 v16, s[2:3], v7, v7, v13
	v_rcp_f32_e32 v27, v16
	v_cndmask_b32_e32 v10, 0, v10, vcc
	v_cmp_ngt_f32_e32 vcc, s15, v14
	v_fma_f32 v29, -v16, v27, 1.0
	s_nop 0
	v_cndmask_b32_e32 v10, v142, v10, vcc
	v_fmac_f32_e32 v27, v29, v27
	v_div_scale_f32 v29, vcc, v13, v7, v13
	v_mul_f32_e32 v42, v29, v27
	v_fma_f32 v43, -v16, v42, v29
	v_fmac_f32_e32 v42, v43, v27
	v_fma_f32 v16, -v16, v42, v29
	v_div_fmas_f32 v16, v16, v27, v42
	v_div_fixup_f32 v7, v16, v7, v13
	v_div_scale_f32 v13, s[2:3], v6, v6, v15
	v_rcp_f32_e32 v16, v13
	v_pk_add_f32 v[10:11], v[10:11], 1.0 op_sel_hi:[1,0]
	v_fma_f32 v27, -v13, v16, 1.0
	v_fmac_f32_e32 v16, v27, v16
	v_div_scale_f32 v27, vcc, v15, v6, v15
	v_mul_f32_e32 v29, v27, v16
	v_fma_f32 v42, -v13, v29, v27
	v_fmac_f32_e32 v29, v42, v16
	v_fma_f32 v13, -v13, v29, v27
	v_div_fmas_f32 v13, v13, v16, v29
	v_div_fixup_f32 v6, v13, v6, v15
	v_div_scale_f32 v13, s[2:3], v11, v11, v12
	v_rcp_f32_e32 v15, v13
	s_nop 0
	v_fma_f32 v16, -v13, v15, 1.0
	v_fmac_f32_e32 v15, v16, v15
	v_div_scale_f32 v16, vcc, v12, v11, v12
	v_mul_f32_e32 v27, v16, v15
	v_fma_f32 v29, -v13, v27, v16
	v_fmac_f32_e32 v27, v29, v15
	v_fma_f32 v13, -v13, v27, v16
	v_div_fmas_f32 v13, v13, v15, v27
	v_div_fixup_f32 v11, v13, v11, v12
	v_div_scale_f32 v12, s[2:3], v10, v10, v14
	v_rcp_f32_e32 v13, v12
	s_nop 0
	v_fma_f32 v15, -v12, v13, 1.0
	v_fmac_f32_e32 v13, v15, v13
	v_div_scale_f32 v15, vcc, v14, v10, v14
	v_mul_f32_e32 v16, v15, v13
	v_fma_f32 v27, -v12, v16, v15
	v_fmac_f32_e32 v16, v27, v13
	v_fma_f32 v12, -v12, v16, v15
	v_div_fmas_f32 v12, v12, v13, v16
	v_div_fixup_f32 v10, v12, v10, v14
	v_pk_mul_f32 v[10:11], v[40:41], v[10:11]
	v_pk_mul_f32 v[12:13], v[38:39], v[6:7]
	v_bfe_u32 v6, v10, 16, 1
	v_bfe_u32 v7, v11, 16, 1
	v_add3_u32 v6, v10, v6, s4
	v_bfe_u32 v14, v12, 16, 1
	v_add3_u32 v7, v11, v7, s4
	v_lshrrev_b32_e32 v6, 16, v6
	v_cmp_o_f32_e32 vcc, v10, v10
	v_bfe_u32 v15, v13, 16, 1
	v_add3_u32 v14, v12, v14, s4
	v_lshrrev_b32_e32 v7, 16, v7
	v_cndmask_b32_e32 v6, v145, v6, vcc
	v_cmp_o_f32_e32 vcc, v11, v11
	v_add3_u32 v15, v13, v15, s4
	v_lshrrev_b32_e32 v14, 16, v14
	v_cndmask_b32_e32 v7, v145, v7, vcc
	v_cmp_o_f32_e32 vcc, v12, v12
	v_lshrrev_b32_e32 v15, 16, v15
	v_lshlrev_b32_e32 v16, 16, v0
	v_cndmask_b32_e32 v10, v145, v14, vcc
	v_cmp_o_f32_e32 vcc, v13, v13
	v_and_b32_e32 v14, 0xffff0000, v0
	v_lshlrev_b32_e32 v27, 16, v1
	v_cndmask_b32_e32 v11, v145, v15, vcc
	v_and_b32_e32 v15, 0xffff0000, v1
	v_mul_f32_e32 v0, 0xbfb8aa3b, v15
	v_fma_f32 v1, v15, s5, -v0
	v_rndne_f32_e32 v12, v0
	v_fmac_f32_e32 v1, 0xb2a5705f, v15
	v_sub_f32_e32 v0, v0, v12
	v_add_f32_e32 v0, v0, v1
	v_exp_f32_e32 v0, v0
	v_cvt_i32_f32_e32 v1, v12
	v_cmp_nlt_f32_e32 vcc, s14, v15
	v_ldexp_f32 v0, v0, v1
	s_nop 0
	v_cndmask_b32_e32 v0, 0, v0, vcc
	v_cmp_ngt_f32_e32 vcc, s15, v15
	s_nop 1
	v_cndmask_b32_e32 v1, v142, v0, vcc
	v_mul_f32_e32 v0, 0xbfb8aa3b, v14
	v_fma_f32 v12, v14, s5, -v0
	v_rndne_f32_e32 v13, v0
	v_fmac_f32_e32 v12, 0xb2a5705f, v14
	v_sub_f32_e32 v0, v0, v13
	v_add_f32_e32 v0, v0, v12
	v_exp_f32_e32 v0, v0
	v_cvt_i32_f32_e32 v12, v13
	v_cmp_nlt_f32_e32 vcc, s14, v14
	v_ldexp_f32 v0, v0, v12
	s_nop 0
	v_cndmask_b32_e32 v0, 0, v0, vcc
	v_cmp_ngt_f32_e32 vcc, s15, v14
	s_nop 1
	v_cndmask_b32_e32 v13, v142, v0, vcc
	v_mul_f32_e32 v0, 0xbfb8aa3b, v27
	v_rndne_f32_e32 v12, v0
	v_sub_f32_e32 v29, v0, v12
	v_fma_f32 v0, v27, s5, -v0
	v_fmac_f32_e32 v0, 0xb2a5705f, v27
	v_add_f32_e32 v0, v29, v0
	v_exp_f32_e32 v0, v0
	v_cvt_i32_f32_e32 v12, v12
	v_cmp_nlt_f32_e32 vcc, s14, v27
	v_ldexp_f32 v0, v0, v12
	v_mul_f32_e32 v12, 0xbfb8aa3b, v16
	v_rndne_f32_e32 v29, v12
	v_sub_f32_e32 v38, v12, v29
	v_fma_f32 v12, v16, s5, -v12
	v_fmac_f32_e32 v12, 0xb2a5705f, v16
	v_add_f32_e32 v12, v38, v12
	v_exp_f32_e32 v12, v12
	v_cvt_i32_f32_e32 v29, v29
	v_cndmask_b32_e32 v0, 0, v0, vcc
	v_cmp_ngt_f32_e32 vcc, s15, v27
	v_ldexp_f32 v12, v12, v29
	s_nop 0
	v_cndmask_b32_e32 v0, v142, v0, vcc
	v_pk_add_f32 v[0:1], v[0:1], 1.0 op_sel_hi:[1,0]
	v_cmp_nlt_f32_e32 vcc, s14, v16
	v_div_scale_f32 v29, s[2:3], v1, v1, v15
	v_rcp_f32_e32 v38, v29
	v_cndmask_b32_e32 v12, 0, v12, vcc
	v_cmp_ngt_f32_e32 vcc, s15, v16
	v_fma_f32 v39, -v29, v38, 1.0
	s_nop 0
	v_cndmask_b32_e32 v12, v142, v12, vcc
	v_fmac_f32_e32 v38, v39, v38
	v_div_scale_f32 v39, vcc, v15, v1, v15
	v_mul_f32_e32 v40, v39, v38
	v_fma_f32 v41, -v29, v40, v39
	v_fmac_f32_e32 v40, v41, v38
	v_fma_f32 v29, -v29, v40, v39
	v_div_fmas_f32 v29, v29, v38, v40
	v_div_fixup_f32 v1, v29, v1, v15
	v_div_scale_f32 v15, s[2:3], v0, v0, v27
	v_rcp_f32_e32 v29, v15
	v_pk_add_f32 v[12:13], v[12:13], 1.0 op_sel_hi:[1,0]
	v_fma_f32 v38, -v15, v29, 1.0
	v_fmac_f32_e32 v29, v38, v29
	v_div_scale_f32 v38, vcc, v27, v0, v27
	v_mul_f32_e32 v39, v38, v29
	v_fma_f32 v40, -v15, v39, v38
	v_fmac_f32_e32 v39, v40, v29
	v_fma_f32 v15, -v15, v39, v38
	v_div_fmas_f32 v15, v15, v29, v39
	v_div_fixup_f32 v0, v15, v0, v27
	v_div_scale_f32 v15, s[2:3], v13, v13, v14
	v_rcp_f32_e32 v27, v15
	s_nop 0
	v_fma_f32 v29, -v15, v27, 1.0
	v_fmac_f32_e32 v27, v29, v27
	v_div_scale_f32 v29, vcc, v14, v13, v14
	v_mul_f32_e32 v38, v29, v27
	v_fma_f32 v39, -v15, v38, v29
	v_fmac_f32_e32 v38, v39, v27
	v_fma_f32 v15, -v15, v38, v29
	v_div_fmas_f32 v15, v15, v27, v38
	v_div_fixup_f32 v13, v15, v13, v14
	v_div_scale_f32 v14, s[2:3], v12, v12, v16
	v_rcp_f32_e32 v15, v14
	s_nop 0
	v_fma_f32 v27, -v14, v15, 1.0
	v_fmac_f32_e32 v15, v27, v15
	v_div_scale_f32 v27, vcc, v16, v12, v16
	v_mul_f32_e32 v29, v27, v15
	v_fma_f32 v38, -v14, v29, v27
	v_fmac_f32_e32 v29, v38, v15
	v_fma_f32 v14, -v14, v29, v27
	v_div_fmas_f32 v14, v14, v15, v29
	v_div_fixup_f32 v12, v14, v12, v16
	v_pk_mul_f32 v[12:13], v[36:37], v[12:13]
	v_pk_mul_f32 v[14:15], v[34:35], v[0:1]
	v_bfe_u32 v0, v12, 16, 1
	v_bfe_u32 v1, v13, 16, 1
	v_add3_u32 v0, v12, v0, s4
	v_bfe_u32 v16, v14, 16, 1
	v_add3_u32 v1, v13, v1, s4
	v_lshrrev_b32_e32 v0, 16, v0
	v_cmp_o_f32_e32 vcc, v12, v12
	v_bfe_u32 v27, v15, 16, 1
	v_add3_u32 v16, v14, v16, s4
	v_lshrrev_b32_e32 v1, 16, v1
	v_cndmask_b32_e32 v0, v145, v0, vcc
	v_cmp_o_f32_e32 vcc, v13, v13
	v_add3_u32 v27, v15, v27, s4
	v_lshrrev_b32_e32 v16, 16, v16
	v_cndmask_b32_e32 v1, v145, v1, vcc
	v_cmp_o_f32_e32 vcc, v14, v14
	v_lshrrev_b32_e32 v27, 16, v27
	v_lshlrev_b32_e32 v29, 16, v2
	v_cndmask_b32_e32 v14, v145, v16, vcc
	v_cmp_o_f32_e32 vcc, v15, v15
	v_and_b32_e32 v16, 0xffff0000, v2
	v_lshlrev_b32_e32 v34, 16, v3
	v_cndmask_b32_e32 v15, v145, v27, vcc
	v_and_b32_e32 v27, 0xffff0000, v3
	v_mul_f32_e32 v2, 0xbfb8aa3b, v27
	v_fma_f32 v3, v27, s5, -v2
	v_rndne_f32_e32 v12, v2
	v_fmac_f32_e32 v3, 0xb2a5705f, v27
	v_sub_f32_e32 v2, v2, v12
	v_add_f32_e32 v2, v2, v3
	v_exp_f32_e32 v2, v2
	v_cvt_i32_f32_e32 v3, v12
	v_cmp_nlt_f32_e32 vcc, s14, v27
	v_ldexp_f32 v2, v2, v3
	s_nop 0
	v_cndmask_b32_e32 v2, 0, v2, vcc
	v_cmp_ngt_f32_e32 vcc, s15, v27
	s_nop 1
	v_cndmask_b32_e32 v3, v142, v2, vcc
	v_mul_f32_e32 v2, 0xbfb8aa3b, v16
	v_fma_f32 v12, v16, s5, -v2
	v_rndne_f32_e32 v13, v2
	v_fmac_f32_e32 v12, 0xb2a5705f, v16
	v_sub_f32_e32 v2, v2, v13
	v_add_f32_e32 v2, v2, v12
	v_exp_f32_e32 v2, v2
	v_cvt_i32_f32_e32 v12, v13
	v_cmp_nlt_f32_e32 vcc, s14, v16
	v_ldexp_f32 v2, v2, v12
	s_nop 0
	v_cndmask_b32_e32 v2, 0, v2, vcc
	v_cmp_ngt_f32_e32 vcc, s15, v16
	s_nop 1
	v_cndmask_b32_e32 v13, v142, v2, vcc
	v_mul_f32_e32 v2, 0xbfb8aa3b, v34
	v_rndne_f32_e32 v12, v2
	v_sub_f32_e32 v35, v2, v12
	v_fma_f32 v2, v34, s5, -v2
	v_fmac_f32_e32 v2, 0xb2a5705f, v34
	v_add_f32_e32 v2, v35, v2
	v_exp_f32_e32 v2, v2
	v_cvt_i32_f32_e32 v12, v12
	v_cmp_nlt_f32_e32 vcc, s14, v34
	v_ldexp_f32 v2, v2, v12
	v_mul_f32_e32 v12, 0xbfb8aa3b, v29
	v_rndne_f32_e32 v35, v12
	v_sub_f32_e32 v36, v12, v35
	v_fma_f32 v12, v29, s5, -v12
	v_fmac_f32_e32 v12, 0xb2a5705f, v29
	v_add_f32_e32 v12, v36, v12
	v_exp_f32_e32 v12, v12
	v_cvt_i32_f32_e32 v35, v35
	v_cndmask_b32_e32 v2, 0, v2, vcc
	v_cmp_ngt_f32_e32 vcc, s15, v34
	v_ldexp_f32 v12, v12, v35
	s_nop 0
	v_cndmask_b32_e32 v2, v142, v2, vcc
	v_pk_add_f32 v[2:3], v[2:3], 1.0 op_sel_hi:[1,0]
	v_cmp_nlt_f32_e32 vcc, s14, v29
	v_div_scale_f32 v35, s[2:3], v3, v3, v27
	v_rcp_f32_e32 v36, v35
	v_cndmask_b32_e32 v12, 0, v12, vcc
	v_cmp_ngt_f32_e32 vcc, s15, v29
	v_fma_f32 v37, -v35, v36, 1.0
	s_nop 0
	v_cndmask_b32_e32 v12, v142, v12, vcc
	v_fmac_f32_e32 v36, v37, v36
	v_div_scale_f32 v37, vcc, v27, v3, v27
	v_mul_f32_e32 v38, v37, v36
	v_fma_f32 v39, -v35, v38, v37
	v_fmac_f32_e32 v38, v39, v36
	v_fma_f32 v35, -v35, v38, v37
	v_div_fmas_f32 v35, v35, v36, v38
	v_div_fixup_f32 v3, v35, v3, v27
	v_div_scale_f32 v27, s[2:3], v2, v2, v34
	v_rcp_f32_e32 v35, v27
	v_pk_add_f32 v[12:13], v[12:13], 1.0 op_sel_hi:[1,0]
	v_fma_f32 v36, -v27, v35, 1.0
	v_fmac_f32_e32 v35, v36, v35
	v_div_scale_f32 v36, vcc, v34, v2, v34
	v_mul_f32_e32 v37, v36, v35
	v_fma_f32 v38, -v27, v37, v36
	v_fmac_f32_e32 v37, v38, v35
	v_fma_f32 v27, -v27, v37, v36
	v_div_fmas_f32 v27, v27, v35, v37
	v_div_fixup_f32 v2, v27, v2, v34
	v_div_scale_f32 v27, s[2:3], v13, v13, v16
	v_rcp_f32_e32 v34, v27
	v_pk_mul_f32 v[2:3], v[30:31], v[2:3]
	v_fma_f32 v35, -v27, v34, 1.0
	v_fmac_f32_e32 v34, v35, v34
	v_div_scale_f32 v35, vcc, v16, v13, v16
	v_mul_f32_e32 v36, v35, v34
	v_fma_f32 v37, -v27, v36, v35
	v_fmac_f32_e32 v36, v37, v34
	v_fma_f32 v27, -v27, v36, v35
	v_div_fmas_f32 v27, v27, v34, v36
	v_div_fixup_f32 v13, v27, v13, v16
	v_div_scale_f32 v16, s[2:3], v12, v12, v29
	v_rcp_f32_e32 v27, v16
	v_bfe_u32 v30, v3, 16, 1
	v_add3_u32 v30, v3, v30, s4
	v_lshrrev_b32_e32 v30, 16, v30
	v_fma_f32 v34, -v16, v27, 1.0
	v_fmac_f32_e32 v27, v34, v27
	v_div_scale_f32 v34, vcc, v29, v12, v29
	v_mul_f32_e32 v35, v34, v27
	v_fma_f32 v36, -v16, v35, v34
	v_fmac_f32_e32 v35, v36, v27
	v_fma_f32 v16, -v16, v35, v34
	v_div_fmas_f32 v16, v16, v27, v35
	v_div_fixup_f32 v12, v16, v12, v29
	v_pk_mul_f32 v[12:13], v[32:33], v[12:13]
	v_bfe_u32 v29, v2, 16, 1
	v_bfe_u32 v16, v12, 16, 1
	;; [unrolled: 1-line block ×3, first 2 shown]
	v_add3_u32 v16, v12, v16, s4
	v_add3_u32 v27, v13, v27, s4
	v_lshrrev_b32_e32 v16, 16, v16
	v_cmp_o_f32_e32 vcc, v12, v12
	v_add3_u32 v29, v2, v29, s4
	v_lshrrev_b32_e32 v27, 16, v27
	v_cndmask_b32_e32 v12, v145, v16, vcc
	v_cmp_o_f32_e32 vcc, v13, v13
	v_lshrrev_b32_e32 v29, 16, v29
	s_mov_b32 s2, 0x5040100
	v_cndmask_b32_e32 v13, v145, v27, vcc
	v_cmp_o_f32_e32 vcc, v2, v2
	v_perm_b32 v11, v11, v10, s2
	v_perm_b32 v10, v7, v6, s2
	v_cndmask_b32_e32 v2, v145, v29, vcc
	v_cmp_o_f32_e32 vcc, v3, v3
	v_perm_b32 v9, v9, v8, s2
	v_perm_b32 v8, v5, v4, s2
	v_cndmask_b32_e32 v3, v145, v30, vcc
	v_perm_b32 v5, v3, v2, s2
	v_perm_b32 v4, v13, v12, s2
	;; [unrolled: 1-line block ×4, first 2 shown]
	ds_write_b128 v121, v[8:11]
	ds_write_b128 v121, v[2:5] offset:16
	; wave barrier
	ds_read_u16 v16, v91 offset:128
	ds_read_u16 v15, v92 offset:256
	;; [unrolled: 1-line block ×15, first 2 shown]
	v_lshl_add_u64 v[0:1], s[18:19], 1, v[24:25]
	s_and_saveexec_b64 s[2:3], s[26:27]
	s_cbranch_execnz .LBB24_286
; %bb.254:                              ;   in Loop: Header=BB24_13 Depth=1
	s_or_b64 exec, exec, s[2:3]
	s_and_saveexec_b64 s[2:3], s[28:29]
	s_cbranch_execnz .LBB24_287
.LBB24_255:                             ;   in Loop: Header=BB24_13 Depth=1
	s_or_b64 exec, exec, s[2:3]
	s_and_saveexec_b64 s[2:3], s[30:31]
	s_cbranch_execnz .LBB24_288
.LBB24_256:                             ;   in Loop: Header=BB24_13 Depth=1
	s_or_b64 exec, exec, s[2:3]
	s_and_saveexec_b64 s[2:3], s[34:35]
	s_cbranch_execnz .LBB24_289
.LBB24_257:                             ;   in Loop: Header=BB24_13 Depth=1
	s_or_b64 exec, exec, s[2:3]
	s_and_saveexec_b64 s[2:3], s[36:37]
	s_cbranch_execnz .LBB24_290
.LBB24_258:                             ;   in Loop: Header=BB24_13 Depth=1
	s_or_b64 exec, exec, s[2:3]
	s_and_saveexec_b64 s[2:3], s[38:39]
	s_cbranch_execnz .LBB24_291
.LBB24_259:                             ;   in Loop: Header=BB24_13 Depth=1
	s_or_b64 exec, exec, s[2:3]
	s_and_saveexec_b64 s[2:3], s[40:41]
	s_cbranch_execnz .LBB24_292
.LBB24_260:                             ;   in Loop: Header=BB24_13 Depth=1
	s_or_b64 exec, exec, s[2:3]
	s_and_saveexec_b64 s[2:3], s[42:43]
	s_cbranch_execnz .LBB24_293
.LBB24_261:                             ;   in Loop: Header=BB24_13 Depth=1
	s_or_b64 exec, exec, s[2:3]
	s_and_saveexec_b64 s[2:3], s[44:45]
	s_cbranch_execnz .LBB24_294
.LBB24_262:                             ;   in Loop: Header=BB24_13 Depth=1
	s_or_b64 exec, exec, s[2:3]
	s_and_saveexec_b64 s[2:3], s[46:47]
	s_cbranch_execnz .LBB24_295
.LBB24_263:                             ;   in Loop: Header=BB24_13 Depth=1
	s_or_b64 exec, exec, s[2:3]
	s_and_saveexec_b64 s[2:3], s[48:49]
	s_cbranch_execnz .LBB24_296
.LBB24_264:                             ;   in Loop: Header=BB24_13 Depth=1
	s_or_b64 exec, exec, s[2:3]
	s_and_saveexec_b64 s[2:3], s[50:51]
	s_cbranch_execnz .LBB24_297
.LBB24_265:                             ;   in Loop: Header=BB24_13 Depth=1
	s_or_b64 exec, exec, s[2:3]
	s_and_saveexec_b64 s[2:3], s[52:53]
	s_cbranch_execnz .LBB24_298
.LBB24_266:                             ;   in Loop: Header=BB24_13 Depth=1
	s_or_b64 exec, exec, s[2:3]
	s_and_saveexec_b64 s[2:3], s[54:55]
	s_cbranch_execnz .LBB24_299
.LBB24_267:                             ;   in Loop: Header=BB24_13 Depth=1
	s_or_b64 exec, exec, s[2:3]
	s_and_saveexec_b64 s[2:3], s[56:57]
	s_cbranch_execnz .LBB24_300
.LBB24_268:                             ;   in Loop: Header=BB24_13 Depth=1
	s_or_b64 exec, exec, s[2:3]
	s_and_saveexec_b64 s[2:3], s[58:59]
	s_cbranch_execz .LBB24_12
	s_branch .LBB24_301
.LBB24_269:                             ;   in Loop: Header=BB24_13 Depth=1
	global_load_ushort v36, v[8:9], off offset:1664
	s_or_b64 exec, exec, s[2:3]
	s_and_saveexec_b64 s[2:3], s[56:57]
	s_cbranch_execz .LBB24_73
.LBB24_270:                             ;   in Loop: Header=BB24_13 Depth=1
	global_load_ushort v35, v[8:9], off offset:1792
	s_or_b64 exec, exec, s[2:3]
	v_mov_b32_e32 v37, 0
	s_and_saveexec_b64 s[2:3], s[58:59]
	s_cbranch_execnz .LBB24_74
	s_branch .LBB24_75
.LBB24_271:                             ;   in Loop: Header=BB24_13 Depth=1
	ds_read_u16 v27, v90
	s_waitcnt lgkmcnt(0)
	global_store_short v[0:1], v27, off
	s_or_b64 exec, exec, s[2:3]
	s_and_saveexec_b64 s[2:3], s[28:29]
	s_cbranch_execz .LBB24_206
.LBB24_272:                             ;   in Loop: Header=BB24_13 Depth=1
	s_waitcnt lgkmcnt(14)
	global_store_short v[0:1], v16, off offset:128
	s_or_b64 exec, exec, s[2:3]
	s_and_saveexec_b64 s[2:3], s[30:31]
	s_cbranch_execz .LBB24_207
.LBB24_273:                             ;   in Loop: Header=BB24_13 Depth=1
	s_waitcnt lgkmcnt(13)
	global_store_short v[0:1], v15, off offset:256
	s_or_b64 exec, exec, s[2:3]
	s_and_saveexec_b64 s[2:3], s[34:35]
	s_cbranch_execz .LBB24_208
.LBB24_274:                             ;   in Loop: Header=BB24_13 Depth=1
	s_waitcnt lgkmcnt(12)
	global_store_short v[0:1], v14, off offset:384
	s_or_b64 exec, exec, s[2:3]
	s_and_saveexec_b64 s[2:3], s[36:37]
	s_cbranch_execz .LBB24_209
.LBB24_275:                             ;   in Loop: Header=BB24_13 Depth=1
	s_waitcnt lgkmcnt(11)
	global_store_short v[0:1], v13, off offset:512
	s_or_b64 exec, exec, s[2:3]
	s_and_saveexec_b64 s[2:3], s[38:39]
	s_cbranch_execz .LBB24_210
.LBB24_276:                             ;   in Loop: Header=BB24_13 Depth=1
	s_waitcnt lgkmcnt(10)
	global_store_short v[0:1], v12, off offset:640
	s_or_b64 exec, exec, s[2:3]
	s_and_saveexec_b64 s[2:3], s[40:41]
	s_cbranch_execz .LBB24_211
.LBB24_277:                             ;   in Loop: Header=BB24_13 Depth=1
	s_waitcnt lgkmcnt(9)
	global_store_short v[0:1], v11, off offset:768
	s_or_b64 exec, exec, s[2:3]
	s_and_saveexec_b64 s[2:3], s[42:43]
	s_cbranch_execz .LBB24_212
.LBB24_278:                             ;   in Loop: Header=BB24_13 Depth=1
	s_waitcnt lgkmcnt(8)
	global_store_short v[0:1], v10, off offset:896
	s_or_b64 exec, exec, s[2:3]
	s_and_saveexec_b64 s[2:3], s[44:45]
	s_cbranch_execz .LBB24_213
.LBB24_279:                             ;   in Loop: Header=BB24_13 Depth=1
	s_waitcnt lgkmcnt(7)
	global_store_short v[0:1], v9, off offset:1024
	s_or_b64 exec, exec, s[2:3]
	s_and_saveexec_b64 s[2:3], s[46:47]
	s_cbranch_execz .LBB24_214
.LBB24_280:                             ;   in Loop: Header=BB24_13 Depth=1
	s_waitcnt lgkmcnt(6)
	global_store_short v[0:1], v8, off offset:1152
	s_or_b64 exec, exec, s[2:3]
	s_and_saveexec_b64 s[2:3], s[48:49]
	s_cbranch_execz .LBB24_215
.LBB24_281:                             ;   in Loop: Header=BB24_13 Depth=1
	s_waitcnt lgkmcnt(5)
	global_store_short v[0:1], v7, off offset:1280
	s_or_b64 exec, exec, s[2:3]
	s_and_saveexec_b64 s[2:3], s[50:51]
	s_cbranch_execz .LBB24_216
.LBB24_282:                             ;   in Loop: Header=BB24_13 Depth=1
	s_waitcnt lgkmcnt(4)
	global_store_short v[0:1], v6, off offset:1408
	s_or_b64 exec, exec, s[2:3]
	s_and_saveexec_b64 s[2:3], s[52:53]
	s_cbranch_execz .LBB24_217
.LBB24_283:                             ;   in Loop: Header=BB24_13 Depth=1
	s_waitcnt lgkmcnt(3)
	global_store_short v[0:1], v5, off offset:1536
	s_or_b64 exec, exec, s[2:3]
	s_and_saveexec_b64 s[2:3], s[54:55]
	s_cbranch_execz .LBB24_218
.LBB24_284:                             ;   in Loop: Header=BB24_13 Depth=1
	s_waitcnt lgkmcnt(2)
	global_store_short v[0:1], v4, off offset:1664
	s_or_b64 exec, exec, s[2:3]
	s_and_saveexec_b64 s[2:3], s[56:57]
	s_cbranch_execz .LBB24_219
.LBB24_285:                             ;   in Loop: Header=BB24_13 Depth=1
	s_waitcnt lgkmcnt(1)
	global_store_short v[0:1], v3, off offset:1792
	s_or_b64 exec, exec, s[2:3]
	s_and_saveexec_b64 s[2:3], s[58:59]
	s_cbranch_execnz .LBB24_220
	s_branch .LBB24_221
.LBB24_286:                             ;   in Loop: Header=BB24_13 Depth=1
	ds_read_u16 v27, v90
	s_waitcnt lgkmcnt(0)
	global_store_short v[0:1], v27, off
	s_or_b64 exec, exec, s[2:3]
	s_and_saveexec_b64 s[2:3], s[28:29]
	s_cbranch_execz .LBB24_255
.LBB24_287:                             ;   in Loop: Header=BB24_13 Depth=1
	s_waitcnt lgkmcnt(14)
	global_store_short v[0:1], v16, off offset:128
	s_or_b64 exec, exec, s[2:3]
	s_and_saveexec_b64 s[2:3], s[30:31]
	s_cbranch_execz .LBB24_256
.LBB24_288:                             ;   in Loop: Header=BB24_13 Depth=1
	s_waitcnt lgkmcnt(13)
	global_store_short v[0:1], v15, off offset:256
	s_or_b64 exec, exec, s[2:3]
	s_and_saveexec_b64 s[2:3], s[34:35]
	s_cbranch_execz .LBB24_257
.LBB24_289:                             ;   in Loop: Header=BB24_13 Depth=1
	s_waitcnt lgkmcnt(12)
	global_store_short v[0:1], v14, off offset:384
	s_or_b64 exec, exec, s[2:3]
	s_and_saveexec_b64 s[2:3], s[36:37]
	s_cbranch_execz .LBB24_258
.LBB24_290:                             ;   in Loop: Header=BB24_13 Depth=1
	s_waitcnt lgkmcnt(11)
	global_store_short v[0:1], v13, off offset:512
	s_or_b64 exec, exec, s[2:3]
	s_and_saveexec_b64 s[2:3], s[38:39]
	s_cbranch_execz .LBB24_259
.LBB24_291:                             ;   in Loop: Header=BB24_13 Depth=1
	s_waitcnt lgkmcnt(10)
	global_store_short v[0:1], v12, off offset:640
	s_or_b64 exec, exec, s[2:3]
	s_and_saveexec_b64 s[2:3], s[40:41]
	s_cbranch_execz .LBB24_260
.LBB24_292:                             ;   in Loop: Header=BB24_13 Depth=1
	s_waitcnt lgkmcnt(9)
	global_store_short v[0:1], v11, off offset:768
	s_or_b64 exec, exec, s[2:3]
	s_and_saveexec_b64 s[2:3], s[42:43]
	s_cbranch_execz .LBB24_261
.LBB24_293:                             ;   in Loop: Header=BB24_13 Depth=1
	s_waitcnt lgkmcnt(8)
	global_store_short v[0:1], v10, off offset:896
	s_or_b64 exec, exec, s[2:3]
	s_and_saveexec_b64 s[2:3], s[44:45]
	s_cbranch_execz .LBB24_262
.LBB24_294:                             ;   in Loop: Header=BB24_13 Depth=1
	s_waitcnt lgkmcnt(7)
	global_store_short v[0:1], v9, off offset:1024
	s_or_b64 exec, exec, s[2:3]
	s_and_saveexec_b64 s[2:3], s[46:47]
	s_cbranch_execz .LBB24_263
.LBB24_295:                             ;   in Loop: Header=BB24_13 Depth=1
	s_waitcnt lgkmcnt(6)
	global_store_short v[0:1], v8, off offset:1152
	s_or_b64 exec, exec, s[2:3]
	s_and_saveexec_b64 s[2:3], s[48:49]
	s_cbranch_execz .LBB24_264
.LBB24_296:                             ;   in Loop: Header=BB24_13 Depth=1
	s_waitcnt lgkmcnt(5)
	global_store_short v[0:1], v7, off offset:1280
	s_or_b64 exec, exec, s[2:3]
	s_and_saveexec_b64 s[2:3], s[50:51]
	s_cbranch_execz .LBB24_265
.LBB24_297:                             ;   in Loop: Header=BB24_13 Depth=1
	s_waitcnt lgkmcnt(4)
	global_store_short v[0:1], v6, off offset:1408
	s_or_b64 exec, exec, s[2:3]
	s_and_saveexec_b64 s[2:3], s[52:53]
	s_cbranch_execz .LBB24_266
.LBB24_298:                             ;   in Loop: Header=BB24_13 Depth=1
	s_waitcnt lgkmcnt(3)
	global_store_short v[0:1], v5, off offset:1536
	s_or_b64 exec, exec, s[2:3]
	s_and_saveexec_b64 s[2:3], s[54:55]
	s_cbranch_execz .LBB24_267
.LBB24_299:                             ;   in Loop: Header=BB24_13 Depth=1
	s_waitcnt lgkmcnt(2)
	global_store_short v[0:1], v4, off offset:1664
	s_or_b64 exec, exec, s[2:3]
	s_and_saveexec_b64 s[2:3], s[56:57]
	s_cbranch_execz .LBB24_268
.LBB24_300:                             ;   in Loop: Header=BB24_13 Depth=1
	s_waitcnt lgkmcnt(1)
	global_store_short v[0:1], v3, off offset:1792
	s_or_b64 exec, exec, s[2:3]
	s_and_saveexec_b64 s[2:3], s[58:59]
	s_cbranch_execz .LBB24_12
.LBB24_301:                             ;   in Loop: Header=BB24_13 Depth=1
	s_waitcnt lgkmcnt(0)
	global_store_short v[0:1], v2, off offset:1920
	s_branch .LBB24_12
.LBB24_302:
	s_endpgm
	.section	.rodata,"a",@progbits
	.p2align	6, 0x0
	.amdhsa_kernel _Z25selective_scan_fwd_kernelI32Selective_Scan_fwd_kernel_traitsILi128ELi16ELi1ELb1ELb1ELb1ELb1ELb1EN3c108BFloat16EfS2_EEv13SSMParamsBase
		.amdhsa_group_segment_fixed_size 0
		.amdhsa_private_segment_fixed_size 0
		.amdhsa_kernarg_size 248
		.amdhsa_user_sgpr_count 2
		.amdhsa_user_sgpr_dispatch_ptr 0
		.amdhsa_user_sgpr_queue_ptr 0
		.amdhsa_user_sgpr_kernarg_segment_ptr 1
		.amdhsa_user_sgpr_dispatch_id 0
		.amdhsa_user_sgpr_kernarg_preload_length 0
		.amdhsa_user_sgpr_kernarg_preload_offset 0
		.amdhsa_user_sgpr_private_segment_size 0
		.amdhsa_uses_dynamic_stack 0
		.amdhsa_enable_private_segment 0
		.amdhsa_system_sgpr_workgroup_id_x 1
		.amdhsa_system_sgpr_workgroup_id_y 1
		.amdhsa_system_sgpr_workgroup_id_z 0
		.amdhsa_system_sgpr_workgroup_info 0
		.amdhsa_system_vgpr_workitem_id 0
		.amdhsa_next_free_vgpr 168
		.amdhsa_next_free_sgpr 100
		.amdhsa_accum_offset 168
		.amdhsa_reserve_vcc 1
		.amdhsa_float_round_mode_32 0
		.amdhsa_float_round_mode_16_64 0
		.amdhsa_float_denorm_mode_32 3
		.amdhsa_float_denorm_mode_16_64 3
		.amdhsa_dx10_clamp 1
		.amdhsa_ieee_mode 1
		.amdhsa_fp16_overflow 0
		.amdhsa_tg_split 0
		.amdhsa_exception_fp_ieee_invalid_op 0
		.amdhsa_exception_fp_denorm_src 0
		.amdhsa_exception_fp_ieee_div_zero 0
		.amdhsa_exception_fp_ieee_overflow 0
		.amdhsa_exception_fp_ieee_underflow 0
		.amdhsa_exception_fp_ieee_inexact 0
		.amdhsa_exception_int_div_zero 0
	.end_amdhsa_kernel
	.section	.text._Z25selective_scan_fwd_kernelI32Selective_Scan_fwd_kernel_traitsILi128ELi16ELi1ELb1ELb1ELb1ELb1ELb1EN3c108BFloat16EfS2_EEv13SSMParamsBase,"axG",@progbits,_Z25selective_scan_fwd_kernelI32Selective_Scan_fwd_kernel_traitsILi128ELi16ELi1ELb1ELb1ELb1ELb1ELb1EN3c108BFloat16EfS2_EEv13SSMParamsBase,comdat
.Lfunc_end24:
	.size	_Z25selective_scan_fwd_kernelI32Selective_Scan_fwd_kernel_traitsILi128ELi16ELi1ELb1ELb1ELb1ELb1ELb1EN3c108BFloat16EfS2_EEv13SSMParamsBase, .Lfunc_end24-_Z25selective_scan_fwd_kernelI32Selective_Scan_fwd_kernel_traitsILi128ELi16ELi1ELb1ELb1ELb1ELb1ELb1EN3c108BFloat16EfS2_EEv13SSMParamsBase
                                        ; -- End function
	.section	.AMDGPU.csdata,"",@progbits
; Kernel info:
; codeLenInByte = 25428
; NumSgprs: 106
; NumVgprs: 168
; NumAgprs: 0
; TotalNumVgprs: 168
; ScratchSize: 0
; MemoryBound: 0
; FloatMode: 240
; IeeeMode: 1
; LDSByteSize: 0 bytes/workgroup (compile time only)
; SGPRBlocks: 13
; VGPRBlocks: 20
; NumSGPRsForWavesPerEU: 106
; NumVGPRsForWavesPerEU: 168
; AccumOffset: 168
; Occupancy: 3
; WaveLimiterHint : 1
; COMPUTE_PGM_RSRC2:SCRATCH_EN: 0
; COMPUTE_PGM_RSRC2:USER_SGPR: 2
; COMPUTE_PGM_RSRC2:TRAP_HANDLER: 0
; COMPUTE_PGM_RSRC2:TGID_X_EN: 1
; COMPUTE_PGM_RSRC2:TGID_Y_EN: 1
; COMPUTE_PGM_RSRC2:TGID_Z_EN: 0
; COMPUTE_PGM_RSRC2:TIDIG_COMP_CNT: 0
; COMPUTE_PGM_RSRC3_GFX90A:ACCUM_OFFSET: 41
; COMPUTE_PGM_RSRC3_GFX90A:TG_SPLIT: 0
	.section	.text._Z25selective_scan_fwd_kernelI32Selective_Scan_fwd_kernel_traitsILi128ELi16ELi1ELb1ELb1ELb1ELb1ELb0EN3c108BFloat16EfS2_EEv13SSMParamsBase,"axG",@progbits,_Z25selective_scan_fwd_kernelI32Selective_Scan_fwd_kernel_traitsILi128ELi16ELi1ELb1ELb1ELb1ELb1ELb0EN3c108BFloat16EfS2_EEv13SSMParamsBase,comdat
	.protected	_Z25selective_scan_fwd_kernelI32Selective_Scan_fwd_kernel_traitsILi128ELi16ELi1ELb1ELb1ELb1ELb1ELb0EN3c108BFloat16EfS2_EEv13SSMParamsBase ; -- Begin function _Z25selective_scan_fwd_kernelI32Selective_Scan_fwd_kernel_traitsILi128ELi16ELi1ELb1ELb1ELb1ELb1ELb0EN3c108BFloat16EfS2_EEv13SSMParamsBase
	.globl	_Z25selective_scan_fwd_kernelI32Selective_Scan_fwd_kernel_traitsILi128ELi16ELi1ELb1ELb1ELb1ELb1ELb0EN3c108BFloat16EfS2_EEv13SSMParamsBase
	.p2align	8
	.type	_Z25selective_scan_fwd_kernelI32Selective_Scan_fwd_kernel_traitsILi128ELi16ELi1ELb1ELb1ELb1ELb1ELb0EN3c108BFloat16EfS2_EEv13SSMParamsBase,@function
_Z25selective_scan_fwd_kernelI32Selective_Scan_fwd_kernel_traitsILi128ELi16ELi1ELb1ELb1ELb1ELb1ELb0EN3c108BFloat16EfS2_EEv13SSMParamsBase: ; @_Z25selective_scan_fwd_kernelI32Selective_Scan_fwd_kernel_traitsILi128ELi16ELi1ELb1ELb1ELb1ELb1ELb0EN3c108BFloat16EfS2_EEv13SSMParamsBase
; %bb.0:
	s_load_dword s35, s[0:1], 0x18
	s_load_dwordx4 s[4:7], s[0:1], 0xe8
	s_mov_b32 s28, s3
                                        ; implicit-def: $vgpr167 : SGPR spill to VGPR lane
	s_waitcnt lgkmcnt(0)
	s_abs_i32 s34, s35
	v_cvt_f32_u32_e32 v1, s34
	s_cmp_eq_u64 s[6:7], 0
	v_rcp_iflag_f32_e32 v1, v1
	s_nop 0
	v_mul_f32_e32 v1, 0x4f7ffffe, v1
	v_cvt_u32_f32_e32 v1, v1
	s_nop 0
	v_readfirstlane_b32 s24, v1
	s_cbranch_scc1 .LBB25_2
; %bb.1:
	s_ashr_i32 s3, s2, 31
	s_add_u32 s6, s6, s2
	s_addc_u32 s7, s7, s3
	v_mov_b32_e32 v1, 0
	global_load_ubyte v1, v1, s[6:7]
	s_waitcnt vmcnt(0)
	v_and_b32_e32 v1, 1, v1
	v_cmp_eq_u32_e64 s[6:7], 1, v1
	s_branch .LBB25_3
.LBB25_2:
	s_mov_b64 s[6:7], 0
.LBB25_3:
	s_nop 0
	v_writelane_b32 v167, s6, 0
	s_cmp_eq_u64 s[4:5], 0
	s_nop 0
	v_writelane_b32 v167, s7, 1
	s_load_dwordx2 s[6:7], s[0:1], 0x20
	s_cbranch_scc1 .LBB25_5
; %bb.4:
	s_ashr_i32 s3, s2, 31
	s_lshl_b64 s[8:9], s[2:3], 2
	s_add_u32 s4, s4, s8
	s_addc_u32 s5, s5, s9
	s_load_dword s30, s[4:5], 0x0
	s_waitcnt lgkmcnt(0)
	s_ashr_i32 s31, s30, 31
	s_cmp_eq_u64 s[6:7], s[30:31]
	s_cbranch_scc0 .LBB25_6
	s_branch .LBB25_90
.LBB25_5:
	s_mov_b32 s30, s2
	s_ashr_i32 s31, s30, 31
	s_waitcnt lgkmcnt(0)
	s_cmp_eq_u64 s[6:7], s[30:31]
	s_cbranch_scc1 .LBB25_90
.LBB25_6:
	s_load_dwordx16 s[4:19], s[0:1], 0x88
	s_load_dwordx2 s[36:37], s[0:1], 0x8
	s_mov_b32 s33, 0
	s_mov_b32 s64, 0
	s_waitcnt lgkmcnt(0)
	s_cmp_eq_u64 s[10:11], 0
	s_cbranch_scc1 .LBB25_8
; %bb.7:
	s_ashr_i32 s29, s28, 31
	s_lshl_b64 s[20:21], s[28:29], 2
	s_add_u32 s10, s10, s20
	s_addc_u32 s11, s11, s21
	s_load_dword s64, s[10:11], 0x0
.LBB25_8:
	s_cmp_eq_u64 s[16:17], 0
	s_cbranch_scc1 .LBB25_10
; %bb.9:
	s_ashr_i32 s29, s28, 31
	s_lshl_b64 s[10:11], s[28:29], 2
	s_add_u32 s10, s16, s10
	s_addc_u32 s11, s17, s11
	s_load_dword s33, s[10:11], 0x0
.LBB25_10:
	s_cmp_lt_i32 s36, 1
	s_cbranch_scc1 .LBB25_90
; %bb.11:
	s_sub_i32 s3, 0, s34
	s_mul_i32 s3, s3, s24
	s_mul_hi_u32 s3, s24, s3
	s_abs_i32 s29, s28
	s_add_i32 s3, s24, s3
	s_load_dwordx8 s[68:75], s[0:1], 0x2c
	s_load_dwordx2 s[16:17], s[0:1], 0x7c
	s_load_dwordx4 s[20:23], s[0:1], 0x6c
	s_load_dwordx8 s[76:83], s[0:1], 0x4c
	s_load_dwordx2 s[10:11], s[0:1], 0xd8
	s_load_dwordx4 s[24:27], s[0:1], 0xc8
	s_load_dword s65, s[0:1], 0x84
	s_mul_hi_u32 s3, s29, s3
	s_load_dword s31, s[0:1], 0x28
	s_ashr_i32 s0, s28, 31
	s_ashr_i32 s1, s35, 31
	s_xor_b32 s0, s0, s1
	s_mul_i32 s1, s3, s34
	s_sub_i32 s1, s29, s1
	s_add_i32 s29, s3, 1
	s_sub_i32 s35, s1, s34
	s_cmp_ge_u32 s1, s34
	s_cselect_b32 s3, s29, s3
	s_cselect_b32 s1, s35, s1
	s_add_i32 s29, s3, 1
	s_cmp_ge_u32 s1, s34
	s_cselect_b32 s1, s29, s3
	s_xor_b32 s1, s1, s0
	s_waitcnt lgkmcnt(0)
	s_mul_i32 s92, s78, s2
	s_mov_b32 s93, 0
	s_sub_i32 s3, s1, s0
	s_lshl_b64 s[0:1], s[92:93], 1
	s_add_u32 s12, s12, s0
	s_mul_i32 s92, s79, s28
	s_addc_u32 s13, s13, s1
	s_lshl_b64 s[0:1], s[92:93], 1
	s_add_u32 s78, s12, s0
	s_mul_i32 s92, s80, s2
	s_addc_u32 s79, s13, s1
	;; [unrolled: 4-line block ×10, first 2 shown]
	s_lshl_b64 s[4:5], s[92:93], 1
	s_add_u32 s1, s1, s4
	s_addc_u32 s73, s3, s5
	s_add_i32 s3, s36, 0x7ff
	s_lshr_b32 s4, s3, 11
	s_bitcmp1_b32 s31, 0
	s_cselect_b64 s[88:89], -1, 0
	s_cmp_gt_i32 s37, 0
	s_cselect_b64 s[6:7], -1, 0
	v_writelane_b32 v167, s6, 2
	v_mbcnt_lo_u32_b32 v1, -1, 0
	v_mbcnt_hi_u32_b32 v2, -1, v1
	v_writelane_b32 v167, s7, 3
	v_writelane_b32 v167, s36, 4
	v_lshlrev_b32_e32 v1, 1, v0
	s_mul_i32 s92, s20, s2
	v_writelane_b32 v167, s37, 5
	v_writelane_b32 v167, s4, 6
	s_add_i32 s4, s4, -1
	v_and_b32_e32 v4, 0x80, v1
	s_add_i32 s6, 0, 0x1080
	s_and_b32 s7, s36, 0x7ff
	v_writelane_b32 v167, s4, 7
	s_lshl_b64 s[4:5], s[92:93], 1
	v_or_b32_e32 v1, v2, v4
	s_movk_i32 s3, 0x100
	s_add_u32 s8, s18, s4
	s_addc_u32 s9, s19, s5
	v_cmp_gt_u32_e64 s[4:5], s3, v1
	v_add_u32_e32 v3, 64, v1
	v_lshrrev_b32_e32 v5, 5, v1
	v_writelane_b32 v167, s4, 8
	s_mul_i32 s92, s21, s28
	v_add_u32_e32 v5, v5, v1
	v_writelane_b32 v167, s5, 9
	v_cmp_gt_u32_e64 s[4:5], s3, v3
	v_lshrrev_b32_e32 v3, 5, v3
	v_add_lshl_u32 v1, v3, v1, 4
	v_writelane_b32 v167, s4, 10
	v_and_b32_e32 v3, 64, v0
	v_lshl_add_u32 v98, v5, 4, 0
	v_writelane_b32 v167, s5, 11
	s_lshl_b64 s[4:5], s[92:93], 1
	v_add_u32_e32 v5, v2, v3
	s_add_u32 s30, s8, s4
	s_mul_i32 s92, s82, s2
	v_lshlrev_b32_e32 v6, 1, v5
	v_bfe_u32 v5, v5, 4, 27
	s_addc_u32 s31, s9, s5
	s_lshl_b64 s[4:5], s[92:93], 1
	v_add_lshl_u32 v5, v5, v6, 4
	s_add_u32 s3, s26, s4
	s_mul_i32 s92, s83, s28
	v_add_u32_e32 v101, s6, v1
	v_add_u32_e32 v102, s6, v5
	s_addc_u32 s6, s27, s5
	s_lshl_b64 s[4:5], s[92:93], 1
	s_add_u32 s34, s3, s4
	s_mul_i32 s92, s22, s2
	s_addc_u32 s35, s6, s5
	s_lshl_b64 s[2:3], s[92:93], 1
	s_add_u32 s4, s10, s2
	s_mul_i32 s92, s23, s28
	s_addc_u32 s5, s11, s3
	s_lshl_b64 s[2:3], s[92:93], 1
	s_add_u32 s2, s4, s2
	s_addc_u32 s3, s5, s3
	s_cmp_eq_u32 s7, 0
	s_cselect_b64 s[4:5], -1, 0
	v_add_u32_e32 v99, 0, v1
	v_writelane_b32 v167, s4, 12
	v_and_b32_e32 v1, 15, v2
	v_cmp_lt_u32_e64 s[6:7], 1, v1
	v_writelane_b32 v167, s5, 13
	v_cmp_eq_u32_e64 s[4:5], 0, v1
	v_cmp_lt_u32_e64 s[8:9], 3, v1
	v_cmp_lt_u32_e64 s[10:11], 7, v1
	v_and_b32_e32 v1, 16, v2
	v_cmp_ne_u32_e64 s[12:13], 0, v1
	v_or_b32_e32 v1, 63, v3
	v_cmp_eq_u32_e64 s[16:17], v1, v0
	v_lshrrev_b32_e32 v1, 3, v0
	v_and_b32_e32 v1, 8, v1
	v_add_u32_e32 v104, 0, v1
	v_and_b32_e32 v1, 1, v2
	v_cmp_eq_u32_e64 s[20:21], 0, v1
	v_add_u32_e32 v1, -1, v2
	v_and_b32_e32 v3, 64, v2
	v_cmp_lt_i32_e32 vcc, v1, v3
	v_mov_b32_e32 v41, 0
	v_lshlrev_b32_e32 v40, 4, v2
	v_cndmask_b32_e32 v1, v1, v2, vcc
	v_lshlrev_b32_e32 v103, 4, v0
	v_cmp_gt_u32_e64 s[18:19], 2, v0
	v_lshl_add_u32 v105, v0, 3, 0
	v_cmp_gt_u32_e64 s[22:23], 64, v0
	v_cmp_lt_u32_e64 s[24:25], 63, v0
	v_lshlrev_b32_e32 v106, 2, v1
	v_cmp_eq_u32_e64 s[26:27], 0, v0
	v_lshl_add_u64 v[0:1], s[30:31], 0, v[40:41]
	v_lshlrev_b32_e32 v6, 4, v4
	v_mov_b32_e32 v7, v41
	v_lshl_add_u64 v[42:43], v[0:1], 0, v[6:7]
	v_lshl_add_u64 v[0:1], s[34:35], 0, v[40:41]
	;; [unrolled: 1-line block ×4, first 2 shown]
	v_lshlrev_b32_e32 v48, 4, v4
	s_add_i32 s2, 0, 0x2110
	v_add_u32_e32 v100, 0, v5
	v_cmp_lt_u32_e64 s[14:15], 31, v2
	v_lshl_add_u64 v[46:47], v[0:1], 0, v[6:7]
	v_or_b32_e32 v107, 2, v103
	v_or_b32_e32 v110, 4, v103
	;; [unrolled: 1-line block ×10, first 2 shown]
	s_mov_b32 s34, 0x3fb8aa3b
	s_mov_b32 s35, 0xc2ce8ed0
	;; [unrolled: 1-line block ×5, first 2 shown]
                                        ; implicit-def: $vgpr0
	s_mov_b32 s39, 0x3f317218
	v_mov_b32_e32 v50, v48
	v_mov_b32_e32 v52, 0x3f317218
	s_mov_b32 s40, 0x33800000
	v_or_b32_e32 v119, 13, v103
	v_writelane_b32 v167, s2, 14
	v_or_b32_e32 v120, 14, v103
	s_mov_b32 s77, 0xc2fc0000
	v_or_b32_e32 v121, 15, v103
	s_movk_i32 s66, 0x7fff
	v_mov_b32_e32 v122, 0x3ecc95a3
	v_mov_b32_e32 v123, 0x7f800000
	;; [unrolled: 1-line block ×4, first 2 shown]
	v_lshlrev_b32_e32 v40, 4, v2
	v_mov_b32_e32 v51, v41
	v_mov_b32_e32 v126, 0x7fc0
	s_mov_b32 s41, 0
	v_cmp_eq_u32_e64 s[28:29], 0, v2
                                        ; implicit-def: $vgpr8_vgpr9
                                        ; implicit-def: $vgpr0_vgpr1
                                        ; implicit-def: $vgpr16_vgpr17
                                        ; implicit-def: $vgpr4_vgpr5
                                        ; implicit-def: $vgpr20_vgpr21
                                        ; implicit-def: $vgpr12_vgpr13
	s_branch .LBB25_13
.LBB25_12:                              ;   in Loop: Header=BB25_13 Depth=1
	s_or_b64 exec, exec, s[2:3]
	s_waitcnt vmcnt(0)
	ds_write_b128 v98, v[8:11]
	ds_write_b128 v99, v[0:3] offset:1024
	; wave barrier
	ds_read_b128 v[8:11], v100
	ds_read_b128 v[0:3], v100 offset:16
	s_mov_b32 s31, 0xbfb8aa3b
	s_mov_b32 s41, 0x42ce8ed0
	;; [unrolled: 1-line block ×3, first 2 shown]
	s_waitcnt lgkmcnt(1)
	v_and_b32_e32 v28, 0xffff0000, v9
	v_mul_f32_e32 v24, 0xbfb8aa3b, v28
	v_fma_f32 v25, v28, s31, -v24
	v_rndne_f32_e32 v26, v24
	v_fmac_f32_e32 v25, 0xb2a5705f, v28
	v_sub_f32_e32 v24, v24, v26
	v_add_f32_e32 v24, v24, v25
	v_exp_f32_e32 v24, v24
	v_cvt_i32_f32_e32 v25, v26
	v_and_b32_e32 v29, 0xffff0000, v8
	v_cmp_nlt_f32_e32 vcc, s41, v28
	v_lshlrev_b32_e32 v31, 16, v9
	v_ldexp_f32 v24, v24, v25
	v_mul_f32_e32 v25, 0xbfb8aa3b, v29
	v_fma_f32 v26, v29, s31, -v25
	v_rndne_f32_e32 v27, v25
	v_fmac_f32_e32 v26, 0xb2a5705f, v29
	v_sub_f32_e32 v25, v25, v27
	v_add_f32_e32 v25, v25, v26
	v_exp_f32_e32 v26, v25
	v_cvt_i32_f32_e32 v27, v27
	v_cndmask_b32_e32 v24, 0, v24, vcc
	v_cmp_ngt_f32_e32 vcc, s42, v28
	v_lshlrev_b32_e32 v30, 16, v8
	s_mov_b32 s30, 0x5040100
	v_cndmask_b32_e32 v25, v123, v24, vcc
	v_ldexp_f32 v24, v26, v27
	v_mul_f32_e32 v26, 0xbfb8aa3b, v31
	v_rndne_f32_e32 v27, v26
	v_sub_f32_e32 v32, v26, v27
	v_fma_f32 v26, v31, s31, -v26
	v_fmac_f32_e32 v26, 0xb2a5705f, v31
	v_add_f32_e32 v26, v32, v26
	v_exp_f32_e32 v26, v26
	v_cvt_i32_f32_e32 v32, v27
	v_cmp_nlt_f32_e32 vcc, s41, v29
	s_waitcnt lgkmcnt(0)
	s_barrier
	v_cndmask_b32_e32 v24, 0, v24, vcc
	v_cmp_ngt_f32_e32 vcc, s42, v29
	s_add_u32 s80, s80, 0x1000
	s_nop 0
	v_cndmask_b32_e32 v27, v123, v24, vcc
	v_ldexp_f32 v24, v26, v32
	v_mul_f32_e32 v26, 0xbfb8aa3b, v30
	v_rndne_f32_e32 v32, v26
	v_sub_f32_e32 v33, v26, v32
	v_fma_f32 v26, v30, s31, -v26
	v_fmac_f32_e32 v26, 0xb2a5705f, v30
	v_add_f32_e32 v26, v33, v26
	v_exp_f32_e32 v26, v26
	v_cvt_i32_f32_e32 v32, v32
	v_cmp_nlt_f32_e32 vcc, s41, v31
	s_addc_u32 s81, s81, 0
	s_add_u32 s78, s78, 0x1000
	v_cndmask_b32_e32 v24, 0, v24, vcc
	v_cmp_ngt_f32_e32 vcc, s42, v31
	v_ldexp_f32 v26, v26, v32
	s_addc_u32 s79, s79, 0
	v_cndmask_b32_e32 v24, v123, v24, vcc
	v_pk_add_f32 v[24:25], v[24:25], 1.0 op_sel_hi:[1,0]
	v_cmp_nlt_f32_e32 vcc, s41, v30
	v_div_scale_f32 v32, s[2:3], v25, v25, v28
	v_rcp_f32_e32 v33, v32
	v_cndmask_b32_e32 v26, 0, v26, vcc
	v_cmp_ngt_f32_e32 vcc, s42, v30
	s_add_u32 s70, s70, 0x1000
	v_fma_f32 v34, -v32, v33, 1.0
	v_cndmask_b32_e32 v26, v123, v26, vcc
	v_fmac_f32_e32 v33, v34, v33
	v_div_scale_f32 v34, vcc, v28, v25, v28
	v_mul_f32_e32 v35, v34, v33
	v_fma_f32 v36, -v32, v35, v34
	v_fmac_f32_e32 v35, v36, v33
	v_fma_f32 v32, -v32, v35, v34
	v_div_scale_f32 v34, s[2:3], v24, v24, v31
	v_rcp_f32_e32 v36, v34
	v_div_fmas_f32 v32, v32, v33, v35
	v_div_fixup_f32 v25, v32, v25, v28
	v_pk_add_f32 v[26:27], v[26:27], 1.0 op_sel_hi:[1,0]
	v_fma_f32 v28, -v34, v36, 1.0
	v_fmac_f32_e32 v36, v28, v36
	v_div_scale_f32 v28, vcc, v31, v24, v31
	v_mul_f32_e32 v32, v28, v36
	v_fma_f32 v33, -v34, v32, v28
	v_fmac_f32_e32 v32, v33, v36
	v_div_scale_f32 v33, s[2:3], v27, v27, v29
	v_fma_f32 v28, -v34, v32, v28
	v_rcp_f32_e32 v34, v33
	v_div_fmas_f32 v28, v28, v36, v32
	v_div_fixup_f32 v24, v28, v24, v31
	v_pk_mul_f32 v[24:25], v[66:67], v[24:25]
	v_fma_f32 v28, -v33, v34, 1.0
	v_fmac_f32_e32 v34, v28, v34
	v_div_scale_f32 v28, vcc, v29, v27, v29
	v_mul_f32_e32 v31, v28, v34
	v_fma_f32 v32, -v33, v31, v28
	v_fmac_f32_e32 v31, v32, v34
	v_div_scale_f32 v32, s[2:3], v26, v26, v30
	v_fma_f32 v28, -v33, v31, v28
	v_rcp_f32_e32 v33, v32
	v_div_fmas_f32 v28, v28, v34, v31
	v_div_fixup_f32 v27, v28, v27, v29
	v_lshlrev_b32_e32 v35, 16, v11
	v_fma_f32 v28, -v32, v33, 1.0
	v_fmac_f32_e32 v33, v28, v33
	v_div_scale_f32 v28, vcc, v30, v26, v30
	v_mul_f32_e32 v29, v28, v33
	v_fma_f32 v31, -v32, v29, v28
	v_fmac_f32_e32 v29, v31, v33
	v_fma_f32 v28, -v32, v29, v28
	v_div_fmas_f32 v28, v28, v33, v29
	v_div_fixup_f32 v26, v28, v26, v30
	v_pk_mul_f32 v[26:27], v[68:69], v[26:27]
	v_bfe_u32 v30, v24, 16, 1
	v_bfe_u32 v28, v26, 16, 1
	;; [unrolled: 1-line block ×3, first 2 shown]
	v_add3_u32 v28, v26, v28, s66
	v_add3_u32 v29, v27, v29, s66
	v_lshrrev_b32_e32 v28, 16, v28
	v_cmp_o_f32_e32 vcc, v26, v26
	v_add3_u32 v30, v24, v30, s66
	v_lshrrev_b32_e32 v29, 16, v29
	v_cndmask_b32_e32 v28, v126, v28, vcc
	v_cmp_o_f32_e32 vcc, v27, v27
	v_and_b32_e32 v32, 0xffff0000, v11
	v_bfe_u32 v31, v25, 16, 1
	v_lshrrev_b32_e32 v30, 16, v30
	v_cndmask_b32_e32 v29, v126, v29, vcc
	v_cmp_o_f32_e32 vcc, v24, v24
	v_mul_f32_e32 v24, 0xbfb8aa3b, v32
	v_add3_u32 v31, v25, v31, s66
	v_cndmask_b32_e32 v30, v126, v30, vcc
	v_cmp_o_f32_e32 vcc, v25, v25
	v_fma_f32 v25, v32, s31, -v24
	v_rndne_f32_e32 v26, v24
	v_fmac_f32_e32 v25, 0xb2a5705f, v32
	v_sub_f32_e32 v24, v24, v26
	v_add_f32_e32 v24, v24, v25
	v_exp_f32_e32 v24, v24
	v_cvt_i32_f32_e32 v25, v26
	v_and_b32_e32 v33, 0xffff0000, v10
	v_lshrrev_b32_e32 v31, 16, v31
	v_cndmask_b32_e32 v31, v126, v31, vcc
	v_ldexp_f32 v24, v24, v25
	v_mul_f32_e32 v25, 0xbfb8aa3b, v33
	v_fma_f32 v26, v33, s31, -v25
	v_rndne_f32_e32 v27, v25
	v_fmac_f32_e32 v26, 0xb2a5705f, v33
	v_sub_f32_e32 v25, v25, v27
	v_add_f32_e32 v25, v25, v26
	v_exp_f32_e32 v26, v25
	v_cvt_i32_f32_e32 v27, v27
	v_cmp_nlt_f32_e32 vcc, s41, v32
	v_lshlrev_b32_e32 v34, 16, v10
	s_addc_u32 s71, s71, 0
	v_cndmask_b32_e32 v24, 0, v24, vcc
	v_cmp_ngt_f32_e32 vcc, s42, v32
	s_add_u32 s74, s74, 0x1000
	s_addc_u32 s75, s75, 0
	v_cndmask_b32_e32 v25, v123, v24, vcc
	v_ldexp_f32 v24, v26, v27
	v_mul_f32_e32 v26, 0xbfb8aa3b, v35
	v_rndne_f32_e32 v27, v26
	v_sub_f32_e32 v36, v26, v27
	v_fma_f32 v26, v35, s31, -v26
	v_fmac_f32_e32 v26, 0xb2a5705f, v35
	v_add_f32_e32 v26, v36, v26
	v_exp_f32_e32 v26, v26
	v_cvt_i32_f32_e32 v36, v27
	v_cmp_nlt_f32_e32 vcc, s41, v33
	s_nop 1
	v_cndmask_b32_e32 v24, 0, v24, vcc
	v_cmp_ngt_f32_e32 vcc, s42, v33
	s_nop 1
	v_cndmask_b32_e32 v27, v123, v24, vcc
	v_ldexp_f32 v24, v26, v36
	v_mul_f32_e32 v26, 0xbfb8aa3b, v34
	v_rndne_f32_e32 v36, v26
	v_sub_f32_e32 v37, v26, v36
	v_fma_f32 v26, v34, s31, -v26
	v_fmac_f32_e32 v26, 0xb2a5705f, v34
	v_add_f32_e32 v26, v37, v26
	v_exp_f32_e32 v26, v26
	v_cvt_i32_f32_e32 v36, v36
	v_cmp_nlt_f32_e32 vcc, s41, v35
	v_ldexp_f32 v26, v26, v36
	s_nop 0
	v_cndmask_b32_e32 v24, 0, v24, vcc
	v_cmp_ngt_f32_e32 vcc, s42, v35
	s_nop 1
	v_cndmask_b32_e32 v24, v123, v24, vcc
	v_pk_add_f32 v[24:25], v[24:25], 1.0 op_sel_hi:[1,0]
	v_cmp_nlt_f32_e32 vcc, s41, v34
	v_div_scale_f32 v36, s[2:3], v25, v25, v32
	v_rcp_f32_e32 v37, v36
	v_cndmask_b32_e32 v26, 0, v26, vcc
	v_cmp_ngt_f32_e32 vcc, s42, v34
	v_fma_f32 v38, -v36, v37, 1.0
	s_nop 0
	v_cndmask_b32_e32 v26, v123, v26, vcc
	v_fmac_f32_e32 v37, v38, v37
	v_div_scale_f32 v38, vcc, v32, v25, v32
	v_mul_f32_e32 v39, v38, v37
	v_fma_f32 v49, -v36, v39, v38
	v_fmac_f32_e32 v39, v49, v37
	v_fma_f32 v36, -v36, v39, v38
	v_div_scale_f32 v38, s[2:3], v24, v24, v35
	v_rcp_f32_e32 v49, v38
	v_div_fmas_f32 v36, v36, v37, v39
	v_div_fixup_f32 v25, v36, v25, v32
	v_pk_add_f32 v[26:27], v[26:27], 1.0 op_sel_hi:[1,0]
	v_fma_f32 v32, -v38, v49, 1.0
	v_fmac_f32_e32 v49, v32, v49
	v_div_scale_f32 v32, vcc, v35, v24, v35
	v_mul_f32_e32 v36, v32, v49
	v_fma_f32 v37, -v38, v36, v32
	v_fmac_f32_e32 v36, v37, v49
	v_div_scale_f32 v37, s[2:3], v27, v27, v33
	v_fma_f32 v32, -v38, v36, v32
	v_rcp_f32_e32 v38, v37
	v_div_fmas_f32 v32, v32, v49, v36
	v_div_fixup_f32 v24, v32, v24, v35
	v_pk_mul_f32 v[24:25], v[62:63], v[24:25]
	v_fma_f32 v32, -v37, v38, 1.0
	v_fmac_f32_e32 v38, v32, v38
	v_div_scale_f32 v32, vcc, v33, v27, v33
	v_mul_f32_e32 v35, v32, v38
	v_fma_f32 v36, -v37, v35, v32
	v_fmac_f32_e32 v35, v36, v38
	v_div_scale_f32 v36, s[2:3], v26, v26, v34
	v_fma_f32 v32, -v37, v35, v32
	v_rcp_f32_e32 v37, v36
	v_div_fmas_f32 v32, v32, v38, v35
	v_div_fixup_f32 v27, v32, v27, v33
	v_fma_f32 v32, -v36, v37, 1.0
	v_fmac_f32_e32 v37, v32, v37
	v_div_scale_f32 v32, vcc, v34, v26, v34
	v_mul_f32_e32 v33, v32, v37
	v_fma_f32 v35, -v36, v33, v32
	v_fmac_f32_e32 v33, v35, v37
	v_fma_f32 v32, -v36, v33, v32
	v_div_fmas_f32 v32, v32, v37, v33
	v_div_fixup_f32 v26, v32, v26, v34
	v_pk_mul_f32 v[26:27], v[64:65], v[26:27]
	v_bfe_u32 v34, v24, 16, 1
	v_bfe_u32 v32, v26, 16, 1
	;; [unrolled: 1-line block ×3, first 2 shown]
	v_add3_u32 v32, v26, v32, s66
	v_add3_u32 v33, v27, v33, s66
	v_lshrrev_b32_e32 v32, 16, v32
	v_cmp_o_f32_e32 vcc, v26, v26
	v_bfe_u32 v35, v25, 16, 1
	v_add3_u32 v34, v24, v34, s66
	v_lshrrev_b32_e32 v33, 16, v33
	v_cndmask_b32_e32 v26, v126, v32, vcc
	v_cmp_o_f32_e32 vcc, v27, v27
	v_add3_u32 v35, v25, v35, s66
	v_lshrrev_b32_e32 v34, 16, v34
	v_cndmask_b32_e32 v32, v126, v33, vcc
	v_cmp_o_f32_e32 vcc, v24, v24
	v_lshrrev_b32_e32 v35, 16, v35
	v_perm_b32 v26, v32, v26, s30
	v_cndmask_b32_e32 v24, v126, v34, vcc
	v_cmp_o_f32_e32 vcc, v25, v25
	s_nop 1
	v_cndmask_b32_e32 v25, v126, v35, vcc
	v_perm_b32 v27, v25, v24, s30
	v_perm_b32 v25, v31, v30, s30
	;; [unrolled: 1-line block ×3, first 2 shown]
	v_and_b32_e32 v28, 0xffff0000, v1
	ds_write_b128 v100, v[24:27]
	v_mul_f32_e32 v24, 0xbfb8aa3b, v28
	v_fma_f32 v25, v28, s31, -v24
	v_rndne_f32_e32 v26, v24
	v_fmac_f32_e32 v25, 0xb2a5705f, v28
	v_sub_f32_e32 v24, v24, v26
	v_add_f32_e32 v24, v24, v25
	v_exp_f32_e32 v24, v24
	v_cvt_i32_f32_e32 v25, v26
	v_and_b32_e32 v29, 0xffff0000, v0
	v_cmp_nlt_f32_e32 vcc, s41, v28
	v_lshlrev_b32_e32 v31, 16, v1
	v_ldexp_f32 v24, v24, v25
	v_mul_f32_e32 v25, 0xbfb8aa3b, v29
	v_fma_f32 v26, v29, s31, -v25
	v_rndne_f32_e32 v27, v25
	v_fmac_f32_e32 v26, 0xb2a5705f, v29
	v_sub_f32_e32 v25, v25, v27
	v_add_f32_e32 v25, v25, v26
	v_exp_f32_e32 v26, v25
	v_cvt_i32_f32_e32 v27, v27
	v_cndmask_b32_e32 v24, 0, v24, vcc
	v_cmp_ngt_f32_e32 vcc, s42, v28
	v_lshlrev_b32_e32 v30, 16, v0
	s_nop 0
	v_cndmask_b32_e32 v25, v123, v24, vcc
	v_ldexp_f32 v24, v26, v27
	v_mul_f32_e32 v26, 0xbfb8aa3b, v31
	v_rndne_f32_e32 v27, v26
	v_sub_f32_e32 v32, v26, v27
	v_fma_f32 v26, v31, s31, -v26
	v_fmac_f32_e32 v26, 0xb2a5705f, v31
	v_add_f32_e32 v26, v32, v26
	v_exp_f32_e32 v26, v26
	v_cvt_i32_f32_e32 v32, v27
	v_cmp_nlt_f32_e32 vcc, s41, v29
	s_nop 1
	v_cndmask_b32_e32 v24, 0, v24, vcc
	v_cmp_ngt_f32_e32 vcc, s42, v29
	s_nop 1
	v_cndmask_b32_e32 v27, v123, v24, vcc
	v_ldexp_f32 v24, v26, v32
	v_mul_f32_e32 v26, 0xbfb8aa3b, v30
	v_rndne_f32_e32 v32, v26
	v_sub_f32_e32 v33, v26, v32
	v_fma_f32 v26, v30, s31, -v26
	v_fmac_f32_e32 v26, 0xb2a5705f, v30
	v_add_f32_e32 v26, v33, v26
	v_exp_f32_e32 v26, v26
	v_cvt_i32_f32_e32 v32, v32
	v_cmp_nlt_f32_e32 vcc, s41, v31
	v_ldexp_f32 v26, v26, v32
	s_nop 0
	v_cndmask_b32_e32 v24, 0, v24, vcc
	v_cmp_ngt_f32_e32 vcc, s42, v31
	s_nop 1
	v_cndmask_b32_e32 v24, v123, v24, vcc
	v_pk_add_f32 v[24:25], v[24:25], 1.0 op_sel_hi:[1,0]
	v_cmp_nlt_f32_e32 vcc, s41, v30
	v_div_scale_f32 v32, s[2:3], v25, v25, v28
	v_rcp_f32_e32 v33, v32
	v_cndmask_b32_e32 v26, 0, v26, vcc
	v_cmp_ngt_f32_e32 vcc, s42, v30
	v_fma_f32 v34, -v32, v33, 1.0
	s_nop 0
	v_cndmask_b32_e32 v26, v123, v26, vcc
	v_fmac_f32_e32 v33, v34, v33
	v_div_scale_f32 v34, vcc, v28, v25, v28
	v_mul_f32_e32 v35, v34, v33
	v_fma_f32 v36, -v32, v35, v34
	v_fmac_f32_e32 v35, v36, v33
	v_fma_f32 v32, -v32, v35, v34
	v_div_scale_f32 v34, s[2:3], v24, v24, v31
	v_rcp_f32_e32 v36, v34
	v_div_fmas_f32 v32, v32, v33, v35
	v_div_fixup_f32 v25, v32, v25, v28
	v_pk_add_f32 v[26:27], v[26:27], 1.0 op_sel_hi:[1,0]
	v_fma_f32 v28, -v34, v36, 1.0
	v_fmac_f32_e32 v36, v28, v36
	v_div_scale_f32 v28, vcc, v31, v24, v31
	v_mul_f32_e32 v32, v28, v36
	v_fma_f32 v33, -v34, v32, v28
	v_fmac_f32_e32 v32, v33, v36
	v_div_scale_f32 v33, s[2:3], v27, v27, v29
	v_fma_f32 v28, -v34, v32, v28
	v_rcp_f32_e32 v34, v33
	v_div_fmas_f32 v28, v28, v36, v32
	v_div_fixup_f32 v24, v28, v24, v31
	v_pk_mul_f32 v[24:25], v[58:59], v[24:25]
	v_fma_f32 v28, -v33, v34, 1.0
	v_fmac_f32_e32 v34, v28, v34
	v_div_scale_f32 v28, vcc, v29, v27, v29
	v_mul_f32_e32 v31, v28, v34
	v_fma_f32 v32, -v33, v31, v28
	v_fmac_f32_e32 v31, v32, v34
	v_div_scale_f32 v32, s[2:3], v26, v26, v30
	v_fma_f32 v28, -v33, v31, v28
	v_rcp_f32_e32 v33, v32
	v_div_fmas_f32 v28, v28, v34, v31
	v_div_fixup_f32 v27, v28, v27, v29
	v_lshlrev_b32_e32 v35, 16, v3
	v_fma_f32 v28, -v32, v33, 1.0
	v_fmac_f32_e32 v33, v28, v33
	v_div_scale_f32 v28, vcc, v30, v26, v30
	v_mul_f32_e32 v29, v28, v33
	v_fma_f32 v31, -v32, v29, v28
	v_fmac_f32_e32 v29, v31, v33
	v_fma_f32 v28, -v32, v29, v28
	v_div_fmas_f32 v28, v28, v33, v29
	v_div_fixup_f32 v26, v28, v26, v30
	v_pk_mul_f32 v[26:27], v[60:61], v[26:27]
	v_bfe_u32 v30, v24, 16, 1
	v_bfe_u32 v28, v26, 16, 1
	;; [unrolled: 1-line block ×3, first 2 shown]
	v_add3_u32 v28, v26, v28, s66
	v_add3_u32 v29, v27, v29, s66
	v_lshrrev_b32_e32 v28, 16, v28
	v_cmp_o_f32_e32 vcc, v26, v26
	v_add3_u32 v30, v24, v30, s66
	v_lshrrev_b32_e32 v29, 16, v29
	v_cndmask_b32_e32 v28, v126, v28, vcc
	v_cmp_o_f32_e32 vcc, v27, v27
	v_and_b32_e32 v32, 0xffff0000, v3
	v_bfe_u32 v31, v25, 16, 1
	v_lshrrev_b32_e32 v30, 16, v30
	v_cndmask_b32_e32 v29, v126, v29, vcc
	v_cmp_o_f32_e32 vcc, v24, v24
	v_mul_f32_e32 v24, 0xbfb8aa3b, v32
	v_add3_u32 v31, v25, v31, s66
	v_cndmask_b32_e32 v30, v126, v30, vcc
	v_cmp_o_f32_e32 vcc, v25, v25
	v_fma_f32 v25, v32, s31, -v24
	v_rndne_f32_e32 v26, v24
	v_fmac_f32_e32 v25, 0xb2a5705f, v32
	v_sub_f32_e32 v24, v24, v26
	v_add_f32_e32 v24, v24, v25
	v_exp_f32_e32 v24, v24
	v_cvt_i32_f32_e32 v25, v26
	v_and_b32_e32 v33, 0xffff0000, v2
	v_lshrrev_b32_e32 v31, 16, v31
	v_cndmask_b32_e32 v31, v126, v31, vcc
	v_ldexp_f32 v24, v24, v25
	v_mul_f32_e32 v25, 0xbfb8aa3b, v33
	v_fma_f32 v26, v33, s31, -v25
	v_rndne_f32_e32 v27, v25
	v_fmac_f32_e32 v26, 0xb2a5705f, v33
	v_sub_f32_e32 v25, v25, v27
	v_add_f32_e32 v25, v25, v26
	v_exp_f32_e32 v26, v25
	v_cvt_i32_f32_e32 v27, v27
	v_cmp_nlt_f32_e32 vcc, s41, v32
	v_lshlrev_b32_e32 v34, 16, v2
	s_nop 0
	v_cndmask_b32_e32 v24, 0, v24, vcc
	v_cmp_ngt_f32_e32 vcc, s42, v32
	s_nop 1
	v_cndmask_b32_e32 v25, v123, v24, vcc
	v_ldexp_f32 v24, v26, v27
	v_mul_f32_e32 v26, 0xbfb8aa3b, v35
	v_rndne_f32_e32 v27, v26
	v_sub_f32_e32 v36, v26, v27
	v_fma_f32 v26, v35, s31, -v26
	v_fmac_f32_e32 v26, 0xb2a5705f, v35
	v_add_f32_e32 v26, v36, v26
	v_exp_f32_e32 v26, v26
	v_cvt_i32_f32_e32 v36, v27
	v_cmp_nlt_f32_e32 vcc, s41, v33
	s_nop 1
	v_cndmask_b32_e32 v24, 0, v24, vcc
	v_cmp_ngt_f32_e32 vcc, s42, v33
	s_nop 1
	v_cndmask_b32_e32 v27, v123, v24, vcc
	v_ldexp_f32 v24, v26, v36
	v_mul_f32_e32 v26, 0xbfb8aa3b, v34
	v_rndne_f32_e32 v36, v26
	v_sub_f32_e32 v37, v26, v36
	v_fma_f32 v26, v34, s31, -v26
	v_fmac_f32_e32 v26, 0xb2a5705f, v34
	v_add_f32_e32 v26, v37, v26
	v_exp_f32_e32 v26, v26
	v_cvt_i32_f32_e32 v36, v36
	v_cmp_nlt_f32_e32 vcc, s41, v35
	v_ldexp_f32 v26, v26, v36
	s_nop 0
	v_cndmask_b32_e32 v24, 0, v24, vcc
	v_cmp_ngt_f32_e32 vcc, s42, v35
	s_nop 1
	v_cndmask_b32_e32 v24, v123, v24, vcc
	v_pk_add_f32 v[24:25], v[24:25], 1.0 op_sel_hi:[1,0]
	v_cmp_nlt_f32_e32 vcc, s41, v34
	v_div_scale_f32 v36, s[2:3], v25, v25, v32
	v_rcp_f32_e32 v37, v36
	v_cndmask_b32_e32 v26, 0, v26, vcc
	v_cmp_ngt_f32_e32 vcc, s42, v34
	v_readlane_b32 s41, v167, 15
	v_fma_f32 v38, -v36, v37, 1.0
	v_cndmask_b32_e32 v26, v123, v26, vcc
	v_fmac_f32_e32 v37, v38, v37
	v_div_scale_f32 v38, vcc, v32, v25, v32
	v_mul_f32_e32 v39, v38, v37
	v_fma_f32 v49, -v36, v39, v38
	v_fmac_f32_e32 v39, v49, v37
	v_fma_f32 v36, -v36, v39, v38
	v_div_scale_f32 v38, s[2:3], v24, v24, v35
	v_rcp_f32_e32 v49, v38
	v_div_fmas_f32 v36, v36, v37, v39
	v_div_fixup_f32 v25, v36, v25, v32
	v_pk_add_f32 v[26:27], v[26:27], 1.0 op_sel_hi:[1,0]
	v_fma_f32 v32, -v38, v49, 1.0
	v_fmac_f32_e32 v49, v32, v49
	v_div_scale_f32 v32, vcc, v35, v24, v35
	v_mul_f32_e32 v36, v32, v49
	v_fma_f32 v37, -v38, v36, v32
	v_fmac_f32_e32 v36, v37, v49
	v_div_scale_f32 v37, s[2:3], v27, v27, v33
	v_fma_f32 v32, -v38, v36, v32
	v_rcp_f32_e32 v38, v37
	v_div_fmas_f32 v32, v32, v49, v36
	v_div_fixup_f32 v24, v32, v24, v35
	v_pk_mul_f32 v[24:25], v[54:55], v[24:25]
	v_fma_f32 v32, -v37, v38, 1.0
	v_fmac_f32_e32 v38, v32, v38
	v_div_scale_f32 v32, vcc, v33, v27, v33
	v_mul_f32_e32 v35, v32, v38
	v_fma_f32 v36, -v37, v35, v32
	v_fmac_f32_e32 v35, v36, v38
	v_div_scale_f32 v36, s[2:3], v26, v26, v34
	v_fma_f32 v32, -v37, v35, v32
	v_rcp_f32_e32 v37, v36
	v_div_fmas_f32 v32, v32, v38, v35
	v_div_fixup_f32 v27, v32, v27, v33
	s_add_i32 s41, s41, 1
	v_fma_f32 v32, -v36, v37, 1.0
	v_fmac_f32_e32 v37, v32, v37
	v_div_scale_f32 v32, vcc, v34, v26, v34
	v_mul_f32_e32 v33, v32, v37
	v_fma_f32 v35, -v36, v33, v32
	v_fmac_f32_e32 v33, v35, v37
	v_fma_f32 v32, -v36, v33, v32
	v_div_fmas_f32 v32, v32, v37, v33
	v_div_fixup_f32 v26, v32, v26, v34
	v_pk_mul_f32 v[26:27], v[56:57], v[26:27]
	v_bfe_u32 v34, v24, 16, 1
	v_bfe_u32 v32, v26, 16, 1
	;; [unrolled: 1-line block ×3, first 2 shown]
	v_add3_u32 v32, v26, v32, s66
	v_add3_u32 v33, v27, v33, s66
	v_lshrrev_b32_e32 v32, 16, v32
	v_cmp_o_f32_e32 vcc, v26, v26
	v_bfe_u32 v35, v25, 16, 1
	v_add3_u32 v34, v24, v34, s66
	v_lshrrev_b32_e32 v33, 16, v33
	v_cndmask_b32_e32 v26, v126, v32, vcc
	v_cmp_o_f32_e32 vcc, v27, v27
	v_add3_u32 v35, v25, v35, s66
	v_lshrrev_b32_e32 v34, 16, v34
	v_cndmask_b32_e32 v32, v126, v33, vcc
	v_cmp_o_f32_e32 vcc, v24, v24
	v_lshrrev_b32_e32 v35, 16, v35
	v_perm_b32 v26, v32, v26, s30
	v_cndmask_b32_e32 v24, v126, v34, vcc
	v_cmp_o_f32_e32 vcc, v25, v25
	v_readlane_b32 s2, v167, 6
	v_lshl_add_u64 v[32:33], s[84:85], 1, v[46:47]
	v_cndmask_b32_e32 v25, v126, v35, vcc
	v_perm_b32 v27, v25, v24, s30
	v_perm_b32 v25, v31, v30, s30
	;; [unrolled: 1-line block ×3, first 2 shown]
	ds_write_b128 v100, v[24:27] offset:16
	; wave barrier
	ds_read_b128 v[24:27], v98
	ds_read_b128 v[28:31], v99 offset:1024
	s_cmp_eq_u32 s41, s2
	s_waitcnt lgkmcnt(1)
	global_store_short v[32:33], v24, off
	v_alignbit_b32 v35, v26, v25, 16
	v_alignbit_b32 v34, v25, v24, 16
	;; [unrolled: 1-line block ×3, first 2 shown]
	global_store_short_d16_hi v[32:33], v27, off offset:14
	global_store_dword v[32:33], v24, off offset:10
	global_store_dwordx2 v[32:33], v[34:35], off offset:2
	s_waitcnt lgkmcnt(0)
	global_store_dwordx4 v[32:33], v[28:31], off offset:1024
	s_cbranch_scc1 .LBB25_90
.LBB25_13:                              ; =>This Loop Header: Depth=1
                                        ;     Child Loop BB25_56 Depth 2
	v_lshl_add_u64 v[24:25], s[78:79], 0, v[40:41]
	v_lshl_add_u64 v[24:25], v[24:25], 0, v[50:51]
	s_barrier
	s_mov_b64 s[2:3], exec
	v_readlane_b32 s30, v167, 8
	v_readlane_b32 s31, v167, 9
	s_and_b64 s[30:31], s[2:3], s[30:31]
	s_mov_b64 exec, s[30:31]
	s_cbranch_execz .LBB25_15
; %bb.14:                               ;   in Loop: Header=BB25_13 Depth=1
	global_load_dwordx4 v[20:23], v[24:25], off
.LBB25_15:                              ;   in Loop: Header=BB25_13 Depth=1
	s_or_b64 exec, exec, s[2:3]
	s_mov_b64 s[2:3], exec
	v_readlane_b32 s30, v167, 10
	v_readlane_b32 s31, v167, 11
	s_and_b64 s[30:31], s[2:3], s[30:31]
	s_mov_b64 exec, s[30:31]
	s_cbranch_execz .LBB25_17
; %bb.16:                               ;   in Loop: Header=BB25_13 Depth=1
	global_load_dwordx4 v[12:15], v[24:25], off offset:1024
.LBB25_17:                              ;   in Loop: Header=BB25_13 Depth=1
	s_or_b64 exec, exec, s[2:3]
	s_waitcnt vmcnt(0)
	ds_write_b128 v98, v[20:23]
	ds_write_b128 v99, v[12:15] offset:1024
	; wave barrier
	ds_read_b128 v[20:23], v100
	ds_read_b128 v[12:15], v100 offset:16
	v_lshl_add_u64 v[24:25], s[80:81], 0, v[40:41]
	v_mov_b32_e32 v49, v41
	v_lshl_add_u64 v[24:25], v[24:25], 0, v[48:49]
	s_waitcnt lgkmcnt(0)
	s_barrier
	s_mov_b64 s[2:3], exec
	v_readlane_b32 s30, v167, 8
	v_readlane_b32 s31, v167, 9
	s_and_b64 s[30:31], s[2:3], s[30:31]
	s_mov_b64 exec, s[30:31]
	s_cbranch_execz .LBB25_19
; %bb.18:                               ;   in Loop: Header=BB25_13 Depth=1
	global_load_dwordx4 v[16:19], v[24:25], off
.LBB25_19:                              ;   in Loop: Header=BB25_13 Depth=1
	s_or_b64 exec, exec, s[2:3]
	s_mov_b64 s[2:3], exec
	v_readlane_b32 s30, v167, 10
	v_readlane_b32 s31, v167, 11
	s_and_b64 s[30:31], s[2:3], s[30:31]
	s_mov_b64 exec, s[30:31]
	s_cbranch_execz .LBB25_21
; %bb.20:                               ;   in Loop: Header=BB25_13 Depth=1
	global_load_dwordx4 v[4:7], v[24:25], off offset:1024
.LBB25_21:                              ;   in Loop: Header=BB25_13 Depth=1
	s_or_b64 exec, exec, s[2:3]
	s_waitcnt vmcnt(0)
	ds_write_b128 v98, v[16:19]
	ds_write_b128 v99, v[4:7] offset:1024
	; wave barrier
	ds_read_b128 v[16:19], v100
	ds_read_b128 v[4:7], v100 offset:16
	s_mov_b32 s2, 0x41a00000
	s_waitcnt lgkmcnt(1)
	v_lshlrev_b32_e32 v24, 16, v16
	v_add_f32_e32 v127, s33, v24
	v_cmp_ge_f32_e32 vcc, s2, v127
	s_and_b64 s[2:3], s[88:89], vcc
	s_and_saveexec_b64 s[30:31], s[2:3]
	s_cbranch_execz .LBB25_23
; %bb.22:                               ;   in Loop: Header=BB25_13 Depth=1
	v_mul_f32_e32 v24, 0x3fb8aa3b, v127
	v_rndne_f32_e32 v25, v24
	v_sub_f32_e32 v26, v24, v25
	v_fma_f32 v24, v127, s34, -v24
	v_fmac_f32_e32 v24, 0x32a5705f, v127
	v_add_f32_e32 v24, v26, v24
	v_cvt_i32_f32_e32 v25, v25
	v_exp_f32_e32 v24, v24
	v_cmp_ngt_f32_e32 vcc, s35, v127
	v_ldexp_f32 v24, v24, v25
	s_nop 0
	v_cndmask_b32_e32 v24, 0, v24, vcc
	v_cmp_nlt_f32_e32 vcc, s36, v127
	s_nop 1
	v_cndmask_b32_e32 v49, v123, v24, vcc
	v_add_f32_e32 v26, 1.0, v49
	v_add_f32_e32 v24, -1.0, v26
	v_sub_f32_e32 v25, v24, v26
	v_add_f32_e32 v25, 1.0, v25
	v_sub_f32_e32 v24, v49, v24
	v_add_f32_e32 v27, v24, v25
	v_frexp_mant_f32_e32 v28, v26
	v_cvt_f64_f32_e32 v[24:25], v26
	v_frexp_exp_i32_f64_e32 v24, v[24:25]
	v_cmp_gt_f32_e32 vcc, s38, v28
	v_cmp_gt_f32_e64 s[2:3], s40, v49
	s_nop 0
	v_subbrev_co_u32_e32 v32, vcc, 0, v24, vcc
	v_sub_u32_e32 v24, 0, v32
	v_ldexp_f32 v25, v26, v24
	v_add_f32_e32 v26, -1.0, v25
	v_add_f32_e32 v28, 1.0, v25
	v_ldexp_f32 v24, v27, v24
	v_add_f32_e32 v27, 1.0, v26
	v_add_f32_e32 v29, -1.0, v28
	v_sub_f32_e32 v27, v25, v27
	v_sub_f32_e32 v25, v25, v29
	v_add_f32_e32 v27, v24, v27
	v_add_f32_e32 v24, v24, v25
	;; [unrolled: 1-line block ×3, first 2 shown]
	v_rcp_f32_e32 v35, v33
	v_sub_f32_e32 v25, v28, v33
	v_add_f32_e32 v34, v24, v25
	v_add_f32_e32 v25, v26, v27
	v_mul_f32_e32 v37, v25, v35
	v_sub_f32_e32 v24, v26, v25
	v_mul_f32_e32 v26, v33, v37
	v_fma_f32 v28, v37, v33, -v26
	v_fmac_f32_e32 v28, v37, v34
	v_add_f32_e32 v36, v27, v24
	v_add_f32_e32 v24, v26, v28
	v_sub_f32_e32 v27, v25, v24
	v_pk_add_f32 v[30:31], v[24:25], v[26:27] neg_lo:[0,1] neg_hi:[0,1]
	v_mov_b32_e32 v29, v24
	v_pk_add_f32 v[24:25], v[30:31], v[28:29] neg_lo:[0,1] neg_hi:[0,1]
	v_cmp_eq_f32_e32 vcc, s37, v49
	v_add_f32_e32 v25, v36, v25
	v_add_f32_e32 v24, v24, v25
	;; [unrolled: 1-line block ×3, first 2 shown]
	v_mul_f32_e32 v36, v35, v25
	v_mul_f32_e32 v26, v33, v36
	v_fma_f32 v28, v36, v33, -v26
	v_fmac_f32_e32 v28, v36, v34
	v_sub_f32_e32 v27, v27, v25
	v_add_f32_e32 v33, v24, v27
	v_add_f32_e32 v24, v26, v28
	v_sub_f32_e32 v27, v25, v24
	v_pk_add_f32 v[30:31], v[24:25], v[26:27] neg_lo:[0,1] neg_hi:[0,1]
	v_mov_b32_e32 v29, v24
	v_pk_add_f32 v[24:25], v[30:31], v[28:29] neg_lo:[0,1] neg_hi:[0,1]
	s_or_b64 vcc, s[2:3], vcc
	v_add_f32_e32 v25, v33, v25
	v_add_f32_e32 v24, v24, v25
	;; [unrolled: 1-line block ×4, first 2 shown]
	v_sub_f32_e32 v26, v25, v37
	v_mul_f32_e32 v24, v35, v24
	v_sub_f32_e32 v26, v36, v26
	v_add_f32_e32 v26, v26, v24
	v_add_f32_e32 v28, v25, v26
	v_mul_f32_e32 v29, v28, v28
	v_fmamk_f32 v24, v29, 0x3e9b6dac, v122
	v_fmaak_f32 v53, v29, v24, 0x3f2aaada
	v_cvt_f32_i32_e32 v24, v32
	v_sub_f32_e32 v25, v28, v25
	v_sub_f32_e32 v25, v26, v25
	v_ldexp_f32 v30, v25, 1
	v_mul_f32_e32 v25, v28, v29
	v_ldexp_f32 v27, v28, 1
	v_pk_mul_f32 v[28:29], v[24:25], v[52:53]
	s_nop 0
	v_fma_f32 v26, v24, s39, -v28
	v_fmac_f32_e32 v26, 0xb102e308, v24
	v_pk_add_f32 v[24:25], v[28:29], v[26:27]
	s_nop 0
	v_sub_f32_e32 v27, v25, v27
	v_sub_f32_e32 v27, v29, v27
	v_add_f32_e32 v31, v30, v27
	v_mov_b32_e32 v30, v28
	v_pk_add_f32 v[28:29], v[24:25], v[28:29] neg_lo:[0,1] neg_hi:[0,1]
	v_pk_add_f32 v[32:33], v[24:25], v[30:31]
	v_mov_b32_e32 v27, v24
	v_mov_b32_e32 v29, v33
	v_pk_add_f32 v[34:35], v[26:27], v[28:29] neg_lo:[0,1] neg_hi:[0,1]
	v_pk_add_f32 v[26:27], v[26:27], v[28:29]
	v_mov_b32_e32 v30, v31
	v_mov_b32_e32 v28, v27
	v_pk_add_f32 v[36:37], v[28:29], v[24:25] neg_lo:[0,1] neg_hi:[0,1]
	v_mov_b32_e32 v26, v33
	v_mov_b32_e32 v29, v36
	v_pk_add_f32 v[38:39], v[32:33], v[28:29] neg_lo:[0,1] neg_hi:[0,1]
	v_mov_b32_e32 v32, v25
	v_mov_b32_e32 v33, v36
	;; [unrolled: 1-line block ×3, first 2 shown]
	v_pk_add_f32 v[26:27], v[26:27], v[32:33] neg_lo:[0,1] neg_hi:[0,1]
	v_mov_b32_e32 v31, v24
	v_pk_add_f32 v[24:25], v[30:31], v[26:27] neg_lo:[0,1] neg_hi:[0,1]
	v_mov_b32_e32 v38, v34
	v_pk_add_f32 v[26:27], v[38:39], v[24:25]
	s_nop 0
	v_mov_b32_e32 v30, v27
	v_pk_add_f32 v[30:31], v[26:27], v[30:31]
	s_nop 0
	v_pk_add_f32 v[28:29], v[28:29], v[30:31]
	v_mov_b32_e32 v25, v30
	v_mov_b32_e32 v27, v28
	v_pk_add_f32 v[32:33], v[26:27], v[34:35] neg_lo:[0,1] neg_hi:[0,1]
	s_nop 0
	v_sub_f32_e32 v26, v26, v32
	v_pk_add_f32 v[24:25], v[24:25], v[32:33] neg_lo:[0,1] neg_hi:[0,1]
	v_sub_f32_e32 v26, v34, v26
	v_add_f32_e32 v24, v24, v26
	v_add_f32_e32 v24, v24, v25
	;; [unrolled: 1-line block ×3, first 2 shown]
	v_cndmask_b32_e32 v127, v24, v49, vcc
.LBB25_23:                              ;   in Loop: Header=BB25_13 Depth=1
	s_or_b64 exec, exec, s[30:31]
	v_and_b32_e32 v24, 0xffff0000, v16
	v_add_f32_e32 v128, s33, v24
	s_mov_b32 s2, 0x41a00000
	v_cmp_ge_f32_e32 vcc, s2, v128
	s_and_b64 s[2:3], s[88:89], vcc
	s_and_saveexec_b64 s[30:31], s[2:3]
	s_cbranch_execz .LBB25_25
; %bb.24:                               ;   in Loop: Header=BB25_13 Depth=1
	v_mul_f32_e32 v24, 0x3fb8aa3b, v128
	v_rndne_f32_e32 v25, v24
	v_sub_f32_e32 v26, v24, v25
	v_fma_f32 v24, v128, s34, -v24
	v_fmac_f32_e32 v24, 0x32a5705f, v128
	v_add_f32_e32 v24, v26, v24
	v_cvt_i32_f32_e32 v25, v25
	v_exp_f32_e32 v24, v24
	v_cmp_ngt_f32_e32 vcc, s35, v128
	v_ldexp_f32 v24, v24, v25
	s_nop 0
	v_cndmask_b32_e32 v24, 0, v24, vcc
	v_cmp_nlt_f32_e32 vcc, s36, v128
	s_nop 1
	v_cndmask_b32_e32 v49, v123, v24, vcc
	v_add_f32_e32 v26, 1.0, v49
	v_add_f32_e32 v24, -1.0, v26
	v_sub_f32_e32 v25, v24, v26
	v_add_f32_e32 v25, 1.0, v25
	v_sub_f32_e32 v24, v49, v24
	v_add_f32_e32 v27, v24, v25
	v_frexp_mant_f32_e32 v28, v26
	v_cvt_f64_f32_e32 v[24:25], v26
	v_frexp_exp_i32_f64_e32 v24, v[24:25]
	v_cmp_gt_f32_e32 vcc, s38, v28
	v_cmp_gt_f32_e64 s[2:3], s40, v49
	s_nop 0
	v_subbrev_co_u32_e32 v32, vcc, 0, v24, vcc
	v_sub_u32_e32 v24, 0, v32
	v_ldexp_f32 v25, v26, v24
	v_add_f32_e32 v26, -1.0, v25
	v_add_f32_e32 v28, 1.0, v25
	v_ldexp_f32 v24, v27, v24
	v_add_f32_e32 v27, 1.0, v26
	v_add_f32_e32 v29, -1.0, v28
	v_sub_f32_e32 v27, v25, v27
	v_sub_f32_e32 v25, v25, v29
	v_add_f32_e32 v27, v24, v27
	v_add_f32_e32 v24, v24, v25
	;; [unrolled: 1-line block ×3, first 2 shown]
	v_rcp_f32_e32 v35, v33
	v_sub_f32_e32 v25, v28, v33
	v_add_f32_e32 v34, v24, v25
	v_add_f32_e32 v25, v26, v27
	v_mul_f32_e32 v37, v25, v35
	v_sub_f32_e32 v24, v26, v25
	v_mul_f32_e32 v26, v33, v37
	v_fma_f32 v28, v37, v33, -v26
	v_fmac_f32_e32 v28, v37, v34
	v_add_f32_e32 v36, v27, v24
	v_add_f32_e32 v24, v26, v28
	v_sub_f32_e32 v27, v25, v24
	v_pk_add_f32 v[30:31], v[24:25], v[26:27] neg_lo:[0,1] neg_hi:[0,1]
	v_mov_b32_e32 v29, v24
	v_pk_add_f32 v[24:25], v[30:31], v[28:29] neg_lo:[0,1] neg_hi:[0,1]
	v_cmp_eq_f32_e32 vcc, s37, v49
	v_add_f32_e32 v25, v36, v25
	v_add_f32_e32 v24, v24, v25
	;; [unrolled: 1-line block ×3, first 2 shown]
	v_mul_f32_e32 v36, v35, v25
	v_mul_f32_e32 v26, v33, v36
	v_fma_f32 v28, v36, v33, -v26
	v_fmac_f32_e32 v28, v36, v34
	v_sub_f32_e32 v27, v27, v25
	v_add_f32_e32 v33, v24, v27
	v_add_f32_e32 v24, v26, v28
	v_sub_f32_e32 v27, v25, v24
	v_pk_add_f32 v[30:31], v[24:25], v[26:27] neg_lo:[0,1] neg_hi:[0,1]
	v_mov_b32_e32 v29, v24
	v_pk_add_f32 v[24:25], v[30:31], v[28:29] neg_lo:[0,1] neg_hi:[0,1]
	s_or_b64 vcc, s[2:3], vcc
	v_add_f32_e32 v25, v33, v25
	v_add_f32_e32 v24, v24, v25
	;; [unrolled: 1-line block ×4, first 2 shown]
	v_sub_f32_e32 v26, v25, v37
	v_mul_f32_e32 v24, v35, v24
	v_sub_f32_e32 v26, v36, v26
	v_add_f32_e32 v26, v26, v24
	v_add_f32_e32 v28, v25, v26
	v_mul_f32_e32 v29, v28, v28
	v_fmamk_f32 v24, v29, 0x3e9b6dac, v122
	v_fmaak_f32 v53, v29, v24, 0x3f2aaada
	v_cvt_f32_i32_e32 v24, v32
	v_sub_f32_e32 v25, v28, v25
	v_sub_f32_e32 v25, v26, v25
	v_ldexp_f32 v30, v25, 1
	v_mul_f32_e32 v25, v28, v29
	v_ldexp_f32 v27, v28, 1
	v_pk_mul_f32 v[28:29], v[24:25], v[52:53]
	s_nop 0
	v_fma_f32 v26, v24, s39, -v28
	v_fmac_f32_e32 v26, 0xb102e308, v24
	v_pk_add_f32 v[24:25], v[28:29], v[26:27]
	s_nop 0
	v_sub_f32_e32 v27, v25, v27
	v_sub_f32_e32 v27, v29, v27
	v_add_f32_e32 v31, v30, v27
	v_mov_b32_e32 v30, v28
	v_pk_add_f32 v[28:29], v[24:25], v[28:29] neg_lo:[0,1] neg_hi:[0,1]
	v_pk_add_f32 v[32:33], v[24:25], v[30:31]
	v_mov_b32_e32 v27, v24
	v_mov_b32_e32 v29, v33
	v_pk_add_f32 v[34:35], v[26:27], v[28:29] neg_lo:[0,1] neg_hi:[0,1]
	v_pk_add_f32 v[26:27], v[26:27], v[28:29]
	v_mov_b32_e32 v30, v31
	v_mov_b32_e32 v28, v27
	v_pk_add_f32 v[36:37], v[28:29], v[24:25] neg_lo:[0,1] neg_hi:[0,1]
	v_mov_b32_e32 v26, v33
	v_mov_b32_e32 v29, v36
	v_pk_add_f32 v[38:39], v[32:33], v[28:29] neg_lo:[0,1] neg_hi:[0,1]
	v_mov_b32_e32 v32, v25
	v_mov_b32_e32 v33, v36
	;; [unrolled: 1-line block ×3, first 2 shown]
	v_pk_add_f32 v[26:27], v[26:27], v[32:33] neg_lo:[0,1] neg_hi:[0,1]
	v_mov_b32_e32 v31, v24
	v_pk_add_f32 v[24:25], v[30:31], v[26:27] neg_lo:[0,1] neg_hi:[0,1]
	v_mov_b32_e32 v38, v34
	v_pk_add_f32 v[26:27], v[38:39], v[24:25]
	s_nop 0
	v_mov_b32_e32 v30, v27
	v_pk_add_f32 v[30:31], v[26:27], v[30:31]
	s_nop 0
	v_pk_add_f32 v[28:29], v[28:29], v[30:31]
	v_mov_b32_e32 v25, v30
	v_mov_b32_e32 v27, v28
	v_pk_add_f32 v[32:33], v[26:27], v[34:35] neg_lo:[0,1] neg_hi:[0,1]
	s_nop 0
	v_sub_f32_e32 v26, v26, v32
	v_pk_add_f32 v[24:25], v[24:25], v[32:33] neg_lo:[0,1] neg_hi:[0,1]
	v_sub_f32_e32 v26, v34, v26
	v_add_f32_e32 v24, v24, v26
	v_add_f32_e32 v24, v24, v25
	;; [unrolled: 1-line block ×3, first 2 shown]
	v_cndmask_b32_e32 v128, v24, v49, vcc
.LBB25_25:                              ;   in Loop: Header=BB25_13 Depth=1
	s_or_b64 exec, exec, s[30:31]
	v_lshlrev_b32_e32 v24, 16, v17
	v_add_f32_e32 v129, s33, v24
	s_mov_b32 s2, 0x41a00000
	v_cmp_ge_f32_e32 vcc, s2, v129
	s_and_b64 s[2:3], s[88:89], vcc
	s_and_saveexec_b64 s[30:31], s[2:3]
	s_cbranch_execz .LBB25_27
; %bb.26:                               ;   in Loop: Header=BB25_13 Depth=1
	v_mul_f32_e32 v24, 0x3fb8aa3b, v129
	v_rndne_f32_e32 v25, v24
	v_sub_f32_e32 v26, v24, v25
	v_fma_f32 v24, v129, s34, -v24
	v_fmac_f32_e32 v24, 0x32a5705f, v129
	v_add_f32_e32 v24, v26, v24
	v_cvt_i32_f32_e32 v25, v25
	v_exp_f32_e32 v24, v24
	v_cmp_ngt_f32_e32 vcc, s35, v129
	v_ldexp_f32 v24, v24, v25
	s_nop 0
	v_cndmask_b32_e32 v24, 0, v24, vcc
	v_cmp_nlt_f32_e32 vcc, s36, v129
	s_nop 1
	v_cndmask_b32_e32 v49, v123, v24, vcc
	v_add_f32_e32 v26, 1.0, v49
	v_add_f32_e32 v24, -1.0, v26
	v_sub_f32_e32 v25, v24, v26
	v_add_f32_e32 v25, 1.0, v25
	v_sub_f32_e32 v24, v49, v24
	v_add_f32_e32 v27, v24, v25
	v_frexp_mant_f32_e32 v28, v26
	v_cvt_f64_f32_e32 v[24:25], v26
	v_frexp_exp_i32_f64_e32 v24, v[24:25]
	v_cmp_gt_f32_e32 vcc, s38, v28
	v_cmp_gt_f32_e64 s[2:3], s40, v49
	s_nop 0
	v_subbrev_co_u32_e32 v32, vcc, 0, v24, vcc
	v_sub_u32_e32 v24, 0, v32
	v_ldexp_f32 v25, v26, v24
	v_add_f32_e32 v26, -1.0, v25
	v_add_f32_e32 v28, 1.0, v25
	v_ldexp_f32 v24, v27, v24
	v_add_f32_e32 v27, 1.0, v26
	v_add_f32_e32 v29, -1.0, v28
	v_sub_f32_e32 v27, v25, v27
	v_sub_f32_e32 v25, v25, v29
	v_add_f32_e32 v27, v24, v27
	v_add_f32_e32 v24, v24, v25
	;; [unrolled: 1-line block ×3, first 2 shown]
	v_rcp_f32_e32 v35, v33
	v_sub_f32_e32 v25, v28, v33
	v_add_f32_e32 v34, v24, v25
	v_add_f32_e32 v25, v26, v27
	v_mul_f32_e32 v37, v25, v35
	v_sub_f32_e32 v24, v26, v25
	v_mul_f32_e32 v26, v33, v37
	v_fma_f32 v28, v37, v33, -v26
	v_fmac_f32_e32 v28, v37, v34
	v_add_f32_e32 v36, v27, v24
	v_add_f32_e32 v24, v26, v28
	v_sub_f32_e32 v27, v25, v24
	v_pk_add_f32 v[30:31], v[24:25], v[26:27] neg_lo:[0,1] neg_hi:[0,1]
	v_mov_b32_e32 v29, v24
	v_pk_add_f32 v[24:25], v[30:31], v[28:29] neg_lo:[0,1] neg_hi:[0,1]
	v_cmp_eq_f32_e32 vcc, s37, v49
	v_add_f32_e32 v25, v36, v25
	v_add_f32_e32 v24, v24, v25
	;; [unrolled: 1-line block ×3, first 2 shown]
	v_mul_f32_e32 v36, v35, v25
	v_mul_f32_e32 v26, v33, v36
	v_fma_f32 v28, v36, v33, -v26
	v_fmac_f32_e32 v28, v36, v34
	v_sub_f32_e32 v27, v27, v25
	v_add_f32_e32 v33, v24, v27
	v_add_f32_e32 v24, v26, v28
	v_sub_f32_e32 v27, v25, v24
	v_pk_add_f32 v[30:31], v[24:25], v[26:27] neg_lo:[0,1] neg_hi:[0,1]
	v_mov_b32_e32 v29, v24
	v_pk_add_f32 v[24:25], v[30:31], v[28:29] neg_lo:[0,1] neg_hi:[0,1]
	s_or_b64 vcc, s[2:3], vcc
	v_add_f32_e32 v25, v33, v25
	v_add_f32_e32 v24, v24, v25
	;; [unrolled: 1-line block ×4, first 2 shown]
	v_sub_f32_e32 v26, v25, v37
	v_mul_f32_e32 v24, v35, v24
	v_sub_f32_e32 v26, v36, v26
	v_add_f32_e32 v26, v26, v24
	v_add_f32_e32 v28, v25, v26
	v_mul_f32_e32 v29, v28, v28
	v_fmamk_f32 v24, v29, 0x3e9b6dac, v122
	v_fmaak_f32 v53, v29, v24, 0x3f2aaada
	v_cvt_f32_i32_e32 v24, v32
	v_sub_f32_e32 v25, v28, v25
	v_sub_f32_e32 v25, v26, v25
	v_ldexp_f32 v30, v25, 1
	v_mul_f32_e32 v25, v28, v29
	v_ldexp_f32 v27, v28, 1
	v_pk_mul_f32 v[28:29], v[24:25], v[52:53]
	s_nop 0
	v_fma_f32 v26, v24, s39, -v28
	v_fmac_f32_e32 v26, 0xb102e308, v24
	v_pk_add_f32 v[24:25], v[28:29], v[26:27]
	s_nop 0
	v_sub_f32_e32 v27, v25, v27
	v_sub_f32_e32 v27, v29, v27
	v_add_f32_e32 v31, v30, v27
	v_mov_b32_e32 v30, v28
	v_pk_add_f32 v[28:29], v[24:25], v[28:29] neg_lo:[0,1] neg_hi:[0,1]
	v_pk_add_f32 v[32:33], v[24:25], v[30:31]
	v_mov_b32_e32 v27, v24
	v_mov_b32_e32 v29, v33
	v_pk_add_f32 v[34:35], v[26:27], v[28:29] neg_lo:[0,1] neg_hi:[0,1]
	v_pk_add_f32 v[26:27], v[26:27], v[28:29]
	v_mov_b32_e32 v30, v31
	v_mov_b32_e32 v28, v27
	v_pk_add_f32 v[36:37], v[28:29], v[24:25] neg_lo:[0,1] neg_hi:[0,1]
	v_mov_b32_e32 v26, v33
	v_mov_b32_e32 v29, v36
	v_pk_add_f32 v[38:39], v[32:33], v[28:29] neg_lo:[0,1] neg_hi:[0,1]
	v_mov_b32_e32 v32, v25
	v_mov_b32_e32 v33, v36
	;; [unrolled: 1-line block ×3, first 2 shown]
	v_pk_add_f32 v[26:27], v[26:27], v[32:33] neg_lo:[0,1] neg_hi:[0,1]
	v_mov_b32_e32 v31, v24
	v_pk_add_f32 v[24:25], v[30:31], v[26:27] neg_lo:[0,1] neg_hi:[0,1]
	v_mov_b32_e32 v38, v34
	v_pk_add_f32 v[26:27], v[38:39], v[24:25]
	s_nop 0
	v_mov_b32_e32 v30, v27
	v_pk_add_f32 v[30:31], v[26:27], v[30:31]
	s_nop 0
	v_pk_add_f32 v[28:29], v[28:29], v[30:31]
	v_mov_b32_e32 v25, v30
	v_mov_b32_e32 v27, v28
	v_pk_add_f32 v[32:33], v[26:27], v[34:35] neg_lo:[0,1] neg_hi:[0,1]
	s_nop 0
	v_sub_f32_e32 v26, v26, v32
	v_pk_add_f32 v[24:25], v[24:25], v[32:33] neg_lo:[0,1] neg_hi:[0,1]
	v_sub_f32_e32 v26, v34, v26
	v_add_f32_e32 v24, v24, v26
	v_add_f32_e32 v24, v24, v25
	;; [unrolled: 1-line block ×3, first 2 shown]
	v_cndmask_b32_e32 v129, v24, v49, vcc
.LBB25_27:                              ;   in Loop: Header=BB25_13 Depth=1
	s_or_b64 exec, exec, s[30:31]
	v_and_b32_e32 v24, 0xffff0000, v17
	v_add_f32_e32 v130, s33, v24
	s_mov_b32 s2, 0x41a00000
	v_cmp_ge_f32_e32 vcc, s2, v130
	s_and_b64 s[2:3], s[88:89], vcc
	s_and_saveexec_b64 s[30:31], s[2:3]
	s_cbranch_execz .LBB25_29
; %bb.28:                               ;   in Loop: Header=BB25_13 Depth=1
	v_mul_f32_e32 v24, 0x3fb8aa3b, v130
	v_rndne_f32_e32 v25, v24
	v_sub_f32_e32 v26, v24, v25
	v_fma_f32 v24, v130, s34, -v24
	v_fmac_f32_e32 v24, 0x32a5705f, v130
	v_add_f32_e32 v24, v26, v24
	v_cvt_i32_f32_e32 v25, v25
	v_exp_f32_e32 v24, v24
	v_cmp_ngt_f32_e32 vcc, s35, v130
	v_ldexp_f32 v24, v24, v25
	s_nop 0
	v_cndmask_b32_e32 v24, 0, v24, vcc
	v_cmp_nlt_f32_e32 vcc, s36, v130
	s_nop 1
	v_cndmask_b32_e32 v49, v123, v24, vcc
	v_add_f32_e32 v26, 1.0, v49
	v_add_f32_e32 v24, -1.0, v26
	v_sub_f32_e32 v25, v24, v26
	v_add_f32_e32 v25, 1.0, v25
	v_sub_f32_e32 v24, v49, v24
	v_add_f32_e32 v27, v24, v25
	v_frexp_mant_f32_e32 v28, v26
	v_cvt_f64_f32_e32 v[24:25], v26
	v_frexp_exp_i32_f64_e32 v24, v[24:25]
	v_cmp_gt_f32_e32 vcc, s38, v28
	v_cmp_gt_f32_e64 s[2:3], s40, v49
	s_nop 0
	v_subbrev_co_u32_e32 v32, vcc, 0, v24, vcc
	v_sub_u32_e32 v24, 0, v32
	v_ldexp_f32 v25, v26, v24
	v_add_f32_e32 v26, -1.0, v25
	v_add_f32_e32 v28, 1.0, v25
	v_ldexp_f32 v24, v27, v24
	v_add_f32_e32 v27, 1.0, v26
	v_add_f32_e32 v29, -1.0, v28
	v_sub_f32_e32 v27, v25, v27
	v_sub_f32_e32 v25, v25, v29
	v_add_f32_e32 v27, v24, v27
	v_add_f32_e32 v24, v24, v25
	;; [unrolled: 1-line block ×3, first 2 shown]
	v_rcp_f32_e32 v35, v33
	v_sub_f32_e32 v25, v28, v33
	v_add_f32_e32 v34, v24, v25
	v_add_f32_e32 v25, v26, v27
	v_mul_f32_e32 v37, v25, v35
	v_sub_f32_e32 v24, v26, v25
	v_mul_f32_e32 v26, v33, v37
	v_fma_f32 v28, v37, v33, -v26
	v_fmac_f32_e32 v28, v37, v34
	v_add_f32_e32 v36, v27, v24
	v_add_f32_e32 v24, v26, v28
	v_sub_f32_e32 v27, v25, v24
	v_pk_add_f32 v[30:31], v[24:25], v[26:27] neg_lo:[0,1] neg_hi:[0,1]
	v_mov_b32_e32 v29, v24
	v_pk_add_f32 v[24:25], v[30:31], v[28:29] neg_lo:[0,1] neg_hi:[0,1]
	v_cmp_eq_f32_e32 vcc, s37, v49
	v_add_f32_e32 v25, v36, v25
	v_add_f32_e32 v24, v24, v25
	;; [unrolled: 1-line block ×3, first 2 shown]
	v_mul_f32_e32 v36, v35, v25
	v_mul_f32_e32 v26, v33, v36
	v_fma_f32 v28, v36, v33, -v26
	v_fmac_f32_e32 v28, v36, v34
	v_sub_f32_e32 v27, v27, v25
	v_add_f32_e32 v33, v24, v27
	v_add_f32_e32 v24, v26, v28
	v_sub_f32_e32 v27, v25, v24
	v_pk_add_f32 v[30:31], v[24:25], v[26:27] neg_lo:[0,1] neg_hi:[0,1]
	v_mov_b32_e32 v29, v24
	v_pk_add_f32 v[24:25], v[30:31], v[28:29] neg_lo:[0,1] neg_hi:[0,1]
	s_or_b64 vcc, s[2:3], vcc
	v_add_f32_e32 v25, v33, v25
	v_add_f32_e32 v24, v24, v25
	;; [unrolled: 1-line block ×4, first 2 shown]
	v_sub_f32_e32 v26, v25, v37
	v_mul_f32_e32 v24, v35, v24
	v_sub_f32_e32 v26, v36, v26
	v_add_f32_e32 v26, v26, v24
	v_add_f32_e32 v28, v25, v26
	v_mul_f32_e32 v29, v28, v28
	v_fmamk_f32 v24, v29, 0x3e9b6dac, v122
	v_fmaak_f32 v53, v29, v24, 0x3f2aaada
	v_cvt_f32_i32_e32 v24, v32
	v_sub_f32_e32 v25, v28, v25
	v_sub_f32_e32 v25, v26, v25
	v_ldexp_f32 v30, v25, 1
	v_mul_f32_e32 v25, v28, v29
	v_ldexp_f32 v27, v28, 1
	v_pk_mul_f32 v[28:29], v[24:25], v[52:53]
	s_nop 0
	v_fma_f32 v26, v24, s39, -v28
	v_fmac_f32_e32 v26, 0xb102e308, v24
	v_pk_add_f32 v[24:25], v[28:29], v[26:27]
	s_nop 0
	v_sub_f32_e32 v27, v25, v27
	v_sub_f32_e32 v27, v29, v27
	v_add_f32_e32 v31, v30, v27
	v_mov_b32_e32 v30, v28
	v_pk_add_f32 v[28:29], v[24:25], v[28:29] neg_lo:[0,1] neg_hi:[0,1]
	v_pk_add_f32 v[32:33], v[24:25], v[30:31]
	v_mov_b32_e32 v27, v24
	v_mov_b32_e32 v29, v33
	v_pk_add_f32 v[34:35], v[26:27], v[28:29] neg_lo:[0,1] neg_hi:[0,1]
	v_pk_add_f32 v[26:27], v[26:27], v[28:29]
	v_mov_b32_e32 v30, v31
	v_mov_b32_e32 v28, v27
	v_pk_add_f32 v[36:37], v[28:29], v[24:25] neg_lo:[0,1] neg_hi:[0,1]
	v_mov_b32_e32 v26, v33
	v_mov_b32_e32 v29, v36
	v_pk_add_f32 v[38:39], v[32:33], v[28:29] neg_lo:[0,1] neg_hi:[0,1]
	v_mov_b32_e32 v32, v25
	v_mov_b32_e32 v33, v36
	;; [unrolled: 1-line block ×3, first 2 shown]
	v_pk_add_f32 v[26:27], v[26:27], v[32:33] neg_lo:[0,1] neg_hi:[0,1]
	v_mov_b32_e32 v31, v24
	v_pk_add_f32 v[24:25], v[30:31], v[26:27] neg_lo:[0,1] neg_hi:[0,1]
	v_mov_b32_e32 v38, v34
	v_pk_add_f32 v[26:27], v[38:39], v[24:25]
	s_nop 0
	v_mov_b32_e32 v30, v27
	v_pk_add_f32 v[30:31], v[26:27], v[30:31]
	s_nop 0
	v_pk_add_f32 v[28:29], v[28:29], v[30:31]
	v_mov_b32_e32 v25, v30
	v_mov_b32_e32 v27, v28
	v_pk_add_f32 v[32:33], v[26:27], v[34:35] neg_lo:[0,1] neg_hi:[0,1]
	s_nop 0
	v_sub_f32_e32 v26, v26, v32
	v_pk_add_f32 v[24:25], v[24:25], v[32:33] neg_lo:[0,1] neg_hi:[0,1]
	v_sub_f32_e32 v26, v34, v26
	v_add_f32_e32 v24, v24, v26
	v_add_f32_e32 v24, v24, v25
	v_add_f32_e32 v24, v28, v24
	v_cndmask_b32_e32 v130, v24, v49, vcc
.LBB25_29:                              ;   in Loop: Header=BB25_13 Depth=1
	s_or_b64 exec, exec, s[30:31]
	v_lshlrev_b32_e32 v24, 16, v18
	v_add_f32_e32 v131, s33, v24
	s_mov_b32 s2, 0x41a00000
	v_cmp_ge_f32_e32 vcc, s2, v131
	s_and_b64 s[2:3], s[88:89], vcc
	s_and_saveexec_b64 s[30:31], s[2:3]
	s_cbranch_execz .LBB25_31
; %bb.30:                               ;   in Loop: Header=BB25_13 Depth=1
	v_mul_f32_e32 v24, 0x3fb8aa3b, v131
	v_rndne_f32_e32 v25, v24
	v_sub_f32_e32 v26, v24, v25
	v_fma_f32 v24, v131, s34, -v24
	v_fmac_f32_e32 v24, 0x32a5705f, v131
	v_add_f32_e32 v24, v26, v24
	v_cvt_i32_f32_e32 v25, v25
	v_exp_f32_e32 v24, v24
	v_cmp_ngt_f32_e32 vcc, s35, v131
	v_ldexp_f32 v24, v24, v25
	s_nop 0
	v_cndmask_b32_e32 v24, 0, v24, vcc
	v_cmp_nlt_f32_e32 vcc, s36, v131
	s_nop 1
	v_cndmask_b32_e32 v49, v123, v24, vcc
	v_add_f32_e32 v26, 1.0, v49
	v_add_f32_e32 v24, -1.0, v26
	v_sub_f32_e32 v25, v24, v26
	v_add_f32_e32 v25, 1.0, v25
	v_sub_f32_e32 v24, v49, v24
	v_add_f32_e32 v27, v24, v25
	v_frexp_mant_f32_e32 v28, v26
	v_cvt_f64_f32_e32 v[24:25], v26
	v_frexp_exp_i32_f64_e32 v24, v[24:25]
	v_cmp_gt_f32_e32 vcc, s38, v28
	v_cmp_gt_f32_e64 s[2:3], s40, v49
	s_nop 0
	v_subbrev_co_u32_e32 v32, vcc, 0, v24, vcc
	v_sub_u32_e32 v24, 0, v32
	v_ldexp_f32 v25, v26, v24
	v_add_f32_e32 v26, -1.0, v25
	v_add_f32_e32 v28, 1.0, v25
	v_ldexp_f32 v24, v27, v24
	v_add_f32_e32 v27, 1.0, v26
	v_add_f32_e32 v29, -1.0, v28
	v_sub_f32_e32 v27, v25, v27
	v_sub_f32_e32 v25, v25, v29
	v_add_f32_e32 v27, v24, v27
	v_add_f32_e32 v24, v24, v25
	;; [unrolled: 1-line block ×3, first 2 shown]
	v_rcp_f32_e32 v35, v33
	v_sub_f32_e32 v25, v28, v33
	v_add_f32_e32 v34, v24, v25
	v_add_f32_e32 v25, v26, v27
	v_mul_f32_e32 v37, v25, v35
	v_sub_f32_e32 v24, v26, v25
	v_mul_f32_e32 v26, v33, v37
	v_fma_f32 v28, v37, v33, -v26
	v_fmac_f32_e32 v28, v37, v34
	v_add_f32_e32 v36, v27, v24
	v_add_f32_e32 v24, v26, v28
	v_sub_f32_e32 v27, v25, v24
	v_pk_add_f32 v[30:31], v[24:25], v[26:27] neg_lo:[0,1] neg_hi:[0,1]
	v_mov_b32_e32 v29, v24
	v_pk_add_f32 v[24:25], v[30:31], v[28:29] neg_lo:[0,1] neg_hi:[0,1]
	v_cmp_eq_f32_e32 vcc, s37, v49
	v_add_f32_e32 v25, v36, v25
	v_add_f32_e32 v24, v24, v25
	;; [unrolled: 1-line block ×3, first 2 shown]
	v_mul_f32_e32 v36, v35, v25
	v_mul_f32_e32 v26, v33, v36
	v_fma_f32 v28, v36, v33, -v26
	v_fmac_f32_e32 v28, v36, v34
	v_sub_f32_e32 v27, v27, v25
	v_add_f32_e32 v33, v24, v27
	v_add_f32_e32 v24, v26, v28
	v_sub_f32_e32 v27, v25, v24
	v_pk_add_f32 v[30:31], v[24:25], v[26:27] neg_lo:[0,1] neg_hi:[0,1]
	v_mov_b32_e32 v29, v24
	v_pk_add_f32 v[24:25], v[30:31], v[28:29] neg_lo:[0,1] neg_hi:[0,1]
	s_or_b64 vcc, s[2:3], vcc
	v_add_f32_e32 v25, v33, v25
	v_add_f32_e32 v24, v24, v25
	;; [unrolled: 1-line block ×4, first 2 shown]
	v_sub_f32_e32 v26, v25, v37
	v_mul_f32_e32 v24, v35, v24
	v_sub_f32_e32 v26, v36, v26
	v_add_f32_e32 v26, v26, v24
	v_add_f32_e32 v28, v25, v26
	v_mul_f32_e32 v29, v28, v28
	v_fmamk_f32 v24, v29, 0x3e9b6dac, v122
	v_fmaak_f32 v53, v29, v24, 0x3f2aaada
	v_cvt_f32_i32_e32 v24, v32
	v_sub_f32_e32 v25, v28, v25
	v_sub_f32_e32 v25, v26, v25
	v_ldexp_f32 v30, v25, 1
	v_mul_f32_e32 v25, v28, v29
	v_ldexp_f32 v27, v28, 1
	v_pk_mul_f32 v[28:29], v[24:25], v[52:53]
	s_nop 0
	v_fma_f32 v26, v24, s39, -v28
	v_fmac_f32_e32 v26, 0xb102e308, v24
	v_pk_add_f32 v[24:25], v[28:29], v[26:27]
	s_nop 0
	v_sub_f32_e32 v27, v25, v27
	v_sub_f32_e32 v27, v29, v27
	v_add_f32_e32 v31, v30, v27
	v_mov_b32_e32 v30, v28
	v_pk_add_f32 v[28:29], v[24:25], v[28:29] neg_lo:[0,1] neg_hi:[0,1]
	v_pk_add_f32 v[32:33], v[24:25], v[30:31]
	v_mov_b32_e32 v27, v24
	v_mov_b32_e32 v29, v33
	v_pk_add_f32 v[34:35], v[26:27], v[28:29] neg_lo:[0,1] neg_hi:[0,1]
	v_pk_add_f32 v[26:27], v[26:27], v[28:29]
	v_mov_b32_e32 v30, v31
	v_mov_b32_e32 v28, v27
	v_pk_add_f32 v[36:37], v[28:29], v[24:25] neg_lo:[0,1] neg_hi:[0,1]
	v_mov_b32_e32 v26, v33
	v_mov_b32_e32 v29, v36
	v_pk_add_f32 v[38:39], v[32:33], v[28:29] neg_lo:[0,1] neg_hi:[0,1]
	v_mov_b32_e32 v32, v25
	v_mov_b32_e32 v33, v36
	;; [unrolled: 1-line block ×3, first 2 shown]
	v_pk_add_f32 v[26:27], v[26:27], v[32:33] neg_lo:[0,1] neg_hi:[0,1]
	v_mov_b32_e32 v31, v24
	v_pk_add_f32 v[24:25], v[30:31], v[26:27] neg_lo:[0,1] neg_hi:[0,1]
	v_mov_b32_e32 v38, v34
	v_pk_add_f32 v[26:27], v[38:39], v[24:25]
	s_nop 0
	v_mov_b32_e32 v30, v27
	v_pk_add_f32 v[30:31], v[26:27], v[30:31]
	s_nop 0
	v_pk_add_f32 v[28:29], v[28:29], v[30:31]
	v_mov_b32_e32 v25, v30
	v_mov_b32_e32 v27, v28
	v_pk_add_f32 v[32:33], v[26:27], v[34:35] neg_lo:[0,1] neg_hi:[0,1]
	s_nop 0
	v_sub_f32_e32 v26, v26, v32
	v_pk_add_f32 v[24:25], v[24:25], v[32:33] neg_lo:[0,1] neg_hi:[0,1]
	v_sub_f32_e32 v26, v34, v26
	v_add_f32_e32 v24, v24, v26
	v_add_f32_e32 v24, v24, v25
	;; [unrolled: 1-line block ×3, first 2 shown]
	v_cndmask_b32_e32 v131, v24, v49, vcc
.LBB25_31:                              ;   in Loop: Header=BB25_13 Depth=1
	s_or_b64 exec, exec, s[30:31]
	v_and_b32_e32 v24, 0xffff0000, v18
	v_add_f32_e32 v132, s33, v24
	s_mov_b32 s2, 0x41a00000
	v_cmp_ge_f32_e32 vcc, s2, v132
	s_and_b64 s[2:3], s[88:89], vcc
	s_and_saveexec_b64 s[30:31], s[2:3]
	s_cbranch_execz .LBB25_33
; %bb.32:                               ;   in Loop: Header=BB25_13 Depth=1
	v_mul_f32_e32 v24, 0x3fb8aa3b, v132
	v_rndne_f32_e32 v25, v24
	v_sub_f32_e32 v26, v24, v25
	v_fma_f32 v24, v132, s34, -v24
	v_fmac_f32_e32 v24, 0x32a5705f, v132
	v_add_f32_e32 v24, v26, v24
	v_cvt_i32_f32_e32 v25, v25
	v_exp_f32_e32 v24, v24
	v_cmp_ngt_f32_e32 vcc, s35, v132
	v_ldexp_f32 v24, v24, v25
	s_nop 0
	v_cndmask_b32_e32 v24, 0, v24, vcc
	v_cmp_nlt_f32_e32 vcc, s36, v132
	s_nop 1
	v_cndmask_b32_e32 v49, v123, v24, vcc
	v_add_f32_e32 v26, 1.0, v49
	v_add_f32_e32 v24, -1.0, v26
	v_sub_f32_e32 v25, v24, v26
	v_add_f32_e32 v25, 1.0, v25
	v_sub_f32_e32 v24, v49, v24
	v_add_f32_e32 v27, v24, v25
	v_frexp_mant_f32_e32 v28, v26
	v_cvt_f64_f32_e32 v[24:25], v26
	v_frexp_exp_i32_f64_e32 v24, v[24:25]
	v_cmp_gt_f32_e32 vcc, s38, v28
	v_cmp_gt_f32_e64 s[2:3], s40, v49
	s_nop 0
	v_subbrev_co_u32_e32 v32, vcc, 0, v24, vcc
	v_sub_u32_e32 v24, 0, v32
	v_ldexp_f32 v25, v26, v24
	v_add_f32_e32 v26, -1.0, v25
	v_add_f32_e32 v28, 1.0, v25
	v_ldexp_f32 v24, v27, v24
	v_add_f32_e32 v27, 1.0, v26
	v_add_f32_e32 v29, -1.0, v28
	v_sub_f32_e32 v27, v25, v27
	v_sub_f32_e32 v25, v25, v29
	v_add_f32_e32 v27, v24, v27
	v_add_f32_e32 v24, v24, v25
	;; [unrolled: 1-line block ×3, first 2 shown]
	v_rcp_f32_e32 v35, v33
	v_sub_f32_e32 v25, v28, v33
	v_add_f32_e32 v34, v24, v25
	v_add_f32_e32 v25, v26, v27
	v_mul_f32_e32 v37, v25, v35
	v_sub_f32_e32 v24, v26, v25
	v_mul_f32_e32 v26, v33, v37
	v_fma_f32 v28, v37, v33, -v26
	v_fmac_f32_e32 v28, v37, v34
	v_add_f32_e32 v36, v27, v24
	v_add_f32_e32 v24, v26, v28
	v_sub_f32_e32 v27, v25, v24
	v_pk_add_f32 v[30:31], v[24:25], v[26:27] neg_lo:[0,1] neg_hi:[0,1]
	v_mov_b32_e32 v29, v24
	v_pk_add_f32 v[24:25], v[30:31], v[28:29] neg_lo:[0,1] neg_hi:[0,1]
	v_cmp_eq_f32_e32 vcc, s37, v49
	v_add_f32_e32 v25, v36, v25
	v_add_f32_e32 v24, v24, v25
	;; [unrolled: 1-line block ×3, first 2 shown]
	v_mul_f32_e32 v36, v35, v25
	v_mul_f32_e32 v26, v33, v36
	v_fma_f32 v28, v36, v33, -v26
	v_fmac_f32_e32 v28, v36, v34
	v_sub_f32_e32 v27, v27, v25
	v_add_f32_e32 v33, v24, v27
	v_add_f32_e32 v24, v26, v28
	v_sub_f32_e32 v27, v25, v24
	v_pk_add_f32 v[30:31], v[24:25], v[26:27] neg_lo:[0,1] neg_hi:[0,1]
	v_mov_b32_e32 v29, v24
	v_pk_add_f32 v[24:25], v[30:31], v[28:29] neg_lo:[0,1] neg_hi:[0,1]
	s_or_b64 vcc, s[2:3], vcc
	v_add_f32_e32 v25, v33, v25
	v_add_f32_e32 v24, v24, v25
	;; [unrolled: 1-line block ×4, first 2 shown]
	v_sub_f32_e32 v26, v25, v37
	v_mul_f32_e32 v24, v35, v24
	v_sub_f32_e32 v26, v36, v26
	v_add_f32_e32 v26, v26, v24
	v_add_f32_e32 v28, v25, v26
	v_mul_f32_e32 v29, v28, v28
	v_fmamk_f32 v24, v29, 0x3e9b6dac, v122
	v_fmaak_f32 v53, v29, v24, 0x3f2aaada
	v_cvt_f32_i32_e32 v24, v32
	v_sub_f32_e32 v25, v28, v25
	v_sub_f32_e32 v25, v26, v25
	v_ldexp_f32 v30, v25, 1
	v_mul_f32_e32 v25, v28, v29
	v_ldexp_f32 v27, v28, 1
	v_pk_mul_f32 v[28:29], v[24:25], v[52:53]
	s_nop 0
	v_fma_f32 v26, v24, s39, -v28
	v_fmac_f32_e32 v26, 0xb102e308, v24
	v_pk_add_f32 v[24:25], v[28:29], v[26:27]
	s_nop 0
	v_sub_f32_e32 v27, v25, v27
	v_sub_f32_e32 v27, v29, v27
	v_add_f32_e32 v31, v30, v27
	v_mov_b32_e32 v30, v28
	v_pk_add_f32 v[28:29], v[24:25], v[28:29] neg_lo:[0,1] neg_hi:[0,1]
	v_pk_add_f32 v[32:33], v[24:25], v[30:31]
	v_mov_b32_e32 v27, v24
	v_mov_b32_e32 v29, v33
	v_pk_add_f32 v[34:35], v[26:27], v[28:29] neg_lo:[0,1] neg_hi:[0,1]
	v_pk_add_f32 v[26:27], v[26:27], v[28:29]
	v_mov_b32_e32 v30, v31
	v_mov_b32_e32 v28, v27
	v_pk_add_f32 v[36:37], v[28:29], v[24:25] neg_lo:[0,1] neg_hi:[0,1]
	v_mov_b32_e32 v26, v33
	v_mov_b32_e32 v29, v36
	v_pk_add_f32 v[38:39], v[32:33], v[28:29] neg_lo:[0,1] neg_hi:[0,1]
	v_mov_b32_e32 v32, v25
	v_mov_b32_e32 v33, v36
	;; [unrolled: 1-line block ×3, first 2 shown]
	v_pk_add_f32 v[26:27], v[26:27], v[32:33] neg_lo:[0,1] neg_hi:[0,1]
	v_mov_b32_e32 v31, v24
	v_pk_add_f32 v[24:25], v[30:31], v[26:27] neg_lo:[0,1] neg_hi:[0,1]
	v_mov_b32_e32 v38, v34
	v_pk_add_f32 v[26:27], v[38:39], v[24:25]
	s_nop 0
	v_mov_b32_e32 v30, v27
	v_pk_add_f32 v[30:31], v[26:27], v[30:31]
	s_nop 0
	v_pk_add_f32 v[28:29], v[28:29], v[30:31]
	v_mov_b32_e32 v25, v30
	v_mov_b32_e32 v27, v28
	v_pk_add_f32 v[32:33], v[26:27], v[34:35] neg_lo:[0,1] neg_hi:[0,1]
	s_nop 0
	v_sub_f32_e32 v26, v26, v32
	v_pk_add_f32 v[24:25], v[24:25], v[32:33] neg_lo:[0,1] neg_hi:[0,1]
	v_sub_f32_e32 v26, v34, v26
	v_add_f32_e32 v24, v24, v26
	v_add_f32_e32 v24, v24, v25
	;; [unrolled: 1-line block ×3, first 2 shown]
	v_cndmask_b32_e32 v132, v24, v49, vcc
.LBB25_33:                              ;   in Loop: Header=BB25_13 Depth=1
	s_or_b64 exec, exec, s[30:31]
	v_lshlrev_b32_e32 v24, 16, v19
	v_add_f32_e32 v133, s33, v24
	s_mov_b32 s2, 0x41a00000
	v_cmp_ge_f32_e32 vcc, s2, v133
	s_and_b64 s[2:3], s[88:89], vcc
	s_and_saveexec_b64 s[30:31], s[2:3]
	s_cbranch_execz .LBB25_35
; %bb.34:                               ;   in Loop: Header=BB25_13 Depth=1
	v_mul_f32_e32 v24, 0x3fb8aa3b, v133
	v_rndne_f32_e32 v25, v24
	v_sub_f32_e32 v26, v24, v25
	v_fma_f32 v24, v133, s34, -v24
	v_fmac_f32_e32 v24, 0x32a5705f, v133
	v_add_f32_e32 v24, v26, v24
	v_cvt_i32_f32_e32 v25, v25
	v_exp_f32_e32 v24, v24
	v_cmp_ngt_f32_e32 vcc, s35, v133
	v_ldexp_f32 v24, v24, v25
	s_nop 0
	v_cndmask_b32_e32 v24, 0, v24, vcc
	v_cmp_nlt_f32_e32 vcc, s36, v133
	s_nop 1
	v_cndmask_b32_e32 v49, v123, v24, vcc
	v_add_f32_e32 v26, 1.0, v49
	v_add_f32_e32 v24, -1.0, v26
	v_sub_f32_e32 v25, v24, v26
	v_add_f32_e32 v25, 1.0, v25
	v_sub_f32_e32 v24, v49, v24
	v_add_f32_e32 v27, v24, v25
	v_frexp_mant_f32_e32 v28, v26
	v_cvt_f64_f32_e32 v[24:25], v26
	v_frexp_exp_i32_f64_e32 v24, v[24:25]
	v_cmp_gt_f32_e32 vcc, s38, v28
	v_cmp_gt_f32_e64 s[2:3], s40, v49
	s_nop 0
	v_subbrev_co_u32_e32 v32, vcc, 0, v24, vcc
	v_sub_u32_e32 v24, 0, v32
	v_ldexp_f32 v25, v26, v24
	v_add_f32_e32 v26, -1.0, v25
	v_add_f32_e32 v28, 1.0, v25
	v_ldexp_f32 v24, v27, v24
	v_add_f32_e32 v27, 1.0, v26
	v_add_f32_e32 v29, -1.0, v28
	v_sub_f32_e32 v27, v25, v27
	v_sub_f32_e32 v25, v25, v29
	v_add_f32_e32 v27, v24, v27
	v_add_f32_e32 v24, v24, v25
	;; [unrolled: 1-line block ×3, first 2 shown]
	v_rcp_f32_e32 v35, v33
	v_sub_f32_e32 v25, v28, v33
	v_add_f32_e32 v34, v24, v25
	v_add_f32_e32 v25, v26, v27
	v_mul_f32_e32 v37, v25, v35
	v_sub_f32_e32 v24, v26, v25
	v_mul_f32_e32 v26, v33, v37
	v_fma_f32 v28, v37, v33, -v26
	v_fmac_f32_e32 v28, v37, v34
	v_add_f32_e32 v36, v27, v24
	v_add_f32_e32 v24, v26, v28
	v_sub_f32_e32 v27, v25, v24
	v_pk_add_f32 v[30:31], v[24:25], v[26:27] neg_lo:[0,1] neg_hi:[0,1]
	v_mov_b32_e32 v29, v24
	v_pk_add_f32 v[24:25], v[30:31], v[28:29] neg_lo:[0,1] neg_hi:[0,1]
	v_cmp_eq_f32_e32 vcc, s37, v49
	v_add_f32_e32 v25, v36, v25
	v_add_f32_e32 v24, v24, v25
	;; [unrolled: 1-line block ×3, first 2 shown]
	v_mul_f32_e32 v36, v35, v25
	v_mul_f32_e32 v26, v33, v36
	v_fma_f32 v28, v36, v33, -v26
	v_fmac_f32_e32 v28, v36, v34
	v_sub_f32_e32 v27, v27, v25
	v_add_f32_e32 v33, v24, v27
	v_add_f32_e32 v24, v26, v28
	v_sub_f32_e32 v27, v25, v24
	v_pk_add_f32 v[30:31], v[24:25], v[26:27] neg_lo:[0,1] neg_hi:[0,1]
	v_mov_b32_e32 v29, v24
	v_pk_add_f32 v[24:25], v[30:31], v[28:29] neg_lo:[0,1] neg_hi:[0,1]
	s_or_b64 vcc, s[2:3], vcc
	v_add_f32_e32 v25, v33, v25
	v_add_f32_e32 v24, v24, v25
	;; [unrolled: 1-line block ×4, first 2 shown]
	v_sub_f32_e32 v26, v25, v37
	v_mul_f32_e32 v24, v35, v24
	v_sub_f32_e32 v26, v36, v26
	v_add_f32_e32 v26, v26, v24
	v_add_f32_e32 v28, v25, v26
	v_mul_f32_e32 v29, v28, v28
	v_fmamk_f32 v24, v29, 0x3e9b6dac, v122
	v_fmaak_f32 v53, v29, v24, 0x3f2aaada
	v_cvt_f32_i32_e32 v24, v32
	v_sub_f32_e32 v25, v28, v25
	v_sub_f32_e32 v25, v26, v25
	v_ldexp_f32 v30, v25, 1
	v_mul_f32_e32 v25, v28, v29
	v_ldexp_f32 v27, v28, 1
	v_pk_mul_f32 v[28:29], v[24:25], v[52:53]
	s_nop 0
	v_fma_f32 v26, v24, s39, -v28
	v_fmac_f32_e32 v26, 0xb102e308, v24
	v_pk_add_f32 v[24:25], v[28:29], v[26:27]
	s_nop 0
	v_sub_f32_e32 v27, v25, v27
	v_sub_f32_e32 v27, v29, v27
	v_add_f32_e32 v31, v30, v27
	v_mov_b32_e32 v30, v28
	v_pk_add_f32 v[28:29], v[24:25], v[28:29] neg_lo:[0,1] neg_hi:[0,1]
	v_pk_add_f32 v[32:33], v[24:25], v[30:31]
	v_mov_b32_e32 v27, v24
	v_mov_b32_e32 v29, v33
	v_pk_add_f32 v[34:35], v[26:27], v[28:29] neg_lo:[0,1] neg_hi:[0,1]
	v_pk_add_f32 v[26:27], v[26:27], v[28:29]
	v_mov_b32_e32 v30, v31
	v_mov_b32_e32 v28, v27
	v_pk_add_f32 v[36:37], v[28:29], v[24:25] neg_lo:[0,1] neg_hi:[0,1]
	v_mov_b32_e32 v26, v33
	v_mov_b32_e32 v29, v36
	v_pk_add_f32 v[38:39], v[32:33], v[28:29] neg_lo:[0,1] neg_hi:[0,1]
	v_mov_b32_e32 v32, v25
	v_mov_b32_e32 v33, v36
	;; [unrolled: 1-line block ×3, first 2 shown]
	v_pk_add_f32 v[26:27], v[26:27], v[32:33] neg_lo:[0,1] neg_hi:[0,1]
	v_mov_b32_e32 v31, v24
	v_pk_add_f32 v[24:25], v[30:31], v[26:27] neg_lo:[0,1] neg_hi:[0,1]
	v_mov_b32_e32 v38, v34
	v_pk_add_f32 v[26:27], v[38:39], v[24:25]
	s_nop 0
	v_mov_b32_e32 v30, v27
	v_pk_add_f32 v[30:31], v[26:27], v[30:31]
	s_nop 0
	v_pk_add_f32 v[28:29], v[28:29], v[30:31]
	v_mov_b32_e32 v25, v30
	v_mov_b32_e32 v27, v28
	v_pk_add_f32 v[32:33], v[26:27], v[34:35] neg_lo:[0,1] neg_hi:[0,1]
	s_nop 0
	v_sub_f32_e32 v26, v26, v32
	v_pk_add_f32 v[24:25], v[24:25], v[32:33] neg_lo:[0,1] neg_hi:[0,1]
	v_sub_f32_e32 v26, v34, v26
	v_add_f32_e32 v24, v24, v26
	v_add_f32_e32 v24, v24, v25
	;; [unrolled: 1-line block ×3, first 2 shown]
	v_cndmask_b32_e32 v133, v24, v49, vcc
.LBB25_35:                              ;   in Loop: Header=BB25_13 Depth=1
	s_or_b64 exec, exec, s[30:31]
	v_and_b32_e32 v24, 0xffff0000, v19
	v_add_f32_e32 v134, s33, v24
	s_mov_b32 s2, 0x41a00000
	v_cmp_ge_f32_e32 vcc, s2, v134
	s_and_b64 s[2:3], s[88:89], vcc
	s_and_saveexec_b64 s[30:31], s[2:3]
	s_cbranch_execz .LBB25_37
; %bb.36:                               ;   in Loop: Header=BB25_13 Depth=1
	v_mul_f32_e32 v24, 0x3fb8aa3b, v134
	v_rndne_f32_e32 v25, v24
	v_sub_f32_e32 v26, v24, v25
	v_fma_f32 v24, v134, s34, -v24
	v_fmac_f32_e32 v24, 0x32a5705f, v134
	v_add_f32_e32 v24, v26, v24
	v_cvt_i32_f32_e32 v25, v25
	v_exp_f32_e32 v24, v24
	v_cmp_ngt_f32_e32 vcc, s35, v134
	v_ldexp_f32 v24, v24, v25
	s_nop 0
	v_cndmask_b32_e32 v24, 0, v24, vcc
	v_cmp_nlt_f32_e32 vcc, s36, v134
	s_nop 1
	v_cndmask_b32_e32 v49, v123, v24, vcc
	v_add_f32_e32 v26, 1.0, v49
	v_add_f32_e32 v24, -1.0, v26
	v_sub_f32_e32 v25, v24, v26
	v_add_f32_e32 v25, 1.0, v25
	v_sub_f32_e32 v24, v49, v24
	v_add_f32_e32 v27, v24, v25
	v_frexp_mant_f32_e32 v28, v26
	v_cvt_f64_f32_e32 v[24:25], v26
	v_frexp_exp_i32_f64_e32 v24, v[24:25]
	v_cmp_gt_f32_e32 vcc, s38, v28
	v_cmp_gt_f32_e64 s[2:3], s40, v49
	s_nop 0
	v_subbrev_co_u32_e32 v32, vcc, 0, v24, vcc
	v_sub_u32_e32 v24, 0, v32
	v_ldexp_f32 v25, v26, v24
	v_add_f32_e32 v26, -1.0, v25
	v_add_f32_e32 v28, 1.0, v25
	v_ldexp_f32 v24, v27, v24
	v_add_f32_e32 v27, 1.0, v26
	v_add_f32_e32 v29, -1.0, v28
	v_sub_f32_e32 v27, v25, v27
	v_sub_f32_e32 v25, v25, v29
	v_add_f32_e32 v27, v24, v27
	v_add_f32_e32 v24, v24, v25
	;; [unrolled: 1-line block ×3, first 2 shown]
	v_rcp_f32_e32 v35, v33
	v_sub_f32_e32 v25, v28, v33
	v_add_f32_e32 v34, v24, v25
	v_add_f32_e32 v25, v26, v27
	v_mul_f32_e32 v37, v25, v35
	v_sub_f32_e32 v24, v26, v25
	v_mul_f32_e32 v26, v33, v37
	v_fma_f32 v28, v37, v33, -v26
	v_fmac_f32_e32 v28, v37, v34
	v_add_f32_e32 v36, v27, v24
	v_add_f32_e32 v24, v26, v28
	v_sub_f32_e32 v27, v25, v24
	v_pk_add_f32 v[30:31], v[24:25], v[26:27] neg_lo:[0,1] neg_hi:[0,1]
	v_mov_b32_e32 v29, v24
	v_pk_add_f32 v[24:25], v[30:31], v[28:29] neg_lo:[0,1] neg_hi:[0,1]
	v_cmp_eq_f32_e32 vcc, s37, v49
	v_add_f32_e32 v25, v36, v25
	v_add_f32_e32 v24, v24, v25
	;; [unrolled: 1-line block ×3, first 2 shown]
	v_mul_f32_e32 v36, v35, v25
	v_mul_f32_e32 v26, v33, v36
	v_fma_f32 v28, v36, v33, -v26
	v_fmac_f32_e32 v28, v36, v34
	v_sub_f32_e32 v27, v27, v25
	v_add_f32_e32 v33, v24, v27
	v_add_f32_e32 v24, v26, v28
	v_sub_f32_e32 v27, v25, v24
	v_pk_add_f32 v[30:31], v[24:25], v[26:27] neg_lo:[0,1] neg_hi:[0,1]
	v_mov_b32_e32 v29, v24
	v_pk_add_f32 v[24:25], v[30:31], v[28:29] neg_lo:[0,1] neg_hi:[0,1]
	s_or_b64 vcc, s[2:3], vcc
	v_add_f32_e32 v25, v33, v25
	v_add_f32_e32 v24, v24, v25
	;; [unrolled: 1-line block ×4, first 2 shown]
	v_sub_f32_e32 v26, v25, v37
	v_mul_f32_e32 v24, v35, v24
	v_sub_f32_e32 v26, v36, v26
	v_add_f32_e32 v26, v26, v24
	v_add_f32_e32 v28, v25, v26
	v_mul_f32_e32 v29, v28, v28
	v_fmamk_f32 v24, v29, 0x3e9b6dac, v122
	v_fmaak_f32 v53, v29, v24, 0x3f2aaada
	v_cvt_f32_i32_e32 v24, v32
	v_sub_f32_e32 v25, v28, v25
	v_sub_f32_e32 v25, v26, v25
	v_ldexp_f32 v30, v25, 1
	v_mul_f32_e32 v25, v28, v29
	v_ldexp_f32 v27, v28, 1
	v_pk_mul_f32 v[28:29], v[24:25], v[52:53]
	s_nop 0
	v_fma_f32 v26, v24, s39, -v28
	v_fmac_f32_e32 v26, 0xb102e308, v24
	v_pk_add_f32 v[24:25], v[28:29], v[26:27]
	s_nop 0
	v_sub_f32_e32 v27, v25, v27
	v_sub_f32_e32 v27, v29, v27
	v_add_f32_e32 v31, v30, v27
	v_mov_b32_e32 v30, v28
	v_pk_add_f32 v[28:29], v[24:25], v[28:29] neg_lo:[0,1] neg_hi:[0,1]
	v_pk_add_f32 v[32:33], v[24:25], v[30:31]
	v_mov_b32_e32 v27, v24
	v_mov_b32_e32 v29, v33
	v_pk_add_f32 v[34:35], v[26:27], v[28:29] neg_lo:[0,1] neg_hi:[0,1]
	v_pk_add_f32 v[26:27], v[26:27], v[28:29]
	v_mov_b32_e32 v30, v31
	v_mov_b32_e32 v28, v27
	v_pk_add_f32 v[36:37], v[28:29], v[24:25] neg_lo:[0,1] neg_hi:[0,1]
	v_mov_b32_e32 v26, v33
	v_mov_b32_e32 v29, v36
	v_pk_add_f32 v[38:39], v[32:33], v[28:29] neg_lo:[0,1] neg_hi:[0,1]
	v_mov_b32_e32 v32, v25
	v_mov_b32_e32 v33, v36
	;; [unrolled: 1-line block ×3, first 2 shown]
	v_pk_add_f32 v[26:27], v[26:27], v[32:33] neg_lo:[0,1] neg_hi:[0,1]
	v_mov_b32_e32 v31, v24
	v_pk_add_f32 v[24:25], v[30:31], v[26:27] neg_lo:[0,1] neg_hi:[0,1]
	v_mov_b32_e32 v38, v34
	v_pk_add_f32 v[26:27], v[38:39], v[24:25]
	s_nop 0
	v_mov_b32_e32 v30, v27
	v_pk_add_f32 v[30:31], v[26:27], v[30:31]
	s_nop 0
	v_pk_add_f32 v[28:29], v[28:29], v[30:31]
	v_mov_b32_e32 v25, v30
	v_mov_b32_e32 v27, v28
	v_pk_add_f32 v[32:33], v[26:27], v[34:35] neg_lo:[0,1] neg_hi:[0,1]
	s_nop 0
	v_sub_f32_e32 v26, v26, v32
	v_pk_add_f32 v[24:25], v[24:25], v[32:33] neg_lo:[0,1] neg_hi:[0,1]
	v_sub_f32_e32 v26, v34, v26
	v_add_f32_e32 v24, v24, v26
	v_add_f32_e32 v24, v24, v25
	;; [unrolled: 1-line block ×3, first 2 shown]
	v_cndmask_b32_e32 v134, v24, v49, vcc
.LBB25_37:                              ;   in Loop: Header=BB25_13 Depth=1
	s_or_b64 exec, exec, s[30:31]
	s_waitcnt lgkmcnt(0)
	v_lshlrev_b32_e32 v24, 16, v4
	v_add_f32_e32 v135, s33, v24
	s_mov_b32 s2, 0x41a00000
	v_cmp_ge_f32_e32 vcc, s2, v135
	s_and_b64 s[2:3], s[88:89], vcc
	s_and_saveexec_b64 s[30:31], s[2:3]
	s_cbranch_execz .LBB25_39
; %bb.38:                               ;   in Loop: Header=BB25_13 Depth=1
	v_mul_f32_e32 v24, 0x3fb8aa3b, v135
	v_rndne_f32_e32 v25, v24
	v_sub_f32_e32 v26, v24, v25
	v_fma_f32 v24, v135, s34, -v24
	v_fmac_f32_e32 v24, 0x32a5705f, v135
	v_add_f32_e32 v24, v26, v24
	v_cvt_i32_f32_e32 v25, v25
	v_exp_f32_e32 v24, v24
	v_cmp_ngt_f32_e32 vcc, s35, v135
	v_ldexp_f32 v24, v24, v25
	s_nop 0
	v_cndmask_b32_e32 v24, 0, v24, vcc
	v_cmp_nlt_f32_e32 vcc, s36, v135
	s_nop 1
	v_cndmask_b32_e32 v49, v123, v24, vcc
	v_add_f32_e32 v26, 1.0, v49
	v_add_f32_e32 v24, -1.0, v26
	v_sub_f32_e32 v25, v24, v26
	v_add_f32_e32 v25, 1.0, v25
	v_sub_f32_e32 v24, v49, v24
	v_add_f32_e32 v27, v24, v25
	v_frexp_mant_f32_e32 v28, v26
	v_cvt_f64_f32_e32 v[24:25], v26
	v_frexp_exp_i32_f64_e32 v24, v[24:25]
	v_cmp_gt_f32_e32 vcc, s38, v28
	v_cmp_gt_f32_e64 s[2:3], s40, v49
	s_nop 0
	v_subbrev_co_u32_e32 v32, vcc, 0, v24, vcc
	v_sub_u32_e32 v24, 0, v32
	v_ldexp_f32 v25, v26, v24
	v_add_f32_e32 v26, -1.0, v25
	v_add_f32_e32 v28, 1.0, v25
	v_ldexp_f32 v24, v27, v24
	v_add_f32_e32 v27, 1.0, v26
	v_add_f32_e32 v29, -1.0, v28
	v_sub_f32_e32 v27, v25, v27
	v_sub_f32_e32 v25, v25, v29
	v_add_f32_e32 v27, v24, v27
	v_add_f32_e32 v24, v24, v25
	;; [unrolled: 1-line block ×3, first 2 shown]
	v_rcp_f32_e32 v35, v33
	v_sub_f32_e32 v25, v28, v33
	v_add_f32_e32 v34, v24, v25
	v_add_f32_e32 v25, v26, v27
	v_mul_f32_e32 v37, v25, v35
	v_sub_f32_e32 v24, v26, v25
	v_mul_f32_e32 v26, v33, v37
	v_fma_f32 v28, v37, v33, -v26
	v_fmac_f32_e32 v28, v37, v34
	v_add_f32_e32 v36, v27, v24
	v_add_f32_e32 v24, v26, v28
	v_sub_f32_e32 v27, v25, v24
	v_pk_add_f32 v[30:31], v[24:25], v[26:27] neg_lo:[0,1] neg_hi:[0,1]
	v_mov_b32_e32 v29, v24
	v_pk_add_f32 v[24:25], v[30:31], v[28:29] neg_lo:[0,1] neg_hi:[0,1]
	v_cmp_eq_f32_e32 vcc, s37, v49
	v_add_f32_e32 v25, v36, v25
	v_add_f32_e32 v24, v24, v25
	;; [unrolled: 1-line block ×3, first 2 shown]
	v_mul_f32_e32 v36, v35, v25
	v_mul_f32_e32 v26, v33, v36
	v_fma_f32 v28, v36, v33, -v26
	v_fmac_f32_e32 v28, v36, v34
	v_sub_f32_e32 v27, v27, v25
	v_add_f32_e32 v33, v24, v27
	v_add_f32_e32 v24, v26, v28
	v_sub_f32_e32 v27, v25, v24
	v_pk_add_f32 v[30:31], v[24:25], v[26:27] neg_lo:[0,1] neg_hi:[0,1]
	v_mov_b32_e32 v29, v24
	v_pk_add_f32 v[24:25], v[30:31], v[28:29] neg_lo:[0,1] neg_hi:[0,1]
	s_or_b64 vcc, s[2:3], vcc
	v_add_f32_e32 v25, v33, v25
	v_add_f32_e32 v24, v24, v25
	;; [unrolled: 1-line block ×4, first 2 shown]
	v_sub_f32_e32 v26, v25, v37
	v_mul_f32_e32 v24, v35, v24
	v_sub_f32_e32 v26, v36, v26
	v_add_f32_e32 v26, v26, v24
	v_add_f32_e32 v28, v25, v26
	v_mul_f32_e32 v29, v28, v28
	v_fmamk_f32 v24, v29, 0x3e9b6dac, v122
	v_fmaak_f32 v53, v29, v24, 0x3f2aaada
	v_cvt_f32_i32_e32 v24, v32
	v_sub_f32_e32 v25, v28, v25
	v_sub_f32_e32 v25, v26, v25
	v_ldexp_f32 v30, v25, 1
	v_mul_f32_e32 v25, v28, v29
	v_ldexp_f32 v27, v28, 1
	v_pk_mul_f32 v[28:29], v[24:25], v[52:53]
	s_nop 0
	v_fma_f32 v26, v24, s39, -v28
	v_fmac_f32_e32 v26, 0xb102e308, v24
	v_pk_add_f32 v[24:25], v[28:29], v[26:27]
	s_nop 0
	v_sub_f32_e32 v27, v25, v27
	v_sub_f32_e32 v27, v29, v27
	v_add_f32_e32 v31, v30, v27
	v_mov_b32_e32 v30, v28
	v_pk_add_f32 v[28:29], v[24:25], v[28:29] neg_lo:[0,1] neg_hi:[0,1]
	v_pk_add_f32 v[32:33], v[24:25], v[30:31]
	v_mov_b32_e32 v27, v24
	v_mov_b32_e32 v29, v33
	v_pk_add_f32 v[34:35], v[26:27], v[28:29] neg_lo:[0,1] neg_hi:[0,1]
	v_pk_add_f32 v[26:27], v[26:27], v[28:29]
	v_mov_b32_e32 v30, v31
	v_mov_b32_e32 v28, v27
	v_pk_add_f32 v[36:37], v[28:29], v[24:25] neg_lo:[0,1] neg_hi:[0,1]
	v_mov_b32_e32 v26, v33
	v_mov_b32_e32 v29, v36
	v_pk_add_f32 v[38:39], v[32:33], v[28:29] neg_lo:[0,1] neg_hi:[0,1]
	v_mov_b32_e32 v32, v25
	v_mov_b32_e32 v33, v36
	;; [unrolled: 1-line block ×3, first 2 shown]
	v_pk_add_f32 v[26:27], v[26:27], v[32:33] neg_lo:[0,1] neg_hi:[0,1]
	v_mov_b32_e32 v31, v24
	v_pk_add_f32 v[24:25], v[30:31], v[26:27] neg_lo:[0,1] neg_hi:[0,1]
	v_mov_b32_e32 v38, v34
	v_pk_add_f32 v[26:27], v[38:39], v[24:25]
	s_nop 0
	v_mov_b32_e32 v30, v27
	v_pk_add_f32 v[30:31], v[26:27], v[30:31]
	s_nop 0
	v_pk_add_f32 v[28:29], v[28:29], v[30:31]
	v_mov_b32_e32 v25, v30
	v_mov_b32_e32 v27, v28
	v_pk_add_f32 v[32:33], v[26:27], v[34:35] neg_lo:[0,1] neg_hi:[0,1]
	s_nop 0
	v_sub_f32_e32 v26, v26, v32
	v_pk_add_f32 v[24:25], v[24:25], v[32:33] neg_lo:[0,1] neg_hi:[0,1]
	v_sub_f32_e32 v26, v34, v26
	v_add_f32_e32 v24, v24, v26
	v_add_f32_e32 v24, v24, v25
	;; [unrolled: 1-line block ×3, first 2 shown]
	v_cndmask_b32_e32 v135, v24, v49, vcc
.LBB25_39:                              ;   in Loop: Header=BB25_13 Depth=1
	s_or_b64 exec, exec, s[30:31]
	v_and_b32_e32 v24, 0xffff0000, v4
	v_add_f32_e32 v136, s33, v24
	s_mov_b32 s2, 0x41a00000
	v_cmp_ge_f32_e32 vcc, s2, v136
	s_and_b64 s[2:3], s[88:89], vcc
	s_and_saveexec_b64 s[30:31], s[2:3]
	s_cbranch_execz .LBB25_41
; %bb.40:                               ;   in Loop: Header=BB25_13 Depth=1
	v_mul_f32_e32 v24, 0x3fb8aa3b, v136
	v_rndne_f32_e32 v25, v24
	v_sub_f32_e32 v26, v24, v25
	v_fma_f32 v24, v136, s34, -v24
	v_fmac_f32_e32 v24, 0x32a5705f, v136
	v_add_f32_e32 v24, v26, v24
	v_cvt_i32_f32_e32 v25, v25
	v_exp_f32_e32 v24, v24
	v_cmp_ngt_f32_e32 vcc, s35, v136
	v_ldexp_f32 v24, v24, v25
	s_nop 0
	v_cndmask_b32_e32 v24, 0, v24, vcc
	v_cmp_nlt_f32_e32 vcc, s36, v136
	s_nop 1
	v_cndmask_b32_e32 v49, v123, v24, vcc
	v_add_f32_e32 v26, 1.0, v49
	v_add_f32_e32 v24, -1.0, v26
	v_sub_f32_e32 v25, v24, v26
	v_add_f32_e32 v25, 1.0, v25
	v_sub_f32_e32 v24, v49, v24
	v_add_f32_e32 v27, v24, v25
	v_frexp_mant_f32_e32 v28, v26
	v_cvt_f64_f32_e32 v[24:25], v26
	v_frexp_exp_i32_f64_e32 v24, v[24:25]
	v_cmp_gt_f32_e32 vcc, s38, v28
	v_cmp_gt_f32_e64 s[2:3], s40, v49
	s_nop 0
	v_subbrev_co_u32_e32 v32, vcc, 0, v24, vcc
	v_sub_u32_e32 v24, 0, v32
	v_ldexp_f32 v25, v26, v24
	v_add_f32_e32 v26, -1.0, v25
	v_add_f32_e32 v28, 1.0, v25
	v_ldexp_f32 v24, v27, v24
	v_add_f32_e32 v27, 1.0, v26
	v_add_f32_e32 v29, -1.0, v28
	v_sub_f32_e32 v27, v25, v27
	v_sub_f32_e32 v25, v25, v29
	v_add_f32_e32 v27, v24, v27
	v_add_f32_e32 v24, v24, v25
	;; [unrolled: 1-line block ×3, first 2 shown]
	v_rcp_f32_e32 v35, v33
	v_sub_f32_e32 v25, v28, v33
	v_add_f32_e32 v34, v24, v25
	v_add_f32_e32 v25, v26, v27
	v_mul_f32_e32 v37, v25, v35
	v_sub_f32_e32 v24, v26, v25
	v_mul_f32_e32 v26, v33, v37
	v_fma_f32 v28, v37, v33, -v26
	v_fmac_f32_e32 v28, v37, v34
	v_add_f32_e32 v36, v27, v24
	v_add_f32_e32 v24, v26, v28
	v_sub_f32_e32 v27, v25, v24
	v_pk_add_f32 v[30:31], v[24:25], v[26:27] neg_lo:[0,1] neg_hi:[0,1]
	v_mov_b32_e32 v29, v24
	v_pk_add_f32 v[24:25], v[30:31], v[28:29] neg_lo:[0,1] neg_hi:[0,1]
	v_cmp_eq_f32_e32 vcc, s37, v49
	v_add_f32_e32 v25, v36, v25
	v_add_f32_e32 v24, v24, v25
	v_add_f32_e32 v25, v27, v24
	v_mul_f32_e32 v36, v35, v25
	v_mul_f32_e32 v26, v33, v36
	v_fma_f32 v28, v36, v33, -v26
	v_fmac_f32_e32 v28, v36, v34
	v_sub_f32_e32 v27, v27, v25
	v_add_f32_e32 v33, v24, v27
	v_add_f32_e32 v24, v26, v28
	v_sub_f32_e32 v27, v25, v24
	v_pk_add_f32 v[30:31], v[24:25], v[26:27] neg_lo:[0,1] neg_hi:[0,1]
	v_mov_b32_e32 v29, v24
	v_pk_add_f32 v[24:25], v[30:31], v[28:29] neg_lo:[0,1] neg_hi:[0,1]
	s_or_b64 vcc, s[2:3], vcc
	v_add_f32_e32 v25, v33, v25
	v_add_f32_e32 v24, v24, v25
	;; [unrolled: 1-line block ×4, first 2 shown]
	v_sub_f32_e32 v26, v25, v37
	v_mul_f32_e32 v24, v35, v24
	v_sub_f32_e32 v26, v36, v26
	v_add_f32_e32 v26, v26, v24
	v_add_f32_e32 v28, v25, v26
	v_mul_f32_e32 v29, v28, v28
	v_fmamk_f32 v24, v29, 0x3e9b6dac, v122
	v_fmaak_f32 v53, v29, v24, 0x3f2aaada
	v_cvt_f32_i32_e32 v24, v32
	v_sub_f32_e32 v25, v28, v25
	v_sub_f32_e32 v25, v26, v25
	v_ldexp_f32 v30, v25, 1
	v_mul_f32_e32 v25, v28, v29
	v_ldexp_f32 v27, v28, 1
	v_pk_mul_f32 v[28:29], v[24:25], v[52:53]
	s_nop 0
	v_fma_f32 v26, v24, s39, -v28
	v_fmac_f32_e32 v26, 0xb102e308, v24
	v_pk_add_f32 v[24:25], v[28:29], v[26:27]
	s_nop 0
	v_sub_f32_e32 v27, v25, v27
	v_sub_f32_e32 v27, v29, v27
	v_add_f32_e32 v31, v30, v27
	v_mov_b32_e32 v30, v28
	v_pk_add_f32 v[28:29], v[24:25], v[28:29] neg_lo:[0,1] neg_hi:[0,1]
	v_pk_add_f32 v[32:33], v[24:25], v[30:31]
	v_mov_b32_e32 v27, v24
	v_mov_b32_e32 v29, v33
	v_pk_add_f32 v[34:35], v[26:27], v[28:29] neg_lo:[0,1] neg_hi:[0,1]
	v_pk_add_f32 v[26:27], v[26:27], v[28:29]
	v_mov_b32_e32 v30, v31
	v_mov_b32_e32 v28, v27
	v_pk_add_f32 v[36:37], v[28:29], v[24:25] neg_lo:[0,1] neg_hi:[0,1]
	v_mov_b32_e32 v26, v33
	v_mov_b32_e32 v29, v36
	v_pk_add_f32 v[38:39], v[32:33], v[28:29] neg_lo:[0,1] neg_hi:[0,1]
	v_mov_b32_e32 v32, v25
	v_mov_b32_e32 v33, v36
	;; [unrolled: 1-line block ×3, first 2 shown]
	v_pk_add_f32 v[26:27], v[26:27], v[32:33] neg_lo:[0,1] neg_hi:[0,1]
	v_mov_b32_e32 v31, v24
	v_pk_add_f32 v[24:25], v[30:31], v[26:27] neg_lo:[0,1] neg_hi:[0,1]
	v_mov_b32_e32 v38, v34
	v_pk_add_f32 v[26:27], v[38:39], v[24:25]
	s_nop 0
	v_mov_b32_e32 v30, v27
	v_pk_add_f32 v[30:31], v[26:27], v[30:31]
	s_nop 0
	v_pk_add_f32 v[28:29], v[28:29], v[30:31]
	v_mov_b32_e32 v25, v30
	v_mov_b32_e32 v27, v28
	v_pk_add_f32 v[32:33], v[26:27], v[34:35] neg_lo:[0,1] neg_hi:[0,1]
	s_nop 0
	v_sub_f32_e32 v26, v26, v32
	v_pk_add_f32 v[24:25], v[24:25], v[32:33] neg_lo:[0,1] neg_hi:[0,1]
	v_sub_f32_e32 v26, v34, v26
	v_add_f32_e32 v24, v24, v26
	v_add_f32_e32 v24, v24, v25
	;; [unrolled: 1-line block ×3, first 2 shown]
	v_cndmask_b32_e32 v136, v24, v49, vcc
.LBB25_41:                              ;   in Loop: Header=BB25_13 Depth=1
	s_or_b64 exec, exec, s[30:31]
	v_lshlrev_b32_e32 v24, 16, v5
	v_add_f32_e32 v137, s33, v24
	s_mov_b32 s2, 0x41a00000
	v_cmp_ge_f32_e32 vcc, s2, v137
	s_and_b64 s[2:3], s[88:89], vcc
	s_and_saveexec_b64 s[30:31], s[2:3]
	s_cbranch_execz .LBB25_43
; %bb.42:                               ;   in Loop: Header=BB25_13 Depth=1
	v_mul_f32_e32 v24, 0x3fb8aa3b, v137
	v_rndne_f32_e32 v25, v24
	v_sub_f32_e32 v26, v24, v25
	v_fma_f32 v24, v137, s34, -v24
	v_fmac_f32_e32 v24, 0x32a5705f, v137
	v_add_f32_e32 v24, v26, v24
	v_cvt_i32_f32_e32 v25, v25
	v_exp_f32_e32 v24, v24
	v_cmp_ngt_f32_e32 vcc, s35, v137
	v_ldexp_f32 v24, v24, v25
	s_nop 0
	v_cndmask_b32_e32 v24, 0, v24, vcc
	v_cmp_nlt_f32_e32 vcc, s36, v137
	s_nop 1
	v_cndmask_b32_e32 v49, v123, v24, vcc
	v_add_f32_e32 v26, 1.0, v49
	v_add_f32_e32 v24, -1.0, v26
	v_sub_f32_e32 v25, v24, v26
	v_add_f32_e32 v25, 1.0, v25
	v_sub_f32_e32 v24, v49, v24
	v_add_f32_e32 v27, v24, v25
	v_frexp_mant_f32_e32 v28, v26
	v_cvt_f64_f32_e32 v[24:25], v26
	v_frexp_exp_i32_f64_e32 v24, v[24:25]
	v_cmp_gt_f32_e32 vcc, s38, v28
	v_cmp_gt_f32_e64 s[2:3], s40, v49
	s_nop 0
	v_subbrev_co_u32_e32 v32, vcc, 0, v24, vcc
	v_sub_u32_e32 v24, 0, v32
	v_ldexp_f32 v25, v26, v24
	v_add_f32_e32 v26, -1.0, v25
	v_add_f32_e32 v28, 1.0, v25
	v_ldexp_f32 v24, v27, v24
	v_add_f32_e32 v27, 1.0, v26
	v_add_f32_e32 v29, -1.0, v28
	v_sub_f32_e32 v27, v25, v27
	v_sub_f32_e32 v25, v25, v29
	v_add_f32_e32 v27, v24, v27
	v_add_f32_e32 v24, v24, v25
	;; [unrolled: 1-line block ×3, first 2 shown]
	v_rcp_f32_e32 v35, v33
	v_sub_f32_e32 v25, v28, v33
	v_add_f32_e32 v34, v24, v25
	v_add_f32_e32 v25, v26, v27
	v_mul_f32_e32 v37, v25, v35
	v_sub_f32_e32 v24, v26, v25
	v_mul_f32_e32 v26, v33, v37
	v_fma_f32 v28, v37, v33, -v26
	v_fmac_f32_e32 v28, v37, v34
	v_add_f32_e32 v36, v27, v24
	v_add_f32_e32 v24, v26, v28
	v_sub_f32_e32 v27, v25, v24
	v_pk_add_f32 v[30:31], v[24:25], v[26:27] neg_lo:[0,1] neg_hi:[0,1]
	v_mov_b32_e32 v29, v24
	v_pk_add_f32 v[24:25], v[30:31], v[28:29] neg_lo:[0,1] neg_hi:[0,1]
	v_cmp_eq_f32_e32 vcc, s37, v49
	v_add_f32_e32 v25, v36, v25
	v_add_f32_e32 v24, v24, v25
	;; [unrolled: 1-line block ×3, first 2 shown]
	v_mul_f32_e32 v36, v35, v25
	v_mul_f32_e32 v26, v33, v36
	v_fma_f32 v28, v36, v33, -v26
	v_fmac_f32_e32 v28, v36, v34
	v_sub_f32_e32 v27, v27, v25
	v_add_f32_e32 v33, v24, v27
	v_add_f32_e32 v24, v26, v28
	v_sub_f32_e32 v27, v25, v24
	v_pk_add_f32 v[30:31], v[24:25], v[26:27] neg_lo:[0,1] neg_hi:[0,1]
	v_mov_b32_e32 v29, v24
	v_pk_add_f32 v[24:25], v[30:31], v[28:29] neg_lo:[0,1] neg_hi:[0,1]
	s_or_b64 vcc, s[2:3], vcc
	v_add_f32_e32 v25, v33, v25
	v_add_f32_e32 v24, v24, v25
	;; [unrolled: 1-line block ×4, first 2 shown]
	v_sub_f32_e32 v26, v25, v37
	v_mul_f32_e32 v24, v35, v24
	v_sub_f32_e32 v26, v36, v26
	v_add_f32_e32 v26, v26, v24
	v_add_f32_e32 v28, v25, v26
	v_mul_f32_e32 v29, v28, v28
	v_fmamk_f32 v24, v29, 0x3e9b6dac, v122
	v_fmaak_f32 v53, v29, v24, 0x3f2aaada
	v_cvt_f32_i32_e32 v24, v32
	v_sub_f32_e32 v25, v28, v25
	v_sub_f32_e32 v25, v26, v25
	v_ldexp_f32 v30, v25, 1
	v_mul_f32_e32 v25, v28, v29
	v_ldexp_f32 v27, v28, 1
	v_pk_mul_f32 v[28:29], v[24:25], v[52:53]
	s_nop 0
	v_fma_f32 v26, v24, s39, -v28
	v_fmac_f32_e32 v26, 0xb102e308, v24
	v_pk_add_f32 v[24:25], v[28:29], v[26:27]
	s_nop 0
	v_sub_f32_e32 v27, v25, v27
	v_sub_f32_e32 v27, v29, v27
	v_add_f32_e32 v31, v30, v27
	v_mov_b32_e32 v30, v28
	v_pk_add_f32 v[28:29], v[24:25], v[28:29] neg_lo:[0,1] neg_hi:[0,1]
	v_pk_add_f32 v[32:33], v[24:25], v[30:31]
	v_mov_b32_e32 v27, v24
	v_mov_b32_e32 v29, v33
	v_pk_add_f32 v[34:35], v[26:27], v[28:29] neg_lo:[0,1] neg_hi:[0,1]
	v_pk_add_f32 v[26:27], v[26:27], v[28:29]
	v_mov_b32_e32 v30, v31
	v_mov_b32_e32 v28, v27
	v_pk_add_f32 v[36:37], v[28:29], v[24:25] neg_lo:[0,1] neg_hi:[0,1]
	v_mov_b32_e32 v26, v33
	v_mov_b32_e32 v29, v36
	v_pk_add_f32 v[38:39], v[32:33], v[28:29] neg_lo:[0,1] neg_hi:[0,1]
	v_mov_b32_e32 v32, v25
	v_mov_b32_e32 v33, v36
	;; [unrolled: 1-line block ×3, first 2 shown]
	v_pk_add_f32 v[26:27], v[26:27], v[32:33] neg_lo:[0,1] neg_hi:[0,1]
	v_mov_b32_e32 v31, v24
	v_pk_add_f32 v[24:25], v[30:31], v[26:27] neg_lo:[0,1] neg_hi:[0,1]
	v_mov_b32_e32 v38, v34
	v_pk_add_f32 v[26:27], v[38:39], v[24:25]
	s_nop 0
	v_mov_b32_e32 v30, v27
	v_pk_add_f32 v[30:31], v[26:27], v[30:31]
	s_nop 0
	v_pk_add_f32 v[28:29], v[28:29], v[30:31]
	v_mov_b32_e32 v25, v30
	v_mov_b32_e32 v27, v28
	v_pk_add_f32 v[32:33], v[26:27], v[34:35] neg_lo:[0,1] neg_hi:[0,1]
	s_nop 0
	v_sub_f32_e32 v26, v26, v32
	v_pk_add_f32 v[24:25], v[24:25], v[32:33] neg_lo:[0,1] neg_hi:[0,1]
	v_sub_f32_e32 v26, v34, v26
	v_add_f32_e32 v24, v24, v26
	v_add_f32_e32 v24, v24, v25
	;; [unrolled: 1-line block ×3, first 2 shown]
	v_cndmask_b32_e32 v137, v24, v49, vcc
.LBB25_43:                              ;   in Loop: Header=BB25_13 Depth=1
	s_or_b64 exec, exec, s[30:31]
	v_and_b32_e32 v24, 0xffff0000, v5
	v_add_f32_e32 v138, s33, v24
	s_mov_b32 s2, 0x41a00000
	v_cmp_ge_f32_e32 vcc, s2, v138
	s_and_b64 s[2:3], s[88:89], vcc
	s_and_saveexec_b64 s[30:31], s[2:3]
	s_cbranch_execz .LBB25_45
; %bb.44:                               ;   in Loop: Header=BB25_13 Depth=1
	v_mul_f32_e32 v24, 0x3fb8aa3b, v138
	v_rndne_f32_e32 v25, v24
	v_sub_f32_e32 v26, v24, v25
	v_fma_f32 v24, v138, s34, -v24
	v_fmac_f32_e32 v24, 0x32a5705f, v138
	v_add_f32_e32 v24, v26, v24
	v_cvt_i32_f32_e32 v25, v25
	v_exp_f32_e32 v24, v24
	v_cmp_ngt_f32_e32 vcc, s35, v138
	v_ldexp_f32 v24, v24, v25
	s_nop 0
	v_cndmask_b32_e32 v24, 0, v24, vcc
	v_cmp_nlt_f32_e32 vcc, s36, v138
	s_nop 1
	v_cndmask_b32_e32 v49, v123, v24, vcc
	v_add_f32_e32 v26, 1.0, v49
	v_add_f32_e32 v24, -1.0, v26
	v_sub_f32_e32 v25, v24, v26
	v_add_f32_e32 v25, 1.0, v25
	v_sub_f32_e32 v24, v49, v24
	v_add_f32_e32 v27, v24, v25
	v_frexp_mant_f32_e32 v28, v26
	v_cvt_f64_f32_e32 v[24:25], v26
	v_frexp_exp_i32_f64_e32 v24, v[24:25]
	v_cmp_gt_f32_e32 vcc, s38, v28
	v_cmp_gt_f32_e64 s[2:3], s40, v49
	s_nop 0
	v_subbrev_co_u32_e32 v32, vcc, 0, v24, vcc
	v_sub_u32_e32 v24, 0, v32
	v_ldexp_f32 v25, v26, v24
	v_add_f32_e32 v26, -1.0, v25
	v_add_f32_e32 v28, 1.0, v25
	v_ldexp_f32 v24, v27, v24
	v_add_f32_e32 v27, 1.0, v26
	v_add_f32_e32 v29, -1.0, v28
	v_sub_f32_e32 v27, v25, v27
	v_sub_f32_e32 v25, v25, v29
	v_add_f32_e32 v27, v24, v27
	v_add_f32_e32 v24, v24, v25
	;; [unrolled: 1-line block ×3, first 2 shown]
	v_rcp_f32_e32 v35, v33
	v_sub_f32_e32 v25, v28, v33
	v_add_f32_e32 v34, v24, v25
	v_add_f32_e32 v25, v26, v27
	v_mul_f32_e32 v37, v25, v35
	v_sub_f32_e32 v24, v26, v25
	v_mul_f32_e32 v26, v33, v37
	v_fma_f32 v28, v37, v33, -v26
	v_fmac_f32_e32 v28, v37, v34
	v_add_f32_e32 v36, v27, v24
	v_add_f32_e32 v24, v26, v28
	v_sub_f32_e32 v27, v25, v24
	v_pk_add_f32 v[30:31], v[24:25], v[26:27] neg_lo:[0,1] neg_hi:[0,1]
	v_mov_b32_e32 v29, v24
	v_pk_add_f32 v[24:25], v[30:31], v[28:29] neg_lo:[0,1] neg_hi:[0,1]
	v_cmp_eq_f32_e32 vcc, s37, v49
	v_add_f32_e32 v25, v36, v25
	v_add_f32_e32 v24, v24, v25
	;; [unrolled: 1-line block ×3, first 2 shown]
	v_mul_f32_e32 v36, v35, v25
	v_mul_f32_e32 v26, v33, v36
	v_fma_f32 v28, v36, v33, -v26
	v_fmac_f32_e32 v28, v36, v34
	v_sub_f32_e32 v27, v27, v25
	v_add_f32_e32 v33, v24, v27
	v_add_f32_e32 v24, v26, v28
	v_sub_f32_e32 v27, v25, v24
	v_pk_add_f32 v[30:31], v[24:25], v[26:27] neg_lo:[0,1] neg_hi:[0,1]
	v_mov_b32_e32 v29, v24
	v_pk_add_f32 v[24:25], v[30:31], v[28:29] neg_lo:[0,1] neg_hi:[0,1]
	s_or_b64 vcc, s[2:3], vcc
	v_add_f32_e32 v25, v33, v25
	v_add_f32_e32 v24, v24, v25
	;; [unrolled: 1-line block ×4, first 2 shown]
	v_sub_f32_e32 v26, v25, v37
	v_mul_f32_e32 v24, v35, v24
	v_sub_f32_e32 v26, v36, v26
	v_add_f32_e32 v26, v26, v24
	v_add_f32_e32 v28, v25, v26
	v_mul_f32_e32 v29, v28, v28
	v_fmamk_f32 v24, v29, 0x3e9b6dac, v122
	v_fmaak_f32 v53, v29, v24, 0x3f2aaada
	v_cvt_f32_i32_e32 v24, v32
	v_sub_f32_e32 v25, v28, v25
	v_sub_f32_e32 v25, v26, v25
	v_ldexp_f32 v30, v25, 1
	v_mul_f32_e32 v25, v28, v29
	v_ldexp_f32 v27, v28, 1
	v_pk_mul_f32 v[28:29], v[24:25], v[52:53]
	s_nop 0
	v_fma_f32 v26, v24, s39, -v28
	v_fmac_f32_e32 v26, 0xb102e308, v24
	v_pk_add_f32 v[24:25], v[28:29], v[26:27]
	s_nop 0
	v_sub_f32_e32 v27, v25, v27
	v_sub_f32_e32 v27, v29, v27
	v_add_f32_e32 v31, v30, v27
	v_mov_b32_e32 v30, v28
	v_pk_add_f32 v[28:29], v[24:25], v[28:29] neg_lo:[0,1] neg_hi:[0,1]
	v_pk_add_f32 v[32:33], v[24:25], v[30:31]
	v_mov_b32_e32 v27, v24
	v_mov_b32_e32 v29, v33
	v_pk_add_f32 v[34:35], v[26:27], v[28:29] neg_lo:[0,1] neg_hi:[0,1]
	v_pk_add_f32 v[26:27], v[26:27], v[28:29]
	v_mov_b32_e32 v30, v31
	v_mov_b32_e32 v28, v27
	v_pk_add_f32 v[36:37], v[28:29], v[24:25] neg_lo:[0,1] neg_hi:[0,1]
	v_mov_b32_e32 v26, v33
	v_mov_b32_e32 v29, v36
	v_pk_add_f32 v[38:39], v[32:33], v[28:29] neg_lo:[0,1] neg_hi:[0,1]
	v_mov_b32_e32 v32, v25
	v_mov_b32_e32 v33, v36
	;; [unrolled: 1-line block ×3, first 2 shown]
	v_pk_add_f32 v[26:27], v[26:27], v[32:33] neg_lo:[0,1] neg_hi:[0,1]
	v_mov_b32_e32 v31, v24
	v_pk_add_f32 v[24:25], v[30:31], v[26:27] neg_lo:[0,1] neg_hi:[0,1]
	v_mov_b32_e32 v38, v34
	v_pk_add_f32 v[26:27], v[38:39], v[24:25]
	s_nop 0
	v_mov_b32_e32 v30, v27
	v_pk_add_f32 v[30:31], v[26:27], v[30:31]
	s_nop 0
	v_pk_add_f32 v[28:29], v[28:29], v[30:31]
	v_mov_b32_e32 v25, v30
	v_mov_b32_e32 v27, v28
	v_pk_add_f32 v[32:33], v[26:27], v[34:35] neg_lo:[0,1] neg_hi:[0,1]
	s_nop 0
	v_sub_f32_e32 v26, v26, v32
	v_pk_add_f32 v[24:25], v[24:25], v[32:33] neg_lo:[0,1] neg_hi:[0,1]
	v_sub_f32_e32 v26, v34, v26
	v_add_f32_e32 v24, v24, v26
	v_add_f32_e32 v24, v24, v25
	;; [unrolled: 1-line block ×3, first 2 shown]
	v_cndmask_b32_e32 v138, v24, v49, vcc
.LBB25_45:                              ;   in Loop: Header=BB25_13 Depth=1
	s_or_b64 exec, exec, s[30:31]
	v_lshlrev_b32_e32 v24, 16, v6
	v_add_f32_e32 v139, s33, v24
	s_mov_b32 s2, 0x41a00000
	v_cmp_ge_f32_e32 vcc, s2, v139
	s_and_b64 s[2:3], s[88:89], vcc
	s_and_saveexec_b64 s[30:31], s[2:3]
	s_cbranch_execz .LBB25_47
; %bb.46:                               ;   in Loop: Header=BB25_13 Depth=1
	v_mul_f32_e32 v24, 0x3fb8aa3b, v139
	v_rndne_f32_e32 v25, v24
	v_sub_f32_e32 v26, v24, v25
	v_fma_f32 v24, v139, s34, -v24
	v_fmac_f32_e32 v24, 0x32a5705f, v139
	v_add_f32_e32 v24, v26, v24
	v_cvt_i32_f32_e32 v25, v25
	v_exp_f32_e32 v24, v24
	v_cmp_ngt_f32_e32 vcc, s35, v139
	v_ldexp_f32 v24, v24, v25
	s_nop 0
	v_cndmask_b32_e32 v24, 0, v24, vcc
	v_cmp_nlt_f32_e32 vcc, s36, v139
	s_nop 1
	v_cndmask_b32_e32 v49, v123, v24, vcc
	v_add_f32_e32 v26, 1.0, v49
	v_add_f32_e32 v24, -1.0, v26
	v_sub_f32_e32 v25, v24, v26
	v_add_f32_e32 v25, 1.0, v25
	v_sub_f32_e32 v24, v49, v24
	v_add_f32_e32 v27, v24, v25
	v_frexp_mant_f32_e32 v28, v26
	v_cvt_f64_f32_e32 v[24:25], v26
	v_frexp_exp_i32_f64_e32 v24, v[24:25]
	v_cmp_gt_f32_e32 vcc, s38, v28
	v_cmp_gt_f32_e64 s[2:3], s40, v49
	s_nop 0
	v_subbrev_co_u32_e32 v32, vcc, 0, v24, vcc
	v_sub_u32_e32 v24, 0, v32
	v_ldexp_f32 v25, v26, v24
	v_add_f32_e32 v26, -1.0, v25
	v_add_f32_e32 v28, 1.0, v25
	v_ldexp_f32 v24, v27, v24
	v_add_f32_e32 v27, 1.0, v26
	v_add_f32_e32 v29, -1.0, v28
	v_sub_f32_e32 v27, v25, v27
	v_sub_f32_e32 v25, v25, v29
	v_add_f32_e32 v27, v24, v27
	v_add_f32_e32 v24, v24, v25
	;; [unrolled: 1-line block ×3, first 2 shown]
	v_rcp_f32_e32 v35, v33
	v_sub_f32_e32 v25, v28, v33
	v_add_f32_e32 v34, v24, v25
	v_add_f32_e32 v25, v26, v27
	v_mul_f32_e32 v37, v25, v35
	v_sub_f32_e32 v24, v26, v25
	v_mul_f32_e32 v26, v33, v37
	v_fma_f32 v28, v37, v33, -v26
	v_fmac_f32_e32 v28, v37, v34
	v_add_f32_e32 v36, v27, v24
	v_add_f32_e32 v24, v26, v28
	v_sub_f32_e32 v27, v25, v24
	v_pk_add_f32 v[30:31], v[24:25], v[26:27] neg_lo:[0,1] neg_hi:[0,1]
	v_mov_b32_e32 v29, v24
	v_pk_add_f32 v[24:25], v[30:31], v[28:29] neg_lo:[0,1] neg_hi:[0,1]
	v_cmp_eq_f32_e32 vcc, s37, v49
	v_add_f32_e32 v25, v36, v25
	v_add_f32_e32 v24, v24, v25
	;; [unrolled: 1-line block ×3, first 2 shown]
	v_mul_f32_e32 v36, v35, v25
	v_mul_f32_e32 v26, v33, v36
	v_fma_f32 v28, v36, v33, -v26
	v_fmac_f32_e32 v28, v36, v34
	v_sub_f32_e32 v27, v27, v25
	v_add_f32_e32 v33, v24, v27
	v_add_f32_e32 v24, v26, v28
	v_sub_f32_e32 v27, v25, v24
	v_pk_add_f32 v[30:31], v[24:25], v[26:27] neg_lo:[0,1] neg_hi:[0,1]
	v_mov_b32_e32 v29, v24
	v_pk_add_f32 v[24:25], v[30:31], v[28:29] neg_lo:[0,1] neg_hi:[0,1]
	s_or_b64 vcc, s[2:3], vcc
	v_add_f32_e32 v25, v33, v25
	v_add_f32_e32 v24, v24, v25
	;; [unrolled: 1-line block ×4, first 2 shown]
	v_sub_f32_e32 v26, v25, v37
	v_mul_f32_e32 v24, v35, v24
	v_sub_f32_e32 v26, v36, v26
	v_add_f32_e32 v26, v26, v24
	v_add_f32_e32 v28, v25, v26
	v_mul_f32_e32 v29, v28, v28
	v_fmamk_f32 v24, v29, 0x3e9b6dac, v122
	v_fmaak_f32 v53, v29, v24, 0x3f2aaada
	v_cvt_f32_i32_e32 v24, v32
	v_sub_f32_e32 v25, v28, v25
	v_sub_f32_e32 v25, v26, v25
	v_ldexp_f32 v30, v25, 1
	v_mul_f32_e32 v25, v28, v29
	v_ldexp_f32 v27, v28, 1
	v_pk_mul_f32 v[28:29], v[24:25], v[52:53]
	s_nop 0
	v_fma_f32 v26, v24, s39, -v28
	v_fmac_f32_e32 v26, 0xb102e308, v24
	v_pk_add_f32 v[24:25], v[28:29], v[26:27]
	s_nop 0
	v_sub_f32_e32 v27, v25, v27
	v_sub_f32_e32 v27, v29, v27
	v_add_f32_e32 v31, v30, v27
	v_mov_b32_e32 v30, v28
	v_pk_add_f32 v[28:29], v[24:25], v[28:29] neg_lo:[0,1] neg_hi:[0,1]
	v_pk_add_f32 v[32:33], v[24:25], v[30:31]
	v_mov_b32_e32 v27, v24
	v_mov_b32_e32 v29, v33
	v_pk_add_f32 v[34:35], v[26:27], v[28:29] neg_lo:[0,1] neg_hi:[0,1]
	v_pk_add_f32 v[26:27], v[26:27], v[28:29]
	v_mov_b32_e32 v30, v31
	v_mov_b32_e32 v28, v27
	v_pk_add_f32 v[36:37], v[28:29], v[24:25] neg_lo:[0,1] neg_hi:[0,1]
	v_mov_b32_e32 v26, v33
	v_mov_b32_e32 v29, v36
	v_pk_add_f32 v[38:39], v[32:33], v[28:29] neg_lo:[0,1] neg_hi:[0,1]
	v_mov_b32_e32 v32, v25
	v_mov_b32_e32 v33, v36
	;; [unrolled: 1-line block ×3, first 2 shown]
	v_pk_add_f32 v[26:27], v[26:27], v[32:33] neg_lo:[0,1] neg_hi:[0,1]
	v_mov_b32_e32 v31, v24
	v_pk_add_f32 v[24:25], v[30:31], v[26:27] neg_lo:[0,1] neg_hi:[0,1]
	v_mov_b32_e32 v38, v34
	v_pk_add_f32 v[26:27], v[38:39], v[24:25]
	s_nop 0
	v_mov_b32_e32 v30, v27
	v_pk_add_f32 v[30:31], v[26:27], v[30:31]
	s_nop 0
	v_pk_add_f32 v[28:29], v[28:29], v[30:31]
	v_mov_b32_e32 v25, v30
	v_mov_b32_e32 v27, v28
	v_pk_add_f32 v[32:33], v[26:27], v[34:35] neg_lo:[0,1] neg_hi:[0,1]
	s_nop 0
	v_sub_f32_e32 v26, v26, v32
	v_pk_add_f32 v[24:25], v[24:25], v[32:33] neg_lo:[0,1] neg_hi:[0,1]
	v_sub_f32_e32 v26, v34, v26
	v_add_f32_e32 v24, v24, v26
	v_add_f32_e32 v24, v24, v25
	;; [unrolled: 1-line block ×3, first 2 shown]
	v_cndmask_b32_e32 v139, v24, v49, vcc
.LBB25_47:                              ;   in Loop: Header=BB25_13 Depth=1
	s_or_b64 exec, exec, s[30:31]
	v_and_b32_e32 v24, 0xffff0000, v6
	v_add_f32_e32 v140, s33, v24
	s_mov_b32 s2, 0x41a00000
	v_cmp_ge_f32_e32 vcc, s2, v140
	s_and_b64 s[2:3], s[88:89], vcc
	s_and_saveexec_b64 s[30:31], s[2:3]
	s_cbranch_execz .LBB25_49
; %bb.48:                               ;   in Loop: Header=BB25_13 Depth=1
	v_mul_f32_e32 v24, 0x3fb8aa3b, v140
	v_rndne_f32_e32 v25, v24
	v_sub_f32_e32 v26, v24, v25
	v_fma_f32 v24, v140, s34, -v24
	v_fmac_f32_e32 v24, 0x32a5705f, v140
	v_add_f32_e32 v24, v26, v24
	v_cvt_i32_f32_e32 v25, v25
	v_exp_f32_e32 v24, v24
	v_cmp_ngt_f32_e32 vcc, s35, v140
	v_ldexp_f32 v24, v24, v25
	s_nop 0
	v_cndmask_b32_e32 v24, 0, v24, vcc
	v_cmp_nlt_f32_e32 vcc, s36, v140
	s_nop 1
	v_cndmask_b32_e32 v49, v123, v24, vcc
	v_add_f32_e32 v26, 1.0, v49
	v_add_f32_e32 v24, -1.0, v26
	v_sub_f32_e32 v25, v24, v26
	v_add_f32_e32 v25, 1.0, v25
	v_sub_f32_e32 v24, v49, v24
	v_add_f32_e32 v27, v24, v25
	v_frexp_mant_f32_e32 v28, v26
	v_cvt_f64_f32_e32 v[24:25], v26
	v_frexp_exp_i32_f64_e32 v24, v[24:25]
	v_cmp_gt_f32_e32 vcc, s38, v28
	v_cmp_gt_f32_e64 s[2:3], s40, v49
	s_nop 0
	v_subbrev_co_u32_e32 v32, vcc, 0, v24, vcc
	v_sub_u32_e32 v24, 0, v32
	v_ldexp_f32 v25, v26, v24
	v_add_f32_e32 v26, -1.0, v25
	v_add_f32_e32 v28, 1.0, v25
	v_ldexp_f32 v24, v27, v24
	v_add_f32_e32 v27, 1.0, v26
	v_add_f32_e32 v29, -1.0, v28
	v_sub_f32_e32 v27, v25, v27
	v_sub_f32_e32 v25, v25, v29
	v_add_f32_e32 v27, v24, v27
	v_add_f32_e32 v24, v24, v25
	;; [unrolled: 1-line block ×3, first 2 shown]
	v_rcp_f32_e32 v35, v33
	v_sub_f32_e32 v25, v28, v33
	v_add_f32_e32 v34, v24, v25
	v_add_f32_e32 v25, v26, v27
	v_mul_f32_e32 v37, v25, v35
	v_sub_f32_e32 v24, v26, v25
	v_mul_f32_e32 v26, v33, v37
	v_fma_f32 v28, v37, v33, -v26
	v_fmac_f32_e32 v28, v37, v34
	v_add_f32_e32 v36, v27, v24
	v_add_f32_e32 v24, v26, v28
	v_sub_f32_e32 v27, v25, v24
	v_pk_add_f32 v[30:31], v[24:25], v[26:27] neg_lo:[0,1] neg_hi:[0,1]
	v_mov_b32_e32 v29, v24
	v_pk_add_f32 v[24:25], v[30:31], v[28:29] neg_lo:[0,1] neg_hi:[0,1]
	v_cmp_eq_f32_e32 vcc, s37, v49
	v_add_f32_e32 v25, v36, v25
	v_add_f32_e32 v24, v24, v25
	;; [unrolled: 1-line block ×3, first 2 shown]
	v_mul_f32_e32 v36, v35, v25
	v_mul_f32_e32 v26, v33, v36
	v_fma_f32 v28, v36, v33, -v26
	v_fmac_f32_e32 v28, v36, v34
	v_sub_f32_e32 v27, v27, v25
	v_add_f32_e32 v33, v24, v27
	v_add_f32_e32 v24, v26, v28
	v_sub_f32_e32 v27, v25, v24
	v_pk_add_f32 v[30:31], v[24:25], v[26:27] neg_lo:[0,1] neg_hi:[0,1]
	v_mov_b32_e32 v29, v24
	v_pk_add_f32 v[24:25], v[30:31], v[28:29] neg_lo:[0,1] neg_hi:[0,1]
	s_or_b64 vcc, s[2:3], vcc
	v_add_f32_e32 v25, v33, v25
	v_add_f32_e32 v24, v24, v25
	;; [unrolled: 1-line block ×4, first 2 shown]
	v_sub_f32_e32 v26, v25, v37
	v_mul_f32_e32 v24, v35, v24
	v_sub_f32_e32 v26, v36, v26
	v_add_f32_e32 v26, v26, v24
	v_add_f32_e32 v28, v25, v26
	v_mul_f32_e32 v29, v28, v28
	v_fmamk_f32 v24, v29, 0x3e9b6dac, v122
	v_fmaak_f32 v53, v29, v24, 0x3f2aaada
	v_cvt_f32_i32_e32 v24, v32
	v_sub_f32_e32 v25, v28, v25
	v_sub_f32_e32 v25, v26, v25
	v_ldexp_f32 v30, v25, 1
	v_mul_f32_e32 v25, v28, v29
	v_ldexp_f32 v27, v28, 1
	v_pk_mul_f32 v[28:29], v[24:25], v[52:53]
	s_nop 0
	v_fma_f32 v26, v24, s39, -v28
	v_fmac_f32_e32 v26, 0xb102e308, v24
	v_pk_add_f32 v[24:25], v[28:29], v[26:27]
	s_nop 0
	v_sub_f32_e32 v27, v25, v27
	v_sub_f32_e32 v27, v29, v27
	v_add_f32_e32 v31, v30, v27
	v_mov_b32_e32 v30, v28
	v_pk_add_f32 v[28:29], v[24:25], v[28:29] neg_lo:[0,1] neg_hi:[0,1]
	v_pk_add_f32 v[32:33], v[24:25], v[30:31]
	v_mov_b32_e32 v27, v24
	v_mov_b32_e32 v29, v33
	v_pk_add_f32 v[34:35], v[26:27], v[28:29] neg_lo:[0,1] neg_hi:[0,1]
	v_pk_add_f32 v[26:27], v[26:27], v[28:29]
	v_mov_b32_e32 v30, v31
	v_mov_b32_e32 v28, v27
	v_pk_add_f32 v[36:37], v[28:29], v[24:25] neg_lo:[0,1] neg_hi:[0,1]
	v_mov_b32_e32 v26, v33
	v_mov_b32_e32 v29, v36
	v_pk_add_f32 v[38:39], v[32:33], v[28:29] neg_lo:[0,1] neg_hi:[0,1]
	v_mov_b32_e32 v32, v25
	v_mov_b32_e32 v33, v36
	;; [unrolled: 1-line block ×3, first 2 shown]
	v_pk_add_f32 v[26:27], v[26:27], v[32:33] neg_lo:[0,1] neg_hi:[0,1]
	v_mov_b32_e32 v31, v24
	v_pk_add_f32 v[24:25], v[30:31], v[26:27] neg_lo:[0,1] neg_hi:[0,1]
	v_mov_b32_e32 v38, v34
	v_pk_add_f32 v[26:27], v[38:39], v[24:25]
	s_nop 0
	v_mov_b32_e32 v30, v27
	v_pk_add_f32 v[30:31], v[26:27], v[30:31]
	s_nop 0
	v_pk_add_f32 v[28:29], v[28:29], v[30:31]
	v_mov_b32_e32 v25, v30
	v_mov_b32_e32 v27, v28
	v_pk_add_f32 v[32:33], v[26:27], v[34:35] neg_lo:[0,1] neg_hi:[0,1]
	s_nop 0
	v_sub_f32_e32 v26, v26, v32
	v_pk_add_f32 v[24:25], v[24:25], v[32:33] neg_lo:[0,1] neg_hi:[0,1]
	v_sub_f32_e32 v26, v34, v26
	v_add_f32_e32 v24, v24, v26
	v_add_f32_e32 v24, v24, v25
	;; [unrolled: 1-line block ×3, first 2 shown]
	v_cndmask_b32_e32 v140, v24, v49, vcc
.LBB25_49:                              ;   in Loop: Header=BB25_13 Depth=1
	s_or_b64 exec, exec, s[30:31]
	v_lshlrev_b32_e32 v24, 16, v7
	v_add_f32_e32 v70, s33, v24
	s_mov_b32 s2, 0x41a00000
	v_cmp_ge_f32_e32 vcc, s2, v70
	s_and_b64 s[2:3], s[88:89], vcc
	s_and_saveexec_b64 s[30:31], s[2:3]
	s_cbranch_execz .LBB25_51
; %bb.50:                               ;   in Loop: Header=BB25_13 Depth=1
	v_mul_f32_e32 v24, 0x3fb8aa3b, v70
	v_rndne_f32_e32 v25, v24
	v_sub_f32_e32 v26, v24, v25
	v_fma_f32 v24, v70, s34, -v24
	v_fmac_f32_e32 v24, 0x32a5705f, v70
	v_add_f32_e32 v24, v26, v24
	v_cvt_i32_f32_e32 v25, v25
	v_exp_f32_e32 v24, v24
	v_cmp_ngt_f32_e32 vcc, s35, v70
	v_ldexp_f32 v24, v24, v25
	s_nop 0
	v_cndmask_b32_e32 v24, 0, v24, vcc
	v_cmp_nlt_f32_e32 vcc, s36, v70
	s_nop 1
	v_cndmask_b32_e32 v49, v123, v24, vcc
	v_add_f32_e32 v26, 1.0, v49
	v_add_f32_e32 v24, -1.0, v26
	v_sub_f32_e32 v25, v24, v26
	v_add_f32_e32 v25, 1.0, v25
	v_sub_f32_e32 v24, v49, v24
	v_add_f32_e32 v27, v24, v25
	v_frexp_mant_f32_e32 v28, v26
	v_cvt_f64_f32_e32 v[24:25], v26
	v_frexp_exp_i32_f64_e32 v24, v[24:25]
	v_cmp_gt_f32_e32 vcc, s38, v28
	v_cmp_gt_f32_e64 s[2:3], s40, v49
	s_nop 0
	v_subbrev_co_u32_e32 v32, vcc, 0, v24, vcc
	v_sub_u32_e32 v24, 0, v32
	v_ldexp_f32 v25, v26, v24
	v_add_f32_e32 v26, -1.0, v25
	v_add_f32_e32 v28, 1.0, v25
	v_ldexp_f32 v24, v27, v24
	v_add_f32_e32 v27, 1.0, v26
	v_add_f32_e32 v29, -1.0, v28
	v_sub_f32_e32 v27, v25, v27
	v_sub_f32_e32 v25, v25, v29
	v_add_f32_e32 v27, v24, v27
	v_add_f32_e32 v24, v24, v25
	;; [unrolled: 1-line block ×3, first 2 shown]
	v_rcp_f32_e32 v35, v33
	v_sub_f32_e32 v25, v28, v33
	v_add_f32_e32 v34, v24, v25
	v_add_f32_e32 v25, v26, v27
	v_mul_f32_e32 v37, v25, v35
	v_sub_f32_e32 v24, v26, v25
	v_mul_f32_e32 v26, v33, v37
	v_fma_f32 v28, v37, v33, -v26
	v_fmac_f32_e32 v28, v37, v34
	v_add_f32_e32 v36, v27, v24
	v_add_f32_e32 v24, v26, v28
	v_sub_f32_e32 v27, v25, v24
	v_pk_add_f32 v[30:31], v[24:25], v[26:27] neg_lo:[0,1] neg_hi:[0,1]
	v_mov_b32_e32 v29, v24
	v_pk_add_f32 v[24:25], v[30:31], v[28:29] neg_lo:[0,1] neg_hi:[0,1]
	v_cmp_eq_f32_e32 vcc, s37, v49
	v_add_f32_e32 v25, v36, v25
	v_add_f32_e32 v24, v24, v25
	;; [unrolled: 1-line block ×3, first 2 shown]
	v_mul_f32_e32 v36, v35, v25
	v_mul_f32_e32 v26, v33, v36
	v_fma_f32 v28, v36, v33, -v26
	v_fmac_f32_e32 v28, v36, v34
	v_sub_f32_e32 v27, v27, v25
	v_add_f32_e32 v33, v24, v27
	v_add_f32_e32 v24, v26, v28
	v_sub_f32_e32 v27, v25, v24
	v_pk_add_f32 v[30:31], v[24:25], v[26:27] neg_lo:[0,1] neg_hi:[0,1]
	v_mov_b32_e32 v29, v24
	v_pk_add_f32 v[24:25], v[30:31], v[28:29] neg_lo:[0,1] neg_hi:[0,1]
	s_or_b64 vcc, s[2:3], vcc
	v_add_f32_e32 v25, v33, v25
	v_add_f32_e32 v24, v24, v25
	;; [unrolled: 1-line block ×4, first 2 shown]
	v_sub_f32_e32 v26, v25, v37
	v_mul_f32_e32 v24, v35, v24
	v_sub_f32_e32 v26, v36, v26
	v_add_f32_e32 v26, v26, v24
	v_add_f32_e32 v28, v25, v26
	v_mul_f32_e32 v29, v28, v28
	v_fmamk_f32 v24, v29, 0x3e9b6dac, v122
	v_fmaak_f32 v53, v29, v24, 0x3f2aaada
	v_cvt_f32_i32_e32 v24, v32
	v_sub_f32_e32 v25, v28, v25
	v_sub_f32_e32 v25, v26, v25
	v_ldexp_f32 v30, v25, 1
	v_mul_f32_e32 v25, v28, v29
	v_ldexp_f32 v27, v28, 1
	v_pk_mul_f32 v[28:29], v[24:25], v[52:53]
	s_nop 0
	v_fma_f32 v26, v24, s39, -v28
	v_fmac_f32_e32 v26, 0xb102e308, v24
	v_pk_add_f32 v[24:25], v[28:29], v[26:27]
	s_nop 0
	v_sub_f32_e32 v27, v25, v27
	v_sub_f32_e32 v27, v29, v27
	v_add_f32_e32 v31, v30, v27
	v_mov_b32_e32 v30, v28
	v_pk_add_f32 v[28:29], v[24:25], v[28:29] neg_lo:[0,1] neg_hi:[0,1]
	v_pk_add_f32 v[32:33], v[24:25], v[30:31]
	v_mov_b32_e32 v27, v24
	v_mov_b32_e32 v29, v33
	v_pk_add_f32 v[34:35], v[26:27], v[28:29] neg_lo:[0,1] neg_hi:[0,1]
	v_pk_add_f32 v[26:27], v[26:27], v[28:29]
	v_mov_b32_e32 v30, v31
	v_mov_b32_e32 v28, v27
	v_pk_add_f32 v[36:37], v[28:29], v[24:25] neg_lo:[0,1] neg_hi:[0,1]
	v_mov_b32_e32 v26, v33
	v_mov_b32_e32 v29, v36
	v_pk_add_f32 v[38:39], v[32:33], v[28:29] neg_lo:[0,1] neg_hi:[0,1]
	v_mov_b32_e32 v32, v25
	v_mov_b32_e32 v33, v36
	;; [unrolled: 1-line block ×3, first 2 shown]
	v_pk_add_f32 v[26:27], v[26:27], v[32:33] neg_lo:[0,1] neg_hi:[0,1]
	v_mov_b32_e32 v31, v24
	v_pk_add_f32 v[24:25], v[30:31], v[26:27] neg_lo:[0,1] neg_hi:[0,1]
	v_mov_b32_e32 v38, v34
	v_pk_add_f32 v[26:27], v[38:39], v[24:25]
	s_nop 0
	v_mov_b32_e32 v30, v27
	v_pk_add_f32 v[30:31], v[26:27], v[30:31]
	s_nop 0
	v_pk_add_f32 v[28:29], v[28:29], v[30:31]
	v_mov_b32_e32 v25, v30
	v_mov_b32_e32 v27, v28
	v_pk_add_f32 v[32:33], v[26:27], v[34:35] neg_lo:[0,1] neg_hi:[0,1]
	s_nop 0
	v_sub_f32_e32 v26, v26, v32
	v_pk_add_f32 v[24:25], v[24:25], v[32:33] neg_lo:[0,1] neg_hi:[0,1]
	v_sub_f32_e32 v26, v34, v26
	v_add_f32_e32 v24, v24, v26
	v_add_f32_e32 v24, v24, v25
	;; [unrolled: 1-line block ×3, first 2 shown]
	v_cndmask_b32_e32 v70, v24, v49, vcc
.LBB25_51:                              ;   in Loop: Header=BB25_13 Depth=1
	s_or_b64 exec, exec, s[30:31]
	v_and_b32_e32 v24, 0xffff0000, v7
	v_add_f32_e32 v71, s33, v24
	s_mov_b32 s2, 0x41a00000
	v_cmp_ge_f32_e32 vcc, s2, v71
	s_and_b64 s[2:3], s[88:89], vcc
	s_and_saveexec_b64 s[30:31], s[2:3]
	s_cbranch_execz .LBB25_53
; %bb.52:                               ;   in Loop: Header=BB25_13 Depth=1
	v_mul_f32_e32 v24, 0x3fb8aa3b, v71
	v_rndne_f32_e32 v25, v24
	v_sub_f32_e32 v26, v24, v25
	v_fma_f32 v24, v71, s34, -v24
	v_fmac_f32_e32 v24, 0x32a5705f, v71
	v_add_f32_e32 v24, v26, v24
	v_cvt_i32_f32_e32 v25, v25
	v_exp_f32_e32 v24, v24
	v_cmp_ngt_f32_e32 vcc, s35, v71
	v_ldexp_f32 v24, v24, v25
	s_nop 0
	v_cndmask_b32_e32 v24, 0, v24, vcc
	v_cmp_nlt_f32_e32 vcc, s36, v71
	s_nop 1
	v_cndmask_b32_e32 v49, v123, v24, vcc
	v_add_f32_e32 v26, 1.0, v49
	v_add_f32_e32 v24, -1.0, v26
	v_sub_f32_e32 v25, v24, v26
	v_add_f32_e32 v25, 1.0, v25
	v_sub_f32_e32 v24, v49, v24
	v_add_f32_e32 v27, v24, v25
	v_frexp_mant_f32_e32 v28, v26
	v_cvt_f64_f32_e32 v[24:25], v26
	v_frexp_exp_i32_f64_e32 v24, v[24:25]
	v_cmp_gt_f32_e32 vcc, s38, v28
	v_cmp_gt_f32_e64 s[2:3], s40, v49
	s_nop 0
	v_subbrev_co_u32_e32 v32, vcc, 0, v24, vcc
	v_sub_u32_e32 v24, 0, v32
	v_ldexp_f32 v25, v26, v24
	v_add_f32_e32 v26, -1.0, v25
	v_add_f32_e32 v28, 1.0, v25
	v_ldexp_f32 v24, v27, v24
	v_add_f32_e32 v27, 1.0, v26
	v_add_f32_e32 v29, -1.0, v28
	v_sub_f32_e32 v27, v25, v27
	v_sub_f32_e32 v25, v25, v29
	v_add_f32_e32 v27, v24, v27
	v_add_f32_e32 v24, v24, v25
	;; [unrolled: 1-line block ×3, first 2 shown]
	v_rcp_f32_e32 v35, v33
	v_sub_f32_e32 v25, v28, v33
	v_add_f32_e32 v34, v24, v25
	v_add_f32_e32 v25, v26, v27
	v_mul_f32_e32 v37, v25, v35
	v_sub_f32_e32 v24, v26, v25
	v_mul_f32_e32 v26, v33, v37
	v_fma_f32 v28, v37, v33, -v26
	v_fmac_f32_e32 v28, v37, v34
	v_add_f32_e32 v36, v27, v24
	v_add_f32_e32 v24, v26, v28
	v_sub_f32_e32 v27, v25, v24
	v_pk_add_f32 v[30:31], v[24:25], v[26:27] neg_lo:[0,1] neg_hi:[0,1]
	v_mov_b32_e32 v29, v24
	v_pk_add_f32 v[24:25], v[30:31], v[28:29] neg_lo:[0,1] neg_hi:[0,1]
	v_cmp_eq_f32_e32 vcc, s37, v49
	v_add_f32_e32 v25, v36, v25
	v_add_f32_e32 v24, v24, v25
	;; [unrolled: 1-line block ×3, first 2 shown]
	v_mul_f32_e32 v36, v35, v25
	v_mul_f32_e32 v26, v33, v36
	v_fma_f32 v28, v36, v33, -v26
	v_fmac_f32_e32 v28, v36, v34
	v_sub_f32_e32 v27, v27, v25
	v_add_f32_e32 v33, v24, v27
	v_add_f32_e32 v24, v26, v28
	v_sub_f32_e32 v27, v25, v24
	v_pk_add_f32 v[30:31], v[24:25], v[26:27] neg_lo:[0,1] neg_hi:[0,1]
	v_mov_b32_e32 v29, v24
	v_pk_add_f32 v[24:25], v[30:31], v[28:29] neg_lo:[0,1] neg_hi:[0,1]
	s_or_b64 vcc, s[2:3], vcc
	v_add_f32_e32 v25, v33, v25
	v_add_f32_e32 v24, v24, v25
	;; [unrolled: 1-line block ×4, first 2 shown]
	v_sub_f32_e32 v26, v25, v37
	v_mul_f32_e32 v24, v35, v24
	v_sub_f32_e32 v26, v36, v26
	v_add_f32_e32 v26, v26, v24
	v_add_f32_e32 v28, v25, v26
	v_mul_f32_e32 v29, v28, v28
	v_fmamk_f32 v24, v29, 0x3e9b6dac, v122
	v_fmaak_f32 v53, v29, v24, 0x3f2aaada
	v_cvt_f32_i32_e32 v24, v32
	v_sub_f32_e32 v25, v28, v25
	v_sub_f32_e32 v25, v26, v25
	v_ldexp_f32 v30, v25, 1
	v_mul_f32_e32 v25, v28, v29
	v_ldexp_f32 v27, v28, 1
	v_pk_mul_f32 v[28:29], v[24:25], v[52:53]
	s_nop 0
	v_fma_f32 v26, v24, s39, -v28
	v_fmac_f32_e32 v26, 0xb102e308, v24
	v_pk_add_f32 v[24:25], v[28:29], v[26:27]
	s_nop 0
	v_sub_f32_e32 v27, v25, v27
	v_sub_f32_e32 v27, v29, v27
	v_add_f32_e32 v31, v30, v27
	v_mov_b32_e32 v30, v28
	v_pk_add_f32 v[28:29], v[24:25], v[28:29] neg_lo:[0,1] neg_hi:[0,1]
	v_pk_add_f32 v[32:33], v[24:25], v[30:31]
	v_mov_b32_e32 v27, v24
	v_mov_b32_e32 v29, v33
	v_pk_add_f32 v[34:35], v[26:27], v[28:29] neg_lo:[0,1] neg_hi:[0,1]
	v_pk_add_f32 v[26:27], v[26:27], v[28:29]
	v_mov_b32_e32 v30, v31
	v_mov_b32_e32 v28, v27
	v_pk_add_f32 v[36:37], v[28:29], v[24:25] neg_lo:[0,1] neg_hi:[0,1]
	v_mov_b32_e32 v26, v33
	v_mov_b32_e32 v29, v36
	v_pk_add_f32 v[38:39], v[32:33], v[28:29] neg_lo:[0,1] neg_hi:[0,1]
	v_mov_b32_e32 v32, v25
	v_mov_b32_e32 v33, v36
	;; [unrolled: 1-line block ×3, first 2 shown]
	v_pk_add_f32 v[26:27], v[26:27], v[32:33] neg_lo:[0,1] neg_hi:[0,1]
	v_mov_b32_e32 v31, v24
	v_pk_add_f32 v[24:25], v[30:31], v[26:27] neg_lo:[0,1] neg_hi:[0,1]
	v_mov_b32_e32 v38, v34
	v_pk_add_f32 v[26:27], v[38:39], v[24:25]
	s_nop 0
	v_mov_b32_e32 v30, v27
	v_pk_add_f32 v[30:31], v[26:27], v[30:31]
	s_nop 0
	v_pk_add_f32 v[28:29], v[28:29], v[30:31]
	v_mov_b32_e32 v25, v30
	v_mov_b32_e32 v27, v28
	v_pk_add_f32 v[32:33], v[26:27], v[34:35] neg_lo:[0,1] neg_hi:[0,1]
	s_nop 0
	v_sub_f32_e32 v26, v26, v32
	v_pk_add_f32 v[24:25], v[24:25], v[32:33] neg_lo:[0,1] neg_hi:[0,1]
	v_sub_f32_e32 v26, v34, v26
	v_add_f32_e32 v24, v24, v26
	v_add_f32_e32 v24, v24, v25
	v_add_f32_e32 v24, v28, v24
	v_cndmask_b32_e32 v71, v24, v49, vcc
.LBB25_53:                              ;   in Loop: Header=BB25_13 Depth=1
	s_or_b64 exec, exec, s[30:31]
	v_readlane_b32 s2, v167, 2
	v_lshlrev_b32_e32 v24, 16, v15
	v_and_b32_e32 v31, 0xffff0000, v15
	v_and_b32_e32 v25, 0xffff0000, v14
	v_lshlrev_b32_e32 v26, 16, v14
	v_and_b32_e32 v27, 0xffff0000, v13
	v_lshlrev_b32_e32 v28, 16, v13
	;; [unrolled: 2-line block ×7, first 2 shown]
	v_readlane_b32 s3, v167, 3
	v_mul_f32_e32 v54, s64, v24
	v_mul_f32_e32 v57, s64, v25
	;; [unrolled: 1-line block ×15, first 2 shown]
	s_lshl_b32 s84, s41, 11
	v_mul_f32_e32 v55, s64, v31
	s_and_b64 vcc, exec, s[2:3]
	v_writelane_b32 v167, s41, 15
	s_barrier
	s_cbranch_vccz .LBB25_86
; %bb.54:                               ;   in Loop: Header=BB25_13 Depth=1
	v_readlane_b32 s82, v167, 4
	s_sub_i32 s2, s82, s84
	v_lshl_add_u64 v[72:73], s[70:71], 0, v[40:41]
	v_mov_b32_e32 v49, v41
	v_lshl_add_u64 v[74:75], s[74:75], 0, v[40:41]
	s_cmp_lg_u32 s41, 0
	v_readlane_b32 s3, v167, 7
	v_readlane_b32 s62, v167, 12
	v_lshl_add_u64 v[72:73], v[72:73], 0, v[48:49]
	v_lshl_add_u64 v[74:75], v[74:75], 0, v[48:49]
	v_mul_f32_e32 v49, v70, v24
	s_cselect_b64 s[94:95], -1, 0
	s_cmp_eq_u32 s41, s3
	v_cmp_gt_u32_e32 vcc, s2, v103
	v_readlane_b32 s63, v167, 13
	v_or_b32_e32 v24, 1, v103
	s_cselect_b64 s[96:97], -1, 0
	s_or_b64 s[30:31], s[62:63], vcc
	v_cmp_gt_u32_e32 vcc, s2, v24
	s_or_b64 s[34:35], s[62:63], vcc
	v_cmp_gt_u32_e32 vcc, s2, v107
	v_or_b32_e32 v24, 3, v103
	s_or_b64 s[36:37], s[62:63], vcc
	v_cmp_gt_u32_e32 vcc, s2, v24
	s_or_b64 s[38:39], s[62:63], vcc
	v_cmp_gt_u32_e32 vcc, s2, v110
	;; [unrolled: 2-line block ×11, first 2 shown]
	v_readlane_b32 s83, v167, 5
	s_mov_b32 s92, 0
	s_or_b64 s[58:59], s[62:63], vcc
	v_cmp_gt_u32_e32 vcc, s2, v120
	v_cmp_gt_u32_e64 s[2:3], s2, v121
	v_mul_f32_e32 v53, v71, v31
	v_mul_f32_e32 v141, v140, v25
	;; [unrolled: 1-line block ×15, first 2 shown]
	s_or_b64 s[60:61], s[62:63], s[2:3]
	s_or_b64 s[62:63], s[62:63], vcc
	s_mov_b32 s2, s92
	s_mov_b32 s98, s92
	;; [unrolled: 1-line block ×4, first 2 shown]
	v_readlane_b32 s67, v167, 14
	s_branch .LBB25_56
.LBB25_55:                              ;   in Loop: Header=BB25_56 Depth=2
	s_or_b64 exec, exec, s[90:91]
	v_cndmask_b32_e64 v77, v91, v97, s[28:29]
	v_cndmask_b32_e64 v78, v88, v96, s[28:29]
	v_mul_f32_e32 v78, v78, v155
	v_fma_f32 v77, v77, v155, v32
	v_cndmask_b32_e64 v32, v77, v32, s[26:27]
	v_cndmask_b32_e64 v77, v78, v155, s[26:27]
	s_waitcnt lgkmcnt(0)
	v_fmac_f32_e32 v32, v76, v77
	v_fmac_f32_e32 v33, v32, v156
	;; [unrolled: 1-line block ×16, first 2 shown]
	v_and_b32_e32 v77, 0xffff0000, v28
	v_and_b32_e32 v79, 0xffff0000, v29
	v_lshlrev_b32_e32 v76, 16, v28
	v_lshlrev_b32_e32 v78, 16, v29
	v_and_b32_e32 v29, 0xffff0000, v30
	v_and_b32_e32 v91, 0xffff0000, v31
	v_lshlrev_b32_e32 v28, 16, v30
	v_lshlrev_b32_e32 v90, 16, v31
	;; [unrolled: 4-line block ×4, first 2 shown]
	v_mov_b32_e32 v88, v87
	s_add_i32 s67, s67, 8
	s_add_i32 s85, s85, -1
	s_add_i32 s86, s86, s65
	s_add_i32 s98, s98, s76
	;; [unrolled: 1-line block ×4, first 2 shown]
	v_pk_fma_f32 v[66:67], v[34:35], v[78:79], v[66:67]
	v_pk_fma_f32 v[68:69], v[32:33], v[76:77], v[68:69]
	;; [unrolled: 1-line block ×7, first 2 shown]
	s_cmp_eq_u32 s85, 0
	v_pk_fma_f32 v[56:57], v[84:85], v[24:25], v[56:57]
	s_cbranch_scc1 .LBB25_85
.LBB25_56:                              ;   Parent Loop BB25_13 Depth=1
                                        ; =>  This Inner Loop Header: Depth=2
	s_mov_b32 s3, s93
	v_lshl_add_u64 v[28:29], s[2:3], 1, v[72:73]
	global_load_dwordx4 v[24:27], v[28:29], off
	s_lshl_b64 s[90:91], s[92:93], 2
	s_add_u32 s90, s68, s90
	s_mov_b32 s99, s93
	s_addc_u32 s91, s0, s91
	global_load_dword v76, v41, s[90:91]
	s_andn2_b64 vcc, exec, s[94:95]
	s_waitcnt vmcnt(1)
	ds_write_b128 v98, v[24:27]
	global_load_dwordx4 v[24:27], v[28:29], off offset:1024
	v_lshl_add_u64 v[28:29], s[98:99], 1, v[74:75]
	s_waitcnt vmcnt(0)
	ds_write_b128 v99, v[24:27] offset:1024
	; wave barrier
	ds_read_b128 v[36:39], v100
	ds_read_b128 v[32:35], v100 offset:16
	global_load_dwordx4 v[24:27], v[28:29], off
	s_waitcnt vmcnt(0)
	ds_write_b128 v98, v[24:27] offset:4224
	global_load_dwordx4 v[24:27], v[28:29], off offset:1024
	s_waitcnt vmcnt(0)
	ds_write_b128 v101, v[24:27] offset:1024
	; wave barrier
	ds_read_b128 v[28:31], v100 offset:4224
	ds_read_b128 v[24:27], v102 offset:16
	s_cbranch_vccnz .LBB25_58
; %bb.57:                               ;   in Loop: Header=BB25_56 Depth=2
	v_mov_b32_e32 v77, s67
	ds_read_b64 v[78:79], v77
	s_waitcnt lgkmcnt(0)
	v_mov_b32_e32 v77, v79
	s_cbranch_execz .LBB25_59
	s_branch .LBB25_62
.LBB25_58:                              ;   in Loop: Header=BB25_56 Depth=2
                                        ; implicit-def: $vgpr78
                                        ; implicit-def: $vgpr77
.LBB25_59:                              ;   in Loop: Header=BB25_56 Depth=2
	v_readlane_b32 s82, v167, 0
	v_readlane_b32 s83, v167, 1
	s_andn2_b64 vcc, exec, s[82:83]
	v_mov_b32_e32 v77, 0
	s_cbranch_vccnz .LBB25_61
; %bb.60:                               ;   in Loop: Header=BB25_56 Depth=2
	s_mov_b32 s87, s93
	s_lshl_b64 s[90:91], s[86:87], 1
	s_add_u32 s90, s1, s90
	s_addc_u32 s91, s73, s91
	global_load_ushort v77, v41, s[90:91]
	s_waitcnt vmcnt(0)
	v_lshlrev_b32_e32 v77, 16, v77
.LBB25_61:                              ;   in Loop: Header=BB25_56 Depth=2
	v_mov_b32_e32 v78, 1.0
.LBB25_62:                              ;   in Loop: Header=BB25_56 Depth=2
	v_mul_f32_e32 v76, 0x3fb8aa3b, v76
	s_waitcnt lgkmcnt(4)
	v_lshlrev_b32_e32 v84, 16, v32
	v_and_b32_e32 v85, 0xffff0000, v32
	v_mul_f32_e32 v32, v76, v127
	v_cmp_gt_f32_e32 vcc, s77, v32
	v_lshlrev_b32_e32 v86, 16, v33
	v_and_b32_e32 v87, 0xffff0000, v33
	v_cndmask_b32_e32 v32, 0, v124, vcc
	v_fmac_f32_e32 v32, v76, v127
	v_exp_f32_e32 v32, v32
	v_cndmask_b32_e32 v33, 1.0, v125, vcc
	v_lshlrev_b32_e32 v88, 16, v34
	v_and_b32_e32 v89, 0xffff0000, v34
	v_mul_f32_e32 v33, v32, v33
	v_cndmask_b32_e64 v155, 1.0, v33, s[30:31]
	v_mul_f32_e32 v33, v76, v128
	v_cmp_gt_f32_e32 vcc, s77, v33
	v_lshlrev_b32_e32 v91, 16, v35
	v_and_b32_e32 v79, 0xffff0000, v35
	v_cndmask_b32_e32 v33, 0, v124, vcc
	v_fmac_f32_e32 v33, v76, v128
	v_exp_f32_e32 v33, v33
	v_cndmask_b32_e32 v34, 1.0, v125, vcc
	v_lshlrev_b32_e32 v80, 16, v36
	v_and_b32_e32 v36, 0xffff0000, v36
	v_mul_f32_e32 v34, v33, v34
	v_cndmask_b32_e64 v156, 1.0, v34, s[34:35]
	v_mul_f32_e32 v34, v76, v129
	v_cmp_gt_f32_e32 vcc, s77, v34
	v_mul_f32_e32 v33, v153, v36
	v_lshlrev_b32_e32 v81, 16, v37
	v_cndmask_b32_e32 v34, 0, v124, vcc
	v_fmac_f32_e32 v34, v76, v129
	v_exp_f32_e32 v34, v34
	v_cndmask_b32_e32 v35, 1.0, v125, vcc
	v_and_b32_e32 v37, 0xffff0000, v37
	v_lshlrev_b32_e32 v82, 16, v38
	v_mul_f32_e32 v35, v34, v35
	v_cndmask_b32_e64 v157, 1.0, v35, s[36:37]
	v_mul_f32_e32 v35, v76, v130
	v_cmp_gt_f32_e32 vcc, s77, v35
	v_and_b32_e32 v38, 0xffff0000, v38
	v_mul_f32_e32 v32, v154, v80
	v_cndmask_b32_e32 v35, 0, v124, vcc
	v_fmac_f32_e32 v35, v76, v130
	v_exp_f32_e32 v35, v35
	v_cndmask_b32_e32 v36, 1.0, v125, vcc
	v_mul_f32_e32 v34, v152, v81
	v_lshlrev_b32_e32 v83, 16, v39
	v_mul_f32_e32 v36, v35, v36
	v_cndmask_b32_e64 v158, 1.0, v36, s[38:39]
	v_mul_f32_e32 v36, v76, v131
	v_cmp_gt_f32_e32 vcc, s77, v36
	v_mul_f32_e32 v35, v151, v37
	v_cndmask_b32_e64 v32, 0, v32, s[30:31]
	v_cndmask_b32_e32 v36, 0, v124, vcc
	v_fmac_f32_e32 v36, v76, v131
	v_exp_f32_e32 v36, v36
	v_cndmask_b32_e32 v37, 1.0, v125, vcc
	v_cndmask_b32_e64 v33, 0, v33, s[34:35]
	v_mul_f32_e32 v79, v53, v79
	v_mul_f32_e32 v37, v36, v37
	v_cndmask_b32_e64 v159, 1.0, v37, s[40:41]
	v_mul_f32_e32 v37, v76, v132
	v_cmp_gt_f32_e32 vcc, s77, v37
	v_mul_f32_e32 v36, v150, v82
	v_cndmask_b32_e64 v34, 0, v34, s[36:37]
	v_cndmask_b32_e32 v37, 0, v124, vcc
	v_fmac_f32_e32 v37, v76, v132
	v_exp_f32_e32 v37, v37
	v_cndmask_b32_e32 v80, 1.0, v125, vcc
	v_cndmask_b32_e64 v35, 0, v35, s[38:39]
	v_cndmask_b32_e64 v36, 0, v36, s[40:41]
	v_mul_f32_e32 v80, v37, v80
	v_mul_f32_e32 v37, v149, v38
	;; [unrolled: 1-line block ×3, first 2 shown]
	v_cmp_gt_f32_e32 vcc, s77, v38
	v_cndmask_b32_e64 v160, 1.0, v80, s[42:43]
	v_and_b32_e32 v39, 0xffff0000, v39
	v_cndmask_b32_e32 v38, 0, v124, vcc
	v_fmac_f32_e32 v38, v76, v133
	v_exp_f32_e32 v38, v38
	v_cndmask_b32_e32 v80, 1.0, v125, vcc
	v_cndmask_b32_e64 v37, 0, v37, s[42:43]
	v_mul_f32_e32 v39, v147, v39
	v_mul_f32_e32 v80, v38, v80
	v_cndmask_b32_e64 v161, 1.0, v80, s[44:45]
	v_mul_f32_e32 v80, v76, v134
	v_cmp_gt_f32_e32 vcc, s77, v80
	v_mul_f32_e32 v38, v148, v83
	v_cndmask_b32_e64 v38, 0, v38, s[44:45]
	v_cndmask_b32_e32 v80, 0, v124, vcc
	v_fmac_f32_e32 v80, v76, v134
	v_exp_f32_e32 v80, v80
	v_cndmask_b32_e32 v81, 1.0, v125, vcc
	v_cndmask_b32_e64 v39, 0, v39, s[46:47]
	v_mul_f32_e32 v80, v80, v81
	v_cndmask_b32_e64 v162, 1.0, v80, s[46:47]
	v_mul_f32_e32 v80, v76, v135
	v_cmp_gt_f32_e32 vcc, s77, v80
	s_nop 1
	v_cndmask_b32_e32 v80, 0, v124, vcc
	v_fmac_f32_e32 v80, v76, v135
	v_exp_f32_e32 v80, v80
	v_cndmask_b32_e32 v81, 1.0, v125, vcc
	v_mul_f32_e32 v81, v80, v81
	v_cndmask_b32_e64 v163, 1.0, v81, s[48:49]
	v_mul_f32_e32 v81, v76, v136
	v_cmp_gt_f32_e32 vcc, s77, v81
	v_mul_f32_e32 v80, v146, v84
	v_cndmask_b32_e64 v80, 0, v80, s[48:49]
	v_cndmask_b32_e32 v81, 0, v124, vcc
	v_fmac_f32_e32 v81, v76, v136
	v_exp_f32_e32 v81, v81
	v_cndmask_b32_e32 v82, 1.0, v125, vcc
	v_mul_f32_e32 v82, v81, v82
	v_cndmask_b32_e64 v164, 1.0, v82, s[50:51]
	v_mul_f32_e32 v82, v76, v137
	v_cmp_gt_f32_e32 vcc, s77, v82
	v_mul_f32_e32 v81, v145, v85
	v_cndmask_b32_e64 v81, 0, v81, s[50:51]
	;; [unrolled: 10-line block ×4, first 2 shown]
	v_cndmask_b32_e32 v84, 0, v124, vcc
	v_fmac_f32_e32 v84, v76, v139
	v_exp_f32_e32 v84, v84
	v_cndmask_b32_e32 v85, 1.0, v125, vcc
	v_mul_f32_e32 v87, v49, v91
	v_cndmask_b32_e64 v87, 0, v87, s[62:63]
	v_mul_f32_e32 v85, v84, v85
	v_cndmask_b32_e64 v90, 1.0, v85, s[56:57]
	v_mul_f32_e32 v85, v76, v140
	v_cmp_gt_f32_e32 vcc, s77, v85
	v_mul_f32_e32 v84, v142, v88
	v_cndmask_b32_e64 v84, 0, v84, s[56:57]
	v_cndmask_b32_e32 v85, 0, v124, vcc
	v_fmac_f32_e32 v85, v76, v140
	v_exp_f32_e32 v85, v85
	v_cndmask_b32_e32 v86, 1.0, v125, vcc
	v_mul_f32_e32 v86, v85, v86
	v_mul_f32_e32 v85, v141, v89
	v_pk_mul_f32 v[88:89], v[76:77], v[70:71] op_sel_hi:[0,1]
	v_cmp_gt_f32_e32 vcc, s77, v88
	v_cndmask_b32_e64 v85, 0, v85, s[58:59]
	v_cndmask_b32_e64 v86, 1.0, v86, s[58:59]
	v_cndmask_b32_e32 v76, 0, v124, vcc
	v_add_f32_e32 v76, v88, v76
	v_exp_f32_e32 v76, v76
	v_cndmask_b32_e32 v88, 1.0, v125, vcc
	v_cmp_gt_f32_e32 vcc, s77, v89
	v_mul_f32_e32 v76, v76, v88
	s_nop 0
	v_cndmask_b32_e32 v88, 0, v124, vcc
	v_add_f32_e32 v88, v89, v88
	v_exp_f32_e32 v88, v88
	v_cndmask_b32_e32 v89, 1.0, v125, vcc
	v_cndmask_b32_e64 v92, 1.0, v76, s[62:63]
	v_mul_f32_e32 v76, v156, v155
	v_mul_f32_e32 v88, v88, v89
	v_cndmask_b32_e64 v89, 0, v79, s[60:61]
	v_fma_f32 v79, v156, v32, v33
	v_mul_f32_e32 v76, v76, v157
	v_fma_f32 v79, v79, v157, v34
	v_mul_f32_e32 v76, v76, v158
	;; [unrolled: 2-line block ×10, first 2 shown]
	v_fma_f32 v76, v79, v166, v83
	v_fma_f32 v76, v76, v90, v84
	;; [unrolled: 1-line block ×3, first 2 shown]
	v_mov_b32_e32 v91, v92
	v_pk_mul_f32 v[108:109], v[94:95], v[90:91]
	v_pk_fma_f32 v[94:95], v[94:95], v[90:91], v[86:87]
	v_pk_mul_f32 v[108:109], v[108:109], v[86:87]
	v_cndmask_b32_e64 v93, 1.0, v88, s[60:61]
	v_mov_b32_e32 v109, v95
	v_mov_b32_e32 v96, v93
	;; [unrolled: 1-line block ×3, first 2 shown]
	v_pk_mul_f32 v[94:95], v[108:109], v[92:93]
	v_mov_b32_e32 v88, v93
	v_pk_mul_f32 v[96:97], v[94:95], v[96:97]
	v_pk_fma_f32 v[94:95], v[108:109], v[92:93], v[88:89]
	s_nop 0
	v_mov_b32_dpp v76, v96 row_shr:1 row_mask:0xf bank_mask:0xf
	v_mov_b32_dpp v79, v95 row_shr:1 row_mask:0xf bank_mask:0xf
	v_mul_f32_e32 v88, v96, v76
	v_fma_f32 v79, v96, v79, v95
	v_cndmask_b32_e64 v94, v88, v96, s[4:5]
	v_cndmask_b32_e64 v97, v79, v95, s[4:5]
	;; [unrolled: 1-line block ×4, first 2 shown]
	v_mov_b32_dpp v88, v97 row_shr:2 row_mask:0xf bank_mask:0xf
	v_mov_b32_dpp v79, v96 row_shr:2 row_mask:0xf bank_mask:0xf
	s_and_saveexec_b64 s[90:91], s[6:7]
; %bb.63:                               ;   in Loop: Header=BB25_56 Depth=2
	v_fmac_f32_e32 v97, v96, v88
	v_mul_f32_e32 v96, v96, v79
	v_mov_b32_e32 v94, v96
	v_mov_b32_e32 v76, v97
; %bb.64:                               ;   in Loop: Header=BB25_56 Depth=2
	s_or_b64 exec, exec, s[90:91]
	v_mov_b32_dpp v79, v96 row_shr:4 row_mask:0xf bank_mask:0xf
	v_mov_b32_dpp v88, v97 row_shr:4 row_mask:0xf bank_mask:0xf
	s_and_saveexec_b64 s[90:91], s[8:9]
; %bb.65:                               ;   in Loop: Header=BB25_56 Depth=2
	v_fmac_f32_e32 v97, v96, v88
	v_mul_f32_e32 v96, v96, v79
	v_mov_b32_e32 v94, v96
	v_mov_b32_e32 v76, v97
; %bb.66:                               ;   in Loop: Header=BB25_56 Depth=2
	s_or_b64 exec, exec, s[90:91]
	;; [unrolled: 10-line block ×3, first 2 shown]
	v_mov_b32_dpp v79, v96 row_bcast:15 row_mask:0xf bank_mask:0xf
	v_mov_b32_dpp v88, v97 row_bcast:15 row_mask:0xf bank_mask:0xf
	s_and_saveexec_b64 s[90:91], s[12:13]
; %bb.69:                               ;   in Loop: Header=BB25_56 Depth=2
	v_fmac_f32_e32 v97, v96, v88
	v_mul_f32_e32 v96, v96, v79
	v_mov_b32_e32 v94, v96
	v_mov_b32_e32 v76, v97
; %bb.70:                               ;   in Loop: Header=BB25_56 Depth=2
	s_or_b64 exec, exec, s[90:91]
	v_mov_b32_dpp v88, v96 row_bcast:31 row_mask:0xf bank_mask:0xf
	v_mov_b32_dpp v79, v97 row_bcast:31 row_mask:0xf bank_mask:0xf
	s_and_saveexec_b64 s[90:91], s[14:15]
; %bb.71:                               ;   in Loop: Header=BB25_56 Depth=2
	v_fmac_f32_e32 v97, v96, v79
	v_mul_f32_e32 v94, v96, v88
	v_mov_b32_e32 v95, v97
	v_mov_b32_e32 v76, v97
	v_mov_b64_e32 v[96:97], v[94:95]
; %bb.72:                               ;   in Loop: Header=BB25_56 Depth=2
	s_or_b64 exec, exec, s[90:91]
	s_and_saveexec_b64 s[90:91], s[16:17]
	s_cbranch_execz .LBB25_74
; %bb.73:                               ;   in Loop: Header=BB25_56 Depth=2
	ds_write_b64 v104, v[96:97] offset:8448
.LBB25_74:                              ;   in Loop: Header=BB25_56 Depth=2
	s_or_b64 exec, exec, s[90:91]
	s_waitcnt lgkmcnt(0)
	s_barrier
	s_and_saveexec_b64 s[90:91], s[18:19]
	s_cbranch_execz .LBB25_76
; %bb.75:                               ;   in Loop: Header=BB25_56 Depth=2
	ds_read_b64 v[96:97], v105 offset:8448
	s_waitcnt lgkmcnt(0)
	s_nop 0
	v_mov_b32_dpp v79, v96 row_shr:1 row_mask:0xf bank_mask:0xf
	v_mov_b32_dpp v88, v97 row_shr:1 row_mask:0xf bank_mask:0xf
	v_fma_f32 v88, v96, v88, v97
	v_mul_f32_e32 v79, v96, v79
	v_cndmask_b32_e64 v96, v79, v96, s[20:21]
	v_cndmask_b32_e64 v97, v88, v97, s[20:21]
	ds_write_b64 v105, v[96:97] offset:8448
.LBB25_76:                              ;   in Loop: Header=BB25_56 Depth=2
	s_or_b64 exec, exec, s[90:91]
	s_waitcnt lgkmcnt(0)
	s_barrier
	s_waitcnt lgkmcnt(0)
                                        ; implicit-def: $vgpr96
	s_and_saveexec_b64 s[90:91], s[24:25]
	s_cbranch_execz .LBB25_78
; %bb.77:                               ;   in Loop: Header=BB25_56 Depth=2
	ds_read_b64 v[96:97], v104 offset:8440
	s_waitcnt lgkmcnt(0)
	v_mul_f32_e32 v79, v94, v96
	v_fmac_f32_e32 v76, v94, v97
	v_mov_b32_e32 v94, v79
.LBB25_78:                              ;   in Loop: Header=BB25_56 Depth=2
	s_or_b64 exec, exec, s[90:91]
	ds_bpermute_b32 v88, v106, v94
	ds_bpermute_b32 v91, v106, v76
	s_and_saveexec_b64 s[90:91], s[22:23]
	s_cbranch_execz .LBB25_82
; %bb.79:                               ;   in Loop: Header=BB25_56 Depth=2
	ds_read_b64 v[94:95], v41 offset:8456
	s_and_saveexec_b64 vcc, s[26:27]
	s_cbranch_execz .LBB25_81
; %bb.80:                               ;   in Loop: Header=BB25_56 Depth=2
	v_mov_b32_e32 v79, v77
	ds_write_b64 v41, v[78:79] offset:8456
.LBB25_81:                              ;   in Loop: Header=BB25_56 Depth=2
	s_or_b64 exec, exec, vcc
	s_waitcnt lgkmcnt(0)
	v_mul_f32_e32 v79, v94, v77
	v_pk_add_f32 v[76:77], v[78:79], v[94:95]
	v_mul_f32_e32 v78, v78, v94
.LBB25_82:                              ;   in Loop: Header=BB25_56 Depth=2
	s_or_b64 exec, exec, s[90:91]
	s_waitcnt lgkmcnt(0)
	s_barrier
	ds_read_b32 v76, v41 offset:8460
	s_and_saveexec_b64 s[90:91], s[26:27]
	s_cbranch_execz .LBB25_55
; %bb.83:                               ;   in Loop: Header=BB25_56 Depth=2
	v_mov_b32_e32 v79, v77
	v_mov_b32_e32 v94, s67
	s_andn2_b64 vcc, exec, s[96:97]
	ds_write_b64 v94, v[78:79]
	s_cbranch_vccnz .LBB25_55
; %bb.84:                               ;   in Loop: Header=BB25_56 Depth=2
	v_bfe_u32 v78, v77, 16, 1
	s_mov_b32 s87, s93
	v_add3_u32 v78, v77, v78, s66
	s_lshl_b64 s[82:83], s[86:87], 1
	v_lshrrev_b32_e32 v78, 16, v78
	v_cmp_o_f32_e32 vcc, v77, v77
	s_add_u32 s82, s1, s82
	s_addc_u32 s83, s73, s83
	v_cndmask_b32_e32 v77, v126, v78, vcc
	global_store_short v41, v77, s[82:83]
	s_branch .LBB25_55
.LBB25_85:                              ;   in Loop: Header=BB25_13 Depth=1
	s_mov_b32 s34, 0x3fb8aa3b
	s_mov_b32 s35, 0xc2ce8ed0
	;; [unrolled: 1-line block ×7, first 2 shown]
.LBB25_86:                              ;   in Loop: Header=BB25_13 Depth=1
	v_bfe_u32 v24, v68, 16, 1
	v_bfe_u32 v25, v69, 16, 1
	v_add3_u32 v24, v68, v24, s66
	v_bfe_u32 v26, v66, 16, 1
	v_add3_u32 v25, v69, v25, s66
	v_lshrrev_b32_e32 v24, 16, v24
	v_cmp_o_f32_e32 vcc, v68, v68
	v_bfe_u32 v27, v67, 16, 1
	v_add3_u32 v26, v66, v26, s66
	v_lshrrev_b32_e32 v25, 16, v25
	v_cndmask_b32_e32 v24, v126, v24, vcc
	v_cmp_o_f32_e32 vcc, v69, v69
	v_add3_u32 v27, v67, v27, s66
	v_lshrrev_b32_e32 v26, 16, v26
	v_cndmask_b32_e32 v28, v126, v25, vcc
	v_cmp_o_f32_e32 vcc, v66, v66
	v_lshrrev_b32_e32 v27, 16, v27
	v_bfe_u32 v30, v62, 16, 1
	v_cndmask_b32_e32 v25, v126, v26, vcc
	v_cmp_o_f32_e32 vcc, v67, v67
	v_bfe_u32 v26, v64, 16, 1
	v_add3_u32 v26, v64, v26, s66
	v_cndmask_b32_e32 v29, v126, v27, vcc
	v_bfe_u32 v27, v65, 16, 1
	v_add3_u32 v27, v65, v27, s66
	v_lshrrev_b32_e32 v26, 16, v26
	v_cmp_o_f32_e32 vcc, v64, v64
	v_bfe_u32 v31, v63, 16, 1
	v_add3_u32 v30, v62, v30, s66
	v_lshrrev_b32_e32 v27, 16, v27
	v_cndmask_b32_e32 v26, v126, v26, vcc
	v_cmp_o_f32_e32 vcc, v65, v65
	v_add3_u32 v31, v63, v31, s66
	v_lshrrev_b32_e32 v30, 16, v30
	v_cndmask_b32_e32 v32, v126, v27, vcc
	v_cmp_o_f32_e32 vcc, v62, v62
	v_lshrrev_b32_e32 v31, 16, v31
	s_mov_b32 s2, 0x5040100
	v_cndmask_b32_e32 v27, v126, v30, vcc
	v_cmp_o_f32_e32 vcc, v63, v63
	v_perm_b32 v26, v32, v26, s2
	v_perm_b32 v25, v29, v25, s2
	v_cndmask_b32_e32 v30, v126, v31, vcc
	v_perm_b32 v27, v30, v27, s2
	v_perm_b32 v24, v28, v24, s2
	s_barrier
	ds_write_b128 v100, v[24:27]
	v_bfe_u32 v24, v60, 16, 1
	v_bfe_u32 v25, v61, 16, 1
	v_add3_u32 v24, v60, v24, s66
	v_bfe_u32 v26, v58, 16, 1
	v_add3_u32 v25, v61, v25, s66
	v_lshrrev_b32_e32 v24, 16, v24
	v_cmp_o_f32_e32 vcc, v60, v60
	v_bfe_u32 v27, v59, 16, 1
	v_add3_u32 v26, v58, v26, s66
	v_lshrrev_b32_e32 v25, 16, v25
	v_cndmask_b32_e32 v24, v126, v24, vcc
	v_cmp_o_f32_e32 vcc, v61, v61
	v_add3_u32 v27, v59, v27, s66
	v_lshrrev_b32_e32 v26, 16, v26
	v_cndmask_b32_e32 v28, v126, v25, vcc
	v_cmp_o_f32_e32 vcc, v58, v58
	v_lshrrev_b32_e32 v27, 16, v27
	v_bfe_u32 v30, v54, 16, 1
	v_cndmask_b32_e32 v25, v126, v26, vcc
	v_cmp_o_f32_e32 vcc, v59, v59
	v_bfe_u32 v26, v56, 16, 1
	v_add3_u32 v26, v56, v26, s66
	v_cndmask_b32_e32 v29, v126, v27, vcc
	v_bfe_u32 v27, v57, 16, 1
	v_add3_u32 v27, v57, v27, s66
	v_lshrrev_b32_e32 v26, 16, v26
	v_cmp_o_f32_e32 vcc, v56, v56
	v_bfe_u32 v31, v55, 16, 1
	v_add3_u32 v30, v54, v30, s66
	v_lshrrev_b32_e32 v27, 16, v27
	v_cndmask_b32_e32 v26, v126, v26, vcc
	v_cmp_o_f32_e32 vcc, v57, v57
	v_add3_u32 v31, v55, v31, s66
	v_lshrrev_b32_e32 v30, 16, v30
	v_cndmask_b32_e32 v32, v126, v27, vcc
	v_cmp_o_f32_e32 vcc, v54, v54
	v_lshrrev_b32_e32 v31, 16, v31
	v_perm_b32 v26, v32, v26, s2
	v_cndmask_b32_e32 v27, v126, v30, vcc
	v_cmp_o_f32_e32 vcc, v55, v55
	v_perm_b32 v25, v29, v25, s2
	v_perm_b32 v24, v28, v24, s2
	v_cndmask_b32_e32 v30, v126, v31, vcc
	v_perm_b32 v27, v30, v27, s2
	ds_write_b128 v100, v[24:27] offset:16
	; wave barrier
	ds_read_b128 v[24:27], v98
	ds_read_b128 v[28:31], v99 offset:1024
	s_mov_b32 s85, s93
	s_lshl_b64 s[2:3], s[84:85], 1
	v_lshl_add_u64 v[32:33], v[42:43], 0, s[2:3]
	s_waitcnt lgkmcnt(1)
	global_store_short v[32:33], v24, off
	v_alignbit_b32 v34, v25, v24, 16
	v_alignbit_b32 v24, v27, v26, 16
	;; [unrolled: 1-line block ×3, first 2 shown]
	global_store_short_d16_hi v[32:33], v27, off offset:14
	global_store_dword v[32:33], v24, off offset:10
	global_store_dwordx2 v[32:33], v[34:35], off offset:2
	s_waitcnt lgkmcnt(0)
	global_store_dwordx4 v[32:33], v[28:31], off offset:1024
	v_lshl_add_u64 v[24:25], v[44:45], 0, s[2:3]
	s_barrier
	s_mov_b64 s[2:3], exec
	v_readlane_b32 s30, v167, 8
	v_readlane_b32 s31, v167, 9
	s_and_b64 s[30:31], s[2:3], s[30:31]
	s_mov_b64 exec, s[30:31]
	s_cbranch_execz .LBB25_88
; %bb.87:                               ;   in Loop: Header=BB25_13 Depth=1
	global_load_dwordx4 v[8:11], v[24:25], off
.LBB25_88:                              ;   in Loop: Header=BB25_13 Depth=1
	s_or_b64 exec, exec, s[2:3]
	s_mov_b64 s[2:3], exec
	v_readlane_b32 s30, v167, 10
	v_readlane_b32 s31, v167, 11
	s_and_b64 s[30:31], s[2:3], s[30:31]
	s_mov_b64 exec, s[30:31]
	s_cbranch_execz .LBB25_12
; %bb.89:                               ;   in Loop: Header=BB25_13 Depth=1
	global_load_dwordx4 v[0:3], v[24:25], off offset:1024
	s_branch .LBB25_12
.LBB25_90:
	s_endpgm
	.section	.rodata,"a",@progbits
	.p2align	6, 0x0
	.amdhsa_kernel _Z25selective_scan_fwd_kernelI32Selective_Scan_fwd_kernel_traitsILi128ELi16ELi1ELb1ELb1ELb1ELb1ELb0EN3c108BFloat16EfS2_EEv13SSMParamsBase
		.amdhsa_group_segment_fixed_size 0
		.amdhsa_private_segment_fixed_size 0
		.amdhsa_kernarg_size 248
		.amdhsa_user_sgpr_count 2
		.amdhsa_user_sgpr_dispatch_ptr 0
		.amdhsa_user_sgpr_queue_ptr 0
		.amdhsa_user_sgpr_kernarg_segment_ptr 1
		.amdhsa_user_sgpr_dispatch_id 0
		.amdhsa_user_sgpr_kernarg_preload_length 0
		.amdhsa_user_sgpr_kernarg_preload_offset 0
		.amdhsa_user_sgpr_private_segment_size 0
		.amdhsa_uses_dynamic_stack 0
		.amdhsa_enable_private_segment 0
		.amdhsa_system_sgpr_workgroup_id_x 1
		.amdhsa_system_sgpr_workgroup_id_y 1
		.amdhsa_system_sgpr_workgroup_id_z 0
		.amdhsa_system_sgpr_workgroup_info 0
		.amdhsa_system_vgpr_workitem_id 0
		.amdhsa_next_free_vgpr 168
		.amdhsa_next_free_sgpr 100
		.amdhsa_accum_offset 168
		.amdhsa_reserve_vcc 1
		.amdhsa_float_round_mode_32 0
		.amdhsa_float_round_mode_16_64 0
		.amdhsa_float_denorm_mode_32 3
		.amdhsa_float_denorm_mode_16_64 3
		.amdhsa_dx10_clamp 1
		.amdhsa_ieee_mode 1
		.amdhsa_fp16_overflow 0
		.amdhsa_tg_split 0
		.amdhsa_exception_fp_ieee_invalid_op 0
		.amdhsa_exception_fp_denorm_src 0
		.amdhsa_exception_fp_ieee_div_zero 0
		.amdhsa_exception_fp_ieee_overflow 0
		.amdhsa_exception_fp_ieee_underflow 0
		.amdhsa_exception_fp_ieee_inexact 0
		.amdhsa_exception_int_div_zero 0
	.end_amdhsa_kernel
	.section	.text._Z25selective_scan_fwd_kernelI32Selective_Scan_fwd_kernel_traitsILi128ELi16ELi1ELb1ELb1ELb1ELb1ELb0EN3c108BFloat16EfS2_EEv13SSMParamsBase,"axG",@progbits,_Z25selective_scan_fwd_kernelI32Selective_Scan_fwd_kernel_traitsILi128ELi16ELi1ELb1ELb1ELb1ELb1ELb0EN3c108BFloat16EfS2_EEv13SSMParamsBase,comdat
.Lfunc_end25:
	.size	_Z25selective_scan_fwd_kernelI32Selective_Scan_fwd_kernel_traitsILi128ELi16ELi1ELb1ELb1ELb1ELb1ELb0EN3c108BFloat16EfS2_EEv13SSMParamsBase, .Lfunc_end25-_Z25selective_scan_fwd_kernelI32Selective_Scan_fwd_kernel_traitsILi128ELi16ELi1ELb1ELb1ELb1ELb1ELb0EN3c108BFloat16EfS2_EEv13SSMParamsBase
                                        ; -- End function
	.section	.AMDGPU.csdata,"",@progbits
; Kernel info:
; codeLenInByte = 20128
; NumSgprs: 106
; NumVgprs: 168
; NumAgprs: 0
; TotalNumVgprs: 168
; ScratchSize: 0
; MemoryBound: 1
; FloatMode: 240
; IeeeMode: 1
; LDSByteSize: 0 bytes/workgroup (compile time only)
; SGPRBlocks: 13
; VGPRBlocks: 20
; NumSGPRsForWavesPerEU: 106
; NumVGPRsForWavesPerEU: 168
; AccumOffset: 168
; Occupancy: 3
; WaveLimiterHint : 1
; COMPUTE_PGM_RSRC2:SCRATCH_EN: 0
; COMPUTE_PGM_RSRC2:USER_SGPR: 2
; COMPUTE_PGM_RSRC2:TRAP_HANDLER: 0
; COMPUTE_PGM_RSRC2:TGID_X_EN: 1
; COMPUTE_PGM_RSRC2:TGID_Y_EN: 1
; COMPUTE_PGM_RSRC2:TGID_Z_EN: 0
; COMPUTE_PGM_RSRC2:TIDIG_COMP_CNT: 0
; COMPUTE_PGM_RSRC3_GFX90A:ACCUM_OFFSET: 41
; COMPUTE_PGM_RSRC3_GFX90A:TG_SPLIT: 0
	.section	.text._Z25selective_scan_fwd_kernelI32Selective_Scan_fwd_kernel_traitsILi128ELi16ELi1ELb1ELb1ELb1ELb0ELb1EN3c108BFloat16EfS2_EEv13SSMParamsBase,"axG",@progbits,_Z25selective_scan_fwd_kernelI32Selective_Scan_fwd_kernel_traitsILi128ELi16ELi1ELb1ELb1ELb1ELb0ELb1EN3c108BFloat16EfS2_EEv13SSMParamsBase,comdat
	.protected	_Z25selective_scan_fwd_kernelI32Selective_Scan_fwd_kernel_traitsILi128ELi16ELi1ELb1ELb1ELb1ELb0ELb1EN3c108BFloat16EfS2_EEv13SSMParamsBase ; -- Begin function _Z25selective_scan_fwd_kernelI32Selective_Scan_fwd_kernel_traitsILi128ELi16ELi1ELb1ELb1ELb1ELb0ELb1EN3c108BFloat16EfS2_EEv13SSMParamsBase
	.globl	_Z25selective_scan_fwd_kernelI32Selective_Scan_fwd_kernel_traitsILi128ELi16ELi1ELb1ELb1ELb1ELb0ELb1EN3c108BFloat16EfS2_EEv13SSMParamsBase
	.p2align	8
	.type	_Z25selective_scan_fwd_kernelI32Selective_Scan_fwd_kernel_traitsILi128ELi16ELi1ELb1ELb1ELb1ELb0ELb1EN3c108BFloat16EfS2_EEv13SSMParamsBase,@function
_Z25selective_scan_fwd_kernelI32Selective_Scan_fwd_kernel_traitsILi128ELi16ELi1ELb1ELb1ELb1ELb0ELb1EN3c108BFloat16EfS2_EEv13SSMParamsBase: ; @_Z25selective_scan_fwd_kernelI32Selective_Scan_fwd_kernel_traitsILi128ELi16ELi1ELb1ELb1ELb1ELb0ELb1EN3c108BFloat16EfS2_EEv13SSMParamsBase
; %bb.0:
	s_load_dword s29, s[0:1], 0x18
	s_load_dwordx4 s[4:7], s[0:1], 0xe0
	s_load_dwordx2 s[10:11], s[0:1], 0xf0
	s_mov_b32 s24, s3
	s_ashr_i32 s3, s2, 31
	s_waitcnt lgkmcnt(0)
	s_abs_i32 s28, s29
	v_cvt_f32_u32_e32 v1, s28
	s_lshl_b64 s[8:9], s[2:3], 2
	s_add_u32 s26, s4, s8
	s_addc_u32 s27, s5, s9
	v_rcp_iflag_f32_e32 v1, v1
	s_cmp_eq_u64 s[10:11], 0
                                        ; implicit-def: $vgpr167 : SGPR spill to VGPR lane
	v_mul_f32_e32 v1, 0x4f7ffffe, v1
	v_cvt_u32_f32_e32 v1, v1
	s_nop 0
	v_readfirstlane_b32 s30, v1
	s_cbranch_scc1 .LBB26_2
; %bb.1:
	s_add_u32 s4, s10, s2
	s_addc_u32 s5, s11, s3
	v_mov_b32_e32 v1, 0
	global_load_ubyte v1, v1, s[4:5]
	s_waitcnt vmcnt(0)
	v_and_b32_e32 v1, 1, v1
	v_cmp_eq_u32_e64 s[4:5], 1, v1
	s_branch .LBB26_3
.LBB26_2:
	s_mov_b64 s[4:5], 0
.LBB26_3:
	s_nop 0
	v_writelane_b32 v167, s4, 0
	s_cmp_eq_u64 s[6:7], 0
	s_nop 0
	v_writelane_b32 v167, s5, 1
	s_load_dwordx2 s[4:5], s[0:1], 0x20
	s_cbranch_scc1 .LBB26_5
; %bb.4:
	s_add_u32 s2, s6, s8
	s_addc_u32 s3, s7, s9
	s_load_dword s2, s[2:3], 0x0
	s_waitcnt lgkmcnt(0)
	s_ashr_i32 s3, s2, 31
.LBB26_5:
	s_waitcnt lgkmcnt(0)
	s_cmp_eq_u64 s[4:5], s[2:3]
	s_cbranch_scc1 .LBB26_238
; %bb.6:
	s_load_dwordx16 s[36:51], s[0:1], 0x88
	s_load_dwordx2 s[4:5], s[26:27], 0x0
	s_mov_b32 s3, 0
	v_writelane_b32 v167, s3, 2
	v_writelane_b32 v167, s3, 3
	s_waitcnt lgkmcnt(0)
	s_cmp_eq_u64 s[42:43], 0
	s_cbranch_scc1 .LBB26_8
; %bb.7:
	s_ashr_i32 s25, s24, 31
	s_lshl_b64 s[6:7], s[24:25], 2
	s_add_u32 s6, s42, s6
	s_addc_u32 s7, s43, s7
	s_load_dword s3, s[6:7], 0x0
	s_waitcnt lgkmcnt(0)
	v_writelane_b32 v167, s3, 3
.LBB26_8:
	s_cmp_eq_u64 s[48:49], 0
	s_cbranch_scc1 .LBB26_10
; %bb.9:
	s_ashr_i32 s25, s24, 31
	s_lshl_b64 s[6:7], s[24:25], 2
	s_add_u32 s6, s48, s6
	s_addc_u32 s7, s49, s7
	s_load_dword s3, s[6:7], 0x0
	s_waitcnt lgkmcnt(0)
	v_writelane_b32 v167, s3, 2
.LBB26_10:
	s_sub_i32 s31, s5, s4
	s_cmp_lt_i32 s31, 1
	s_cbranch_scc1 .LBB26_238
; %bb.11:
	s_sub_i32 s3, 0, s28
	s_mul_i32 s3, s3, s30
	s_mul_hi_u32 s3, s30, s3
	s_load_dwordx8 s[8:15], s[0:1], 0x2c
	s_load_dwordx2 s[20:21], s[0:1], 0x5c
	s_load_dwordx4 s[52:55], s[0:1], 0x4c
	s_abs_i32 s5, s24
	s_add_i32 s30, s30, s3
	s_load_dwordx4 s[56:59], s[0:1], 0x7c
	s_load_dwordx2 s[18:19], s[0:1], 0x6c
	s_load_dwordx2 s[26:27], s[0:1], 0xc8
	s_mul_hi_u32 s3, s5, s30
	s_waitcnt lgkmcnt(0)
	s_load_dword s11, s[0:1], 0xc
	s_load_dword s25, s[0:1], 0x28
	s_ashr_i32 s0, s24, 31
	s_ashr_i32 s1, s29, 31
	s_xor_b32 s0, s0, s1
	s_mul_i32 s1, s3, s28
	s_sub_i32 s1, s5, s1
	s_add_i32 s5, s3, 1
	s_sub_i32 s6, s1, s28
	s_cmp_ge_u32 s1, s28
	s_cselect_b32 s3, s5, s3
	s_cselect_b32 s1, s6, s1
	s_add_i32 s5, s3, 1
	s_cmp_ge_u32 s1, s28
	s_cselect_b32 s1, s5, s3
	s_xor_b32 s1, s1, s0
	s_mul_i32 s6, s4, s54
	s_mov_b32 s7, 0
	s_sub_i32 s3, s1, s0
	s_lshl_b64 s[0:1], s[6:7], 1
	s_add_u32 s5, s44, s0
	s_mul_i32 s6, s55, s24
	s_addc_u32 s16, s45, s1
	s_lshl_b64 s[0:1], s[6:7], 1
	s_add_u32 s22, s5, s0
	s_mul_i32 s6, s4, s20
	s_addc_u32 s23, s16, s1
	;; [unrolled: 4-line block ×3, first 2 shown]
	s_lshl_b64 s[0:1], s[6:7], 1
	s_add_u32 s0, s5, s0
	s_addc_u32 s1, s16, s1
	v_writelane_b32 v167, s0, 4
	s_mul_i32 s6, s8, s24
	v_mbcnt_lo_u32_b32 v1, -1, 0
	v_writelane_b32 v167, s1, 5
	s_lshl_b64 s[0:1], s[6:7], 2
	s_add_u32 s0, s36, s0
	v_writelane_b32 v167, s0, 6
	s_addc_u32 s0, s37, s1
	s_mul_i32 s6, s4, s10
	v_writelane_b32 v167, s0, 7
	s_lshl_b64 s[0:1], s[6:7], 1
	s_add_u32 s5, s38, s0
	s_mul_i32 s6, s3, s13
	s_addc_u32 s8, s39, s1
	s_lshl_b64 s[0:1], s[6:7], 1
	s_add_u32 s0, s5, s0
	s_addc_u32 s1, s8, s1
	v_writelane_b32 v167, s0, 8
	v_lshlrev_b32_e32 v19, 4, v0
	v_mbcnt_hi_u32_b32 v18, -1, v1
	v_writelane_b32 v167, s1, 9
	s_waitcnt lgkmcnt(0)
	v_writelane_b32 v167, s8, 10
	s_mul_i32 s6, s4, s14
	s_lshl_b64 s[0:1], s[6:7], 1
	v_writelane_b32 v167, s9, 11
	v_writelane_b32 v167, s10, 12
	;; [unrolled: 1-line block ×7, first 2 shown]
	s_add_u32 s5, s40, s0
	v_writelane_b32 v167, s52, 18
	s_mul_i32 s6, s3, s53
	s_addc_u32 s8, s41, s1
	v_writelane_b32 v167, s53, 19
	s_lshl_b64 s[0:1], s[6:7], 1
	v_writelane_b32 v167, s54, 20
	s_add_u32 s0, s5, s0
	v_writelane_b32 v167, s55, 21
	s_addc_u32 s1, s8, s1
	v_writelane_b32 v167, s0, 22
	s_mul_i32 s6, s2, s56
	v_and_b32_e32 v2, 0x400, v19
	v_writelane_b32 v167, s1, 23
	s_lshl_b64 s[0:1], s[6:7], 1
	v_writelane_b32 v167, s56, 24
	s_add_u32 s2, s26, s0
	s_mul_i32 s6, s57, s24
	v_writelane_b32 v167, s57, 25
	s_addc_u32 s3, s27, s1
	v_writelane_b32 v167, s58, 26
	s_lshl_b64 s[0:1], s[6:7], 1
	v_writelane_b32 v167, s59, 27
	s_add_u32 s0, s2, s0
	v_writelane_b32 v167, s0, 28
	s_addc_u32 s0, s3, s1
	v_writelane_b32 v167, s0, 29
	s_add_i32 s0, s31, 0x7ff
	s_lshr_b32 s1, s0, 11
	s_bitcmp1_b32 s25, 0
	v_or_b32_e32 v70, v18, v2
	s_cselect_b64 s[2:3], -1, 0
	v_lshrrev_b32_e32 v1, 5, v70
	v_writelane_b32 v167, s2, 30
	v_and_b32_e32 v1, 34, v1
	v_and_b32_e32 v20, 64, v0
	v_writelane_b32 v167, s3, 31
	s_cmp_gt_i32 s11, 0
	v_add_u32_e32 v3, 64, v70
	v_or_b32_e32 v71, 0x80, v70
	v_add_u32_e32 v4, 0xc0, v70
	v_or_b32_e32 v74, 0x100, v70
	;; [unrolled: 2-line block ×7, first 2 shown]
	v_add_u32_e32 v85, 0x3c0, v70
	v_add_u32_e32 v1, v1, v70
	v_add_u16_e32 v22, v18, v20
	v_writelane_b32 v167, s11, 32
	s_cselect_b64 s[2:3], -1, 0
	v_lshl_add_u32 v86, v1, 1, 0
	v_lshrrev_b32_e32 v1, 5, v3
	v_lshrrev_b32_e32 v3, 5, v71
	;; [unrolled: 1-line block ×15, first 2 shown]
	v_lshrrev_b16_e32 v22, 1, v22
	v_writelane_b32 v167, s2, 33
	v_and_b32_e32 v1, 38, v1
	v_and_b32_e32 v3, 38, v3
	;; [unrolled: 1-line block ×15, first 2 shown]
	v_add_lshl_u32 v21, v18, v20, 4
	v_and_b32_e32 v22, 0x7e, v22
	v_writelane_b32 v167, s3, 34
	v_add_lshl_u32 v1, v1, v70, 1
	v_add_lshl_u32 v3, v3, v70, 1
	;; [unrolled: 1-line block ×16, first 2 shown]
	s_add_i32 s0, 0, 0x1080
	v_writelane_b32 v167, s31, 35
	v_add_u32_e32 v103, s0, v1
	v_add_u32_e32 v104, s0, v3
	;; [unrolled: 1-line block ×16, first 2 shown]
	v_writelane_b32 v167, s1, 36
	s_add_i32 s0, s1, -1
	s_mul_i32 s6, s4, s18
	s_and_b32 s5, s31, 0x7ff
	v_writelane_b32 v167, s0, 37
	s_lshl_b64 s[0:1], s[6:7], 1
	s_add_u32 s2, s50, s0
	s_mul_i32 s6, s19, s24
	s_addc_u32 s3, s51, s1
	s_lshl_b64 s[0:1], s[6:7], 1
	s_add_u32 s2, s2, s0
	s_addc_u32 s3, s3, s1
	s_cmp_eq_u32 s5, 0
	s_cselect_b64 s[0:1], -1, 0
	v_add_u32_e32 v87, 0, v1
	v_writelane_b32 v167, s0, 38
	v_and_b32_e32 v1, 15, v18
	v_cmp_lt_u32_e64 s[4:5], 1, v1
	v_writelane_b32 v167, s1, 39
	v_cmp_eq_u32_e64 s[0:1], 0, v1
	v_writelane_b32 v167, s4, 40
	v_add_u32_e32 v88, 0, v3
	v_and_b32_e32 v3, 64, v18
	v_writelane_b32 v167, s5, 41
	v_cmp_lt_u32_e64 s[4:5], 3, v1
	v_mov_b32_e32 v17, 0
	v_add_u32_e32 v101, 0, v16
	v_writelane_b32 v167, s4, 42
	v_lshlrev_b32_e32 v16, 1, v18
	s_mov_b64 s[8:9], s[22:23]
	v_writelane_b32 v167, s5, 43
	v_cmp_lt_u32_e64 s[4:5], 7, v1
	v_and_b32_e32 v1, 16, v18
	v_lshl_add_u32 v120, v0, 3, 0
	v_writelane_b32 v167, s4, 44
	v_cmp_lt_u32_e64 s[20:21], 63, v0
	v_cmp_eq_u32_e64 s[22:23], 0, v0
	v_writelane_b32 v167, s5, 45
	v_cmp_ne_u32_e64 s[4:5], 0, v1
	v_or_b32_e32 v1, 63, v20
	v_add_u32_e32 v89, 0, v4
	v_writelane_b32 v167, s4, 46
	v_add_u32_e32 v90, 0, v5
	v_add_u32_e32 v91, 0, v6
	v_writelane_b32 v167, s5, 47
	v_cmp_lt_u32_e64 s[4:5], 31, v18
	v_add_u32_e32 v92, 0, v7
	v_add_u32_e32 v93, 0, v8
	v_writelane_b32 v167, s4, 48
	v_add_u32_e32 v94, 0, v9
	v_add_u32_e32 v95, 0, v10
	v_writelane_b32 v167, s5, 49
	v_cmp_eq_u32_e64 s[4:5], v1, v0
	v_lshrrev_b32_e32 v1, 3, v0
	v_and_b32_e32 v1, 8, v1
	v_writelane_b32 v167, s4, 50
	v_add_u32_e32 v119, 0, v1
	v_and_b32_e32 v1, 1, v18
	v_writelane_b32 v167, s5, 51
	v_cmp_gt_u32_e64 s[4:5], 2, v0
	v_add_u32_e32 v96, 0, v11
	v_add_u32_e32 v97, 0, v12
	v_writelane_b32 v167, s4, 52
	v_add_u32_e32 v98, 0, v13
	v_add_u32_e32 v99, 0, v14
	v_writelane_b32 v167, s5, 53
	v_cmp_eq_u32_e64 s[4:5], 0, v1
	v_add_u32_e32 v1, -1, v18
	v_cmp_lt_i32_e32 vcc, v1, v3
	v_writelane_b32 v167, s4, 54
	v_add_u32_e32 v100, 0, v15
	v_cndmask_b32_e32 v1, v1, v18, vcc
	v_writelane_b32 v167, s5, 55
	v_cmp_gt_u32_e64 s[4:5], 64, v0
	v_lshlrev_b32_e32 v121, 2, v1
	v_lshl_add_u64 v[0:1], s[2:3], 0, v[16:17]
	v_writelane_b32 v167, s4, 56
	v_lshlrev_b32_e32 v16, 1, v2
	s_add_i32 s2, 0, 0x2110
	v_writelane_b32 v167, s5, 57
	v_add_u32_e32 v102, 0, v21
	v_cmp_eq_u32_e64 s[24:25], 0, v18
	v_lshl_add_u64 v[20:21], v[0:1], 0, v[16:17]
	v_lshlrev_b32_e32 v22, 1, v2
	s_mov_b32 s6, 0x41a00000
	s_mov_b32 s10, 0x3fb8aa3b
	;; [unrolled: 1-line block ×8, first 2 shown]
	v_writelane_b32 v167, s2, 58
	s_mov_b32 s33, 0xc2fc0000
	s_mov_b32 s3, 0
	v_mov_b32_e32 v137, 0x3ecc95a3
	v_mov_b32_e32 v138, 0x7f800000
	;; [unrolled: 1-line block ×6, first 2 shown]
                                        ; implicit-def: $vgpr0
	s_branch .LBB26_13
.LBB26_12:                              ;   in Loop: Header=BB26_13 Depth=1
	s_or_b64 exec, exec, s[2:3]
	v_readlane_b32 s2, v167, 4
	v_readlane_b32 s3, v167, 5
	s_add_u32 s2, s2, 0x1000
	s_addc_u32 s3, s3, 0
	v_writelane_b32 v167, s2, 4
	s_add_u32 s8, s8, 0x1000
	s_addc_u32 s9, s9, 0
	v_writelane_b32 v167, s3, 5
	s_nop 0
	v_readlane_b32 s2, v167, 8
	v_readlane_b32 s3, v167, 9
	s_add_u32 s2, s2, 0x1000
	s_addc_u32 s3, s3, 0
	v_writelane_b32 v167, s2, 8
	s_nop 1
	v_writelane_b32 v167, s3, 9
	s_nop 0
	v_readlane_b32 s2, v167, 22
	v_readlane_b32 s3, v167, 23
	s_add_u32 s2, s2, 0x1000
	s_addc_u32 s3, s3, 0
	v_writelane_b32 v167, s2, 22
	s_nop 1
	v_writelane_b32 v167, s3, 23
	s_nop 0
	v_readlane_b32 s3, v167, 59
	s_add_i32 s3, s3, 1
	v_readlane_b32 s2, v167, 36
	s_cmp_eq_u32 s3, s2
	s_cbranch_scc1 .LBB26_238
.LBB26_13:                              ; =>This Loop Header: Depth=1
                                        ;     Child Loop BB26_110 Depth 2
	s_lshl_b32 s18, s3, 11
	v_writelane_b32 v167, s3, 59
	s_mov_b32 s4, s18
	v_readlane_b32 s2, v167, 35
	v_writelane_b32 v167, s4, 60
	s_waitcnt lgkmcnt(14)
	v_lshlrev_b32_e32 v16, 1, v18
	s_sub_i32 s88, s2, s18
	v_writelane_b32 v167, s5, 61
	v_writelane_b32 v167, s8, 62
	v_mov_b32_e32 v23, v17
	v_cmp_gt_u32_e64 s[26:27], s88, v70
	v_lshl_add_u64 v[0:1], s[8:9], 0, v[16:17]
	v_writelane_b32 v167, s9, 63
	v_lshl_add_u64 v[0:1], v[0:1], 0, v[22:23]
	s_waitcnt lgkmcnt(0)
	v_mov_b32_e32 v2, 0
	s_barrier
	s_and_saveexec_b64 s[2:3], s[26:27]
	s_cbranch_execz .LBB26_15
; %bb.14:                               ;   in Loop: Header=BB26_13 Depth=1
	global_load_ushort v2, v[0:1], off
.LBB26_15:                              ;   in Loop: Header=BB26_13 Depth=1
	s_or_b64 exec, exec, s[2:3]
	v_add_u32_e32 v3, 64, v70
	v_cmp_gt_u32_e64 s[28:29], s88, v3
	v_mov_b32_e32 v3, 0
	v_mov_b32_e32 v4, 0
	s_and_saveexec_b64 s[2:3], s[28:29]
	s_cbranch_execz .LBB26_17
; %bb.16:                               ;   in Loop: Header=BB26_13 Depth=1
	global_load_ushort v4, v[0:1], off offset:128
.LBB26_17:                              ;   in Loop: Header=BB26_13 Depth=1
	s_or_b64 exec, exec, s[2:3]
	v_cmp_gt_u32_e64 s[30:31], s88, v71
	s_and_saveexec_b64 s[2:3], s[30:31]
	s_cbranch_execz .LBB26_19
; %bb.18:                               ;   in Loop: Header=BB26_13 Depth=1
	global_load_ushort v3, v[0:1], off offset:256
.LBB26_19:                              ;   in Loop: Header=BB26_13 Depth=1
	s_or_b64 exec, exec, s[2:3]
	v_add_u32_e32 v5, 0xc0, v70
	v_cmp_gt_u32_e64 s[34:35], s88, v5
	v_mov_b32_e32 v5, 0
	v_mov_b32_e32 v6, 0
	s_and_saveexec_b64 s[2:3], s[34:35]
	s_cbranch_execz .LBB26_21
; %bb.20:                               ;   in Loop: Header=BB26_13 Depth=1
	global_load_ushort v6, v[0:1], off offset:384
.LBB26_21:                              ;   in Loop: Header=BB26_13 Depth=1
	s_or_b64 exec, exec, s[2:3]
	v_cmp_gt_u32_e64 s[36:37], s88, v74
	s_and_saveexec_b64 s[2:3], s[36:37]
	s_cbranch_execz .LBB26_23
; %bb.22:                               ;   in Loop: Header=BB26_13 Depth=1
	global_load_ushort v5, v[0:1], off offset:512
.LBB26_23:                              ;   in Loop: Header=BB26_13 Depth=1
	s_or_b64 exec, exec, s[2:3]
	v_cmp_gt_u32_e64 s[38:39], s88, v75
	v_mov_b32_e32 v7, 0
	v_mov_b32_e32 v8, 0
	s_and_saveexec_b64 s[2:3], s[38:39]
	s_cbranch_execz .LBB26_25
; %bb.24:                               ;   in Loop: Header=BB26_13 Depth=1
	global_load_ushort v8, v[0:1], off offset:640
.LBB26_25:                              ;   in Loop: Header=BB26_13 Depth=1
	s_or_b64 exec, exec, s[2:3]
	v_cmp_gt_u32_e64 s[40:41], s88, v76
	s_and_saveexec_b64 s[2:3], s[40:41]
	s_cbranch_execz .LBB26_27
; %bb.26:                               ;   in Loop: Header=BB26_13 Depth=1
	global_load_ushort v7, v[0:1], off offset:768
.LBB26_27:                              ;   in Loop: Header=BB26_13 Depth=1
	s_or_b64 exec, exec, s[2:3]
	;; [unrolled: 16-line block ×6, first 2 shown]
	v_cmp_gt_u32_e64 s[58:59], s88, v85
	v_mov_b32_e32 v10, 0
	v_mov_b32_e32 v26, 0
	s_and_saveexec_b64 s[2:3], s[58:59]
	s_cbranch_execz .LBB26_45
; %bb.44:                               ;   in Loop: Header=BB26_13 Depth=1
	global_load_ushort v26, v[0:1], off offset:1920
.LBB26_45:                              ;   in Loop: Header=BB26_13 Depth=1
	s_or_b64 exec, exec, s[2:3]
	s_waitcnt vmcnt(0)
	ds_write_b16 v86, v2
	ds_write_b16 v87, v4 offset:128
	ds_write_b16 v88, v3 offset:256
	;; [unrolled: 1-line block ×15, first 2 shown]
	; wave barrier
	ds_read_b128 v[0:3], v102
	ds_read_b128 v[4:7], v102 offset:16
	v_readlane_b32 s2, v167, 4
	v_readlane_b32 s3, v167, 5
	v_mov_b32_e32 v23, v17
	s_waitcnt lgkmcnt(0)
	v_lshl_add_u64 v[8:9], s[2:3], 0, v[16:17]
	v_lshl_add_u64 v[8:9], v[8:9], 0, v[22:23]
	s_barrier
	s_and_saveexec_b64 s[2:3], s[26:27]
	s_cbranch_execz .LBB26_47
; %bb.46:                               ;   in Loop: Header=BB26_13 Depth=1
	global_load_ushort v10, v[8:9], off
.LBB26_47:                              ;   in Loop: Header=BB26_13 Depth=1
	s_or_b64 exec, exec, s[2:3]
	v_mov_b32_e32 v11, 0
	v_mov_b32_e32 v12, 0
	s_and_saveexec_b64 s[2:3], s[28:29]
	s_cbranch_execz .LBB26_49
; %bb.48:                               ;   in Loop: Header=BB26_13 Depth=1
	global_load_ushort v12, v[8:9], off offset:128
.LBB26_49:                              ;   in Loop: Header=BB26_13 Depth=1
	s_or_b64 exec, exec, s[2:3]
	s_and_saveexec_b64 s[2:3], s[30:31]
	s_cbranch_execz .LBB26_51
; %bb.50:                               ;   in Loop: Header=BB26_13 Depth=1
	global_load_ushort v11, v[8:9], off offset:256
.LBB26_51:                              ;   in Loop: Header=BB26_13 Depth=1
	s_or_b64 exec, exec, s[2:3]
	v_mov_b32_e32 v13, 0
	v_mov_b32_e32 v14, 0
	s_and_saveexec_b64 s[2:3], s[34:35]
	s_cbranch_execz .LBB26_53
; %bb.52:                               ;   in Loop: Header=BB26_13 Depth=1
	global_load_ushort v14, v[8:9], off offset:384
.LBB26_53:                              ;   in Loop: Header=BB26_13 Depth=1
	s_or_b64 exec, exec, s[2:3]
	s_and_saveexec_b64 s[2:3], s[36:37]
	s_cbranch_execz .LBB26_55
; %bb.54:                               ;   in Loop: Header=BB26_13 Depth=1
	global_load_ushort v13, v[8:9], off offset:512
.LBB26_55:                              ;   in Loop: Header=BB26_13 Depth=1
	;; [unrolled: 14-line block ×6, first 2 shown]
	s_or_b64 exec, exec, s[2:3]
	v_mov_b32_e32 v31, 0
	v_mov_b32_e32 v32, 0
	s_and_saveexec_b64 s[2:3], s[54:55]
	s_cbranch_execnz .LBB26_221
; %bb.72:                               ;   in Loop: Header=BB26_13 Depth=1
	s_or_b64 exec, exec, s[2:3]
	s_and_saveexec_b64 s[2:3], s[56:57]
	s_cbranch_execnz .LBB26_222
.LBB26_73:                              ;   in Loop: Header=BB26_13 Depth=1
	s_or_b64 exec, exec, s[2:3]
	v_mov_b32_e32 v33, 0
	s_and_saveexec_b64 s[2:3], s[58:59]
	s_cbranch_execz .LBB26_75
.LBB26_74:                              ;   in Loop: Header=BB26_13 Depth=1
	global_load_ushort v33, v[8:9], off offset:1920
.LBB26_75:                              ;   in Loop: Header=BB26_13 Depth=1
	s_or_b64 exec, exec, s[2:3]
	s_waitcnt vmcnt(0)
	ds_write_b16 v86, v10
	ds_write_b16 v87, v12 offset:128
	ds_write_b16 v88, v11 offset:256
	;; [unrolled: 1-line block ×15, first 2 shown]
	; wave barrier
	ds_read_b128 v[12:15], v102
	ds_read_b128 v[8:11], v102 offset:16
	v_readlane_b32 s2, v167, 2
	s_waitcnt lgkmcnt(1)
	v_lshlrev_b32_e32 v23, 16, v12
	v_add_f32_e32 v142, s2, v23
	v_readlane_b32 s2, v167, 30
	v_cmp_ge_f32_e32 vcc, s6, v142
	v_readlane_b32 s3, v167, 31
	s_and_b64 s[2:3], s[2:3], vcc
	s_and_saveexec_b64 s[4:5], s[2:3]
	s_cbranch_execz .LBB26_77
; %bb.76:                               ;   in Loop: Header=BB26_13 Depth=1
	v_mul_f32_e32 v23, 0x3fb8aa3b, v142
	v_rndne_f32_e32 v25, v23
	v_sub_f32_e32 v26, v23, v25
	v_fma_f32 v23, v142, s10, -v23
	v_fmac_f32_e32 v23, 0x32a5705f, v142
	v_add_f32_e32 v23, v26, v23
	v_cvt_i32_f32_e32 v25, v25
	v_exp_f32_e32 v23, v23
	v_cmp_ngt_f32_e32 vcc, s11, v142
	v_ldexp_f32 v23, v23, v25
	s_nop 0
	v_cndmask_b32_e32 v23, 0, v23, vcc
	v_cmp_nlt_f32_e32 vcc, s12, v142
	s_nop 1
	v_cndmask_b32_e32 v42, v138, v23, vcc
	v_add_f32_e32 v23, 1.0, v42
	v_add_f32_e32 v25, -1.0, v23
	v_sub_f32_e32 v26, v25, v23
	v_add_f32_e32 v26, 1.0, v26
	v_sub_f32_e32 v25, v42, v25
	v_add_f32_e32 v25, v25, v26
	v_frexp_mant_f32_e32 v28, v23
	v_cvt_f64_f32_e32 v[26:27], v23
	v_frexp_exp_i32_f64_e32 v26, v[26:27]
	v_cmp_gt_f32_e32 vcc, s14, v28
	v_cmp_gt_f32_e64 s[60:61], s16, v42
	s_nop 0
	v_subbrev_co_u32_e32 v34, vcc, 0, v26, vcc
	v_sub_u32_e32 v26, 0, v34
	v_ldexp_f32 v23, v23, v26
	v_ldexp_f32 v25, v25, v26
	v_add_f32_e32 v26, -1.0, v23
	v_add_f32_e32 v27, 1.0, v26
	v_sub_f32_e32 v27, v23, v27
	v_add_f32_e32 v28, v25, v27
	v_add_f32_e32 v27, 1.0, v23
	v_add_f32_e32 v29, -1.0, v27
	v_sub_f32_e32 v23, v23, v29
	v_add_f32_e32 v23, v25, v23
	v_add_f32_e32 v25, v27, v23
	v_rcp_f32_e32 v35, v25
	v_sub_f32_e32 v27, v27, v25
	v_add_f32_e32 v23, v23, v27
	v_add_f32_e32 v27, v26, v28
	v_sub_f32_e32 v26, v26, v27
	v_mul_f32_e32 v37, v27, v35
	v_add_f32_e32 v36, v28, v26
	v_mul_f32_e32 v28, v25, v37
	v_fma_f32 v30, v37, v25, -v28
	v_fmac_f32_e32 v30, v37, v23
	v_add_f32_e32 v26, v28, v30
	v_sub_f32_e32 v29, v27, v26
	v_pk_add_f32 v[32:33], v[26:27], v[28:29] neg_lo:[0,1] neg_hi:[0,1]
	v_mov_b32_e32 v31, v26
	v_pk_add_f32 v[26:27], v[32:33], v[30:31] neg_lo:[0,1] neg_hi:[0,1]
	v_cmp_eq_f32_e32 vcc, s13, v42
	v_add_f32_e32 v27, v36, v27
	v_add_f32_e32 v26, v26, v27
	;; [unrolled: 1-line block ×3, first 2 shown]
	v_mul_f32_e32 v36, v35, v27
	v_mul_f32_e32 v28, v25, v36
	v_fma_f32 v30, v36, v25, -v28
	v_fmac_f32_e32 v30, v36, v23
	v_sub_f32_e32 v23, v29, v27
	v_add_f32_e32 v23, v26, v23
	v_add_f32_e32 v26, v28, v30
	v_sub_f32_e32 v29, v27, v26
	v_pk_add_f32 v[32:33], v[26:27], v[28:29] neg_lo:[0,1] neg_hi:[0,1]
	v_mov_b32_e32 v31, v26
	v_pk_add_f32 v[26:27], v[32:33], v[30:31] neg_lo:[0,1] neg_hi:[0,1]
	s_or_b64 vcc, s[60:61], vcc
	v_add_f32_e32 v23, v23, v27
	v_add_f32_e32 v23, v26, v23
	;; [unrolled: 1-line block ×4, first 2 shown]
	v_sub_f32_e32 v25, v27, v37
	v_mul_f32_e32 v23, v35, v23
	v_sub_f32_e32 v25, v36, v25
	v_add_f32_e32 v23, v25, v23
	v_add_f32_e32 v28, v27, v23
	v_cvt_f32_i32_e32 v26, v34
	v_mul_f32_e32 v30, v28, v28
	v_fmamk_f32 v25, v30, 0x3e9b6dac, v137
	v_sub_f32_e32 v27, v28, v27
	v_fmaak_f32 v25, v30, v25, 0x3f2aaada
	v_sub_f32_e32 v23, v23, v27
	v_mul_f32_e32 v27, v28, v30
	v_pk_mul_f32 v[30:31], v[26:27], v[24:25]
	v_ldexp_f32 v29, v28, 1
	v_fma_f32 v28, v26, s15, -v30
	v_fmac_f32_e32 v28, 0xb102e308, v26
	v_pk_add_f32 v[26:27], v[30:31], v[28:29]
	v_ldexp_f32 v23, v23, 1
	v_sub_f32_e32 v25, v27, v29
	v_sub_f32_e32 v25, v31, v25
	v_add_f32_e32 v33, v23, v25
	v_mov_b32_e32 v32, v30
	v_pk_add_f32 v[30:31], v[26:27], v[30:31] neg_lo:[0,1] neg_hi:[0,1]
	v_pk_add_f32 v[34:35], v[26:27], v[32:33]
	v_mov_b32_e32 v29, v26
	v_mov_b32_e32 v31, v35
	v_pk_add_f32 v[36:37], v[28:29], v[30:31] neg_lo:[0,1] neg_hi:[0,1]
	v_pk_add_f32 v[28:29], v[28:29], v[30:31]
	v_mov_b32_e32 v32, v33
	v_mov_b32_e32 v30, v29
	v_pk_add_f32 v[38:39], v[30:31], v[26:27] neg_lo:[0,1] neg_hi:[0,1]
	v_mov_b32_e32 v28, v35
	v_mov_b32_e32 v23, v38
	v_pk_add_f32 v[40:41], v[34:35], v[22:23] neg_lo:[0,1] neg_hi:[0,1]
	v_mov_b32_e32 v34, v27
	v_mov_b32_e32 v35, v38
	;; [unrolled: 1-line block ×3, first 2 shown]
	v_pk_add_f32 v[28:29], v[28:29], v[34:35] neg_lo:[0,1] neg_hi:[0,1]
	v_mov_b32_e32 v33, v26
	v_pk_add_f32 v[26:27], v[32:33], v[28:29] neg_lo:[0,1] neg_hi:[0,1]
	v_mov_b32_e32 v40, v36
	v_pk_add_f32 v[28:29], v[40:41], v[26:27]
	s_nop 0
	v_mov_b32_e32 v32, v29
	v_pk_add_f32 v[32:33], v[28:29], v[32:33]
	s_nop 0
	v_pk_add_f32 v[30:31], v[30:31], v[32:33]
	v_mov_b32_e32 v27, v32
	v_mov_b32_e32 v29, v30
	v_pk_add_f32 v[34:35], v[28:29], v[36:37] neg_lo:[0,1] neg_hi:[0,1]
	s_nop 0
	v_sub_f32_e32 v23, v28, v34
	v_pk_add_f32 v[26:27], v[26:27], v[34:35] neg_lo:[0,1] neg_hi:[0,1]
	v_sub_f32_e32 v23, v36, v23
	v_add_f32_e32 v23, v26, v23
	v_add_f32_e32 v23, v23, v27
	;; [unrolled: 1-line block ×3, first 2 shown]
	v_cndmask_b32_e32 v142, v23, v42, vcc
.LBB26_77:                              ;   in Loop: Header=BB26_13 Depth=1
	s_or_b64 exec, exec, s[4:5]
	v_and_b32_e32 v12, 0xffff0000, v12
	v_readlane_b32 s2, v167, 2
	s_nop 1
	v_add_f32_e32 v143, s2, v12
	v_readlane_b32 s2, v167, 30
	v_cmp_ge_f32_e32 vcc, s6, v143
	v_readlane_b32 s3, v167, 31
	s_and_b64 s[2:3], s[2:3], vcc
	s_and_saveexec_b64 s[4:5], s[2:3]
	s_cbranch_execz .LBB26_79
; %bb.78:                               ;   in Loop: Header=BB26_13 Depth=1
	v_mul_f32_e32 v12, 0x3fb8aa3b, v143
	v_rndne_f32_e32 v23, v12
	v_sub_f32_e32 v25, v12, v23
	v_fma_f32 v12, v143, s10, -v12
	v_fmac_f32_e32 v12, 0x32a5705f, v143
	v_add_f32_e32 v12, v25, v12
	v_cvt_i32_f32_e32 v23, v23
	v_exp_f32_e32 v12, v12
	v_cmp_ngt_f32_e32 vcc, s11, v143
	v_ldexp_f32 v12, v12, v23
	s_nop 0
	v_cndmask_b32_e32 v12, 0, v12, vcc
	v_cmp_nlt_f32_e32 vcc, s12, v143
	s_nop 1
	v_cndmask_b32_e32 v40, v138, v12, vcc
	v_add_f32_e32 v12, 1.0, v40
	v_add_f32_e32 v23, -1.0, v12
	v_sub_f32_e32 v25, v23, v12
	v_add_f32_e32 v25, 1.0, v25
	v_sub_f32_e32 v23, v40, v23
	v_add_f32_e32 v23, v23, v25
	v_frexp_mant_f32_e32 v25, v12
	v_cvt_f64_f32_e32 v[26:27], v12
	v_frexp_exp_i32_f64_e32 v26, v[26:27]
	v_cmp_gt_f32_e32 vcc, s14, v25
	v_cmp_gt_f32_e64 s[60:61], s16, v40
	s_nop 0
	v_subbrev_co_u32_e32 v34, vcc, 0, v26, vcc
	v_sub_u32_e32 v25, 0, v34
	v_ldexp_f32 v12, v12, v25
	v_ldexp_f32 v23, v23, v25
	v_add_f32_e32 v25, -1.0, v12
	v_add_f32_e32 v27, 1.0, v12
	v_add_f32_e32 v26, 1.0, v25
	v_add_f32_e32 v28, -1.0, v27
	v_sub_f32_e32 v26, v12, v26
	v_sub_f32_e32 v12, v12, v28
	v_add_f32_e32 v12, v23, v12
	v_add_f32_e32 v26, v23, v26
	;; [unrolled: 1-line block ×3, first 2 shown]
	v_rcp_f32_e32 v35, v23
	v_sub_f32_e32 v27, v27, v23
	v_add_f32_e32 v12, v12, v27
	v_add_f32_e32 v27, v25, v26
	v_mul_f32_e32 v36, v27, v35
	v_mul_f32_e32 v28, v23, v36
	v_fma_f32 v30, v36, v23, -v28
	v_sub_f32_e32 v25, v25, v27
	v_fmac_f32_e32 v30, v36, v12
	v_add_f32_e32 v25, v26, v25
	v_add_f32_e32 v26, v28, v30
	v_sub_f32_e32 v29, v27, v26
	v_pk_add_f32 v[32:33], v[26:27], v[28:29] neg_lo:[0,1] neg_hi:[0,1]
	v_mov_b32_e32 v31, v26
	v_pk_add_f32 v[26:27], v[32:33], v[30:31] neg_lo:[0,1] neg_hi:[0,1]
	v_cmp_eq_f32_e32 vcc, s13, v40
	v_add_f32_e32 v25, v25, v27
	v_add_f32_e32 v25, v26, v25
	;; [unrolled: 1-line block ×3, first 2 shown]
	v_mul_f32_e32 v37, v35, v27
	v_mul_f32_e32 v28, v23, v37
	v_fma_f32 v30, v37, v23, -v28
	v_fmac_f32_e32 v30, v37, v12
	v_add_f32_e32 v26, v28, v30
	v_sub_f32_e32 v12, v29, v27
	v_sub_f32_e32 v29, v27, v26
	v_pk_add_f32 v[32:33], v[26:27], v[28:29] neg_lo:[0,1] neg_hi:[0,1]
	v_mov_b32_e32 v31, v26
	v_add_f32_e32 v12, v25, v12
	v_pk_add_f32 v[26:27], v[32:33], v[30:31] neg_lo:[0,1] neg_hi:[0,1]
	v_add_f32_e32 v23, v36, v37
	v_add_f32_e32 v12, v12, v27
	;; [unrolled: 1-line block ×4, first 2 shown]
	v_sub_f32_e32 v25, v23, v36
	v_mul_f32_e32 v12, v35, v12
	v_sub_f32_e32 v25, v37, v25
	v_add_f32_e32 v12, v25, v12
	v_add_f32_e32 v27, v23, v12
	v_cvt_f32_i32_e32 v26, v34
	v_mul_f32_e32 v28, v27, v27
	v_fmamk_f32 v25, v28, 0x3e9b6dac, v137
	v_fmaak_f32 v25, v28, v25, 0x3f2aaada
	v_sub_f32_e32 v23, v27, v23
	v_ldexp_f32 v29, v27, 1
	v_mul_f32_e32 v27, v27, v28
	v_pk_mul_f32 v[30:31], v[26:27], v[24:25]
	v_sub_f32_e32 v12, v12, v23
	v_fma_f32 v28, v26, s15, -v30
	v_fmac_f32_e32 v28, 0xb102e308, v26
	v_pk_add_f32 v[26:27], v[30:31], v[28:29]
	v_ldexp_f32 v12, v12, 1
	v_sub_f32_e32 v23, v27, v29
	v_sub_f32_e32 v23, v31, v23
	v_add_f32_e32 v33, v12, v23
	v_mov_b32_e32 v32, v30
	v_pk_add_f32 v[30:31], v[26:27], v[30:31] neg_lo:[0,1] neg_hi:[0,1]
	v_pk_add_f32 v[34:35], v[26:27], v[32:33]
	v_mov_b32_e32 v29, v26
	v_mov_b32_e32 v31, v35
	v_pk_add_f32 v[36:37], v[28:29], v[30:31] neg_lo:[0,1] neg_hi:[0,1]
	v_pk_add_f32 v[28:29], v[28:29], v[30:31]
	s_or_b64 vcc, s[60:61], vcc
	v_mov_b32_e32 v12, v29
	v_pk_add_f32 v[30:31], v[12:13], v[26:27] neg_lo:[0,1] neg_hi:[0,1]
	v_mov_b32_e32 v28, v35
	v_mov_b32_e32 v23, v30
	v_pk_add_f32 v[38:39], v[34:35], v[22:23] neg_lo:[0,1] neg_hi:[0,1]
	v_mov_b32_e32 v34, v27
	v_mov_b32_e32 v35, v30
	;; [unrolled: 1-line block ×3, first 2 shown]
	v_pk_add_f32 v[28:29], v[28:29], v[34:35] neg_lo:[0,1] neg_hi:[0,1]
	v_mov_b32_e32 v30, v33
	v_mov_b32_e32 v31, v26
	v_pk_add_f32 v[26:27], v[30:31], v[28:29] neg_lo:[0,1] neg_hi:[0,1]
	v_mov_b32_e32 v38, v36
	v_pk_add_f32 v[28:29], v[38:39], v[26:27]
	s_nop 0
	v_mov_b32_e32 v30, v29
	v_pk_add_f32 v[30:31], v[28:29], v[30:31]
	s_nop 0
	v_pk_add_f32 v[32:33], v[12:13], v[30:31]
	v_mov_b32_e32 v27, v30
	v_mov_b32_e32 v29, v32
	v_pk_add_f32 v[34:35], v[28:29], v[36:37] neg_lo:[0,1] neg_hi:[0,1]
	s_nop 0
	v_sub_f32_e32 v12, v28, v34
	v_pk_add_f32 v[26:27], v[26:27], v[34:35] neg_lo:[0,1] neg_hi:[0,1]
	v_sub_f32_e32 v12, v36, v12
	v_add_f32_e32 v12, v26, v12
	v_add_f32_e32 v12, v12, v27
	;; [unrolled: 1-line block ×3, first 2 shown]
	v_cndmask_b32_e32 v143, v12, v40, vcc
.LBB26_79:                              ;   in Loop: Header=BB26_13 Depth=1
	s_or_b64 exec, exec, s[4:5]
	v_lshlrev_b32_e32 v12, 16, v13
	v_readlane_b32 s2, v167, 2
	s_nop 1
	v_add_f32_e32 v144, s2, v12
	v_readlane_b32 s2, v167, 30
	v_cmp_ge_f32_e32 vcc, s6, v144
	v_readlane_b32 s3, v167, 31
	s_and_b64 s[2:3], s[2:3], vcc
	s_and_saveexec_b64 s[4:5], s[2:3]
	s_cbranch_execz .LBB26_81
; %bb.80:                               ;   in Loop: Header=BB26_13 Depth=1
	v_mul_f32_e32 v12, 0x3fb8aa3b, v144
	v_rndne_f32_e32 v23, v12
	v_sub_f32_e32 v25, v12, v23
	v_fma_f32 v12, v144, s10, -v12
	v_fmac_f32_e32 v12, 0x32a5705f, v144
	v_add_f32_e32 v12, v25, v12
	v_cvt_i32_f32_e32 v23, v23
	v_exp_f32_e32 v12, v12
	v_cmp_ngt_f32_e32 vcc, s11, v144
	v_ldexp_f32 v12, v12, v23
	s_nop 0
	v_cndmask_b32_e32 v12, 0, v12, vcc
	v_cmp_nlt_f32_e32 vcc, s12, v144
	s_nop 1
	v_cndmask_b32_e32 v40, v138, v12, vcc
	v_add_f32_e32 v12, 1.0, v40
	v_add_f32_e32 v23, -1.0, v12
	v_sub_f32_e32 v25, v23, v12
	v_add_f32_e32 v25, 1.0, v25
	v_sub_f32_e32 v23, v40, v23
	v_add_f32_e32 v23, v23, v25
	v_frexp_mant_f32_e32 v25, v12
	v_cvt_f64_f32_e32 v[26:27], v12
	v_frexp_exp_i32_f64_e32 v26, v[26:27]
	v_cmp_gt_f32_e32 vcc, s14, v25
	v_cmp_gt_f32_e64 s[60:61], s16, v40
	s_nop 0
	v_subbrev_co_u32_e32 v34, vcc, 0, v26, vcc
	v_sub_u32_e32 v25, 0, v34
	v_ldexp_f32 v12, v12, v25
	v_ldexp_f32 v23, v23, v25
	v_add_f32_e32 v25, -1.0, v12
	v_add_f32_e32 v27, 1.0, v12
	v_add_f32_e32 v26, 1.0, v25
	v_add_f32_e32 v28, -1.0, v27
	v_sub_f32_e32 v26, v12, v26
	v_sub_f32_e32 v12, v12, v28
	v_add_f32_e32 v12, v23, v12
	v_add_f32_e32 v26, v23, v26
	;; [unrolled: 1-line block ×3, first 2 shown]
	v_rcp_f32_e32 v35, v23
	v_sub_f32_e32 v27, v27, v23
	v_add_f32_e32 v12, v12, v27
	v_add_f32_e32 v27, v25, v26
	v_mul_f32_e32 v36, v27, v35
	v_mul_f32_e32 v28, v23, v36
	v_fma_f32 v30, v36, v23, -v28
	v_sub_f32_e32 v25, v25, v27
	v_fmac_f32_e32 v30, v36, v12
	v_add_f32_e32 v25, v26, v25
	v_add_f32_e32 v26, v28, v30
	v_sub_f32_e32 v29, v27, v26
	v_pk_add_f32 v[32:33], v[26:27], v[28:29] neg_lo:[0,1] neg_hi:[0,1]
	v_mov_b32_e32 v31, v26
	v_pk_add_f32 v[26:27], v[32:33], v[30:31] neg_lo:[0,1] neg_hi:[0,1]
	v_cmp_eq_f32_e32 vcc, s13, v40
	v_add_f32_e32 v25, v25, v27
	v_add_f32_e32 v25, v26, v25
	;; [unrolled: 1-line block ×3, first 2 shown]
	v_mul_f32_e32 v37, v35, v27
	v_mul_f32_e32 v28, v23, v37
	v_fma_f32 v30, v37, v23, -v28
	v_fmac_f32_e32 v30, v37, v12
	v_add_f32_e32 v26, v28, v30
	v_sub_f32_e32 v12, v29, v27
	v_sub_f32_e32 v29, v27, v26
	v_pk_add_f32 v[32:33], v[26:27], v[28:29] neg_lo:[0,1] neg_hi:[0,1]
	v_mov_b32_e32 v31, v26
	v_add_f32_e32 v12, v25, v12
	v_pk_add_f32 v[26:27], v[32:33], v[30:31] neg_lo:[0,1] neg_hi:[0,1]
	v_add_f32_e32 v23, v36, v37
	v_add_f32_e32 v12, v12, v27
	;; [unrolled: 1-line block ×4, first 2 shown]
	v_sub_f32_e32 v25, v23, v36
	v_mul_f32_e32 v12, v35, v12
	v_sub_f32_e32 v25, v37, v25
	v_add_f32_e32 v12, v25, v12
	v_add_f32_e32 v27, v23, v12
	v_cvt_f32_i32_e32 v26, v34
	v_mul_f32_e32 v28, v27, v27
	v_fmamk_f32 v25, v28, 0x3e9b6dac, v137
	v_fmaak_f32 v25, v28, v25, 0x3f2aaada
	v_sub_f32_e32 v23, v27, v23
	v_ldexp_f32 v29, v27, 1
	v_mul_f32_e32 v27, v27, v28
	v_pk_mul_f32 v[30:31], v[26:27], v[24:25]
	v_sub_f32_e32 v12, v12, v23
	v_fma_f32 v28, v26, s15, -v30
	v_fmac_f32_e32 v28, 0xb102e308, v26
	v_pk_add_f32 v[26:27], v[30:31], v[28:29]
	v_ldexp_f32 v12, v12, 1
	v_sub_f32_e32 v23, v27, v29
	v_sub_f32_e32 v23, v31, v23
	v_add_f32_e32 v33, v12, v23
	v_mov_b32_e32 v32, v30
	v_pk_add_f32 v[30:31], v[26:27], v[30:31] neg_lo:[0,1] neg_hi:[0,1]
	v_pk_add_f32 v[34:35], v[26:27], v[32:33]
	v_mov_b32_e32 v29, v26
	v_mov_b32_e32 v31, v35
	v_pk_add_f32 v[36:37], v[28:29], v[30:31] neg_lo:[0,1] neg_hi:[0,1]
	v_pk_add_f32 v[28:29], v[28:29], v[30:31]
	s_or_b64 vcc, s[60:61], vcc
	v_mov_b32_e32 v12, v29
	v_pk_add_f32 v[30:31], v[12:13], v[26:27] neg_lo:[0,1] neg_hi:[0,1]
	v_mov_b32_e32 v28, v35
	v_mov_b32_e32 v23, v30
	v_pk_add_f32 v[38:39], v[34:35], v[22:23] neg_lo:[0,1] neg_hi:[0,1]
	v_mov_b32_e32 v34, v27
	v_mov_b32_e32 v35, v30
	;; [unrolled: 1-line block ×3, first 2 shown]
	v_pk_add_f32 v[28:29], v[28:29], v[34:35] neg_lo:[0,1] neg_hi:[0,1]
	v_mov_b32_e32 v30, v33
	v_mov_b32_e32 v31, v26
	v_pk_add_f32 v[26:27], v[30:31], v[28:29] neg_lo:[0,1] neg_hi:[0,1]
	v_mov_b32_e32 v38, v36
	v_pk_add_f32 v[28:29], v[38:39], v[26:27]
	s_nop 0
	v_mov_b32_e32 v30, v29
	v_pk_add_f32 v[30:31], v[28:29], v[30:31]
	s_nop 0
	v_pk_add_f32 v[32:33], v[12:13], v[30:31]
	v_mov_b32_e32 v27, v30
	v_mov_b32_e32 v29, v32
	v_pk_add_f32 v[34:35], v[28:29], v[36:37] neg_lo:[0,1] neg_hi:[0,1]
	s_nop 0
	v_sub_f32_e32 v12, v28, v34
	v_pk_add_f32 v[26:27], v[26:27], v[34:35] neg_lo:[0,1] neg_hi:[0,1]
	v_sub_f32_e32 v12, v36, v12
	v_add_f32_e32 v12, v26, v12
	v_add_f32_e32 v12, v12, v27
	;; [unrolled: 1-line block ×3, first 2 shown]
	v_cndmask_b32_e32 v144, v12, v40, vcc
.LBB26_81:                              ;   in Loop: Header=BB26_13 Depth=1
	s_or_b64 exec, exec, s[4:5]
	v_and_b32_e32 v12, 0xffff0000, v13
	v_readlane_b32 s2, v167, 2
	s_nop 1
	v_add_f32_e32 v145, s2, v12
	v_readlane_b32 s2, v167, 30
	v_cmp_ge_f32_e32 vcc, s6, v145
	v_readlane_b32 s3, v167, 31
	s_and_b64 s[2:3], s[2:3], vcc
	s_and_saveexec_b64 s[4:5], s[2:3]
	s_cbranch_execz .LBB26_83
; %bb.82:                               ;   in Loop: Header=BB26_13 Depth=1
	v_mul_f32_e32 v12, 0x3fb8aa3b, v145
	v_rndne_f32_e32 v13, v12
	v_sub_f32_e32 v23, v12, v13
	v_fma_f32 v12, v145, s10, -v12
	v_fmac_f32_e32 v12, 0x32a5705f, v145
	v_add_f32_e32 v12, v23, v12
	v_cvt_i32_f32_e32 v13, v13
	v_exp_f32_e32 v12, v12
	v_cmp_ngt_f32_e32 vcc, s11, v145
	v_ldexp_f32 v12, v12, v13
	s_nop 0
	v_cndmask_b32_e32 v12, 0, v12, vcc
	v_cmp_nlt_f32_e32 vcc, s12, v145
	s_nop 1
	v_cndmask_b32_e32 v40, v138, v12, vcc
	v_add_f32_e32 v23, 1.0, v40
	v_add_f32_e32 v12, -1.0, v23
	v_sub_f32_e32 v13, v12, v23
	v_add_f32_e32 v13, 1.0, v13
	v_sub_f32_e32 v12, v40, v12
	v_add_f32_e32 v25, v12, v13
	v_frexp_mant_f32_e32 v26, v23
	v_cvt_f64_f32_e32 v[12:13], v23
	v_frexp_exp_i32_f64_e32 v12, v[12:13]
	v_cmp_gt_f32_e32 vcc, s14, v26
	v_cmp_gt_f32_e64 s[60:61], s16, v40
	s_nop 0
	v_subbrev_co_u32_e32 v32, vcc, 0, v12, vcc
	v_sub_u32_e32 v12, 0, v32
	v_ldexp_f32 v13, v23, v12
	v_add_f32_e32 v23, -1.0, v13
	v_add_f32_e32 v26, 1.0, v13
	v_ldexp_f32 v12, v25, v12
	v_add_f32_e32 v25, 1.0, v23
	v_add_f32_e32 v27, -1.0, v26
	v_sub_f32_e32 v25, v13, v25
	v_sub_f32_e32 v13, v13, v27
	v_add_f32_e32 v25, v12, v25
	v_add_f32_e32 v12, v12, v13
	;; [unrolled: 1-line block ×3, first 2 shown]
	v_rcp_f32_e32 v35, v33
	v_sub_f32_e32 v13, v26, v33
	v_add_f32_e32 v34, v12, v13
	v_add_f32_e32 v13, v23, v25
	v_sub_f32_e32 v12, v23, v13
	v_add_f32_e32 v23, v25, v12
	v_mul_f32_e32 v25, v13, v35
	v_mul_f32_e32 v26, v33, v25
	v_fma_f32 v28, v25, v33, -v26
	v_fmac_f32_e32 v28, v25, v34
	v_add_f32_e32 v12, v26, v28
	v_sub_f32_e32 v27, v13, v12
	v_pk_add_f32 v[30:31], v[12:13], v[26:27] neg_lo:[0,1] neg_hi:[0,1]
	v_mov_b32_e32 v29, v12
	v_pk_add_f32 v[12:13], v[30:31], v[28:29] neg_lo:[0,1] neg_hi:[0,1]
	v_cmp_eq_f32_e32 vcc, s13, v40
	v_add_f32_e32 v13, v23, v13
	v_add_f32_e32 v12, v12, v13
	;; [unrolled: 1-line block ×3, first 2 shown]
	v_mul_f32_e32 v23, v35, v13
	v_mul_f32_e32 v26, v33, v23
	v_fma_f32 v28, v23, v33, -v26
	v_fmac_f32_e32 v28, v23, v34
	v_sub_f32_e32 v27, v27, v13
	v_add_f32_e32 v33, v12, v27
	v_add_f32_e32 v12, v26, v28
	v_sub_f32_e32 v27, v13, v12
	v_pk_add_f32 v[30:31], v[12:13], v[26:27] neg_lo:[0,1] neg_hi:[0,1]
	v_mov_b32_e32 v29, v12
	v_pk_add_f32 v[12:13], v[30:31], v[28:29] neg_lo:[0,1] neg_hi:[0,1]
	s_or_b64 vcc, s[60:61], vcc
	v_add_f32_e32 v13, v33, v13
	v_add_f32_e32 v12, v12, v13
	;; [unrolled: 1-line block ×4, first 2 shown]
	v_sub_f32_e32 v25, v13, v25
	v_mul_f32_e32 v12, v35, v12
	v_sub_f32_e32 v23, v23, v25
	v_add_f32_e32 v23, v23, v12
	v_add_f32_e32 v26, v13, v23
	v_mul_f32_e32 v28, v26, v26
	v_fmamk_f32 v12, v28, 0x3e9b6dac, v137
	v_fmaak_f32 v25, v28, v12, 0x3f2aaada
	v_cvt_f32_i32_e32 v12, v32
	v_sub_f32_e32 v13, v26, v13
	v_sub_f32_e32 v13, v23, v13
	v_ldexp_f32 v23, v13, 1
	v_mul_f32_e32 v13, v26, v28
	v_pk_mul_f32 v[28:29], v[12:13], v[24:25]
	v_ldexp_f32 v27, v26, 1
	v_fma_f32 v26, v12, s15, -v28
	v_fmac_f32_e32 v26, 0xb102e308, v12
	v_pk_add_f32 v[12:13], v[28:29], v[26:27]
	v_mov_b32_e32 v30, v28
	v_sub_f32_e32 v25, v13, v27
	v_sub_f32_e32 v25, v29, v25
	v_add_f32_e32 v31, v23, v25
	v_pk_add_f32 v[28:29], v[12:13], v[28:29] neg_lo:[0,1] neg_hi:[0,1]
	v_pk_add_f32 v[32:33], v[12:13], v[30:31]
	v_mov_b32_e32 v27, v12
	v_mov_b32_e32 v29, v33
	v_pk_add_f32 v[34:35], v[26:27], v[28:29] neg_lo:[0,1] neg_hi:[0,1]
	v_pk_add_f32 v[26:27], v[26:27], v[28:29]
	v_mov_b32_e32 v30, v31
	v_mov_b32_e32 v28, v27
	v_pk_add_f32 v[36:37], v[28:29], v[12:13] neg_lo:[0,1] neg_hi:[0,1]
	v_mov_b32_e32 v26, v33
	v_mov_b32_e32 v23, v36
	v_pk_add_f32 v[38:39], v[32:33], v[22:23] neg_lo:[0,1] neg_hi:[0,1]
	v_mov_b32_e32 v32, v13
	v_mov_b32_e32 v33, v36
	;; [unrolled: 1-line block ×3, first 2 shown]
	v_pk_add_f32 v[26:27], v[26:27], v[32:33] neg_lo:[0,1] neg_hi:[0,1]
	v_mov_b32_e32 v31, v12
	v_pk_add_f32 v[12:13], v[30:31], v[26:27] neg_lo:[0,1] neg_hi:[0,1]
	v_mov_b32_e32 v38, v34
	v_pk_add_f32 v[26:27], v[38:39], v[12:13]
	s_nop 0
	v_mov_b32_e32 v30, v27
	v_pk_add_f32 v[30:31], v[26:27], v[30:31]
	s_nop 0
	v_pk_add_f32 v[28:29], v[28:29], v[30:31]
	v_mov_b32_e32 v13, v30
	v_mov_b32_e32 v27, v28
	v_pk_add_f32 v[32:33], v[26:27], v[34:35] neg_lo:[0,1] neg_hi:[0,1]
	s_nop 0
	v_sub_f32_e32 v23, v26, v32
	v_pk_add_f32 v[12:13], v[12:13], v[32:33] neg_lo:[0,1] neg_hi:[0,1]
	v_sub_f32_e32 v23, v34, v23
	v_add_f32_e32 v12, v12, v23
	v_add_f32_e32 v12, v12, v13
	;; [unrolled: 1-line block ×3, first 2 shown]
	v_cndmask_b32_e32 v145, v12, v40, vcc
.LBB26_83:                              ;   in Loop: Header=BB26_13 Depth=1
	s_or_b64 exec, exec, s[4:5]
	v_lshlrev_b32_e32 v12, 16, v14
	v_readlane_b32 s2, v167, 2
	s_nop 1
	v_add_f32_e32 v146, s2, v12
	v_readlane_b32 s2, v167, 30
	v_cmp_ge_f32_e32 vcc, s6, v146
	v_readlane_b32 s3, v167, 31
	s_and_b64 s[2:3], s[2:3], vcc
	s_and_saveexec_b64 s[4:5], s[2:3]
	s_cbranch_execz .LBB26_85
; %bb.84:                               ;   in Loop: Header=BB26_13 Depth=1
	v_mul_f32_e32 v12, 0x3fb8aa3b, v146
	v_rndne_f32_e32 v13, v12
	v_sub_f32_e32 v23, v12, v13
	v_fma_f32 v12, v146, s10, -v12
	v_fmac_f32_e32 v12, 0x32a5705f, v146
	v_add_f32_e32 v12, v23, v12
	v_cvt_i32_f32_e32 v13, v13
	v_exp_f32_e32 v12, v12
	v_cmp_ngt_f32_e32 vcc, s11, v146
	v_ldexp_f32 v12, v12, v13
	s_nop 0
	v_cndmask_b32_e32 v12, 0, v12, vcc
	v_cmp_nlt_f32_e32 vcc, s12, v146
	s_nop 1
	v_cndmask_b32_e32 v40, v138, v12, vcc
	v_add_f32_e32 v23, 1.0, v40
	v_add_f32_e32 v12, -1.0, v23
	v_sub_f32_e32 v13, v12, v23
	v_add_f32_e32 v13, 1.0, v13
	v_sub_f32_e32 v12, v40, v12
	v_add_f32_e32 v25, v12, v13
	v_frexp_mant_f32_e32 v26, v23
	v_cvt_f64_f32_e32 v[12:13], v23
	v_frexp_exp_i32_f64_e32 v12, v[12:13]
	v_cmp_gt_f32_e32 vcc, s14, v26
	v_cmp_gt_f32_e64 s[60:61], s16, v40
	s_nop 0
	v_subbrev_co_u32_e32 v32, vcc, 0, v12, vcc
	v_sub_u32_e32 v12, 0, v32
	v_ldexp_f32 v13, v23, v12
	v_add_f32_e32 v23, -1.0, v13
	v_add_f32_e32 v26, 1.0, v13
	v_ldexp_f32 v12, v25, v12
	v_add_f32_e32 v25, 1.0, v23
	v_add_f32_e32 v27, -1.0, v26
	v_sub_f32_e32 v25, v13, v25
	v_sub_f32_e32 v13, v13, v27
	v_add_f32_e32 v25, v12, v25
	v_add_f32_e32 v12, v12, v13
	;; [unrolled: 1-line block ×3, first 2 shown]
	v_rcp_f32_e32 v35, v33
	v_sub_f32_e32 v13, v26, v33
	v_add_f32_e32 v34, v12, v13
	v_add_f32_e32 v13, v23, v25
	v_sub_f32_e32 v12, v23, v13
	v_add_f32_e32 v23, v25, v12
	v_mul_f32_e32 v25, v13, v35
	v_mul_f32_e32 v26, v33, v25
	v_fma_f32 v28, v25, v33, -v26
	v_fmac_f32_e32 v28, v25, v34
	v_add_f32_e32 v12, v26, v28
	v_sub_f32_e32 v27, v13, v12
	v_pk_add_f32 v[30:31], v[12:13], v[26:27] neg_lo:[0,1] neg_hi:[0,1]
	v_mov_b32_e32 v29, v12
	v_pk_add_f32 v[12:13], v[30:31], v[28:29] neg_lo:[0,1] neg_hi:[0,1]
	v_cmp_eq_f32_e32 vcc, s13, v40
	v_add_f32_e32 v13, v23, v13
	v_add_f32_e32 v12, v12, v13
	;; [unrolled: 1-line block ×3, first 2 shown]
	v_mul_f32_e32 v23, v35, v13
	v_mul_f32_e32 v26, v33, v23
	v_fma_f32 v28, v23, v33, -v26
	v_fmac_f32_e32 v28, v23, v34
	v_sub_f32_e32 v27, v27, v13
	v_add_f32_e32 v33, v12, v27
	v_add_f32_e32 v12, v26, v28
	v_sub_f32_e32 v27, v13, v12
	v_pk_add_f32 v[30:31], v[12:13], v[26:27] neg_lo:[0,1] neg_hi:[0,1]
	v_mov_b32_e32 v29, v12
	v_pk_add_f32 v[12:13], v[30:31], v[28:29] neg_lo:[0,1] neg_hi:[0,1]
	s_or_b64 vcc, s[60:61], vcc
	v_add_f32_e32 v13, v33, v13
	v_add_f32_e32 v12, v12, v13
	;; [unrolled: 1-line block ×4, first 2 shown]
	v_sub_f32_e32 v25, v13, v25
	v_mul_f32_e32 v12, v35, v12
	v_sub_f32_e32 v23, v23, v25
	v_add_f32_e32 v23, v23, v12
	v_add_f32_e32 v26, v13, v23
	v_mul_f32_e32 v28, v26, v26
	v_fmamk_f32 v12, v28, 0x3e9b6dac, v137
	v_fmaak_f32 v25, v28, v12, 0x3f2aaada
	v_cvt_f32_i32_e32 v12, v32
	v_sub_f32_e32 v13, v26, v13
	v_sub_f32_e32 v13, v23, v13
	v_ldexp_f32 v23, v13, 1
	v_mul_f32_e32 v13, v26, v28
	v_pk_mul_f32 v[28:29], v[12:13], v[24:25]
	v_ldexp_f32 v27, v26, 1
	v_fma_f32 v26, v12, s15, -v28
	v_fmac_f32_e32 v26, 0xb102e308, v12
	v_pk_add_f32 v[12:13], v[28:29], v[26:27]
	v_mov_b32_e32 v30, v28
	v_sub_f32_e32 v25, v13, v27
	v_sub_f32_e32 v25, v29, v25
	v_add_f32_e32 v31, v23, v25
	v_pk_add_f32 v[28:29], v[12:13], v[28:29] neg_lo:[0,1] neg_hi:[0,1]
	v_pk_add_f32 v[32:33], v[12:13], v[30:31]
	v_mov_b32_e32 v27, v12
	v_mov_b32_e32 v29, v33
	v_pk_add_f32 v[34:35], v[26:27], v[28:29] neg_lo:[0,1] neg_hi:[0,1]
	v_pk_add_f32 v[26:27], v[26:27], v[28:29]
	v_mov_b32_e32 v30, v31
	v_mov_b32_e32 v28, v27
	v_pk_add_f32 v[36:37], v[28:29], v[12:13] neg_lo:[0,1] neg_hi:[0,1]
	v_mov_b32_e32 v26, v33
	v_mov_b32_e32 v23, v36
	v_pk_add_f32 v[38:39], v[32:33], v[22:23] neg_lo:[0,1] neg_hi:[0,1]
	v_mov_b32_e32 v32, v13
	v_mov_b32_e32 v33, v36
	;; [unrolled: 1-line block ×3, first 2 shown]
	v_pk_add_f32 v[26:27], v[26:27], v[32:33] neg_lo:[0,1] neg_hi:[0,1]
	v_mov_b32_e32 v31, v12
	v_pk_add_f32 v[12:13], v[30:31], v[26:27] neg_lo:[0,1] neg_hi:[0,1]
	v_mov_b32_e32 v38, v34
	v_pk_add_f32 v[26:27], v[38:39], v[12:13]
	s_nop 0
	v_mov_b32_e32 v30, v27
	v_pk_add_f32 v[30:31], v[26:27], v[30:31]
	s_nop 0
	v_pk_add_f32 v[28:29], v[28:29], v[30:31]
	v_mov_b32_e32 v13, v30
	v_mov_b32_e32 v27, v28
	v_pk_add_f32 v[32:33], v[26:27], v[34:35] neg_lo:[0,1] neg_hi:[0,1]
	s_nop 0
	v_sub_f32_e32 v23, v26, v32
	v_pk_add_f32 v[12:13], v[12:13], v[32:33] neg_lo:[0,1] neg_hi:[0,1]
	v_sub_f32_e32 v23, v34, v23
	v_add_f32_e32 v12, v12, v23
	v_add_f32_e32 v12, v12, v13
	;; [unrolled: 1-line block ×3, first 2 shown]
	v_cndmask_b32_e32 v146, v12, v40, vcc
.LBB26_85:                              ;   in Loop: Header=BB26_13 Depth=1
	s_or_b64 exec, exec, s[4:5]
	v_and_b32_e32 v12, 0xffff0000, v14
	v_readlane_b32 s2, v167, 2
	s_nop 1
	v_add_f32_e32 v147, s2, v12
	v_readlane_b32 s2, v167, 30
	v_cmp_ge_f32_e32 vcc, s6, v147
	v_readlane_b32 s3, v167, 31
	s_and_b64 s[2:3], s[2:3], vcc
	s_and_saveexec_b64 s[4:5], s[2:3]
	s_cbranch_execz .LBB26_87
; %bb.86:                               ;   in Loop: Header=BB26_13 Depth=1
	v_mul_f32_e32 v12, 0x3fb8aa3b, v147
	v_rndne_f32_e32 v13, v12
	v_sub_f32_e32 v14, v12, v13
	v_fma_f32 v12, v147, s10, -v12
	v_fmac_f32_e32 v12, 0x32a5705f, v147
	v_add_f32_e32 v12, v14, v12
	v_cvt_i32_f32_e32 v13, v13
	v_exp_f32_e32 v12, v12
	v_cmp_ngt_f32_e32 vcc, s11, v147
	v_ldexp_f32 v12, v12, v13
	s_nop 0
	v_cndmask_b32_e32 v12, 0, v12, vcc
	v_cmp_nlt_f32_e32 vcc, s12, v147
	s_nop 1
	v_cndmask_b32_e32 v38, v138, v12, vcc
	v_add_f32_e32 v14, 1.0, v38
	v_add_f32_e32 v12, -1.0, v14
	v_sub_f32_e32 v13, v12, v14
	v_add_f32_e32 v13, 1.0, v13
	v_sub_f32_e32 v12, v38, v12
	v_add_f32_e32 v23, v12, v13
	v_frexp_mant_f32_e32 v25, v14
	v_cvt_f64_f32_e32 v[12:13], v14
	v_frexp_exp_i32_f64_e32 v12, v[12:13]
	v_cmp_gt_f32_e32 vcc, s14, v25
	v_cmp_gt_f32_e64 s[60:61], s16, v38
	s_nop 0
	v_subbrev_co_u32_e32 v32, vcc, 0, v12, vcc
	v_sub_u32_e32 v12, 0, v32
	v_ldexp_f32 v13, v14, v12
	v_add_f32_e32 v14, -1.0, v13
	v_add_f32_e32 v25, 1.0, v13
	v_ldexp_f32 v12, v23, v12
	v_add_f32_e32 v23, 1.0, v14
	v_add_f32_e32 v26, -1.0, v25
	v_sub_f32_e32 v23, v13, v23
	v_sub_f32_e32 v13, v13, v26
	v_add_f32_e32 v23, v12, v23
	v_add_f32_e32 v12, v12, v13
	v_add_f32_e32 v33, v25, v12
	v_rcp_f32_e32 v34, v33
	v_sub_f32_e32 v13, v25, v33
	v_add_f32_e32 v25, v12, v13
	v_add_f32_e32 v13, v14, v23
	v_sub_f32_e32 v12, v14, v13
	v_add_f32_e32 v14, v23, v12
	v_mul_f32_e32 v23, v13, v34
	v_mul_f32_e32 v26, v33, v23
	v_fma_f32 v28, v23, v33, -v26
	v_fmac_f32_e32 v28, v23, v25
	v_add_f32_e32 v12, v26, v28
	v_sub_f32_e32 v27, v13, v12
	v_pk_add_f32 v[30:31], v[12:13], v[26:27] neg_lo:[0,1] neg_hi:[0,1]
	v_mov_b32_e32 v29, v12
	v_pk_add_f32 v[12:13], v[30:31], v[28:29] neg_lo:[0,1] neg_hi:[0,1]
	v_cmp_eq_f32_e32 vcc, s13, v38
	v_add_f32_e32 v13, v14, v13
	v_add_f32_e32 v12, v12, v13
	v_add_f32_e32 v13, v27, v12
	v_mul_f32_e32 v14, v34, v13
	v_mul_f32_e32 v26, v33, v14
	v_fma_f32 v28, v14, v33, -v26
	v_fmac_f32_e32 v28, v14, v25
	v_sub_f32_e32 v25, v27, v13
	v_add_f32_e32 v25, v12, v25
	v_add_f32_e32 v12, v26, v28
	v_sub_f32_e32 v27, v13, v12
	v_pk_add_f32 v[30:31], v[12:13], v[26:27] neg_lo:[0,1] neg_hi:[0,1]
	v_mov_b32_e32 v29, v12
	v_pk_add_f32 v[12:13], v[30:31], v[28:29] neg_lo:[0,1] neg_hi:[0,1]
	s_or_b64 vcc, s[60:61], vcc
	v_add_f32_e32 v13, v25, v13
	v_add_f32_e32 v12, v12, v13
	v_add_f32_e32 v13, v23, v14
	v_add_f32_e32 v12, v27, v12
	v_sub_f32_e32 v23, v13, v23
	v_mul_f32_e32 v12, v34, v12
	v_sub_f32_e32 v14, v14, v23
	v_add_f32_e32 v14, v14, v12
	v_add_f32_e32 v23, v13, v14
	v_mul_f32_e32 v26, v23, v23
	v_fmamk_f32 v12, v26, 0x3e9b6dac, v137
	v_fmaak_f32 v25, v26, v12, 0x3f2aaada
	v_cvt_f32_i32_e32 v12, v32
	v_sub_f32_e32 v13, v23, v13
	v_sub_f32_e32 v13, v14, v13
	v_ldexp_f32 v14, v13, 1
	v_mul_f32_e32 v13, v23, v26
	v_pk_mul_f32 v[28:29], v[12:13], v[24:25]
	v_ldexp_f32 v27, v23, 1
	v_fma_f32 v26, v12, s15, -v28
	v_fmac_f32_e32 v26, 0xb102e308, v12
	v_pk_add_f32 v[12:13], v[28:29], v[26:27]
	v_mov_b32_e32 v30, v28
	v_sub_f32_e32 v23, v13, v27
	v_sub_f32_e32 v23, v29, v23
	v_add_f32_e32 v31, v14, v23
	v_pk_add_f32 v[28:29], v[12:13], v[28:29] neg_lo:[0,1] neg_hi:[0,1]
	v_pk_add_f32 v[32:33], v[12:13], v[30:31]
	v_mov_b32_e32 v27, v12
	v_mov_b32_e32 v29, v33
	v_pk_add_f32 v[34:35], v[26:27], v[28:29] neg_lo:[0,1] neg_hi:[0,1]
	v_pk_add_f32 v[26:27], v[26:27], v[28:29]
	s_nop 0
	v_mov_b32_e32 v14, v27
	v_pk_add_f32 v[28:29], v[14:15], v[12:13] neg_lo:[0,1] neg_hi:[0,1]
	v_mov_b32_e32 v26, v33
	v_mov_b32_e32 v23, v28
	v_pk_add_f32 v[36:37], v[32:33], v[22:23] neg_lo:[0,1] neg_hi:[0,1]
	v_mov_b32_e32 v32, v13
	v_mov_b32_e32 v33, v28
	;; [unrolled: 1-line block ×3, first 2 shown]
	v_pk_add_f32 v[26:27], v[26:27], v[32:33] neg_lo:[0,1] neg_hi:[0,1]
	v_mov_b32_e32 v28, v31
	v_mov_b32_e32 v29, v12
	v_pk_add_f32 v[12:13], v[28:29], v[26:27] neg_lo:[0,1] neg_hi:[0,1]
	v_mov_b32_e32 v36, v34
	v_pk_add_f32 v[26:27], v[36:37], v[12:13]
	s_nop 0
	v_mov_b32_e32 v28, v27
	v_pk_add_f32 v[28:29], v[26:27], v[28:29]
	s_nop 0
	v_pk_add_f32 v[30:31], v[14:15], v[28:29]
	v_mov_b32_e32 v13, v28
	v_mov_b32_e32 v27, v30
	v_pk_add_f32 v[32:33], v[26:27], v[34:35] neg_lo:[0,1] neg_hi:[0,1]
	s_nop 0
	v_sub_f32_e32 v14, v26, v32
	v_pk_add_f32 v[12:13], v[12:13], v[32:33] neg_lo:[0,1] neg_hi:[0,1]
	v_sub_f32_e32 v14, v34, v14
	v_add_f32_e32 v12, v12, v14
	v_add_f32_e32 v12, v12, v13
	;; [unrolled: 1-line block ×3, first 2 shown]
	v_cndmask_b32_e32 v147, v12, v38, vcc
.LBB26_87:                              ;   in Loop: Header=BB26_13 Depth=1
	s_or_b64 exec, exec, s[4:5]
	v_lshlrev_b32_e32 v12, 16, v15
	v_readlane_b32 s2, v167, 2
	s_nop 1
	v_add_f32_e32 v148, s2, v12
	v_readlane_b32 s2, v167, 30
	v_cmp_ge_f32_e32 vcc, s6, v148
	v_readlane_b32 s3, v167, 31
	s_and_b64 s[2:3], s[2:3], vcc
	s_and_saveexec_b64 s[4:5], s[2:3]
	s_cbranch_execz .LBB26_89
; %bb.88:                               ;   in Loop: Header=BB26_13 Depth=1
	v_mul_f32_e32 v12, 0x3fb8aa3b, v148
	v_rndne_f32_e32 v13, v12
	v_sub_f32_e32 v14, v12, v13
	v_fma_f32 v12, v148, s10, -v12
	v_fmac_f32_e32 v12, 0x32a5705f, v148
	v_add_f32_e32 v12, v14, v12
	v_cvt_i32_f32_e32 v13, v13
	v_exp_f32_e32 v12, v12
	v_cmp_ngt_f32_e32 vcc, s11, v148
	v_ldexp_f32 v12, v12, v13
	s_nop 0
	v_cndmask_b32_e32 v12, 0, v12, vcc
	v_cmp_nlt_f32_e32 vcc, s12, v148
	s_nop 1
	v_cndmask_b32_e32 v38, v138, v12, vcc
	v_add_f32_e32 v14, 1.0, v38
	v_add_f32_e32 v12, -1.0, v14
	v_sub_f32_e32 v13, v12, v14
	v_add_f32_e32 v13, 1.0, v13
	v_sub_f32_e32 v12, v38, v12
	v_add_f32_e32 v23, v12, v13
	v_frexp_mant_f32_e32 v25, v14
	v_cvt_f64_f32_e32 v[12:13], v14
	v_frexp_exp_i32_f64_e32 v12, v[12:13]
	v_cmp_gt_f32_e32 vcc, s14, v25
	v_cmp_gt_f32_e64 s[60:61], s16, v38
	s_nop 0
	v_subbrev_co_u32_e32 v32, vcc, 0, v12, vcc
	v_sub_u32_e32 v12, 0, v32
	v_ldexp_f32 v13, v14, v12
	v_add_f32_e32 v14, -1.0, v13
	v_add_f32_e32 v25, 1.0, v13
	v_ldexp_f32 v12, v23, v12
	v_add_f32_e32 v23, 1.0, v14
	v_add_f32_e32 v26, -1.0, v25
	v_sub_f32_e32 v23, v13, v23
	v_sub_f32_e32 v13, v13, v26
	v_add_f32_e32 v23, v12, v23
	v_add_f32_e32 v12, v12, v13
	;; [unrolled: 1-line block ×3, first 2 shown]
	v_rcp_f32_e32 v34, v33
	v_sub_f32_e32 v13, v25, v33
	v_add_f32_e32 v25, v12, v13
	v_add_f32_e32 v13, v14, v23
	v_sub_f32_e32 v12, v14, v13
	v_add_f32_e32 v14, v23, v12
	v_mul_f32_e32 v23, v13, v34
	v_mul_f32_e32 v26, v33, v23
	v_fma_f32 v28, v23, v33, -v26
	v_fmac_f32_e32 v28, v23, v25
	v_add_f32_e32 v12, v26, v28
	v_sub_f32_e32 v27, v13, v12
	v_pk_add_f32 v[30:31], v[12:13], v[26:27] neg_lo:[0,1] neg_hi:[0,1]
	v_mov_b32_e32 v29, v12
	v_pk_add_f32 v[12:13], v[30:31], v[28:29] neg_lo:[0,1] neg_hi:[0,1]
	v_cmp_eq_f32_e32 vcc, s13, v38
	v_add_f32_e32 v13, v14, v13
	v_add_f32_e32 v12, v12, v13
	;; [unrolled: 1-line block ×3, first 2 shown]
	v_mul_f32_e32 v14, v34, v13
	v_mul_f32_e32 v26, v33, v14
	v_fma_f32 v28, v14, v33, -v26
	v_fmac_f32_e32 v28, v14, v25
	v_sub_f32_e32 v25, v27, v13
	v_add_f32_e32 v25, v12, v25
	v_add_f32_e32 v12, v26, v28
	v_sub_f32_e32 v27, v13, v12
	v_pk_add_f32 v[30:31], v[12:13], v[26:27] neg_lo:[0,1] neg_hi:[0,1]
	v_mov_b32_e32 v29, v12
	v_pk_add_f32 v[12:13], v[30:31], v[28:29] neg_lo:[0,1] neg_hi:[0,1]
	s_or_b64 vcc, s[60:61], vcc
	v_add_f32_e32 v13, v25, v13
	v_add_f32_e32 v12, v12, v13
	;; [unrolled: 1-line block ×4, first 2 shown]
	v_sub_f32_e32 v23, v13, v23
	v_mul_f32_e32 v12, v34, v12
	v_sub_f32_e32 v14, v14, v23
	v_add_f32_e32 v14, v14, v12
	v_add_f32_e32 v23, v13, v14
	v_mul_f32_e32 v26, v23, v23
	v_fmamk_f32 v12, v26, 0x3e9b6dac, v137
	v_fmaak_f32 v25, v26, v12, 0x3f2aaada
	v_cvt_f32_i32_e32 v12, v32
	v_sub_f32_e32 v13, v23, v13
	v_sub_f32_e32 v13, v14, v13
	v_ldexp_f32 v14, v13, 1
	v_mul_f32_e32 v13, v23, v26
	v_pk_mul_f32 v[28:29], v[12:13], v[24:25]
	v_ldexp_f32 v27, v23, 1
	v_fma_f32 v26, v12, s15, -v28
	v_fmac_f32_e32 v26, 0xb102e308, v12
	v_pk_add_f32 v[12:13], v[28:29], v[26:27]
	v_mov_b32_e32 v30, v28
	v_sub_f32_e32 v23, v13, v27
	v_sub_f32_e32 v23, v29, v23
	v_add_f32_e32 v31, v14, v23
	v_pk_add_f32 v[28:29], v[12:13], v[28:29] neg_lo:[0,1] neg_hi:[0,1]
	v_pk_add_f32 v[32:33], v[12:13], v[30:31]
	v_mov_b32_e32 v27, v12
	v_mov_b32_e32 v29, v33
	v_pk_add_f32 v[34:35], v[26:27], v[28:29] neg_lo:[0,1] neg_hi:[0,1]
	v_pk_add_f32 v[26:27], v[26:27], v[28:29]
	s_nop 0
	v_mov_b32_e32 v14, v27
	v_pk_add_f32 v[28:29], v[14:15], v[12:13] neg_lo:[0,1] neg_hi:[0,1]
	v_mov_b32_e32 v26, v33
	v_mov_b32_e32 v23, v28
	v_pk_add_f32 v[36:37], v[32:33], v[22:23] neg_lo:[0,1] neg_hi:[0,1]
	v_mov_b32_e32 v32, v13
	v_mov_b32_e32 v33, v28
	;; [unrolled: 1-line block ×3, first 2 shown]
	v_pk_add_f32 v[26:27], v[26:27], v[32:33] neg_lo:[0,1] neg_hi:[0,1]
	v_mov_b32_e32 v28, v31
	v_mov_b32_e32 v29, v12
	v_pk_add_f32 v[12:13], v[28:29], v[26:27] neg_lo:[0,1] neg_hi:[0,1]
	v_mov_b32_e32 v36, v34
	v_pk_add_f32 v[26:27], v[36:37], v[12:13]
	s_nop 0
	v_mov_b32_e32 v28, v27
	v_pk_add_f32 v[28:29], v[26:27], v[28:29]
	s_nop 0
	v_pk_add_f32 v[30:31], v[14:15], v[28:29]
	v_mov_b32_e32 v13, v28
	v_mov_b32_e32 v27, v30
	v_pk_add_f32 v[32:33], v[26:27], v[34:35] neg_lo:[0,1] neg_hi:[0,1]
	s_nop 0
	v_sub_f32_e32 v14, v26, v32
	v_pk_add_f32 v[12:13], v[12:13], v[32:33] neg_lo:[0,1] neg_hi:[0,1]
	v_sub_f32_e32 v14, v34, v14
	v_add_f32_e32 v12, v12, v14
	v_add_f32_e32 v12, v12, v13
	;; [unrolled: 1-line block ×3, first 2 shown]
	v_cndmask_b32_e32 v148, v12, v38, vcc
.LBB26_89:                              ;   in Loop: Header=BB26_13 Depth=1
	s_or_b64 exec, exec, s[4:5]
	v_and_b32_e32 v12, 0xffff0000, v15
	v_readlane_b32 s2, v167, 2
	s_nop 1
	v_add_f32_e32 v149, s2, v12
	v_readlane_b32 s2, v167, 30
	v_cmp_ge_f32_e32 vcc, s6, v149
	v_readlane_b32 s3, v167, 31
	s_and_b64 s[2:3], s[2:3], vcc
	s_and_saveexec_b64 s[4:5], s[2:3]
	s_cbranch_execz .LBB26_91
; %bb.90:                               ;   in Loop: Header=BB26_13 Depth=1
	v_mul_f32_e32 v12, 0x3fb8aa3b, v149
	v_rndne_f32_e32 v13, v12
	v_sub_f32_e32 v14, v12, v13
	v_fma_f32 v12, v149, s10, -v12
	v_fmac_f32_e32 v12, 0x32a5705f, v149
	v_add_f32_e32 v12, v14, v12
	v_cvt_i32_f32_e32 v13, v13
	v_exp_f32_e32 v12, v12
	v_cmp_ngt_f32_e32 vcc, s11, v149
	v_ldexp_f32 v12, v12, v13
	s_nop 0
	v_cndmask_b32_e32 v12, 0, v12, vcc
	v_cmp_nlt_f32_e32 vcc, s12, v149
	s_nop 1
	v_cndmask_b32_e32 v38, v138, v12, vcc
	v_add_f32_e32 v14, 1.0, v38
	v_add_f32_e32 v12, -1.0, v14
	v_sub_f32_e32 v13, v12, v14
	v_add_f32_e32 v13, 1.0, v13
	v_sub_f32_e32 v12, v38, v12
	v_add_f32_e32 v15, v12, v13
	v_frexp_mant_f32_e32 v23, v14
	v_cvt_f64_f32_e32 v[12:13], v14
	v_frexp_exp_i32_f64_e32 v12, v[12:13]
	v_cmp_gt_f32_e32 vcc, s14, v23
	v_cmp_gt_f32_e64 s[60:61], s16, v38
	s_nop 0
	v_subbrev_co_u32_e32 v23, vcc, 0, v12, vcc
	v_sub_u32_e32 v12, 0, v23
	v_ldexp_f32 v13, v14, v12
	v_add_f32_e32 v14, -1.0, v13
	v_add_f32_e32 v25, 1.0, v13
	v_ldexp_f32 v12, v15, v12
	v_add_f32_e32 v15, 1.0, v14
	v_add_f32_e32 v26, -1.0, v25
	v_sub_f32_e32 v15, v13, v15
	v_sub_f32_e32 v13, v13, v26
	v_add_f32_e32 v15, v12, v15
	v_add_f32_e32 v12, v12, v13
	;; [unrolled: 1-line block ×3, first 2 shown]
	v_rcp_f32_e32 v31, v30
	v_sub_f32_e32 v13, v25, v30
	v_add_f32_e32 v25, v12, v13
	v_add_f32_e32 v13, v14, v15
	v_mul_f32_e32 v33, v13, v31
	v_sub_f32_e32 v12, v14, v13
	v_mul_f32_e32 v14, v30, v33
	v_fma_f32 v26, v33, v30, -v14
	v_fmac_f32_e32 v26, v33, v25
	v_add_f32_e32 v32, v15, v12
	v_add_f32_e32 v12, v14, v26
	v_sub_f32_e32 v15, v13, v12
	v_pk_add_f32 v[28:29], v[12:13], v[14:15] neg_lo:[0,1] neg_hi:[0,1]
	v_mov_b32_e32 v27, v12
	v_pk_add_f32 v[12:13], v[28:29], v[26:27] neg_lo:[0,1] neg_hi:[0,1]
	v_cmp_eq_f32_e32 vcc, s13, v38
	v_add_f32_e32 v13, v32, v13
	v_add_f32_e32 v12, v12, v13
	;; [unrolled: 1-line block ×3, first 2 shown]
	v_mul_f32_e32 v32, v31, v13
	v_mul_f32_e32 v14, v30, v32
	v_fma_f32 v26, v32, v30, -v14
	v_fmac_f32_e32 v26, v32, v25
	v_sub_f32_e32 v15, v15, v13
	v_add_f32_e32 v25, v12, v15
	v_add_f32_e32 v12, v14, v26
	v_sub_f32_e32 v15, v13, v12
	v_pk_add_f32 v[28:29], v[12:13], v[14:15] neg_lo:[0,1] neg_hi:[0,1]
	v_mov_b32_e32 v27, v12
	v_pk_add_f32 v[12:13], v[28:29], v[26:27] neg_lo:[0,1] neg_hi:[0,1]
	s_or_b64 vcc, s[60:61], vcc
	v_add_f32_e32 v13, v25, v13
	v_add_f32_e32 v12, v12, v13
	;; [unrolled: 1-line block ×4, first 2 shown]
	v_sub_f32_e32 v14, v13, v33
	v_mul_f32_e32 v12, v31, v12
	v_sub_f32_e32 v14, v32, v14
	v_add_f32_e32 v14, v14, v12
	v_add_f32_e32 v26, v13, v14
	v_mul_f32_e32 v27, v26, v26
	v_fmamk_f32 v12, v27, 0x3e9b6dac, v137
	v_fmaak_f32 v25, v27, v12, 0x3f2aaada
	v_cvt_f32_i32_e32 v12, v23
	v_sub_f32_e32 v13, v26, v13
	v_sub_f32_e32 v13, v14, v13
	v_ldexp_f32 v23, v13, 1
	v_mul_f32_e32 v13, v26, v27
	v_ldexp_f32 v15, v26, 1
	v_pk_mul_f32 v[26:27], v[12:13], v[24:25]
	s_nop 0
	v_fma_f32 v14, v12, s15, -v26
	v_fmac_f32_e32 v14, 0xb102e308, v12
	v_pk_add_f32 v[12:13], v[26:27], v[14:15]
	v_mov_b32_e32 v28, v26
	v_sub_f32_e32 v15, v13, v15
	v_sub_f32_e32 v15, v27, v15
	v_add_f32_e32 v29, v23, v15
	v_pk_add_f32 v[26:27], v[12:13], v[26:27] neg_lo:[0,1] neg_hi:[0,1]
	v_pk_add_f32 v[30:31], v[12:13], v[28:29]
	v_mov_b32_e32 v15, v12
	v_mov_b32_e32 v27, v31
	v_pk_add_f32 v[32:33], v[14:15], v[26:27] neg_lo:[0,1] neg_hi:[0,1]
	v_pk_add_f32 v[14:15], v[14:15], v[26:27]
	v_mov_b32_e32 v28, v29
	v_mov_b32_e32 v26, v15
	v_pk_add_f32 v[34:35], v[26:27], v[12:13] neg_lo:[0,1] neg_hi:[0,1]
	v_mov_b32_e32 v14, v31
	v_mov_b32_e32 v23, v34
	v_pk_add_f32 v[36:37], v[30:31], v[22:23] neg_lo:[0,1] neg_hi:[0,1]
	v_mov_b32_e32 v30, v13
	v_mov_b32_e32 v31, v34
	;; [unrolled: 1-line block ×3, first 2 shown]
	v_pk_add_f32 v[14:15], v[14:15], v[30:31] neg_lo:[0,1] neg_hi:[0,1]
	v_mov_b32_e32 v29, v12
	v_pk_add_f32 v[12:13], v[28:29], v[14:15] neg_lo:[0,1] neg_hi:[0,1]
	v_mov_b32_e32 v36, v32
	v_pk_add_f32 v[14:15], v[36:37], v[12:13]
	s_nop 0
	v_mov_b32_e32 v28, v15
	v_pk_add_f32 v[28:29], v[14:15], v[28:29]
	s_nop 0
	v_pk_add_f32 v[26:27], v[26:27], v[28:29]
	v_mov_b32_e32 v13, v28
	v_mov_b32_e32 v15, v26
	v_pk_add_f32 v[30:31], v[14:15], v[32:33] neg_lo:[0,1] neg_hi:[0,1]
	s_nop 0
	v_sub_f32_e32 v14, v14, v30
	v_pk_add_f32 v[12:13], v[12:13], v[30:31] neg_lo:[0,1] neg_hi:[0,1]
	v_sub_f32_e32 v14, v32, v14
	v_add_f32_e32 v12, v12, v14
	v_add_f32_e32 v12, v12, v13
	;; [unrolled: 1-line block ×3, first 2 shown]
	v_cndmask_b32_e32 v149, v12, v38, vcc
.LBB26_91:                              ;   in Loop: Header=BB26_13 Depth=1
	s_or_b64 exec, exec, s[4:5]
	s_waitcnt lgkmcnt(0)
	v_lshlrev_b32_e32 v12, 16, v8
	v_readlane_b32 s2, v167, 2
	s_nop 1
	v_add_f32_e32 v150, s2, v12
	v_readlane_b32 s2, v167, 30
	v_cmp_ge_f32_e32 vcc, s6, v150
	v_readlane_b32 s3, v167, 31
	s_and_b64 s[2:3], s[2:3], vcc
	s_and_saveexec_b64 s[4:5], s[2:3]
	s_cbranch_execz .LBB26_93
; %bb.92:                               ;   in Loop: Header=BB26_13 Depth=1
	v_mul_f32_e32 v12, 0x3fb8aa3b, v150
	v_rndne_f32_e32 v13, v12
	v_sub_f32_e32 v14, v12, v13
	v_fma_f32 v12, v150, s10, -v12
	v_fmac_f32_e32 v12, 0x32a5705f, v150
	v_add_f32_e32 v12, v14, v12
	v_cvt_i32_f32_e32 v13, v13
	v_exp_f32_e32 v12, v12
	v_cmp_ngt_f32_e32 vcc, s11, v150
	v_ldexp_f32 v12, v12, v13
	s_nop 0
	v_cndmask_b32_e32 v12, 0, v12, vcc
	v_cmp_nlt_f32_e32 vcc, s12, v150
	s_nop 1
	v_cndmask_b32_e32 v38, v138, v12, vcc
	v_add_f32_e32 v14, 1.0, v38
	v_add_f32_e32 v12, -1.0, v14
	v_sub_f32_e32 v13, v12, v14
	v_add_f32_e32 v13, 1.0, v13
	v_sub_f32_e32 v12, v38, v12
	v_add_f32_e32 v15, v12, v13
	v_frexp_mant_f32_e32 v23, v14
	v_cvt_f64_f32_e32 v[12:13], v14
	v_frexp_exp_i32_f64_e32 v12, v[12:13]
	v_cmp_gt_f32_e32 vcc, s14, v23
	v_cmp_gt_f32_e64 s[60:61], s16, v38
	s_nop 0
	v_subbrev_co_u32_e32 v23, vcc, 0, v12, vcc
	v_sub_u32_e32 v12, 0, v23
	v_ldexp_f32 v13, v14, v12
	v_add_f32_e32 v14, -1.0, v13
	v_add_f32_e32 v25, 1.0, v13
	v_ldexp_f32 v12, v15, v12
	v_add_f32_e32 v15, 1.0, v14
	v_add_f32_e32 v26, -1.0, v25
	v_sub_f32_e32 v15, v13, v15
	v_sub_f32_e32 v13, v13, v26
	v_add_f32_e32 v15, v12, v15
	v_add_f32_e32 v12, v12, v13
	;; [unrolled: 1-line block ×3, first 2 shown]
	v_rcp_f32_e32 v31, v30
	v_sub_f32_e32 v13, v25, v30
	v_add_f32_e32 v25, v12, v13
	v_add_f32_e32 v13, v14, v15
	v_mul_f32_e32 v33, v13, v31
	v_sub_f32_e32 v12, v14, v13
	v_mul_f32_e32 v14, v30, v33
	v_fma_f32 v26, v33, v30, -v14
	v_fmac_f32_e32 v26, v33, v25
	v_add_f32_e32 v32, v15, v12
	v_add_f32_e32 v12, v14, v26
	v_sub_f32_e32 v15, v13, v12
	v_pk_add_f32 v[28:29], v[12:13], v[14:15] neg_lo:[0,1] neg_hi:[0,1]
	v_mov_b32_e32 v27, v12
	v_pk_add_f32 v[12:13], v[28:29], v[26:27] neg_lo:[0,1] neg_hi:[0,1]
	v_cmp_eq_f32_e32 vcc, s13, v38
	v_add_f32_e32 v13, v32, v13
	v_add_f32_e32 v12, v12, v13
	;; [unrolled: 1-line block ×3, first 2 shown]
	v_mul_f32_e32 v32, v31, v13
	v_mul_f32_e32 v14, v30, v32
	v_fma_f32 v26, v32, v30, -v14
	v_fmac_f32_e32 v26, v32, v25
	v_sub_f32_e32 v15, v15, v13
	v_add_f32_e32 v25, v12, v15
	v_add_f32_e32 v12, v14, v26
	v_sub_f32_e32 v15, v13, v12
	v_pk_add_f32 v[28:29], v[12:13], v[14:15] neg_lo:[0,1] neg_hi:[0,1]
	v_mov_b32_e32 v27, v12
	v_pk_add_f32 v[12:13], v[28:29], v[26:27] neg_lo:[0,1] neg_hi:[0,1]
	s_or_b64 vcc, s[60:61], vcc
	v_add_f32_e32 v13, v25, v13
	v_add_f32_e32 v12, v12, v13
	;; [unrolled: 1-line block ×4, first 2 shown]
	v_sub_f32_e32 v14, v13, v33
	v_mul_f32_e32 v12, v31, v12
	v_sub_f32_e32 v14, v32, v14
	v_add_f32_e32 v14, v14, v12
	v_add_f32_e32 v26, v13, v14
	v_mul_f32_e32 v27, v26, v26
	v_fmamk_f32 v12, v27, 0x3e9b6dac, v137
	v_fmaak_f32 v25, v27, v12, 0x3f2aaada
	v_cvt_f32_i32_e32 v12, v23
	v_sub_f32_e32 v13, v26, v13
	v_sub_f32_e32 v13, v14, v13
	v_ldexp_f32 v23, v13, 1
	v_mul_f32_e32 v13, v26, v27
	v_ldexp_f32 v15, v26, 1
	v_pk_mul_f32 v[26:27], v[12:13], v[24:25]
	s_nop 0
	v_fma_f32 v14, v12, s15, -v26
	v_fmac_f32_e32 v14, 0xb102e308, v12
	v_pk_add_f32 v[12:13], v[26:27], v[14:15]
	v_mov_b32_e32 v28, v26
	v_sub_f32_e32 v15, v13, v15
	v_sub_f32_e32 v15, v27, v15
	v_add_f32_e32 v29, v23, v15
	v_pk_add_f32 v[26:27], v[12:13], v[26:27] neg_lo:[0,1] neg_hi:[0,1]
	v_pk_add_f32 v[30:31], v[12:13], v[28:29]
	v_mov_b32_e32 v15, v12
	v_mov_b32_e32 v27, v31
	v_pk_add_f32 v[32:33], v[14:15], v[26:27] neg_lo:[0,1] neg_hi:[0,1]
	v_pk_add_f32 v[14:15], v[14:15], v[26:27]
	v_mov_b32_e32 v28, v29
	v_mov_b32_e32 v26, v15
	v_pk_add_f32 v[34:35], v[26:27], v[12:13] neg_lo:[0,1] neg_hi:[0,1]
	v_mov_b32_e32 v14, v31
	v_mov_b32_e32 v23, v34
	v_pk_add_f32 v[36:37], v[30:31], v[22:23] neg_lo:[0,1] neg_hi:[0,1]
	v_mov_b32_e32 v30, v13
	v_mov_b32_e32 v31, v34
	;; [unrolled: 1-line block ×3, first 2 shown]
	v_pk_add_f32 v[14:15], v[14:15], v[30:31] neg_lo:[0,1] neg_hi:[0,1]
	v_mov_b32_e32 v29, v12
	v_pk_add_f32 v[12:13], v[28:29], v[14:15] neg_lo:[0,1] neg_hi:[0,1]
	v_mov_b32_e32 v36, v32
	v_pk_add_f32 v[14:15], v[36:37], v[12:13]
	s_nop 0
	v_mov_b32_e32 v28, v15
	v_pk_add_f32 v[28:29], v[14:15], v[28:29]
	s_nop 0
	v_pk_add_f32 v[26:27], v[26:27], v[28:29]
	v_mov_b32_e32 v13, v28
	v_mov_b32_e32 v15, v26
	v_pk_add_f32 v[30:31], v[14:15], v[32:33] neg_lo:[0,1] neg_hi:[0,1]
	s_nop 0
	v_sub_f32_e32 v14, v14, v30
	v_pk_add_f32 v[12:13], v[12:13], v[30:31] neg_lo:[0,1] neg_hi:[0,1]
	v_sub_f32_e32 v14, v32, v14
	v_add_f32_e32 v12, v12, v14
	v_add_f32_e32 v12, v12, v13
	v_add_f32_e32 v12, v26, v12
	v_cndmask_b32_e32 v150, v12, v38, vcc
.LBB26_93:                              ;   in Loop: Header=BB26_13 Depth=1
	s_or_b64 exec, exec, s[4:5]
	v_and_b32_e32 v8, 0xffff0000, v8
	v_readlane_b32 s2, v167, 2
	s_nop 1
	v_add_f32_e32 v151, s2, v8
	v_readlane_b32 s2, v167, 30
	v_cmp_ge_f32_e32 vcc, s6, v151
	v_readlane_b32 s3, v167, 31
	s_and_b64 s[2:3], s[2:3], vcc
	s_and_saveexec_b64 s[4:5], s[2:3]
	s_cbranch_execz .LBB26_95
; %bb.94:                               ;   in Loop: Header=BB26_13 Depth=1
	v_mul_f32_e32 v8, 0x3fb8aa3b, v151
	v_rndne_f32_e32 v12, v8
	v_sub_f32_e32 v13, v8, v12
	v_fma_f32 v8, v151, s10, -v8
	v_fmac_f32_e32 v8, 0x32a5705f, v151
	v_add_f32_e32 v8, v13, v8
	v_cvt_i32_f32_e32 v12, v12
	v_exp_f32_e32 v8, v8
	v_cmp_ngt_f32_e32 vcc, s11, v151
	v_ldexp_f32 v8, v8, v12
	s_nop 0
	v_cndmask_b32_e32 v8, 0, v8, vcc
	v_cmp_nlt_f32_e32 vcc, s12, v151
	s_nop 1
	v_cndmask_b32_e32 v36, v138, v8, vcc
	v_add_f32_e32 v8, 1.0, v36
	v_add_f32_e32 v12, -1.0, v8
	v_sub_f32_e32 v13, v12, v8
	v_add_f32_e32 v13, 1.0, v13
	v_sub_f32_e32 v12, v36, v12
	v_add_f32_e32 v14, v12, v13
	v_frexp_mant_f32_e32 v15, v8
	v_cvt_f64_f32_e32 v[12:13], v8
	v_frexp_exp_i32_f64_e32 v12, v[12:13]
	v_cmp_gt_f32_e32 vcc, s14, v15
	v_cmp_gt_f32_e64 s[60:61], s16, v36
	s_nop 0
	v_subbrev_co_u32_e32 v23, vcc, 0, v12, vcc
	v_sub_u32_e32 v12, 0, v23
	v_ldexp_f32 v8, v8, v12
	v_ldexp_f32 v12, v14, v12
	v_add_f32_e32 v14, -1.0, v8
	v_add_f32_e32 v13, 1.0, v14
	v_sub_f32_e32 v13, v8, v13
	v_add_f32_e32 v15, v12, v13
	v_add_f32_e32 v13, 1.0, v8
	v_add_f32_e32 v25, -1.0, v13
	v_sub_f32_e32 v8, v8, v25
	v_add_f32_e32 v8, v12, v8
	v_add_f32_e32 v25, v13, v8
	v_rcp_f32_e32 v30, v25
	v_sub_f32_e32 v12, v13, v25
	v_add_f32_e32 v13, v14, v15
	v_add_f32_e32 v8, v8, v12
	v_mul_f32_e32 v32, v13, v30
	v_sub_f32_e32 v12, v14, v13
	v_mul_f32_e32 v14, v25, v32
	v_fma_f32 v26, v32, v25, -v14
	v_fmac_f32_e32 v26, v32, v8
	v_add_f32_e32 v31, v15, v12
	v_add_f32_e32 v12, v14, v26
	v_sub_f32_e32 v15, v13, v12
	v_pk_add_f32 v[28:29], v[12:13], v[14:15] neg_lo:[0,1] neg_hi:[0,1]
	v_mov_b32_e32 v27, v12
	v_pk_add_f32 v[12:13], v[28:29], v[26:27] neg_lo:[0,1] neg_hi:[0,1]
	v_cmp_eq_f32_e32 vcc, s13, v36
	v_add_f32_e32 v13, v31, v13
	v_add_f32_e32 v12, v12, v13
	;; [unrolled: 1-line block ×3, first 2 shown]
	v_mul_f32_e32 v31, v30, v13
	v_mul_f32_e32 v14, v25, v31
	v_fma_f32 v26, v31, v25, -v14
	v_fmac_f32_e32 v26, v31, v8
	v_sub_f32_e32 v8, v15, v13
	v_add_f32_e32 v8, v12, v8
	v_add_f32_e32 v12, v14, v26
	v_sub_f32_e32 v15, v13, v12
	v_pk_add_f32 v[28:29], v[12:13], v[14:15] neg_lo:[0,1] neg_hi:[0,1]
	v_mov_b32_e32 v27, v12
	v_pk_add_f32 v[12:13], v[28:29], v[26:27] neg_lo:[0,1] neg_hi:[0,1]
	s_or_b64 vcc, s[60:61], vcc
	v_add_f32_e32 v8, v8, v13
	v_add_f32_e32 v8, v12, v8
	;; [unrolled: 1-line block ×4, first 2 shown]
	v_sub_f32_e32 v12, v13, v32
	v_mul_f32_e32 v8, v30, v8
	v_sub_f32_e32 v12, v31, v12
	v_add_f32_e32 v8, v12, v8
	v_add_f32_e32 v14, v13, v8
	v_mul_f32_e32 v26, v14, v14
	v_fmamk_f32 v12, v26, 0x3e9b6dac, v137
	v_fmaak_f32 v25, v26, v12, 0x3f2aaada
	v_cvt_f32_i32_e32 v12, v23
	v_sub_f32_e32 v13, v14, v13
	v_sub_f32_e32 v8, v8, v13
	v_mul_f32_e32 v13, v14, v26
	v_pk_mul_f32 v[26:27], v[12:13], v[24:25]
	v_ldexp_f32 v15, v14, 1
	v_fma_f32 v14, v12, s15, -v26
	v_fmac_f32_e32 v14, 0xb102e308, v12
	v_pk_add_f32 v[12:13], v[26:27], v[14:15]
	v_ldexp_f32 v8, v8, 1
	v_sub_f32_e32 v15, v13, v15
	v_sub_f32_e32 v15, v27, v15
	v_add_f32_e32 v29, v8, v15
	v_mov_b32_e32 v28, v26
	v_pk_add_f32 v[26:27], v[12:13], v[26:27] neg_lo:[0,1] neg_hi:[0,1]
	v_pk_add_f32 v[30:31], v[12:13], v[28:29]
	v_mov_b32_e32 v15, v12
	v_mov_b32_e32 v27, v31
	v_pk_add_f32 v[32:33], v[14:15], v[26:27] neg_lo:[0,1] neg_hi:[0,1]
	v_pk_add_f32 v[14:15], v[14:15], v[26:27]
	s_nop 0
	v_mov_b32_e32 v8, v15
	v_pk_add_f32 v[26:27], v[8:9], v[12:13] neg_lo:[0,1] neg_hi:[0,1]
	v_mov_b32_e32 v14, v31
	v_mov_b32_e32 v23, v26
	v_pk_add_f32 v[34:35], v[30:31], v[22:23] neg_lo:[0,1] neg_hi:[0,1]
	v_mov_b32_e32 v30, v13
	v_mov_b32_e32 v31, v26
	;; [unrolled: 1-line block ×3, first 2 shown]
	v_pk_add_f32 v[14:15], v[14:15], v[30:31] neg_lo:[0,1] neg_hi:[0,1]
	v_mov_b32_e32 v26, v29
	v_mov_b32_e32 v27, v12
	v_pk_add_f32 v[12:13], v[26:27], v[14:15] neg_lo:[0,1] neg_hi:[0,1]
	v_mov_b32_e32 v34, v32
	v_pk_add_f32 v[14:15], v[34:35], v[12:13]
	s_nop 0
	v_mov_b32_e32 v26, v15
	v_pk_add_f32 v[26:27], v[14:15], v[26:27]
	s_nop 0
	v_pk_add_f32 v[28:29], v[8:9], v[26:27]
	v_mov_b32_e32 v13, v26
	v_mov_b32_e32 v15, v28
	v_pk_add_f32 v[30:31], v[14:15], v[32:33] neg_lo:[0,1] neg_hi:[0,1]
	s_nop 0
	v_sub_f32_e32 v8, v14, v30
	v_pk_add_f32 v[12:13], v[12:13], v[30:31] neg_lo:[0,1] neg_hi:[0,1]
	v_sub_f32_e32 v8, v32, v8
	v_add_f32_e32 v8, v12, v8
	v_add_f32_e32 v8, v8, v13
	;; [unrolled: 1-line block ×3, first 2 shown]
	v_cndmask_b32_e32 v151, v8, v36, vcc
.LBB26_95:                              ;   in Loop: Header=BB26_13 Depth=1
	s_or_b64 exec, exec, s[4:5]
	v_lshlrev_b32_e32 v8, 16, v9
	v_readlane_b32 s2, v167, 2
	s_nop 1
	v_add_f32_e32 v152, s2, v8
	v_readlane_b32 s2, v167, 30
	v_cmp_ge_f32_e32 vcc, s6, v152
	v_readlane_b32 s3, v167, 31
	s_and_b64 s[2:3], s[2:3], vcc
	s_and_saveexec_b64 s[4:5], s[2:3]
	s_cbranch_execz .LBB26_97
; %bb.96:                               ;   in Loop: Header=BB26_13 Depth=1
	v_mul_f32_e32 v8, 0x3fb8aa3b, v152
	v_rndne_f32_e32 v12, v8
	v_sub_f32_e32 v13, v8, v12
	v_fma_f32 v8, v152, s10, -v8
	v_fmac_f32_e32 v8, 0x32a5705f, v152
	v_add_f32_e32 v8, v13, v8
	v_cvt_i32_f32_e32 v12, v12
	v_exp_f32_e32 v8, v8
	v_cmp_ngt_f32_e32 vcc, s11, v152
	v_ldexp_f32 v8, v8, v12
	s_nop 0
	v_cndmask_b32_e32 v8, 0, v8, vcc
	v_cmp_nlt_f32_e32 vcc, s12, v152
	s_nop 1
	v_cndmask_b32_e32 v36, v138, v8, vcc
	v_add_f32_e32 v8, 1.0, v36
	v_add_f32_e32 v12, -1.0, v8
	v_sub_f32_e32 v13, v12, v8
	v_add_f32_e32 v13, 1.0, v13
	v_sub_f32_e32 v12, v36, v12
	v_add_f32_e32 v14, v12, v13
	v_frexp_mant_f32_e32 v15, v8
	v_cvt_f64_f32_e32 v[12:13], v8
	v_frexp_exp_i32_f64_e32 v12, v[12:13]
	v_cmp_gt_f32_e32 vcc, s14, v15
	v_cmp_gt_f32_e64 s[60:61], s16, v36
	s_nop 0
	v_subbrev_co_u32_e32 v23, vcc, 0, v12, vcc
	v_sub_u32_e32 v12, 0, v23
	v_ldexp_f32 v8, v8, v12
	v_ldexp_f32 v12, v14, v12
	v_add_f32_e32 v14, -1.0, v8
	v_add_f32_e32 v13, 1.0, v14
	v_sub_f32_e32 v13, v8, v13
	v_add_f32_e32 v15, v12, v13
	v_add_f32_e32 v13, 1.0, v8
	v_add_f32_e32 v25, -1.0, v13
	v_sub_f32_e32 v8, v8, v25
	v_add_f32_e32 v8, v12, v8
	v_add_f32_e32 v25, v13, v8
	v_rcp_f32_e32 v30, v25
	v_sub_f32_e32 v12, v13, v25
	v_add_f32_e32 v13, v14, v15
	v_add_f32_e32 v8, v8, v12
	v_mul_f32_e32 v32, v13, v30
	v_sub_f32_e32 v12, v14, v13
	v_mul_f32_e32 v14, v25, v32
	v_fma_f32 v26, v32, v25, -v14
	v_fmac_f32_e32 v26, v32, v8
	v_add_f32_e32 v31, v15, v12
	v_add_f32_e32 v12, v14, v26
	v_sub_f32_e32 v15, v13, v12
	v_pk_add_f32 v[28:29], v[12:13], v[14:15] neg_lo:[0,1] neg_hi:[0,1]
	v_mov_b32_e32 v27, v12
	v_pk_add_f32 v[12:13], v[28:29], v[26:27] neg_lo:[0,1] neg_hi:[0,1]
	v_cmp_eq_f32_e32 vcc, s13, v36
	v_add_f32_e32 v13, v31, v13
	v_add_f32_e32 v12, v12, v13
	;; [unrolled: 1-line block ×3, first 2 shown]
	v_mul_f32_e32 v31, v30, v13
	v_mul_f32_e32 v14, v25, v31
	v_fma_f32 v26, v31, v25, -v14
	v_fmac_f32_e32 v26, v31, v8
	v_sub_f32_e32 v8, v15, v13
	v_add_f32_e32 v8, v12, v8
	v_add_f32_e32 v12, v14, v26
	v_sub_f32_e32 v15, v13, v12
	v_pk_add_f32 v[28:29], v[12:13], v[14:15] neg_lo:[0,1] neg_hi:[0,1]
	v_mov_b32_e32 v27, v12
	v_pk_add_f32 v[12:13], v[28:29], v[26:27] neg_lo:[0,1] neg_hi:[0,1]
	s_or_b64 vcc, s[60:61], vcc
	v_add_f32_e32 v8, v8, v13
	v_add_f32_e32 v8, v12, v8
	;; [unrolled: 1-line block ×4, first 2 shown]
	v_sub_f32_e32 v12, v13, v32
	v_mul_f32_e32 v8, v30, v8
	v_sub_f32_e32 v12, v31, v12
	v_add_f32_e32 v8, v12, v8
	v_add_f32_e32 v14, v13, v8
	v_mul_f32_e32 v26, v14, v14
	v_fmamk_f32 v12, v26, 0x3e9b6dac, v137
	v_fmaak_f32 v25, v26, v12, 0x3f2aaada
	v_cvt_f32_i32_e32 v12, v23
	v_sub_f32_e32 v13, v14, v13
	v_sub_f32_e32 v8, v8, v13
	v_mul_f32_e32 v13, v14, v26
	v_pk_mul_f32 v[26:27], v[12:13], v[24:25]
	v_ldexp_f32 v15, v14, 1
	v_fma_f32 v14, v12, s15, -v26
	v_fmac_f32_e32 v14, 0xb102e308, v12
	v_pk_add_f32 v[12:13], v[26:27], v[14:15]
	v_ldexp_f32 v8, v8, 1
	v_sub_f32_e32 v15, v13, v15
	v_sub_f32_e32 v15, v27, v15
	v_add_f32_e32 v29, v8, v15
	v_mov_b32_e32 v28, v26
	v_pk_add_f32 v[26:27], v[12:13], v[26:27] neg_lo:[0,1] neg_hi:[0,1]
	v_pk_add_f32 v[30:31], v[12:13], v[28:29]
	v_mov_b32_e32 v15, v12
	v_mov_b32_e32 v27, v31
	v_pk_add_f32 v[32:33], v[14:15], v[26:27] neg_lo:[0,1] neg_hi:[0,1]
	v_pk_add_f32 v[14:15], v[14:15], v[26:27]
	s_nop 0
	v_mov_b32_e32 v8, v15
	v_pk_add_f32 v[26:27], v[8:9], v[12:13] neg_lo:[0,1] neg_hi:[0,1]
	v_mov_b32_e32 v14, v31
	v_mov_b32_e32 v23, v26
	v_pk_add_f32 v[34:35], v[30:31], v[22:23] neg_lo:[0,1] neg_hi:[0,1]
	v_mov_b32_e32 v30, v13
	v_mov_b32_e32 v31, v26
	;; [unrolled: 1-line block ×3, first 2 shown]
	v_pk_add_f32 v[14:15], v[14:15], v[30:31] neg_lo:[0,1] neg_hi:[0,1]
	v_mov_b32_e32 v26, v29
	v_mov_b32_e32 v27, v12
	v_pk_add_f32 v[12:13], v[26:27], v[14:15] neg_lo:[0,1] neg_hi:[0,1]
	v_mov_b32_e32 v34, v32
	v_pk_add_f32 v[14:15], v[34:35], v[12:13]
	s_nop 0
	v_mov_b32_e32 v26, v15
	v_pk_add_f32 v[26:27], v[14:15], v[26:27]
	s_nop 0
	v_pk_add_f32 v[28:29], v[8:9], v[26:27]
	v_mov_b32_e32 v13, v26
	v_mov_b32_e32 v15, v28
	v_pk_add_f32 v[30:31], v[14:15], v[32:33] neg_lo:[0,1] neg_hi:[0,1]
	s_nop 0
	v_sub_f32_e32 v8, v14, v30
	v_pk_add_f32 v[12:13], v[12:13], v[30:31] neg_lo:[0,1] neg_hi:[0,1]
	v_sub_f32_e32 v8, v32, v8
	v_add_f32_e32 v8, v12, v8
	v_add_f32_e32 v8, v8, v13
	;; [unrolled: 1-line block ×3, first 2 shown]
	v_cndmask_b32_e32 v152, v8, v36, vcc
.LBB26_97:                              ;   in Loop: Header=BB26_13 Depth=1
	s_or_b64 exec, exec, s[4:5]
	v_and_b32_e32 v8, 0xffff0000, v9
	v_readlane_b32 s2, v167, 2
	s_nop 1
	v_add_f32_e32 v153, s2, v8
	v_readlane_b32 s2, v167, 30
	v_cmp_ge_f32_e32 vcc, s6, v153
	v_readlane_b32 s3, v167, 31
	s_and_b64 s[2:3], s[2:3], vcc
	s_and_saveexec_b64 s[4:5], s[2:3]
	s_cbranch_execz .LBB26_99
; %bb.98:                               ;   in Loop: Header=BB26_13 Depth=1
	v_mul_f32_e32 v8, 0x3fb8aa3b, v153
	v_rndne_f32_e32 v9, v8
	v_sub_f32_e32 v12, v8, v9
	v_fma_f32 v8, v153, s10, -v8
	v_fmac_f32_e32 v8, 0x32a5705f, v153
	v_add_f32_e32 v8, v12, v8
	v_cvt_i32_f32_e32 v9, v9
	v_exp_f32_e32 v8, v8
	v_cmp_ngt_f32_e32 vcc, s11, v153
	v_ldexp_f32 v8, v8, v9
	s_nop 0
	v_cndmask_b32_e32 v8, 0, v8, vcc
	v_cmp_nlt_f32_e32 vcc, s12, v153
	s_nop 1
	v_cndmask_b32_e32 v23, v138, v8, vcc
	v_add_f32_e32 v12, 1.0, v23
	v_add_f32_e32 v8, -1.0, v12
	v_sub_f32_e32 v9, v8, v12
	v_add_f32_e32 v9, 1.0, v9
	v_sub_f32_e32 v8, v23, v8
	v_add_f32_e32 v13, v8, v9
	v_frexp_mant_f32_e32 v14, v12
	v_cvt_f64_f32_e32 v[8:9], v12
	v_frexp_exp_i32_f64_e32 v8, v[8:9]
	v_cmp_gt_f32_e32 vcc, s14, v14
	v_cmp_gt_f32_e64 s[60:61], s16, v23
	s_nop 0
	v_subbrev_co_u32_e32 v28, vcc, 0, v8, vcc
	v_sub_u32_e32 v8, 0, v28
	v_ldexp_f32 v9, v12, v8
	v_add_f32_e32 v12, -1.0, v9
	v_add_f32_e32 v14, 1.0, v9
	v_ldexp_f32 v8, v13, v8
	v_add_f32_e32 v13, 1.0, v12
	v_add_f32_e32 v15, -1.0, v14
	v_sub_f32_e32 v13, v9, v13
	v_sub_f32_e32 v9, v9, v15
	v_add_f32_e32 v13, v8, v13
	v_add_f32_e32 v8, v8, v9
	v_add_f32_e32 v25, v14, v8
	v_rcp_f32_e32 v30, v25
	v_sub_f32_e32 v9, v14, v25
	v_add_f32_e32 v29, v8, v9
	v_add_f32_e32 v9, v12, v13
	v_mul_f32_e32 v32, v9, v30
	v_sub_f32_e32 v8, v12, v9
	v_mul_f32_e32 v12, v25, v32
	v_fma_f32 v14, v32, v25, -v12
	v_fmac_f32_e32 v14, v32, v29
	v_add_f32_e32 v31, v13, v8
	v_add_f32_e32 v8, v12, v14
	v_sub_f32_e32 v13, v9, v8
	v_pk_add_f32 v[26:27], v[8:9], v[12:13] neg_lo:[0,1] neg_hi:[0,1]
	v_mov_b32_e32 v15, v8
	v_pk_add_f32 v[8:9], v[26:27], v[14:15] neg_lo:[0,1] neg_hi:[0,1]
	v_cmp_eq_f32_e32 vcc, s13, v23
	v_add_f32_e32 v9, v31, v9
	v_add_f32_e32 v8, v8, v9
	;; [unrolled: 1-line block ×3, first 2 shown]
	v_mul_f32_e32 v31, v30, v9
	v_mul_f32_e32 v12, v25, v31
	v_fma_f32 v14, v31, v25, -v12
	v_fmac_f32_e32 v14, v31, v29
	v_sub_f32_e32 v13, v13, v9
	v_add_f32_e32 v25, v8, v13
	v_add_f32_e32 v8, v12, v14
	v_sub_f32_e32 v13, v9, v8
	v_pk_add_f32 v[26:27], v[8:9], v[12:13] neg_lo:[0,1] neg_hi:[0,1]
	v_mov_b32_e32 v15, v8
	v_pk_add_f32 v[8:9], v[26:27], v[14:15] neg_lo:[0,1] neg_hi:[0,1]
	s_or_b64 vcc, s[60:61], vcc
	v_add_f32_e32 v9, v25, v9
	v_add_f32_e32 v8, v8, v9
	;; [unrolled: 1-line block ×4, first 2 shown]
	v_sub_f32_e32 v12, v9, v32
	v_mul_f32_e32 v8, v30, v8
	v_sub_f32_e32 v12, v31, v12
	v_add_f32_e32 v12, v12, v8
	v_add_f32_e32 v14, v9, v12
	v_mul_f32_e32 v15, v14, v14
	v_fmamk_f32 v8, v15, 0x3e9b6dac, v137
	v_fmaak_f32 v25, v15, v8, 0x3f2aaada
	v_cvt_f32_i32_e32 v8, v28
	v_sub_f32_e32 v9, v14, v9
	v_sub_f32_e32 v9, v12, v9
	v_ldexp_f32 v26, v9, 1
	v_mul_f32_e32 v9, v14, v15
	v_ldexp_f32 v13, v14, 1
	v_pk_mul_f32 v[14:15], v[8:9], v[24:25]
	s_nop 0
	v_fma_f32 v12, v8, s15, -v14
	v_fmac_f32_e32 v12, 0xb102e308, v8
	v_pk_add_f32 v[8:9], v[14:15], v[12:13]
	s_nop 0
	v_sub_f32_e32 v13, v9, v13
	v_sub_f32_e32 v13, v15, v13
	v_add_f32_e32 v27, v26, v13
	v_mov_b32_e32 v26, v14
	v_pk_add_f32 v[14:15], v[8:9], v[14:15] neg_lo:[0,1] neg_hi:[0,1]
	v_pk_add_f32 v[28:29], v[8:9], v[26:27]
	v_mov_b32_e32 v13, v8
	v_mov_b32_e32 v15, v29
	v_pk_add_f32 v[30:31], v[12:13], v[14:15] neg_lo:[0,1] neg_hi:[0,1]
	v_pk_add_f32 v[12:13], v[12:13], v[14:15]
	v_mov_b32_e32 v26, v27
	v_mov_b32_e32 v14, v13
	v_pk_add_f32 v[32:33], v[14:15], v[8:9] neg_lo:[0,1] neg_hi:[0,1]
	v_mov_b32_e32 v12, v29
	v_mov_b32_e32 v15, v32
	v_pk_add_f32 v[34:35], v[28:29], v[14:15] neg_lo:[0,1] neg_hi:[0,1]
	v_mov_b32_e32 v28, v9
	v_mov_b32_e32 v29, v32
	;; [unrolled: 1-line block ×3, first 2 shown]
	v_pk_add_f32 v[12:13], v[12:13], v[28:29] neg_lo:[0,1] neg_hi:[0,1]
	v_mov_b32_e32 v27, v8
	v_pk_add_f32 v[8:9], v[26:27], v[12:13] neg_lo:[0,1] neg_hi:[0,1]
	v_mov_b32_e32 v34, v30
	v_pk_add_f32 v[12:13], v[34:35], v[8:9]
	s_nop 0
	v_mov_b32_e32 v26, v13
	v_pk_add_f32 v[26:27], v[12:13], v[26:27]
	s_nop 0
	v_pk_add_f32 v[14:15], v[14:15], v[26:27]
	v_mov_b32_e32 v9, v26
	v_mov_b32_e32 v13, v14
	v_pk_add_f32 v[28:29], v[12:13], v[30:31] neg_lo:[0,1] neg_hi:[0,1]
	s_nop 0
	v_sub_f32_e32 v12, v12, v28
	v_pk_add_f32 v[8:9], v[8:9], v[28:29] neg_lo:[0,1] neg_hi:[0,1]
	v_sub_f32_e32 v12, v30, v12
	v_add_f32_e32 v8, v8, v12
	v_add_f32_e32 v8, v8, v9
	v_add_f32_e32 v8, v14, v8
	v_cndmask_b32_e32 v153, v8, v23, vcc
.LBB26_99:                              ;   in Loop: Header=BB26_13 Depth=1
	s_or_b64 exec, exec, s[4:5]
	v_lshlrev_b32_e32 v8, 16, v10
	v_readlane_b32 s2, v167, 2
	s_nop 1
	v_add_f32_e32 v154, s2, v8
	v_readlane_b32 s2, v167, 30
	v_cmp_ge_f32_e32 vcc, s6, v154
	v_readlane_b32 s3, v167, 31
	s_and_b64 s[2:3], s[2:3], vcc
	s_and_saveexec_b64 s[4:5], s[2:3]
	s_cbranch_execz .LBB26_101
; %bb.100:                              ;   in Loop: Header=BB26_13 Depth=1
	v_mul_f32_e32 v8, 0x3fb8aa3b, v154
	v_rndne_f32_e32 v9, v8
	v_sub_f32_e32 v12, v8, v9
	v_fma_f32 v8, v154, s10, -v8
	v_fmac_f32_e32 v8, 0x32a5705f, v154
	v_add_f32_e32 v8, v12, v8
	v_cvt_i32_f32_e32 v9, v9
	v_exp_f32_e32 v8, v8
	v_cmp_ngt_f32_e32 vcc, s11, v154
	v_ldexp_f32 v8, v8, v9
	s_nop 0
	v_cndmask_b32_e32 v8, 0, v8, vcc
	v_cmp_nlt_f32_e32 vcc, s12, v154
	s_nop 1
	v_cndmask_b32_e32 v23, v138, v8, vcc
	v_add_f32_e32 v12, 1.0, v23
	v_add_f32_e32 v8, -1.0, v12
	v_sub_f32_e32 v9, v8, v12
	v_add_f32_e32 v9, 1.0, v9
	v_sub_f32_e32 v8, v23, v8
	v_add_f32_e32 v13, v8, v9
	v_frexp_mant_f32_e32 v14, v12
	v_cvt_f64_f32_e32 v[8:9], v12
	v_frexp_exp_i32_f64_e32 v8, v[8:9]
	v_cmp_gt_f32_e32 vcc, s14, v14
	v_cmp_gt_f32_e64 s[60:61], s16, v23
	s_nop 0
	v_subbrev_co_u32_e32 v28, vcc, 0, v8, vcc
	v_sub_u32_e32 v8, 0, v28
	v_ldexp_f32 v9, v12, v8
	v_add_f32_e32 v12, -1.0, v9
	v_add_f32_e32 v14, 1.0, v9
	v_ldexp_f32 v8, v13, v8
	v_add_f32_e32 v13, 1.0, v12
	v_add_f32_e32 v15, -1.0, v14
	v_sub_f32_e32 v13, v9, v13
	v_sub_f32_e32 v9, v9, v15
	v_add_f32_e32 v13, v8, v13
	v_add_f32_e32 v8, v8, v9
	;; [unrolled: 1-line block ×3, first 2 shown]
	v_rcp_f32_e32 v30, v25
	v_sub_f32_e32 v9, v14, v25
	v_add_f32_e32 v29, v8, v9
	v_add_f32_e32 v9, v12, v13
	v_mul_f32_e32 v32, v9, v30
	v_sub_f32_e32 v8, v12, v9
	v_mul_f32_e32 v12, v25, v32
	v_fma_f32 v14, v32, v25, -v12
	v_fmac_f32_e32 v14, v32, v29
	v_add_f32_e32 v31, v13, v8
	v_add_f32_e32 v8, v12, v14
	v_sub_f32_e32 v13, v9, v8
	v_pk_add_f32 v[26:27], v[8:9], v[12:13] neg_lo:[0,1] neg_hi:[0,1]
	v_mov_b32_e32 v15, v8
	v_pk_add_f32 v[8:9], v[26:27], v[14:15] neg_lo:[0,1] neg_hi:[0,1]
	v_cmp_eq_f32_e32 vcc, s13, v23
	v_add_f32_e32 v9, v31, v9
	v_add_f32_e32 v8, v8, v9
	;; [unrolled: 1-line block ×3, first 2 shown]
	v_mul_f32_e32 v31, v30, v9
	v_mul_f32_e32 v12, v25, v31
	v_fma_f32 v14, v31, v25, -v12
	v_fmac_f32_e32 v14, v31, v29
	v_sub_f32_e32 v13, v13, v9
	v_add_f32_e32 v25, v8, v13
	v_add_f32_e32 v8, v12, v14
	v_sub_f32_e32 v13, v9, v8
	v_pk_add_f32 v[26:27], v[8:9], v[12:13] neg_lo:[0,1] neg_hi:[0,1]
	v_mov_b32_e32 v15, v8
	v_pk_add_f32 v[8:9], v[26:27], v[14:15] neg_lo:[0,1] neg_hi:[0,1]
	s_or_b64 vcc, s[60:61], vcc
	v_add_f32_e32 v9, v25, v9
	v_add_f32_e32 v8, v8, v9
	;; [unrolled: 1-line block ×4, first 2 shown]
	v_sub_f32_e32 v12, v9, v32
	v_mul_f32_e32 v8, v30, v8
	v_sub_f32_e32 v12, v31, v12
	v_add_f32_e32 v12, v12, v8
	v_add_f32_e32 v14, v9, v12
	v_mul_f32_e32 v15, v14, v14
	v_fmamk_f32 v8, v15, 0x3e9b6dac, v137
	v_fmaak_f32 v25, v15, v8, 0x3f2aaada
	v_cvt_f32_i32_e32 v8, v28
	v_sub_f32_e32 v9, v14, v9
	v_sub_f32_e32 v9, v12, v9
	v_ldexp_f32 v26, v9, 1
	v_mul_f32_e32 v9, v14, v15
	v_ldexp_f32 v13, v14, 1
	v_pk_mul_f32 v[14:15], v[8:9], v[24:25]
	s_nop 0
	v_fma_f32 v12, v8, s15, -v14
	v_fmac_f32_e32 v12, 0xb102e308, v8
	v_pk_add_f32 v[8:9], v[14:15], v[12:13]
	s_nop 0
	v_sub_f32_e32 v13, v9, v13
	v_sub_f32_e32 v13, v15, v13
	v_add_f32_e32 v27, v26, v13
	v_mov_b32_e32 v26, v14
	v_pk_add_f32 v[14:15], v[8:9], v[14:15] neg_lo:[0,1] neg_hi:[0,1]
	v_pk_add_f32 v[28:29], v[8:9], v[26:27]
	v_mov_b32_e32 v13, v8
	v_mov_b32_e32 v15, v29
	v_pk_add_f32 v[30:31], v[12:13], v[14:15] neg_lo:[0,1] neg_hi:[0,1]
	v_pk_add_f32 v[12:13], v[12:13], v[14:15]
	v_mov_b32_e32 v26, v27
	v_mov_b32_e32 v14, v13
	v_pk_add_f32 v[32:33], v[14:15], v[8:9] neg_lo:[0,1] neg_hi:[0,1]
	v_mov_b32_e32 v12, v29
	v_mov_b32_e32 v15, v32
	v_pk_add_f32 v[34:35], v[28:29], v[14:15] neg_lo:[0,1] neg_hi:[0,1]
	v_mov_b32_e32 v28, v9
	v_mov_b32_e32 v29, v32
	;; [unrolled: 1-line block ×3, first 2 shown]
	v_pk_add_f32 v[12:13], v[12:13], v[28:29] neg_lo:[0,1] neg_hi:[0,1]
	v_mov_b32_e32 v27, v8
	v_pk_add_f32 v[8:9], v[26:27], v[12:13] neg_lo:[0,1] neg_hi:[0,1]
	v_mov_b32_e32 v34, v30
	v_pk_add_f32 v[12:13], v[34:35], v[8:9]
	s_nop 0
	v_mov_b32_e32 v26, v13
	v_pk_add_f32 v[26:27], v[12:13], v[26:27]
	s_nop 0
	v_pk_add_f32 v[14:15], v[14:15], v[26:27]
	v_mov_b32_e32 v9, v26
	v_mov_b32_e32 v13, v14
	v_pk_add_f32 v[28:29], v[12:13], v[30:31] neg_lo:[0,1] neg_hi:[0,1]
	s_nop 0
	v_sub_f32_e32 v12, v12, v28
	v_pk_add_f32 v[8:9], v[8:9], v[28:29] neg_lo:[0,1] neg_hi:[0,1]
	v_sub_f32_e32 v12, v30, v12
	v_add_f32_e32 v8, v8, v12
	v_add_f32_e32 v8, v8, v9
	;; [unrolled: 1-line block ×3, first 2 shown]
	v_cndmask_b32_e32 v154, v8, v23, vcc
.LBB26_101:                             ;   in Loop: Header=BB26_13 Depth=1
	s_or_b64 exec, exec, s[4:5]
	v_and_b32_e32 v8, 0xffff0000, v10
	v_readlane_b32 s2, v167, 2
	s_nop 1
	v_add_f32_e32 v155, s2, v8
	v_readlane_b32 s2, v167, 30
	v_cmp_ge_f32_e32 vcc, s6, v155
	v_readlane_b32 s3, v167, 31
	s_and_b64 s[2:3], s[2:3], vcc
	s_and_saveexec_b64 s[4:5], s[2:3]
	s_cbranch_execz .LBB26_103
; %bb.102:                              ;   in Loop: Header=BB26_13 Depth=1
	v_mul_f32_e32 v8, 0x3fb8aa3b, v155
	v_rndne_f32_e32 v9, v8
	v_sub_f32_e32 v10, v8, v9
	v_fma_f32 v8, v155, s10, -v8
	v_fmac_f32_e32 v8, 0x32a5705f, v155
	v_add_f32_e32 v8, v10, v8
	v_cvt_i32_f32_e32 v9, v9
	v_exp_f32_e32 v8, v8
	v_cmp_ngt_f32_e32 vcc, s11, v155
	v_ldexp_f32 v8, v8, v9
	s_nop 0
	v_cndmask_b32_e32 v8, 0, v8, vcc
	v_cmp_nlt_f32_e32 vcc, s12, v155
	s_nop 1
	v_cndmask_b32_e32 v23, v138, v8, vcc
	v_add_f32_e32 v10, 1.0, v23
	v_add_f32_e32 v8, -1.0, v10
	v_sub_f32_e32 v9, v8, v10
	v_add_f32_e32 v9, 1.0, v9
	v_sub_f32_e32 v8, v23, v8
	v_add_f32_e32 v12, v8, v9
	v_frexp_mant_f32_e32 v13, v10
	v_cvt_f64_f32_e32 v[8:9], v10
	v_frexp_exp_i32_f64_e32 v8, v[8:9]
	v_cmp_gt_f32_e32 vcc, s14, v13
	v_cmp_gt_f32_e64 s[60:61], s16, v23
	s_nop 0
	v_subbrev_co_u32_e32 v28, vcc, 0, v8, vcc
	v_sub_u32_e32 v8, 0, v28
	v_ldexp_f32 v9, v10, v8
	v_add_f32_e32 v10, -1.0, v9
	v_add_f32_e32 v13, 1.0, v9
	v_ldexp_f32 v8, v12, v8
	v_add_f32_e32 v12, 1.0, v10
	v_add_f32_e32 v14, -1.0, v13
	v_sub_f32_e32 v12, v9, v12
	v_sub_f32_e32 v9, v9, v14
	v_add_f32_e32 v12, v8, v12
	v_add_f32_e32 v8, v8, v9
	;; [unrolled: 1-line block ×3, first 2 shown]
	v_rcp_f32_e32 v30, v25
	v_sub_f32_e32 v9, v13, v25
	v_add_f32_e32 v29, v8, v9
	v_add_f32_e32 v9, v10, v12
	v_sub_f32_e32 v8, v10, v9
	v_mul_f32_e32 v31, v9, v30
	v_add_f32_e32 v10, v12, v8
	v_mul_f32_e32 v12, v25, v31
	v_fma_f32 v14, v31, v25, -v12
	v_fmac_f32_e32 v14, v31, v29
	v_add_f32_e32 v8, v12, v14
	v_sub_f32_e32 v13, v9, v8
	v_pk_add_f32 v[26:27], v[8:9], v[12:13] neg_lo:[0,1] neg_hi:[0,1]
	v_mov_b32_e32 v15, v8
	v_pk_add_f32 v[8:9], v[26:27], v[14:15] neg_lo:[0,1] neg_hi:[0,1]
	v_cmp_eq_f32_e32 vcc, s13, v23
	v_add_f32_e32 v9, v10, v9
	v_add_f32_e32 v8, v8, v9
	;; [unrolled: 1-line block ×3, first 2 shown]
	v_mul_f32_e32 v10, v30, v9
	v_mul_f32_e32 v12, v25, v10
	v_fma_f32 v14, v10, v25, -v12
	v_fmac_f32_e32 v14, v10, v29
	v_sub_f32_e32 v13, v13, v9
	v_add_f32_e32 v25, v8, v13
	v_add_f32_e32 v8, v12, v14
	v_sub_f32_e32 v13, v9, v8
	v_pk_add_f32 v[26:27], v[8:9], v[12:13] neg_lo:[0,1] neg_hi:[0,1]
	v_mov_b32_e32 v15, v8
	v_pk_add_f32 v[8:9], v[26:27], v[14:15] neg_lo:[0,1] neg_hi:[0,1]
	s_or_b64 vcc, s[60:61], vcc
	v_add_f32_e32 v9, v25, v9
	v_add_f32_e32 v8, v8, v9
	;; [unrolled: 1-line block ×4, first 2 shown]
	v_sub_f32_e32 v12, v9, v31
	v_mul_f32_e32 v8, v30, v8
	v_sub_f32_e32 v10, v10, v12
	v_add_f32_e32 v10, v10, v8
	v_add_f32_e32 v12, v9, v10
	v_mul_f32_e32 v14, v12, v12
	v_fmamk_f32 v8, v14, 0x3e9b6dac, v137
	v_fmaak_f32 v25, v14, v8, 0x3f2aaada
	v_cvt_f32_i32_e32 v8, v28
	v_sub_f32_e32 v9, v12, v9
	v_sub_f32_e32 v9, v10, v9
	v_ldexp_f32 v10, v9, 1
	v_mul_f32_e32 v9, v12, v14
	v_pk_mul_f32 v[14:15], v[8:9], v[24:25]
	v_ldexp_f32 v13, v12, 1
	v_fma_f32 v12, v8, s15, -v14
	v_fmac_f32_e32 v12, 0xb102e308, v8
	v_pk_add_f32 v[8:9], v[14:15], v[12:13]
	v_mov_b32_e32 v26, v14
	v_sub_f32_e32 v13, v9, v13
	v_sub_f32_e32 v13, v15, v13
	v_add_f32_e32 v27, v10, v13
	v_pk_add_f32 v[14:15], v[8:9], v[14:15] neg_lo:[0,1] neg_hi:[0,1]
	v_pk_add_f32 v[28:29], v[8:9], v[26:27]
	v_mov_b32_e32 v13, v8
	v_mov_b32_e32 v15, v29
	v_pk_add_f32 v[30:31], v[12:13], v[14:15] neg_lo:[0,1] neg_hi:[0,1]
	v_pk_add_f32 v[12:13], v[12:13], v[14:15]
	s_nop 0
	v_mov_b32_e32 v10, v13
	v_pk_add_f32 v[14:15], v[10:11], v[8:9] neg_lo:[0,1] neg_hi:[0,1]
	v_mov_b32_e32 v12, v29
	v_mov_b32_e32 v15, v14
	v_pk_add_f32 v[32:33], v[28:29], v[14:15] neg_lo:[0,1] neg_hi:[0,1]
	v_mov_b32_e32 v28, v9
	v_mov_b32_e32 v29, v14
	;; [unrolled: 1-line block ×3, first 2 shown]
	v_pk_add_f32 v[12:13], v[12:13], v[28:29] neg_lo:[0,1] neg_hi:[0,1]
	v_mov_b32_e32 v14, v27
	v_mov_b32_e32 v15, v8
	v_pk_add_f32 v[8:9], v[14:15], v[12:13] neg_lo:[0,1] neg_hi:[0,1]
	v_mov_b32_e32 v32, v30
	v_pk_add_f32 v[12:13], v[32:33], v[8:9]
	s_nop 0
	v_mov_b32_e32 v14, v13
	v_pk_add_f32 v[14:15], v[12:13], v[14:15]
	s_nop 0
	v_pk_add_f32 v[26:27], v[10:11], v[14:15]
	v_mov_b32_e32 v9, v14
	v_mov_b32_e32 v13, v26
	v_pk_add_f32 v[28:29], v[12:13], v[30:31] neg_lo:[0,1] neg_hi:[0,1]
	s_nop 0
	v_sub_f32_e32 v10, v12, v28
	v_pk_add_f32 v[8:9], v[8:9], v[28:29] neg_lo:[0,1] neg_hi:[0,1]
	v_sub_f32_e32 v10, v30, v10
	v_add_f32_e32 v8, v8, v10
	v_add_f32_e32 v8, v8, v9
	;; [unrolled: 1-line block ×3, first 2 shown]
	v_cndmask_b32_e32 v155, v8, v23, vcc
.LBB26_103:                             ;   in Loop: Header=BB26_13 Depth=1
	s_or_b64 exec, exec, s[4:5]
	v_lshlrev_b32_e32 v8, 16, v11
	v_readlane_b32 s2, v167, 2
	s_nop 1
	v_add_f32_e32 v26, s2, v8
	v_readlane_b32 s2, v167, 30
	v_cmp_ge_f32_e32 vcc, s6, v26
	v_readlane_b32 s3, v167, 31
	s_and_b64 s[2:3], s[2:3], vcc
	s_and_saveexec_b64 s[4:5], s[2:3]
	s_cbranch_execz .LBB26_105
; %bb.104:                              ;   in Loop: Header=BB26_13 Depth=1
	v_mul_f32_e32 v8, 0x3fb8aa3b, v26
	v_rndne_f32_e32 v9, v8
	v_sub_f32_e32 v10, v8, v9
	v_fma_f32 v8, v26, s10, -v8
	v_fmac_f32_e32 v8, 0x32a5705f, v26
	v_add_f32_e32 v8, v10, v8
	v_cvt_i32_f32_e32 v9, v9
	v_exp_f32_e32 v8, v8
	v_cmp_ngt_f32_e32 vcc, s11, v26
	v_ldexp_f32 v8, v8, v9
	s_nop 0
	v_cndmask_b32_e32 v8, 0, v8, vcc
	v_cmp_nlt_f32_e32 vcc, s12, v26
	s_nop 1
	v_cndmask_b32_e32 v23, v138, v8, vcc
	v_add_f32_e32 v10, 1.0, v23
	v_add_f32_e32 v8, -1.0, v10
	v_sub_f32_e32 v9, v8, v10
	v_add_f32_e32 v9, 1.0, v9
	v_sub_f32_e32 v8, v23, v8
	v_add_f32_e32 v12, v8, v9
	v_frexp_mant_f32_e32 v13, v10
	v_cvt_f64_f32_e32 v[8:9], v10
	v_frexp_exp_i32_f64_e32 v8, v[8:9]
	v_cmp_gt_f32_e32 vcc, s14, v13
	v_cmp_gt_f32_e64 s[60:61], s16, v23
	s_nop 0
	v_subbrev_co_u32_e32 v28, vcc, 0, v8, vcc
	v_sub_u32_e32 v8, 0, v28
	v_ldexp_f32 v9, v10, v8
	v_add_f32_e32 v10, -1.0, v9
	v_add_f32_e32 v13, 1.0, v9
	v_ldexp_f32 v8, v12, v8
	v_add_f32_e32 v12, 1.0, v10
	v_add_f32_e32 v14, -1.0, v13
	v_sub_f32_e32 v12, v9, v12
	v_sub_f32_e32 v9, v9, v14
	v_add_f32_e32 v12, v8, v12
	v_add_f32_e32 v8, v8, v9
	;; [unrolled: 1-line block ×3, first 2 shown]
	v_rcp_f32_e32 v30, v25
	v_sub_f32_e32 v9, v13, v25
	v_add_f32_e32 v29, v8, v9
	v_add_f32_e32 v9, v10, v12
	v_sub_f32_e32 v8, v10, v9
	v_mul_f32_e32 v31, v9, v30
	v_add_f32_e32 v10, v12, v8
	v_mul_f32_e32 v12, v25, v31
	v_fma_f32 v14, v31, v25, -v12
	v_fmac_f32_e32 v14, v31, v29
	v_add_f32_e32 v8, v12, v14
	v_sub_f32_e32 v13, v9, v8
	v_pk_add_f32 v[26:27], v[8:9], v[12:13] neg_lo:[0,1] neg_hi:[0,1]
	v_mov_b32_e32 v15, v8
	v_pk_add_f32 v[8:9], v[26:27], v[14:15] neg_lo:[0,1] neg_hi:[0,1]
	v_cmp_eq_f32_e32 vcc, s13, v23
	v_add_f32_e32 v9, v10, v9
	v_add_f32_e32 v8, v8, v9
	;; [unrolled: 1-line block ×3, first 2 shown]
	v_mul_f32_e32 v10, v30, v9
	v_mul_f32_e32 v12, v25, v10
	v_fma_f32 v14, v10, v25, -v12
	v_fmac_f32_e32 v14, v10, v29
	v_sub_f32_e32 v13, v13, v9
	v_add_f32_e32 v25, v8, v13
	v_add_f32_e32 v8, v12, v14
	v_sub_f32_e32 v13, v9, v8
	v_pk_add_f32 v[26:27], v[8:9], v[12:13] neg_lo:[0,1] neg_hi:[0,1]
	v_mov_b32_e32 v15, v8
	v_pk_add_f32 v[8:9], v[26:27], v[14:15] neg_lo:[0,1] neg_hi:[0,1]
	s_or_b64 vcc, s[60:61], vcc
	v_add_f32_e32 v9, v25, v9
	v_add_f32_e32 v8, v8, v9
	;; [unrolled: 1-line block ×4, first 2 shown]
	v_sub_f32_e32 v12, v9, v31
	v_mul_f32_e32 v8, v30, v8
	v_sub_f32_e32 v10, v10, v12
	v_add_f32_e32 v10, v10, v8
	v_add_f32_e32 v12, v9, v10
	v_mul_f32_e32 v14, v12, v12
	v_fmamk_f32 v8, v14, 0x3e9b6dac, v137
	v_fmaak_f32 v25, v14, v8, 0x3f2aaada
	v_cvt_f32_i32_e32 v8, v28
	v_sub_f32_e32 v9, v12, v9
	v_sub_f32_e32 v9, v10, v9
	v_ldexp_f32 v10, v9, 1
	v_mul_f32_e32 v9, v12, v14
	v_pk_mul_f32 v[14:15], v[8:9], v[24:25]
	v_ldexp_f32 v13, v12, 1
	v_fma_f32 v12, v8, s15, -v14
	v_fmac_f32_e32 v12, 0xb102e308, v8
	v_pk_add_f32 v[8:9], v[14:15], v[12:13]
	v_mov_b32_e32 v26, v14
	v_sub_f32_e32 v13, v9, v13
	v_sub_f32_e32 v13, v15, v13
	v_add_f32_e32 v27, v10, v13
	v_pk_add_f32 v[14:15], v[8:9], v[14:15] neg_lo:[0,1] neg_hi:[0,1]
	v_pk_add_f32 v[28:29], v[8:9], v[26:27]
	v_mov_b32_e32 v13, v8
	v_mov_b32_e32 v15, v29
	v_pk_add_f32 v[30:31], v[12:13], v[14:15] neg_lo:[0,1] neg_hi:[0,1]
	v_pk_add_f32 v[12:13], v[12:13], v[14:15]
	s_nop 0
	v_mov_b32_e32 v10, v13
	v_pk_add_f32 v[14:15], v[10:11], v[8:9] neg_lo:[0,1] neg_hi:[0,1]
	v_mov_b32_e32 v12, v29
	v_mov_b32_e32 v15, v14
	v_pk_add_f32 v[32:33], v[28:29], v[14:15] neg_lo:[0,1] neg_hi:[0,1]
	v_mov_b32_e32 v28, v9
	v_mov_b32_e32 v29, v14
	;; [unrolled: 1-line block ×3, first 2 shown]
	v_pk_add_f32 v[12:13], v[12:13], v[28:29] neg_lo:[0,1] neg_hi:[0,1]
	v_mov_b32_e32 v14, v27
	v_mov_b32_e32 v15, v8
	v_pk_add_f32 v[8:9], v[14:15], v[12:13] neg_lo:[0,1] neg_hi:[0,1]
	v_mov_b32_e32 v32, v30
	v_pk_add_f32 v[12:13], v[32:33], v[8:9]
	s_nop 0
	v_mov_b32_e32 v14, v13
	v_pk_add_f32 v[14:15], v[12:13], v[14:15]
	s_nop 0
	v_pk_add_f32 v[26:27], v[10:11], v[14:15]
	v_mov_b32_e32 v9, v14
	v_mov_b32_e32 v13, v26
	v_pk_add_f32 v[28:29], v[12:13], v[30:31] neg_lo:[0,1] neg_hi:[0,1]
	s_nop 0
	v_sub_f32_e32 v10, v12, v28
	v_pk_add_f32 v[8:9], v[8:9], v[28:29] neg_lo:[0,1] neg_hi:[0,1]
	v_sub_f32_e32 v10, v30, v10
	v_add_f32_e32 v8, v8, v10
	v_add_f32_e32 v8, v8, v9
	;; [unrolled: 1-line block ×3, first 2 shown]
	v_cndmask_b32_e32 v26, v8, v23, vcc
.LBB26_105:                             ;   in Loop: Header=BB26_13 Depth=1
	s_or_b64 exec, exec, s[4:5]
	v_and_b32_e32 v8, 0xffff0000, v11
	v_readlane_b32 s2, v167, 2
	s_nop 1
	v_add_f32_e32 v27, s2, v8
	v_readlane_b32 s2, v167, 30
	v_cmp_ge_f32_e32 vcc, s6, v27
	v_readlane_b32 s3, v167, 31
	s_and_b64 s[2:3], s[2:3], vcc
	s_and_saveexec_b64 s[4:5], s[2:3]
	s_cbranch_execz .LBB26_107
; %bb.106:                              ;   in Loop: Header=BB26_13 Depth=1
	v_mul_f32_e32 v8, 0x3fb8aa3b, v27
	v_rndne_f32_e32 v9, v8
	v_sub_f32_e32 v10, v8, v9
	v_fma_f32 v8, v27, s10, -v8
	v_fmac_f32_e32 v8, 0x32a5705f, v27
	v_add_f32_e32 v8, v10, v8
	v_cvt_i32_f32_e32 v9, v9
	v_exp_f32_e32 v8, v8
	v_cmp_ngt_f32_e32 vcc, s11, v27
	v_ldexp_f32 v8, v8, v9
	s_nop 0
	v_cndmask_b32_e32 v8, 0, v8, vcc
	v_cmp_nlt_f32_e32 vcc, s12, v27
	s_nop 1
	v_cndmask_b32_e32 v23, v138, v8, vcc
	v_add_f32_e32 v10, 1.0, v23
	v_add_f32_e32 v8, -1.0, v10
	v_sub_f32_e32 v9, v8, v10
	v_add_f32_e32 v9, 1.0, v9
	v_sub_f32_e32 v8, v23, v8
	v_add_f32_e32 v11, v8, v9
	v_frexp_mant_f32_e32 v12, v10
	v_cvt_f64_f32_e32 v[8:9], v10
	v_frexp_exp_i32_f64_e32 v8, v[8:9]
	v_cmp_gt_f32_e32 vcc, s14, v12
	v_cmp_gt_f32_e64 s[60:61], s16, v23
	s_nop 0
	v_subbrev_co_u32_e32 v27, vcc, 0, v8, vcc
	v_sub_u32_e32 v8, 0, v27
	v_ldexp_f32 v9, v10, v8
	v_add_f32_e32 v10, -1.0, v9
	v_add_f32_e32 v12, 1.0, v9
	v_ldexp_f32 v8, v11, v8
	v_add_f32_e32 v11, 1.0, v10
	v_add_f32_e32 v13, -1.0, v12
	v_sub_f32_e32 v11, v9, v11
	v_sub_f32_e32 v9, v9, v13
	v_add_f32_e32 v11, v8, v11
	v_add_f32_e32 v8, v8, v9
	;; [unrolled: 1-line block ×3, first 2 shown]
	v_rcp_f32_e32 v29, v25
	v_sub_f32_e32 v9, v12, v25
	v_add_f32_e32 v28, v8, v9
	v_add_f32_e32 v9, v10, v11
	v_mul_f32_e32 v31, v9, v29
	v_sub_f32_e32 v8, v10, v9
	v_mul_f32_e32 v10, v25, v31
	v_fma_f32 v12, v31, v25, -v10
	v_fmac_f32_e32 v12, v31, v28
	v_add_f32_e32 v30, v11, v8
	v_add_f32_e32 v8, v10, v12
	v_sub_f32_e32 v11, v9, v8
	v_pk_add_f32 v[14:15], v[8:9], v[10:11] neg_lo:[0,1] neg_hi:[0,1]
	v_mov_b32_e32 v13, v8
	v_pk_add_f32 v[8:9], v[14:15], v[12:13] neg_lo:[0,1] neg_hi:[0,1]
	v_cmp_eq_f32_e32 vcc, s13, v23
	v_add_f32_e32 v9, v30, v9
	v_add_f32_e32 v8, v8, v9
	;; [unrolled: 1-line block ×3, first 2 shown]
	v_mul_f32_e32 v30, v29, v9
	v_mul_f32_e32 v10, v25, v30
	v_fma_f32 v12, v30, v25, -v10
	v_fmac_f32_e32 v12, v30, v28
	v_sub_f32_e32 v11, v11, v9
	v_add_f32_e32 v25, v8, v11
	v_add_f32_e32 v8, v10, v12
	v_sub_f32_e32 v11, v9, v8
	v_pk_add_f32 v[14:15], v[8:9], v[10:11] neg_lo:[0,1] neg_hi:[0,1]
	v_mov_b32_e32 v13, v8
	v_pk_add_f32 v[8:9], v[14:15], v[12:13] neg_lo:[0,1] neg_hi:[0,1]
	s_or_b64 vcc, s[60:61], vcc
	v_add_f32_e32 v9, v25, v9
	v_add_f32_e32 v8, v8, v9
	;; [unrolled: 1-line block ×4, first 2 shown]
	v_sub_f32_e32 v10, v9, v31
	v_mul_f32_e32 v8, v29, v8
	v_sub_f32_e32 v10, v30, v10
	v_add_f32_e32 v10, v10, v8
	v_add_f32_e32 v12, v9, v10
	v_mul_f32_e32 v13, v12, v12
	v_fmamk_f32 v8, v13, 0x3e9b6dac, v137
	v_fmaak_f32 v25, v13, v8, 0x3f2aaada
	v_cvt_f32_i32_e32 v8, v27
	v_sub_f32_e32 v9, v12, v9
	v_sub_f32_e32 v9, v10, v9
	v_ldexp_f32 v14, v9, 1
	v_mul_f32_e32 v9, v12, v13
	v_ldexp_f32 v11, v12, 1
	v_pk_mul_f32 v[12:13], v[8:9], v[24:25]
	s_nop 0
	v_fma_f32 v10, v8, s15, -v12
	v_fmac_f32_e32 v10, 0xb102e308, v8
	v_pk_add_f32 v[8:9], v[12:13], v[10:11]
	s_nop 0
	v_sub_f32_e32 v11, v9, v11
	v_sub_f32_e32 v11, v13, v11
	v_add_f32_e32 v15, v14, v11
	v_mov_b32_e32 v14, v12
	v_pk_add_f32 v[12:13], v[8:9], v[12:13] neg_lo:[0,1] neg_hi:[0,1]
	v_pk_add_f32 v[28:29], v[8:9], v[14:15]
	v_mov_b32_e32 v11, v8
	v_mov_b32_e32 v13, v29
	v_pk_add_f32 v[30:31], v[10:11], v[12:13] neg_lo:[0,1] neg_hi:[0,1]
	v_pk_add_f32 v[10:11], v[10:11], v[12:13]
	v_mov_b32_e32 v14, v15
	v_mov_b32_e32 v12, v11
	v_pk_add_f32 v[32:33], v[12:13], v[8:9] neg_lo:[0,1] neg_hi:[0,1]
	v_mov_b32_e32 v10, v29
	v_mov_b32_e32 v13, v32
	v_pk_add_f32 v[34:35], v[28:29], v[12:13] neg_lo:[0,1] neg_hi:[0,1]
	v_mov_b32_e32 v28, v9
	v_mov_b32_e32 v29, v32
	;; [unrolled: 1-line block ×3, first 2 shown]
	v_pk_add_f32 v[10:11], v[10:11], v[28:29] neg_lo:[0,1] neg_hi:[0,1]
	v_mov_b32_e32 v15, v8
	v_pk_add_f32 v[8:9], v[14:15], v[10:11] neg_lo:[0,1] neg_hi:[0,1]
	v_mov_b32_e32 v34, v30
	v_pk_add_f32 v[10:11], v[34:35], v[8:9]
	s_nop 0
	v_mov_b32_e32 v14, v11
	v_pk_add_f32 v[14:15], v[10:11], v[14:15]
	s_nop 0
	v_pk_add_f32 v[12:13], v[12:13], v[14:15]
	v_mov_b32_e32 v9, v14
	v_mov_b32_e32 v11, v12
	v_pk_add_f32 v[28:29], v[10:11], v[30:31] neg_lo:[0,1] neg_hi:[0,1]
	s_nop 0
	v_sub_f32_e32 v10, v10, v28
	v_pk_add_f32 v[8:9], v[8:9], v[28:29] neg_lo:[0,1] neg_hi:[0,1]
	v_sub_f32_e32 v10, v30, v10
	v_add_f32_e32 v8, v8, v10
	v_add_f32_e32 v8, v8, v9
	;; [unrolled: 1-line block ×3, first 2 shown]
	v_cndmask_b32_e32 v27, v8, v23, vcc
.LBB26_107:                             ;   in Loop: Header=BB26_13 Depth=1
	s_or_b64 exec, exec, s[4:5]
	v_lshlrev_b32_e32 v8, 16, v7
	v_readlane_b32 s2, v167, 3
	v_and_b32_e32 v15, 0xffff0000, v7
	v_and_b32_e32 v7, 0xffff0000, v6
	v_lshlrev_b32_e32 v6, 16, v6
	v_and_b32_e32 v9, 0xffff0000, v5
	v_lshlrev_b32_e32 v5, 16, v5
	;; [unrolled: 2-line block ×7, first 2 shown]
	v_mul_f32_e32 v28, s2, v8
	v_mul_f32_e32 v31, s2, v7
	;; [unrolled: 1-line block ×16, first 2 shown]
	v_readlane_b32 s2, v167, 33
	v_readlane_b32 s3, v167, 34
	s_and_b64 vcc, exec, s[2:3]
	s_barrier
	s_cbranch_vccz .LBB26_204
; %bb.108:                              ;   in Loop: Header=BB26_13 Depth=1
	v_readlane_b32 s2, v167, 8
	v_readlane_b32 s3, v167, 9
	v_mul_f32_e32 v123, v142, v0
	v_cmp_gt_u32_e32 vcc, s88, v19
	v_lshl_add_u64 v[44:45], s[2:3], 0, v[16:17]
	v_readlane_b32 s2, v167, 22
	v_readlane_b32 s3, v167, 23
	v_or_b32_e32 v0, 1, v19
	v_mov_b32_e32 v23, v17
	v_lshl_add_u64 v[46:47], s[2:3], 0, v[16:17]
	v_readlane_b32 s3, v167, 59
	s_cmp_lg_u32 s3, 0
	v_readlane_b32 s2, v167, 37
	s_cselect_b64 s[94:95], -1, 0
	s_cmp_eq_u32 s3, s2
	v_readlane_b32 s2, v167, 38
	v_readlane_b32 s3, v167, 39
	s_cselect_b64 s[96:97], -1, 0
	s_or_b64 s[60:61], s[2:3], vcc
	v_cmp_gt_u32_e32 vcc, s88, v0
	v_or_b32_e32 v0, 2, v19
	s_or_b64 s[62:63], s[2:3], vcc
	v_cmp_gt_u32_e32 vcc, s88, v0
	v_or_b32_e32 v0, 3, v19
	;; [unrolled: 3-line block ×14, first 2 shown]
	s_mov_b32 s6, 0
	v_cmp_gt_u32_e64 s[88:89], s88, v0
	v_mul_f32_e32 v25, v27, v15
	v_lshl_add_u64 v[44:45], v[44:45], 0, v[22:23]
	v_lshl_add_u64 v[46:47], v[46:47], 0, v[22:23]
	v_mul_f32_e32 v16, v26, v8
	v_mul_f32_e32 v23, v155, v7
	v_mul_f32_e32 v156, v154, v6
	v_mul_f32_e32 v157, v153, v9
	v_mul_f32_e32 v158, v152, v5
	v_mul_f32_e32 v159, v151, v10
	v_mul_f32_e32 v160, v150, v4
	v_mul_f32_e32 v161, v149, v11
	v_mul_f32_e32 v162, v148, v3
	v_mul_f32_e32 v163, v147, v12
	v_mul_f32_e32 v164, v146, v2
	v_mul_f32_e32 v165, v145, v13
	v_mul_f32_e32 v166, v144, v1
	v_mul_f32_e32 v122, v143, v14
	s_or_b64 s[88:89], s[2:3], s[88:89]
	s_or_b64 s[90:91], s[2:3], vcc
	s_mov_b32 s92, s6
	s_mov_b32 s98, s6
	;; [unrolled: 1-line block ×3, first 2 shown]
	v_readlane_b32 s8, v167, 32
	v_readlane_b32 s9, v167, 58
	s_branch .LBB26_110
.LBB26_109:                             ;   in Loop: Header=BB26_110 Depth=2
	s_or_b64 exec, exec, s[2:3]
	v_cndmask_b32_e64 v8, v8, v69, s[24:25]
	v_cndmask_b32_e64 v49, v60, v68, s[24:25]
	v_mul_f32_e32 v49, v49, v125
	v_fma_f32 v8, v8, v125, v124
	v_cndmask_b32_e64 v8, v8, v124, s[22:23]
	v_cndmask_b32_e64 v49, v49, v125, s[22:23]
	s_waitcnt lgkmcnt(0)
	v_fmac_f32_e32 v8, v48, v49
	v_fmac_f32_e32 v9, v8, v126
	;; [unrolled: 1-line block ×10, first 2 shown]
	v_readlane_b32 s12, v167, 24
	v_fmac_f32_e32 v56, v53, v135
	v_readlane_b32 s13, v167, 25
	v_readlane_b32 s14, v167, 26
	;; [unrolled: 1-line block ×3, first 2 shown]
	v_fmac_f32_e32 v57, v56, v136
	s_add_i32 s4, s4, s14
	v_readlane_b32 s12, v167, 18
	v_fmac_f32_e32 v54, v57, v62
	v_readlane_b32 s13, v167, 19
	v_readlane_b32 s14, v167, 20
	;; [unrolled: 1-line block ×3, first 2 shown]
	v_fmac_f32_e32 v55, v54, v58
	s_add_i32 s98, s98, s12
	v_readlane_b32 s12, v167, 10
	v_fmac_f32_e32 v59, v55, v64
	v_readlane_b32 s13, v167, 11
	v_readlane_b32 s16, v167, 14
	v_fmac_f32_e32 v61, v59, v65
	v_and_b32_e32 v49, 0xffff0000, v4
	v_and_b32_e32 v51, 0xffff0000, v5
	v_lshlrev_b32_e32 v48, 16, v4
	v_lshlrev_b32_e32 v50, 16, v5
	v_and_b32_e32 v5, 0xffff0000, v6
	v_and_b32_e32 v63, 0xffff0000, v7
	v_lshlrev_b32_e32 v4, 16, v6
	v_lshlrev_b32_e32 v62, 16, v7
	;; [unrolled: 4-line block ×4, first 2 shown]
	v_mov_b32_e32 v60, v59
	s_add_i32 s9, s9, 8
	s_add_i32 s8, s8, -1
	s_add_i32 s92, s92, s16
	s_add_i32 s6, s6, s13
	v_pk_fma_f32 v[40:41], v[10:11], v[50:51], v[40:41]
	v_pk_fma_f32 v[42:43], v[8:9], v[48:49], v[42:43]
	;; [unrolled: 1-line block ×7, first 2 shown]
	s_cmp_eq_u32 s8, 0
	v_pk_fma_f32 v[30:31], v[54:55], v[0:1], v[30:31]
	v_readlane_b32 s14, v167, 12
	v_readlane_b32 s15, v167, 13
	;; [unrolled: 1-line block ×5, first 2 shown]
	s_cbranch_scc1 .LBB26_203
.LBB26_110:                             ;   Parent Loop BB26_13 Depth=1
                                        ; =>  This Inner Loop Header: Depth=2
	s_lshl_b64 s[2:3], s[6:7], 2
	v_readlane_b32 s5, v167, 6
	s_add_u32 s2, s5, s2
	v_readlane_b32 s5, v167, 7
	s_addc_u32 s3, s5, s3
	global_load_dword v48, v17, s[2:3]
	s_mov_b32 s93, s7
	v_lshl_add_u64 v[0:1], s[92:93], 1, v[44:45]
	v_mov_b32_e32 v2, 0
	v_mov_b32_e32 v3, 0
	s_and_saveexec_b64 s[2:3], s[26:27]
	s_cbranch_execz .LBB26_112
; %bb.111:                              ;   in Loop: Header=BB26_110 Depth=2
	global_load_ushort v3, v[0:1], off
.LBB26_112:                             ;   in Loop: Header=BB26_110 Depth=2
	s_or_b64 exec, exec, s[2:3]
	s_and_saveexec_b64 s[2:3], s[28:29]
	s_cbranch_execz .LBB26_114
; %bb.113:                              ;   in Loop: Header=BB26_110 Depth=2
	global_load_ushort v2, v[0:1], off offset:128
.LBB26_114:                             ;   in Loop: Header=BB26_110 Depth=2
	s_or_b64 exec, exec, s[2:3]
	v_mov_b32_e32 v4, 0
	v_mov_b32_e32 v5, 0
	s_and_saveexec_b64 s[2:3], s[30:31]
	s_cbranch_execz .LBB26_116
; %bb.115:                              ;   in Loop: Header=BB26_110 Depth=2
	global_load_ushort v5, v[0:1], off offset:256
.LBB26_116:                             ;   in Loop: Header=BB26_110 Depth=2
	s_or_b64 exec, exec, s[2:3]
	s_and_saveexec_b64 s[2:3], s[34:35]
	s_cbranch_execz .LBB26_118
; %bb.117:                              ;   in Loop: Header=BB26_110 Depth=2
	global_load_ushort v4, v[0:1], off offset:384
.LBB26_118:                             ;   in Loop: Header=BB26_110 Depth=2
	s_or_b64 exec, exec, s[2:3]
	v_mov_b32_e32 v6, 0
	v_mov_b32_e32 v7, 0
	s_and_saveexec_b64 s[2:3], s[36:37]
	s_cbranch_execz .LBB26_120
; %bb.119:                              ;   in Loop: Header=BB26_110 Depth=2
	global_load_ushort v7, v[0:1], off offset:512
.LBB26_120:                             ;   in Loop: Header=BB26_110 Depth=2
	;; [unrolled: 14-line block ×7, first 2 shown]
	s_or_b64 exec, exec, s[2:3]
	s_and_saveexec_b64 s[2:3], s[58:59]
	s_cbranch_execz .LBB26_142
; %bb.141:                              ;   in Loop: Header=BB26_110 Depth=2
	global_load_ushort v49, v[0:1], off offset:1920
.LBB26_142:                             ;   in Loop: Header=BB26_110 Depth=2
	s_or_b64 exec, exec, s[2:3]
	s_waitcnt vmcnt(0)
	ds_write_b16 v86, v3
	ds_write_b16 v87, v2 offset:128
	ds_write_b16 v88, v5 offset:256
	;; [unrolled: 1-line block ×15, first 2 shown]
	; wave barrier
	ds_read_b128 v[12:15], v102
	ds_read_b128 v[8:11], v102 offset:16
	s_mov_b32 s99, s7
	v_lshl_add_u64 v[0:1], s[98:99], 1, v[46:47]
	v_mov_b32_e32 v2, 0
	v_mov_b32_e32 v3, 0
	s_and_saveexec_b64 s[2:3], s[26:27]
	s_cbranch_execz .LBB26_144
; %bb.143:                              ;   in Loop: Header=BB26_110 Depth=2
	global_load_ushort v3, v[0:1], off
.LBB26_144:                             ;   in Loop: Header=BB26_110 Depth=2
	s_or_b64 exec, exec, s[2:3]
	s_and_saveexec_b64 s[2:3], s[28:29]
	s_cbranch_execz .LBB26_146
; %bb.145:                              ;   in Loop: Header=BB26_110 Depth=2
	global_load_ushort v2, v[0:1], off offset:128
.LBB26_146:                             ;   in Loop: Header=BB26_110 Depth=2
	s_or_b64 exec, exec, s[2:3]
	v_mov_b32_e32 v4, 0
	v_mov_b32_e32 v5, 0
	s_and_saveexec_b64 s[2:3], s[30:31]
	s_cbranch_execz .LBB26_148
; %bb.147:                              ;   in Loop: Header=BB26_110 Depth=2
	global_load_ushort v5, v[0:1], off offset:256
.LBB26_148:                             ;   in Loop: Header=BB26_110 Depth=2
	s_or_b64 exec, exec, s[2:3]
	s_and_saveexec_b64 s[2:3], s[34:35]
	s_cbranch_execz .LBB26_150
; %bb.149:                              ;   in Loop: Header=BB26_110 Depth=2
	global_load_ushort v4, v[0:1], off offset:384
.LBB26_150:                             ;   in Loop: Header=BB26_110 Depth=2
	s_or_b64 exec, exec, s[2:3]
	v_mov_b32_e32 v6, 0
	v_mov_b32_e32 v7, 0
	s_and_saveexec_b64 s[2:3], s[36:37]
	s_cbranch_execz .LBB26_152
; %bb.151:                              ;   in Loop: Header=BB26_110 Depth=2
	global_load_ushort v7, v[0:1], off offset:512
.LBB26_152:                             ;   in Loop: Header=BB26_110 Depth=2
	;; [unrolled: 14-line block ×7, first 2 shown]
	s_or_b64 exec, exec, s[2:3]
	s_and_saveexec_b64 s[2:3], s[58:59]
	s_cbranch_execz .LBB26_174
; %bb.173:                              ;   in Loop: Header=BB26_110 Depth=2
	global_load_ushort v57, v[0:1], off offset:1920
.LBB26_174:                             ;   in Loop: Header=BB26_110 Depth=2
	s_or_b64 exec, exec, s[2:3]
	s_waitcnt vmcnt(0)
	ds_write_b16 v86, v3 offset:4224
	ds_write_b16 v103, v2 offset:128
	;; [unrolled: 1-line block ×16, first 2 shown]
	; wave barrier
	ds_read_b128 v[4:7], v102 offset:4224
	ds_read_b128 v[0:3], v118 offset:16
	s_andn2_b64 vcc, exec, s[94:95]
	s_cbranch_vccnz .LBB26_176
; %bb.175:                              ;   in Loop: Header=BB26_110 Depth=2
	v_mov_b32_e32 v49, s9
	ds_read_b64 v[50:51], v49
	s_waitcnt lgkmcnt(0)
	v_mov_b32_e32 v49, v51
	s_cbranch_execz .LBB26_177
	s_branch .LBB26_180
.LBB26_176:                             ;   in Loop: Header=BB26_110 Depth=2
                                        ; implicit-def: $vgpr50
                                        ; implicit-def: $vgpr49
.LBB26_177:                             ;   in Loop: Header=BB26_110 Depth=2
	v_readlane_b32 s2, v167, 0
	v_readlane_b32 s3, v167, 1
	s_andn2_b64 vcc, exec, s[2:3]
	v_mov_b32_e32 v49, 0
	s_cbranch_vccnz .LBB26_179
; %bb.178:                              ;   in Loop: Header=BB26_110 Depth=2
	s_mov_b32 s5, s7
	s_lshl_b64 s[2:3], s[4:5], 1
	v_readlane_b32 s5, v167, 28
	s_add_u32 s2, s5, s2
	v_readlane_b32 s5, v167, 29
	s_addc_u32 s3, s5, s3
	global_load_ushort v49, v17, s[2:3]
	s_waitcnt vmcnt(0)
	v_lshlrev_b32_e32 v49, 16, v49
.LBB26_179:                             ;   in Loop: Header=BB26_110 Depth=2
	v_mov_b32_e32 v50, 1.0
.LBB26_180:                             ;   in Loop: Header=BB26_110 Depth=2
	s_waitcnt lgkmcnt(14)
	v_lshlrev_b32_e32 v56, 16, v8
	v_and_b32_e32 v57, 0xffff0000, v8
	v_mul_f32_e32 v8, 0x3fb8aa3b, v48
	v_lshlrev_b32_e32 v58, 16, v9
	v_and_b32_e32 v59, 0xffff0000, v9
	v_mul_f32_e32 v9, v8, v142
	v_cmp_gt_f32_e32 vcc, s33, v9
	v_lshlrev_b32_e32 v60, 16, v10
	v_and_b32_e32 v61, 0xffff0000, v10
	v_cndmask_b32_e32 v9, 0, v139, vcc
	v_fmac_f32_e32 v9, v8, v142
	v_exp_f32_e32 v9, v9
	v_cndmask_b32_e32 v10, 1.0, v140, vcc
	v_lshlrev_b32_e32 v52, 16, v12
	v_lshlrev_b32_e32 v63, 16, v11
	v_mul_f32_e32 v9, v9, v10
	v_cndmask_b32_e64 v125, 1.0, v9, s[60:61]
	v_mul_f32_e32 v9, v8, v143
	v_cmp_gt_f32_e32 vcc, s33, v9
	v_mul_f32_e32 v10, v123, v52
	v_cndmask_b32_e64 v124, 0, v10, s[60:61]
	v_cndmask_b32_e32 v9, 0, v139, vcc
	v_fmac_f32_e32 v9, v8, v143
	v_exp_f32_e32 v9, v9
	v_cndmask_b32_e32 v10, 1.0, v140, vcc
	v_and_b32_e32 v51, 0xffff0000, v11
	v_and_b32_e32 v12, 0xffff0000, v12
	v_mul_f32_e32 v10, v9, v10
	v_cndmask_b32_e64 v126, 1.0, v10, s[62:63]
	v_mul_f32_e32 v10, v8, v144
	v_cmp_gt_f32_e32 vcc, s33, v10
	v_mul_f32_e32 v9, v122, v12
	v_lshlrev_b32_e32 v53, 16, v13
	v_cndmask_b32_e32 v10, 0, v139, vcc
	v_fmac_f32_e32 v10, v8, v144
	v_exp_f32_e32 v10, v10
	v_cndmask_b32_e32 v11, 1.0, v140, vcc
	v_and_b32_e32 v13, 0xffff0000, v13
	v_lshlrev_b32_e32 v54, 16, v14
	v_mul_f32_e32 v11, v10, v11
	v_cndmask_b32_e64 v127, 1.0, v11, s[64:65]
	v_mul_f32_e32 v11, v8, v145
	v_cmp_gt_f32_e32 vcc, s33, v11
	v_and_b32_e32 v14, 0xffff0000, v14
	v_mul_f32_e32 v10, v166, v53
	v_cndmask_b32_e32 v11, 0, v139, vcc
	v_fmac_f32_e32 v11, v8, v145
	v_exp_f32_e32 v11, v11
	v_cndmask_b32_e32 v12, 1.0, v140, vcc
	v_lshlrev_b32_e32 v55, 16, v15
	v_cndmask_b32_e64 v9, 0, v9, s[62:63]
	v_mul_f32_e32 v12, v11, v12
	v_cndmask_b32_e64 v128, 1.0, v12, s[66:67]
	v_mul_f32_e32 v12, v8, v146
	v_cmp_gt_f32_e32 vcc, s33, v12
	v_mul_f32_e32 v11, v165, v13
	v_cndmask_b32_e64 v10, 0, v10, s[64:65]
	v_cndmask_b32_e32 v12, 0, v139, vcc
	v_fmac_f32_e32 v12, v8, v146
	v_exp_f32_e32 v12, v12
	v_cndmask_b32_e32 v13, 1.0, v140, vcc
	v_cndmask_b32_e64 v11, 0, v11, s[66:67]
	v_and_b32_e32 v15, 0xffff0000, v15
	v_mul_f32_e32 v13, v12, v13
	v_cndmask_b32_e64 v129, 1.0, v13, s[68:69]
	v_mul_f32_e32 v13, v8, v147
	v_cmp_gt_f32_e32 vcc, s33, v13
	v_mul_f32_e32 v12, v164, v54
	v_cndmask_b32_e64 v12, 0, v12, s[68:69]
	v_cndmask_b32_e32 v13, 0, v139, vcc
	v_fmac_f32_e32 v13, v8, v147
	v_exp_f32_e32 v13, v13
	v_cndmask_b32_e32 v48, 1.0, v140, vcc
	v_mul_f32_e32 v15, v161, v15
	v_cndmask_b32_e64 v15, 0, v15, s[74:75]
	v_mul_f32_e32 v48, v13, v48
	v_mul_f32_e32 v13, v163, v14
	;; [unrolled: 1-line block ×3, first 2 shown]
	v_cmp_gt_f32_e32 vcc, s33, v14
	v_cndmask_b32_e64 v130, 1.0, v48, s[70:71]
	v_cndmask_b32_e64 v13, 0, v13, s[70:71]
	v_cndmask_b32_e32 v14, 0, v139, vcc
	v_fmac_f32_e32 v14, v8, v148
	v_exp_f32_e32 v14, v14
	v_cndmask_b32_e32 v48, 1.0, v140, vcc
	v_mul_f32_e32 v51, v25, v51
	v_readlane_b32 s10, v167, 40
	v_mul_f32_e32 v48, v14, v48
	v_cndmask_b32_e64 v131, 1.0, v48, s[72:73]
	v_mul_f32_e32 v48, v8, v149
	v_cmp_gt_f32_e32 vcc, s33, v48
	v_mul_f32_e32 v14, v162, v55
	v_cndmask_b32_e64 v14, 0, v14, s[72:73]
	v_cndmask_b32_e32 v48, 0, v139, vcc
	v_fmac_f32_e32 v48, v8, v149
	v_exp_f32_e32 v48, v48
	v_cndmask_b32_e32 v52, 1.0, v140, vcc
	v_readlane_b32 s11, v167, 41
	v_mul_f32_e32 v48, v48, v52
	v_cndmask_b32_e64 v132, 1.0, v48, s[74:75]
	v_mul_f32_e32 v48, v8, v150
	v_cmp_gt_f32_e32 vcc, s33, v48
	s_nop 1
	v_cndmask_b32_e32 v48, 0, v139, vcc
	v_fmac_f32_e32 v48, v8, v150
	v_exp_f32_e32 v48, v48
	v_cndmask_b32_e32 v52, 1.0, v140, vcc
	v_mul_f32_e32 v48, v48, v52
	v_cndmask_b32_e64 v133, 1.0, v48, s[76:77]
	v_mul_f32_e32 v48, v8, v151
	v_cmp_gt_f32_e32 vcc, s33, v48
	v_mul_f32_e32 v52, v160, v56
	v_cndmask_b32_e64 v52, 0, v52, s[76:77]
	v_cndmask_b32_e32 v48, 0, v139, vcc
	v_fmac_f32_e32 v48, v8, v151
	v_exp_f32_e32 v48, v48
	v_cndmask_b32_e32 v53, 1.0, v140, vcc
	v_mul_f32_e32 v48, v48, v53
	v_cndmask_b32_e64 v134, 1.0, v48, s[78:79]
	v_mul_f32_e32 v48, v8, v152
	v_cmp_gt_f32_e32 vcc, s33, v48
	v_mul_f32_e32 v53, v159, v57
	v_cndmask_b32_e64 v53, 0, v53, s[78:79]
	;; [unrolled: 10-line block ×5, first 2 shown]
	v_cndmask_b32_e32 v48, 0, v139, vcc
	v_fmac_f32_e32 v48, v8, v155
	v_exp_f32_e32 v48, v48
	v_cndmask_b32_e32 v55, 1.0, v140, vcc
	v_mul_f32_e32 v48, v48, v55
	v_mul_f32_e32 v55, v23, v61
	v_pk_mul_f32 v[60:61], v[8:9], v[26:27] op_sel_hi:[0,1]
	v_mul_f32_e32 v8, v16, v63
	v_cmp_gt_f32_e32 vcc, s33, v60
	v_cndmask_b32_e64 v59, 0, v8, s[90:91]
	v_cndmask_b32_e64 v58, 1.0, v48, s[86:87]
	v_cndmask_b32_e32 v8, 0, v139, vcc
	v_add_f32_e32 v8, v60, v8
	v_exp_f32_e32 v8, v8
	v_cndmask_b32_e32 v48, 1.0, v140, vcc
	v_cmp_gt_f32_e32 vcc, s33, v61
	v_cndmask_b32_e64 v55, 0, v55, s[86:87]
	v_mul_f32_e32 v8, v8, v48
	v_cndmask_b32_e32 v48, 0, v139, vcc
	v_add_f32_e32 v48, v61, v48
	v_exp_f32_e32 v48, v48
	v_cndmask_b32_e32 v60, 1.0, v140, vcc
	v_cndmask_b32_e64 v64, 1.0, v8, s[90:91]
	v_mul_f32_e32 v8, v126, v125
	v_mul_f32_e32 v48, v48, v60
	v_cndmask_b32_e64 v65, 1.0, v48, s[88:89]
	v_fma_f32 v48, v126, v124, v9
	v_mul_f32_e32 v8, v8, v127
	v_fma_f32 v48, v48, v127, v10
	v_mul_f32_e32 v8, v8, v128
	;; [unrolled: 2-line block ×10, first 2 shown]
	v_fma_f32 v8, v48, v136, v57
	v_fma_f32 v8, v8, v62, v54
	;; [unrolled: 1-line block ×3, first 2 shown]
	v_mov_b32_e32 v63, v64
	v_pk_mul_f32 v[72:73], v[66:67], v[62:63]
	v_pk_fma_f32 v[66:67], v[66:67], v[62:63], v[58:59]
	v_pk_mul_f32 v[72:73], v[72:73], v[58:59]
	v_cndmask_b32_e64 v61, 0, v51, s[88:89]
	v_mov_b32_e32 v73, v67
	v_mov_b32_e32 v68, v65
	;; [unrolled: 1-line block ×3, first 2 shown]
	v_pk_mul_f32 v[66:67], v[72:73], v[64:65]
	v_mov_b32_e32 v60, v65
	v_pk_mul_f32 v[68:69], v[66:67], v[68:69]
	v_pk_fma_f32 v[66:67], v[72:73], v[64:65], v[60:61]
	s_nop 0
	v_mov_b32_dpp v8, v68 row_shr:1 row_mask:0xf bank_mask:0xf
	v_mov_b32_dpp v48, v67 row_shr:1 row_mask:0xf bank_mask:0xf
	v_mul_f32_e32 v51, v68, v8
	v_fma_f32 v48, v68, v48, v67
	v_cndmask_b32_e64 v66, v51, v68, s[0:1]
	v_cndmask_b32_e64 v69, v48, v67, s[0:1]
	v_cndmask_b32_e64 v68, v51, v68, s[0:1]
	v_cndmask_b32_e64 v8, v48, v67, s[0:1]
	v_mov_b32_dpp v51, v69 row_shr:2 row_mask:0xf bank_mask:0xf
	v_mov_b32_dpp v48, v68 row_shr:2 row_mask:0xf bank_mask:0xf
	s_and_saveexec_b64 s[2:3], s[10:11]
; %bb.181:                              ;   in Loop: Header=BB26_110 Depth=2
	v_fmac_f32_e32 v69, v68, v51
	v_mul_f32_e32 v68, v68, v48
	v_mov_b32_e32 v66, v68
	v_mov_b32_e32 v8, v69
; %bb.182:                              ;   in Loop: Header=BB26_110 Depth=2
	s_or_b64 exec, exec, s[2:3]
	v_readlane_b32 s10, v167, 42
	v_mov_b32_dpp v48, v68 row_shr:4 row_mask:0xf bank_mask:0xf
	v_mov_b32_dpp v51, v69 row_shr:4 row_mask:0xf bank_mask:0xf
	v_readlane_b32 s11, v167, 43
	s_and_saveexec_b64 s[2:3], s[10:11]
; %bb.183:                              ;   in Loop: Header=BB26_110 Depth=2
	v_fmac_f32_e32 v69, v68, v51
	v_mul_f32_e32 v68, v68, v48
	v_mov_b32_e32 v66, v68
	v_mov_b32_e32 v8, v69
; %bb.184:                              ;   in Loop: Header=BB26_110 Depth=2
	s_or_b64 exec, exec, s[2:3]
	v_readlane_b32 s10, v167, 44
	v_mov_b32_dpp v48, v68 row_shr:8 row_mask:0xf bank_mask:0xf
	v_mov_b32_dpp v51, v69 row_shr:8 row_mask:0xf bank_mask:0xf
	v_readlane_b32 s11, v167, 45
	s_and_saveexec_b64 s[2:3], s[10:11]
; %bb.185:                              ;   in Loop: Header=BB26_110 Depth=2
	v_fmac_f32_e32 v69, v68, v51
	v_mul_f32_e32 v68, v68, v48
	v_mov_b32_e32 v66, v68
	v_mov_b32_e32 v8, v69
; %bb.186:                              ;   in Loop: Header=BB26_110 Depth=2
	s_or_b64 exec, exec, s[2:3]
	v_readlane_b32 s10, v167, 46
	v_mov_b32_dpp v48, v68 row_bcast:15 row_mask:0xf bank_mask:0xf
	v_mov_b32_dpp v51, v69 row_bcast:15 row_mask:0xf bank_mask:0xf
	v_readlane_b32 s11, v167, 47
	s_and_saveexec_b64 s[2:3], s[10:11]
; %bb.187:                              ;   in Loop: Header=BB26_110 Depth=2
	v_fmac_f32_e32 v69, v68, v51
	v_mul_f32_e32 v68, v68, v48
	v_mov_b32_e32 v66, v68
	v_mov_b32_e32 v8, v69
; %bb.188:                              ;   in Loop: Header=BB26_110 Depth=2
	s_or_b64 exec, exec, s[2:3]
	v_readlane_b32 s10, v167, 48
	v_mov_b32_dpp v51, v68 row_bcast:31 row_mask:0xf bank_mask:0xf
	v_mov_b32_dpp v48, v69 row_bcast:31 row_mask:0xf bank_mask:0xf
	v_readlane_b32 s11, v167, 49
	s_and_saveexec_b64 s[2:3], s[10:11]
; %bb.189:                              ;   in Loop: Header=BB26_110 Depth=2
	v_fmac_f32_e32 v69, v68, v48
	v_mul_f32_e32 v66, v68, v51
	v_mov_b32_e32 v67, v69
	v_mov_b32_e32 v8, v69
	v_mov_b64_e32 v[68:69], v[66:67]
; %bb.190:                              ;   in Loop: Header=BB26_110 Depth=2
	s_or_b64 exec, exec, s[2:3]
	v_readlane_b32 s10, v167, 50
	v_readlane_b32 s11, v167, 51
	s_and_saveexec_b64 s[2:3], s[10:11]
	s_cbranch_execz .LBB26_192
; %bb.191:                              ;   in Loop: Header=BB26_110 Depth=2
	ds_write_b64 v119, v[68:69] offset:8448
.LBB26_192:                             ;   in Loop: Header=BB26_110 Depth=2
	s_or_b64 exec, exec, s[2:3]
	v_readlane_b32 s10, v167, 52
	v_readlane_b32 s11, v167, 53
	s_waitcnt lgkmcnt(0)
	s_barrier
	s_and_saveexec_b64 s[2:3], s[10:11]
	s_cbranch_execz .LBB26_194
; %bb.193:                              ;   in Loop: Header=BB26_110 Depth=2
	ds_read_b64 v[68:69], v120 offset:8448
	v_readlane_b32 s10, v167, 54
	v_readlane_b32 s11, v167, 55
	s_waitcnt lgkmcnt(0)
	v_mov_b32_dpp v48, v68 row_shr:1 row_mask:0xf bank_mask:0xf
	v_mov_b32_dpp v51, v69 row_shr:1 row_mask:0xf bank_mask:0xf
	v_fma_f32 v51, v68, v51, v69
	v_mul_f32_e32 v48, v68, v48
	v_cndmask_b32_e64 v68, v48, v68, s[10:11]
	v_cndmask_b32_e64 v69, v51, v69, s[10:11]
	ds_write_b64 v120, v[68:69] offset:8448
.LBB26_194:                             ;   in Loop: Header=BB26_110 Depth=2
	s_or_b64 exec, exec, s[2:3]
	s_waitcnt lgkmcnt(0)
	s_barrier
	s_waitcnt lgkmcnt(0)
                                        ; implicit-def: $vgpr68
	s_and_saveexec_b64 s[2:3], s[20:21]
	s_cbranch_execz .LBB26_196
; %bb.195:                              ;   in Loop: Header=BB26_110 Depth=2
	ds_read_b64 v[68:69], v119 offset:8440
	s_waitcnt lgkmcnt(0)
	v_mul_f32_e32 v48, v66, v68
	v_fmac_f32_e32 v8, v66, v69
	v_mov_b32_e32 v66, v48
.LBB26_196:                             ;   in Loop: Header=BB26_110 Depth=2
	s_or_b64 exec, exec, s[2:3]
	ds_bpermute_b32 v60, v121, v66
	ds_bpermute_b32 v8, v121, v8
	v_readlane_b32 s10, v167, 56
	v_readlane_b32 s11, v167, 57
	s_and_saveexec_b64 s[2:3], s[10:11]
	s_cbranch_execz .LBB26_200
; %bb.197:                              ;   in Loop: Header=BB26_110 Depth=2
	ds_read_b64 v[66:67], v17 offset:8456
	s_and_saveexec_b64 vcc, s[22:23]
	s_cbranch_execz .LBB26_199
; %bb.198:                              ;   in Loop: Header=BB26_110 Depth=2
	v_mov_b32_e32 v51, v49
	ds_write_b64 v17, v[50:51] offset:8456
.LBB26_199:                             ;   in Loop: Header=BB26_110 Depth=2
	s_or_b64 exec, exec, vcc
	s_waitcnt lgkmcnt(0)
	v_mul_f32_e32 v51, v66, v49
	v_pk_add_f32 v[48:49], v[50:51], v[66:67]
	v_mul_f32_e32 v50, v50, v66
.LBB26_200:                             ;   in Loop: Header=BB26_110 Depth=2
	s_or_b64 exec, exec, s[2:3]
	s_waitcnt lgkmcnt(0)
	s_barrier
	ds_read_b32 v48, v17 offset:8460
	s_and_saveexec_b64 s[2:3], s[22:23]
	s_cbranch_execz .LBB26_109
; %bb.201:                              ;   in Loop: Header=BB26_110 Depth=2
	v_mov_b32_e32 v51, v49
	v_mov_b32_e32 v63, s9
	s_andn2_b64 vcc, exec, s[96:97]
	ds_write_b64 v63, v[50:51]
	s_cbranch_vccnz .LBB26_109
; %bb.202:                              ;   in Loop: Header=BB26_110 Depth=2
	v_bfe_u32 v50, v49, 16, 1
	s_movk_i32 s5, 0x7fff
	v_add3_u32 v50, v49, v50, s5
	s_mov_b32 s5, s7
	s_lshl_b64 s[10:11], s[4:5], 1
	v_readlane_b32 s5, v167, 28
	v_lshrrev_b32_e32 v50, 16, v50
	v_cmp_o_f32_e32 vcc, v49, v49
	s_add_u32 s10, s5, s10
	v_readlane_b32 s5, v167, 29
	v_cndmask_b32_e32 v49, v141, v50, vcc
	s_addc_u32 s11, s5, s11
	global_store_short v17, v49, s[10:11]
	s_branch .LBB26_109
.LBB26_203:                             ;   in Loop: Header=BB26_13 Depth=1
	s_mov_b32 s6, 0x41a00000
	s_mov_b32 s10, 0x3fb8aa3b
	s_mov_b32 s11, 0xc2ce8ed0
	s_mov_b32 s12, 0x42b17218
	s_mov_b32 s13, 0x7f800000
	s_mov_b32 s14, 0x3f2aaaab
	s_mov_b32 s15, 0x3f317218
	s_mov_b32 s16, 0x33800000
.LBB26_204:                             ;   in Loop: Header=BB26_13 Depth=1
	v_bfe_u32 v0, v42, 16, 1
	s_movk_i32 s2, 0x7fff
	v_bfe_u32 v1, v43, 16, 1
	v_add3_u32 v0, v42, v0, s2
	v_bfe_u32 v2, v40, 16, 1
	v_add3_u32 v1, v43, v1, s2
	v_lshrrev_b32_e32 v0, 16, v0
	v_cmp_o_f32_e32 vcc, v42, v42
	v_bfe_u32 v3, v41, 16, 1
	v_add3_u32 v2, v40, v2, s2
	v_lshrrev_b32_e32 v1, 16, v1
	v_cndmask_b32_e32 v0, v141, v0, vcc
	v_cmp_o_f32_e32 vcc, v43, v43
	v_add3_u32 v3, v41, v3, s2
	v_lshrrev_b32_e32 v2, 16, v2
	v_cndmask_b32_e32 v4, v141, v1, vcc
	v_cmp_o_f32_e32 vcc, v40, v40
	v_lshrrev_b32_e32 v3, 16, v3
	v_bfe_u32 v6, v36, 16, 1
	v_cndmask_b32_e32 v1, v141, v2, vcc
	v_cmp_o_f32_e32 vcc, v41, v41
	v_bfe_u32 v2, v38, 16, 1
	v_add3_u32 v2, v38, v2, s2
	v_cndmask_b32_e32 v5, v141, v3, vcc
	v_bfe_u32 v3, v39, 16, 1
	v_add3_u32 v3, v39, v3, s2
	v_lshrrev_b32_e32 v2, 16, v2
	v_cmp_o_f32_e32 vcc, v38, v38
	v_bfe_u32 v7, v37, 16, 1
	v_add3_u32 v6, v36, v6, s2
	v_lshrrev_b32_e32 v3, 16, v3
	v_cndmask_b32_e32 v2, v141, v2, vcc
	v_cmp_o_f32_e32 vcc, v39, v39
	v_add3_u32 v7, v37, v7, s2
	v_lshrrev_b32_e32 v6, 16, v6
	v_cndmask_b32_e32 v8, v141, v3, vcc
	v_cmp_o_f32_e32 vcc, v36, v36
	v_lshrrev_b32_e32 v7, 16, v7
	s_mov_b32 s3, 0x5040100
	v_cndmask_b32_e32 v3, v141, v6, vcc
	v_cmp_o_f32_e32 vcc, v37, v37
	v_perm_b32 v2, v8, v2, s3
	v_perm_b32 v1, v5, v1, s3
	v_cndmask_b32_e32 v6, v141, v7, vcc
	v_perm_b32 v3, v6, v3, s3
	v_perm_b32 v0, v4, v0, s3
	s_barrier
	ds_write_b128 v102, v[0:3]
	v_bfe_u32 v0, v34, 16, 1
	v_bfe_u32 v1, v35, 16, 1
	v_add3_u32 v0, v34, v0, s2
	v_bfe_u32 v2, v32, 16, 1
	v_add3_u32 v1, v35, v1, s2
	v_lshrrev_b32_e32 v0, 16, v0
	v_cmp_o_f32_e32 vcc, v34, v34
	v_bfe_u32 v3, v33, 16, 1
	v_add3_u32 v2, v32, v2, s2
	v_lshrrev_b32_e32 v1, 16, v1
	v_cndmask_b32_e32 v0, v141, v0, vcc
	v_cmp_o_f32_e32 vcc, v35, v35
	v_add3_u32 v3, v33, v3, s2
	v_lshrrev_b32_e32 v2, 16, v2
	v_cndmask_b32_e32 v4, v141, v1, vcc
	v_cmp_o_f32_e32 vcc, v32, v32
	v_lshrrev_b32_e32 v3, 16, v3
	v_bfe_u32 v6, v28, 16, 1
	v_cndmask_b32_e32 v1, v141, v2, vcc
	v_cmp_o_f32_e32 vcc, v33, v33
	v_bfe_u32 v2, v30, 16, 1
	v_add3_u32 v2, v30, v2, s2
	v_cndmask_b32_e32 v5, v141, v3, vcc
	v_bfe_u32 v3, v31, 16, 1
	v_add3_u32 v3, v31, v3, s2
	v_lshrrev_b32_e32 v2, 16, v2
	v_cmp_o_f32_e32 vcc, v30, v30
	v_bfe_u32 v7, v29, 16, 1
	v_add3_u32 v6, v28, v6, s2
	v_lshrrev_b32_e32 v3, 16, v3
	v_cndmask_b32_e32 v2, v141, v2, vcc
	v_cmp_o_f32_e32 vcc, v31, v31
	v_add3_u32 v7, v29, v7, s2
	v_lshrrev_b32_e32 v6, 16, v6
	v_cndmask_b32_e32 v8, v141, v3, vcc
	v_cmp_o_f32_e32 vcc, v28, v28
	v_lshrrev_b32_e32 v7, 16, v7
	v_perm_b32 v2, v8, v2, s3
	v_cndmask_b32_e32 v3, v141, v6, vcc
	v_cmp_o_f32_e32 vcc, v29, v29
	v_perm_b32 v1, v5, v1, s3
	v_perm_b32 v0, v4, v0, s3
	v_cndmask_b32_e32 v6, v141, v7, vcc
	v_perm_b32 v3, v6, v3, s3
	ds_write_b128 v102, v[0:3] offset:16
	; wave barrier
	ds_read_u16 v16, v87 offset:128
	ds_read_u16 v15, v88 offset:256
	;; [unrolled: 1-line block ×15, first 2 shown]
	v_readlane_b32 s2, v167, 60
	v_readlane_b32 s3, v167, 61
	s_mov_b32 s3, s7
	s_nop 0
	v_lshl_add_u64 v[0:1], s[2:3], 1, v[20:21]
	s_and_saveexec_b64 s[2:3], s[26:27]
	s_cbranch_execz .LBB26_206
; %bb.205:                              ;   in Loop: Header=BB26_13 Depth=1
	ds_read_u16 v23, v86
	s_waitcnt lgkmcnt(0)
	global_store_short v[0:1], v23, off
.LBB26_206:                             ;   in Loop: Header=BB26_13 Depth=1
	s_or_b64 exec, exec, s[2:3]
	s_and_saveexec_b64 s[2:3], s[28:29]
	v_readlane_b32 s8, v167, 62
	v_readlane_b32 s9, v167, 63
	s_cbranch_execnz .LBB26_223
; %bb.207:                              ;   in Loop: Header=BB26_13 Depth=1
	s_or_b64 exec, exec, s[2:3]
	s_and_saveexec_b64 s[2:3], s[30:31]
	s_cbranch_execnz .LBB26_224
.LBB26_208:                             ;   in Loop: Header=BB26_13 Depth=1
	s_or_b64 exec, exec, s[2:3]
	s_and_saveexec_b64 s[2:3], s[34:35]
	s_cbranch_execnz .LBB26_225
.LBB26_209:                             ;   in Loop: Header=BB26_13 Depth=1
	s_or_b64 exec, exec, s[2:3]
	s_and_saveexec_b64 s[2:3], s[36:37]
	s_cbranch_execnz .LBB26_226
.LBB26_210:                             ;   in Loop: Header=BB26_13 Depth=1
	s_or_b64 exec, exec, s[2:3]
	s_and_saveexec_b64 s[2:3], s[38:39]
	s_cbranch_execnz .LBB26_227
.LBB26_211:                             ;   in Loop: Header=BB26_13 Depth=1
	s_or_b64 exec, exec, s[2:3]
	s_and_saveexec_b64 s[2:3], s[40:41]
	s_cbranch_execnz .LBB26_228
.LBB26_212:                             ;   in Loop: Header=BB26_13 Depth=1
	s_or_b64 exec, exec, s[2:3]
	s_and_saveexec_b64 s[2:3], s[42:43]
	s_cbranch_execnz .LBB26_229
.LBB26_213:                             ;   in Loop: Header=BB26_13 Depth=1
	s_or_b64 exec, exec, s[2:3]
	s_and_saveexec_b64 s[2:3], s[44:45]
	s_cbranch_execnz .LBB26_230
.LBB26_214:                             ;   in Loop: Header=BB26_13 Depth=1
	s_or_b64 exec, exec, s[2:3]
	s_and_saveexec_b64 s[2:3], s[46:47]
	s_cbranch_execnz .LBB26_231
.LBB26_215:                             ;   in Loop: Header=BB26_13 Depth=1
	s_or_b64 exec, exec, s[2:3]
	s_and_saveexec_b64 s[2:3], s[48:49]
	s_cbranch_execnz .LBB26_232
.LBB26_216:                             ;   in Loop: Header=BB26_13 Depth=1
	s_or_b64 exec, exec, s[2:3]
	s_and_saveexec_b64 s[2:3], s[50:51]
	s_cbranch_execnz .LBB26_233
.LBB26_217:                             ;   in Loop: Header=BB26_13 Depth=1
	s_or_b64 exec, exec, s[2:3]
	s_and_saveexec_b64 s[2:3], s[52:53]
	s_cbranch_execnz .LBB26_234
.LBB26_218:                             ;   in Loop: Header=BB26_13 Depth=1
	s_or_b64 exec, exec, s[2:3]
	s_and_saveexec_b64 s[2:3], s[54:55]
	s_cbranch_execnz .LBB26_235
.LBB26_219:                             ;   in Loop: Header=BB26_13 Depth=1
	s_or_b64 exec, exec, s[2:3]
	s_and_saveexec_b64 s[2:3], s[56:57]
	s_cbranch_execnz .LBB26_236
.LBB26_220:                             ;   in Loop: Header=BB26_13 Depth=1
	s_or_b64 exec, exec, s[2:3]
	s_and_saveexec_b64 s[2:3], s[58:59]
	s_cbranch_execz .LBB26_12
	s_branch .LBB26_237
.LBB26_221:                             ;   in Loop: Header=BB26_13 Depth=1
	global_load_ushort v32, v[8:9], off offset:1664
	s_or_b64 exec, exec, s[2:3]
	s_and_saveexec_b64 s[2:3], s[56:57]
	s_cbranch_execz .LBB26_73
.LBB26_222:                             ;   in Loop: Header=BB26_13 Depth=1
	global_load_ushort v31, v[8:9], off offset:1792
	s_or_b64 exec, exec, s[2:3]
	v_mov_b32_e32 v33, 0
	s_and_saveexec_b64 s[2:3], s[58:59]
	s_cbranch_execnz .LBB26_74
	s_branch .LBB26_75
.LBB26_223:                             ;   in Loop: Header=BB26_13 Depth=1
	s_waitcnt lgkmcnt(14)
	global_store_short v[0:1], v16, off offset:128
	s_or_b64 exec, exec, s[2:3]
	s_and_saveexec_b64 s[2:3], s[30:31]
	s_cbranch_execz .LBB26_208
.LBB26_224:                             ;   in Loop: Header=BB26_13 Depth=1
	s_waitcnt lgkmcnt(13)
	global_store_short v[0:1], v15, off offset:256
	s_or_b64 exec, exec, s[2:3]
	s_and_saveexec_b64 s[2:3], s[34:35]
	s_cbranch_execz .LBB26_209
.LBB26_225:                             ;   in Loop: Header=BB26_13 Depth=1
	s_waitcnt lgkmcnt(12)
	global_store_short v[0:1], v14, off offset:384
	s_or_b64 exec, exec, s[2:3]
	s_and_saveexec_b64 s[2:3], s[36:37]
	s_cbranch_execz .LBB26_210
.LBB26_226:                             ;   in Loop: Header=BB26_13 Depth=1
	s_waitcnt lgkmcnt(11)
	global_store_short v[0:1], v13, off offset:512
	s_or_b64 exec, exec, s[2:3]
	s_and_saveexec_b64 s[2:3], s[38:39]
	s_cbranch_execz .LBB26_211
.LBB26_227:                             ;   in Loop: Header=BB26_13 Depth=1
	s_waitcnt lgkmcnt(10)
	global_store_short v[0:1], v12, off offset:640
	s_or_b64 exec, exec, s[2:3]
	s_and_saveexec_b64 s[2:3], s[40:41]
	s_cbranch_execz .LBB26_212
.LBB26_228:                             ;   in Loop: Header=BB26_13 Depth=1
	s_waitcnt lgkmcnt(9)
	global_store_short v[0:1], v11, off offset:768
	s_or_b64 exec, exec, s[2:3]
	s_and_saveexec_b64 s[2:3], s[42:43]
	s_cbranch_execz .LBB26_213
.LBB26_229:                             ;   in Loop: Header=BB26_13 Depth=1
	s_waitcnt lgkmcnt(8)
	global_store_short v[0:1], v10, off offset:896
	s_or_b64 exec, exec, s[2:3]
	s_and_saveexec_b64 s[2:3], s[44:45]
	s_cbranch_execz .LBB26_214
.LBB26_230:                             ;   in Loop: Header=BB26_13 Depth=1
	s_waitcnt lgkmcnt(7)
	global_store_short v[0:1], v9, off offset:1024
	s_or_b64 exec, exec, s[2:3]
	s_and_saveexec_b64 s[2:3], s[46:47]
	s_cbranch_execz .LBB26_215
.LBB26_231:                             ;   in Loop: Header=BB26_13 Depth=1
	s_waitcnt lgkmcnt(6)
	global_store_short v[0:1], v8, off offset:1152
	s_or_b64 exec, exec, s[2:3]
	s_and_saveexec_b64 s[2:3], s[48:49]
	s_cbranch_execz .LBB26_216
.LBB26_232:                             ;   in Loop: Header=BB26_13 Depth=1
	s_waitcnt lgkmcnt(5)
	global_store_short v[0:1], v7, off offset:1280
	s_or_b64 exec, exec, s[2:3]
	s_and_saveexec_b64 s[2:3], s[50:51]
	s_cbranch_execz .LBB26_217
.LBB26_233:                             ;   in Loop: Header=BB26_13 Depth=1
	s_waitcnt lgkmcnt(4)
	global_store_short v[0:1], v6, off offset:1408
	s_or_b64 exec, exec, s[2:3]
	s_and_saveexec_b64 s[2:3], s[52:53]
	s_cbranch_execz .LBB26_218
.LBB26_234:                             ;   in Loop: Header=BB26_13 Depth=1
	s_waitcnt lgkmcnt(3)
	global_store_short v[0:1], v5, off offset:1536
	s_or_b64 exec, exec, s[2:3]
	s_and_saveexec_b64 s[2:3], s[54:55]
	s_cbranch_execz .LBB26_219
.LBB26_235:                             ;   in Loop: Header=BB26_13 Depth=1
	s_waitcnt lgkmcnt(2)
	global_store_short v[0:1], v4, off offset:1664
	s_or_b64 exec, exec, s[2:3]
	s_and_saveexec_b64 s[2:3], s[56:57]
	s_cbranch_execz .LBB26_220
.LBB26_236:                             ;   in Loop: Header=BB26_13 Depth=1
	s_waitcnt lgkmcnt(1)
	global_store_short v[0:1], v3, off offset:1792
	s_or_b64 exec, exec, s[2:3]
	s_and_saveexec_b64 s[2:3], s[58:59]
	s_cbranch_execz .LBB26_12
.LBB26_237:                             ;   in Loop: Header=BB26_13 Depth=1
	s_waitcnt lgkmcnt(0)
	global_store_short v[0:1], v2, off offset:1920
	s_branch .LBB26_12
.LBB26_238:
	s_endpgm
	.section	.rodata,"a",@progbits
	.p2align	6, 0x0
	.amdhsa_kernel _Z25selective_scan_fwd_kernelI32Selective_Scan_fwd_kernel_traitsILi128ELi16ELi1ELb1ELb1ELb1ELb0ELb1EN3c108BFloat16EfS2_EEv13SSMParamsBase
		.amdhsa_group_segment_fixed_size 0
		.amdhsa_private_segment_fixed_size 0
		.amdhsa_kernarg_size 248
		.amdhsa_user_sgpr_count 2
		.amdhsa_user_sgpr_dispatch_ptr 0
		.amdhsa_user_sgpr_queue_ptr 0
		.amdhsa_user_sgpr_kernarg_segment_ptr 1
		.amdhsa_user_sgpr_dispatch_id 0
		.amdhsa_user_sgpr_kernarg_preload_length 0
		.amdhsa_user_sgpr_kernarg_preload_offset 0
		.amdhsa_user_sgpr_private_segment_size 0
		.amdhsa_uses_dynamic_stack 0
		.amdhsa_enable_private_segment 0
		.amdhsa_system_sgpr_workgroup_id_x 1
		.amdhsa_system_sgpr_workgroup_id_y 1
		.amdhsa_system_sgpr_workgroup_id_z 0
		.amdhsa_system_sgpr_workgroup_info 0
		.amdhsa_system_vgpr_workitem_id 0
		.amdhsa_next_free_vgpr 168
		.amdhsa_next_free_sgpr 100
		.amdhsa_accum_offset 168
		.amdhsa_reserve_vcc 1
		.amdhsa_float_round_mode_32 0
		.amdhsa_float_round_mode_16_64 0
		.amdhsa_float_denorm_mode_32 3
		.amdhsa_float_denorm_mode_16_64 3
		.amdhsa_dx10_clamp 1
		.amdhsa_ieee_mode 1
		.amdhsa_fp16_overflow 0
		.amdhsa_tg_split 0
		.amdhsa_exception_fp_ieee_invalid_op 0
		.amdhsa_exception_fp_denorm_src 0
		.amdhsa_exception_fp_ieee_div_zero 0
		.amdhsa_exception_fp_ieee_overflow 0
		.amdhsa_exception_fp_ieee_underflow 0
		.amdhsa_exception_fp_ieee_inexact 0
		.amdhsa_exception_int_div_zero 0
	.end_amdhsa_kernel
	.section	.text._Z25selective_scan_fwd_kernelI32Selective_Scan_fwd_kernel_traitsILi128ELi16ELi1ELb1ELb1ELb1ELb0ELb1EN3c108BFloat16EfS2_EEv13SSMParamsBase,"axG",@progbits,_Z25selective_scan_fwd_kernelI32Selective_Scan_fwd_kernel_traitsILi128ELi16ELi1ELb1ELb1ELb1ELb0ELb1EN3c108BFloat16EfS2_EEv13SSMParamsBase,comdat
.Lfunc_end26:
	.size	_Z25selective_scan_fwd_kernelI32Selective_Scan_fwd_kernel_traitsILi128ELi16ELi1ELb1ELb1ELb1ELb0ELb1EN3c108BFloat16EfS2_EEv13SSMParamsBase, .Lfunc_end26-_Z25selective_scan_fwd_kernelI32Selective_Scan_fwd_kernel_traitsILi128ELi16ELi1ELb1ELb1ELb1ELb0ELb1EN3c108BFloat16EfS2_EEv13SSMParamsBase
                                        ; -- End function
	.section	.AMDGPU.csdata,"",@progbits
; Kernel info:
; codeLenInByte = 20860
; NumSgprs: 106
; NumVgprs: 168
; NumAgprs: 0
; TotalNumVgprs: 168
; ScratchSize: 0
; MemoryBound: 0
; FloatMode: 240
; IeeeMode: 1
; LDSByteSize: 0 bytes/workgroup (compile time only)
; SGPRBlocks: 13
; VGPRBlocks: 20
; NumSGPRsForWavesPerEU: 106
; NumVGPRsForWavesPerEU: 168
; AccumOffset: 168
; Occupancy: 3
; WaveLimiterHint : 1
; COMPUTE_PGM_RSRC2:SCRATCH_EN: 0
; COMPUTE_PGM_RSRC2:USER_SGPR: 2
; COMPUTE_PGM_RSRC2:TRAP_HANDLER: 0
; COMPUTE_PGM_RSRC2:TGID_X_EN: 1
; COMPUTE_PGM_RSRC2:TGID_Y_EN: 1
; COMPUTE_PGM_RSRC2:TGID_Z_EN: 0
; COMPUTE_PGM_RSRC2:TIDIG_COMP_CNT: 0
; COMPUTE_PGM_RSRC3_GFX90A:ACCUM_OFFSET: 41
; COMPUTE_PGM_RSRC3_GFX90A:TG_SPLIT: 0
	.section	.text._Z25selective_scan_fwd_kernelI32Selective_Scan_fwd_kernel_traitsILi128ELi16ELi1ELb1ELb1ELb1ELb0ELb0EN3c108BFloat16EfS2_EEv13SSMParamsBase,"axG",@progbits,_Z25selective_scan_fwd_kernelI32Selective_Scan_fwd_kernel_traitsILi128ELi16ELi1ELb1ELb1ELb1ELb0ELb0EN3c108BFloat16EfS2_EEv13SSMParamsBase,comdat
	.protected	_Z25selective_scan_fwd_kernelI32Selective_Scan_fwd_kernel_traitsILi128ELi16ELi1ELb1ELb1ELb1ELb0ELb0EN3c108BFloat16EfS2_EEv13SSMParamsBase ; -- Begin function _Z25selective_scan_fwd_kernelI32Selective_Scan_fwd_kernel_traitsILi128ELi16ELi1ELb1ELb1ELb1ELb0ELb0EN3c108BFloat16EfS2_EEv13SSMParamsBase
	.globl	_Z25selective_scan_fwd_kernelI32Selective_Scan_fwd_kernel_traitsILi128ELi16ELi1ELb1ELb1ELb1ELb0ELb0EN3c108BFloat16EfS2_EEv13SSMParamsBase
	.p2align	8
	.type	_Z25selective_scan_fwd_kernelI32Selective_Scan_fwd_kernel_traitsILi128ELi16ELi1ELb1ELb1ELb1ELb0ELb0EN3c108BFloat16EfS2_EEv13SSMParamsBase,@function
_Z25selective_scan_fwd_kernelI32Selective_Scan_fwd_kernel_traitsILi128ELi16ELi1ELb1ELb1ELb1ELb0ELb0EN3c108BFloat16EfS2_EEv13SSMParamsBase: ; @_Z25selective_scan_fwd_kernelI32Selective_Scan_fwd_kernel_traitsILi128ELi16ELi1ELb1ELb1ELb1ELb0ELb0EN3c108BFloat16EfS2_EEv13SSMParamsBase
; %bb.0:
	s_load_dword s25, s[0:1], 0x18
	s_load_dwordx4 s[4:7], s[0:1], 0xe8
	s_mov_b32 s20, s3
                                        ; implicit-def: $vgpr155 : SGPR spill to VGPR lane
	s_waitcnt lgkmcnt(0)
	s_abs_i32 s24, s25
	v_cvt_f32_u32_e32 v1, s24
	s_cmp_eq_u64 s[6:7], 0
	v_rcp_iflag_f32_e32 v1, v1
	s_nop 0
	v_mul_f32_e32 v1, 0x4f7ffffe, v1
	v_cvt_u32_f32_e32 v1, v1
	s_nop 0
	v_readfirstlane_b32 s26, v1
	s_cbranch_scc1 .LBB27_2
; %bb.1:
	s_ashr_i32 s3, s2, 31
	s_add_u32 s6, s6, s2
	s_addc_u32 s7, s7, s3
	v_mov_b32_e32 v1, 0
	global_load_ubyte v1, v1, s[6:7]
	s_waitcnt vmcnt(0)
	v_and_b32_e32 v1, 1, v1
	v_cmp_eq_u32_e64 s[6:7], 1, v1
	s_branch .LBB27_3
.LBB27_2:
	s_mov_b64 s[6:7], 0
.LBB27_3:
	s_nop 0
	v_writelane_b32 v155, s6, 0
	s_cmp_eq_u64 s[4:5], 0
	s_nop 0
	v_writelane_b32 v155, s7, 1
	s_load_dwordx2 s[6:7], s[0:1], 0x20
	s_cbranch_scc1 .LBB27_5
; %bb.4:
	s_ashr_i32 s3, s2, 31
	s_lshl_b64 s[8:9], s[2:3], 2
	s_add_u32 s4, s4, s8
	s_addc_u32 s5, s5, s9
	s_load_dword s22, s[4:5], 0x0
	s_waitcnt lgkmcnt(0)
	s_ashr_i32 s23, s22, 31
	s_cmp_eq_u64 s[6:7], s[22:23]
	s_cbranch_scc0 .LBB27_6
	s_branch .LBB27_86
.LBB27_5:
	s_mov_b32 s22, s2
	s_ashr_i32 s23, s22, 31
	s_waitcnt lgkmcnt(0)
	s_cmp_eq_u64 s[6:7], s[22:23]
	s_cbranch_scc1 .LBB27_86
.LBB27_6:
	s_load_dwordx16 s[36:51], s[0:1], 0x88
	s_load_dwordx2 s[30:31], s[0:1], 0x8
	s_mov_b32 s33, 0
	s_mov_b32 s80, 0
	s_waitcnt lgkmcnt(0)
	s_cmp_eq_u64 s[42:43], 0
	s_cbranch_scc1 .LBB27_8
; %bb.7:
	s_ashr_i32 s21, s20, 31
	s_lshl_b64 s[28:29], s[20:21], 2
	s_add_u32 s10, s42, s28
	s_addc_u32 s11, s43, s29
	s_load_dword s80, s[10:11], 0x0
.LBB27_8:
	s_cmp_eq_u64 s[48:49], 0
	s_cbranch_scc1 .LBB27_10
; %bb.9:
	s_ashr_i32 s21, s20, 31
	s_lshl_b64 s[10:11], s[20:21], 2
	s_add_u32 s10, s48, s10
	s_addc_u32 s11, s49, s11
	s_load_dword s33, s[10:11], 0x0
.LBB27_10:
	s_cmp_lt_i32 s30, 1
	s_cbranch_scc1 .LBB27_86
; %bb.11:
	s_sub_i32 s3, 0, s24
	s_mul_i32 s3, s3, s26
	s_mul_hi_u32 s3, s26, s3
	s_abs_i32 s21, s20
	s_add_i32 s3, s26, s3
	s_load_dwordx8 s[52:59], s[0:1], 0x2c
	s_load_dwordx2 s[16:17], s[0:1], 0x5c
	s_load_dwordx4 s[72:75], s[0:1], 0x4c
	s_load_dwordx4 s[60:63], s[0:1], 0x7c
	s_load_dwordx2 s[6:7], s[0:1], 0x6c
	s_load_dwordx2 s[26:27], s[0:1], 0xc8
	s_mul_hi_u32 s3, s21, s3
	s_load_dword s23, s[0:1], 0x28
	s_ashr_i32 s0, s20, 31
	s_ashr_i32 s1, s25, 31
	s_xor_b32 s0, s0, s1
	s_mul_i32 s1, s3, s24
	s_sub_i32 s1, s21, s1
	s_add_i32 s21, s3, 1
	s_sub_i32 s25, s1, s24
	s_cmp_ge_u32 s1, s24
	s_cselect_b32 s3, s21, s3
	s_cselect_b32 s1, s25, s1
	s_add_i32 s21, s3, 1
	s_cmp_ge_u32 s1, s24
	s_cselect_b32 s1, s21, s3
	s_xor_b32 s1, s1, s0
	s_waitcnt lgkmcnt(0)
	s_mul_i32 s82, s74, s2
	s_mov_b32 s83, 0
	s_sub_i32 s3, s1, s0
	s_lshl_b64 s[0:1], s[82:83], 1
	s_add_u32 s12, s44, s0
	s_mul_i32 s82, s75, s20
	s_addc_u32 s13, s45, s1
	s_lshl_b64 s[0:1], s[82:83], 1
	s_add_u32 s74, s12, s0
	s_mul_i32 s82, s16, s2
	s_addc_u32 s75, s13, s1
	;; [unrolled: 4-line block ×6, first 2 shown]
	s_lshl_b64 s[0:1], s[82:83], 1
	s_add_u32 s0, s4, s0
	s_addc_u32 s1, s5, s1
	v_writelane_b32 v155, s0, 2
	s_mul_i32 s82, s58, s2
	v_mbcnt_lo_u32_b32 v1, -1, 0
	v_writelane_b32 v155, s1, 3
	s_lshl_b64 s[0:1], s[82:83], 1
	s_add_u32 s4, s40, s0
	s_mul_i32 s82, s3, s73
	s_addc_u32 s5, s41, s1
	s_lshl_b64 s[0:1], s[82:83], 1
	s_add_u32 s0, s4, s0
	s_addc_u32 s1, s5, s1
	v_writelane_b32 v155, s0, 4
	s_mul_i32 s82, s22, s60
	v_mbcnt_hi_u32_b32 v4, -1, v1
	v_writelane_b32 v155, s1, 5
	s_lshl_b64 s[0:1], s[82:83], 1
	s_add_u32 s3, s26, s0
	v_writelane_b32 v155, s60, 6
	s_mul_i32 s82, s61, s20
	s_addc_u32 s4, s27, s1
	s_lshl_b64 s[0:1], s[82:83], 1
	s_add_u32 s69, s3, s0
	v_lshlrev_b32_e32 v1, 1, v0
	v_writelane_b32 v155, s61, 7
	s_addc_u32 s66, s4, s1
	s_add_i32 s0, s30, 0x7ff
	v_and_b32_e32 v2, 0x80, v1
	v_writelane_b32 v155, s62, 8
	s_lshr_b32 s8, s0, 11
	v_or_b32_e32 v1, v4, v2
	s_movk_i32 s0, 0x100
	v_writelane_b32 v155, s63, 9
	v_cmp_gt_u32_e64 s[4:5], s0, v1
	v_add_u32_e32 v3, 64, v1
	v_cmp_gt_u32_e64 s[0:1], s0, v3
	v_writelane_b32 v155, s4, 10
	s_bitcmp1_b32 s23, 0
	v_lshrrev_b32_e32 v5, 5, v1
	v_writelane_b32 v155, s5, 11
	v_writelane_b32 v155, s0, 12
	v_lshrrev_b32_e32 v3, 5, v3
	s_cselect_b64 s[88:89], -1, 0
	s_cmp_gt_i32 s31, 0
	v_writelane_b32 v155, s1, 13
	v_add_u32_e32 v5, v5, v1
	v_add_lshl_u32 v1, v3, v1, 4
	v_and_b32_e32 v3, 64, v0
	s_cselect_b64 s[0:1], -1, 0
	v_lshl_add_u32 v86, v5, 4, 0
	v_add_u32_e32 v5, v4, v3
	v_writelane_b32 v155, s0, 14
	v_lshlrev_b32_e32 v6, 1, v5
	v_bfe_u32 v5, v5, 4, 27
	v_writelane_b32 v155, s1, 15
	v_add_lshl_u32 v5, v5, v6, 4
	s_add_i32 s0, 0, 0x1080
	v_writelane_b32 v155, s30, 16
	v_add_u32_e32 v89, s0, v1
	v_add_u32_e32 v90, s0, v5
	v_writelane_b32 v155, s31, 17
	s_add_i32 s0, s8, -1
	s_mul_i32 s82, s6, s2
	s_and_b32 s3, s30, 0x7ff
	v_writelane_b32 v155, s0, 18
	s_lshl_b64 s[0:1], s[82:83], 1
	s_add_u32 s2, s50, s0
	s_mul_i32 s82, s7, s20
	s_addc_u32 s4, s51, s1
	s_lshl_b64 s[0:1], s[82:83], 1
	v_add_u32_e32 v87, 0, v1
	s_add_u32 s0, s2, s0
	v_and_b32_e32 v1, 15, v4
	s_addc_u32 s1, s4, s1
	v_cmp_eq_u32_e64 s[4:5], 0, v1
	v_cmp_lt_u32_e64 s[6:7], 1, v1
	v_cmp_lt_u32_e64 s[10:11], 3, v1
	;; [unrolled: 1-line block ×3, first 2 shown]
	v_and_b32_e32 v1, 16, v4
	v_cmp_ne_u32_e64 s[92:93], 0, v1
	v_or_b32_e32 v1, 63, v3
	v_cmp_eq_u32_e64 s[16:17], v1, v0
	v_lshrrev_b32_e32 v1, 3, v0
	v_and_b32_e32 v1, 8, v1
	v_add_u32_e32 v92, 0, v1
	v_and_b32_e32 v1, 1, v4
	s_cmp_eq_u32 s3, 0
	v_cmp_eq_u32_e64 s[20:21], 0, v1
	v_add_u32_e32 v1, -1, v4
	v_and_b32_e32 v3, 64, v4
	v_mov_b32_e32 v35, 0
	s_cselect_b64 s[2:3], -1, 0
	v_cmp_lt_i32_e32 vcc, v1, v3
	v_lshlrev_b32_e32 v34, 4, v4
	v_writelane_b32 v155, s2, 19
	v_lshlrev_b32_e32 v91, 4, v0
	v_cndmask_b32_e32 v1, v1, v4, vcc
	v_lshl_add_u64 v[6:7], s[0:1], 0, v[34:35]
	v_lshlrev_b32_e32 v34, 4, v2
	v_lshlrev_b32_e32 v38, 4, v2
	s_mov_b32 s9, s53
	s_mov_b32 s12, s56
	v_add_u32_e32 v88, 0, v5
	v_writelane_b32 v155, s3, 20
	v_cmp_lt_u32_e64 s[70:71], 31, v4
	v_cmp_gt_u32_e64 s[18:19], 2, v0
	v_lshl_add_u32 v93, v0, 3, 0
	v_cmp_gt_u32_e64 s[22:23], 64, v0
	v_lshlrev_b32_e32 v94, 2, v1
	v_lshl_add_u64 v[36:37], v[6:7], 0, v[34:35]
	v_or_b32_e32 v95, 1, v91
	v_or_b32_e32 v96, 2, v91
	;; [unrolled: 1-line block ×15, first 2 shown]
	v_lshlrev_b32_e32 v34, 4, v4
	v_mov_b32_e32 v110, 0x3ecc95a3
	s_add_i32 s0, 0, 0x2110
	s_mov_b32 s65, 0xc2fc0000
	s_movk_i32 s64, 0x7fff
	v_mov_b32_e32 v40, v38
	v_mov_b32_e32 v41, v35
	;; [unrolled: 1-line block ×7, first 2 shown]
	s_mov_b32 s13, 0
	v_cmp_lt_u32_e64 s[24:25], 63, v0
	v_cmp_eq_u32_e64 s[26:27], 0, v0
	v_cmp_eq_u32_e64 s[28:29], 0, v4
                                        ; implicit-def: $vgpr1
	v_writelane_b32 v155, s0, 21
                                        ; implicit-def: $vgpr10_vgpr11
                                        ; implicit-def: $vgpr2_vgpr3
                                        ; implicit-def: $vgpr14_vgpr15
                                        ; implicit-def: $vgpr6_vgpr7
	s_branch .LBB27_14
.LBB27_12:                              ;   in Loop: Header=BB27_14 Depth=1
	s_mov_b32 s13, s34
.LBB27_13:                              ;   in Loop: Header=BB27_14 Depth=1
	v_bfe_u32 v0, v58, 16, 1
	v_bfe_u32 v1, v59, 16, 1
	v_add3_u32 v0, v58, v0, s64
	v_bfe_u32 v18, v56, 16, 1
	v_add3_u32 v1, v59, v1, s64
	v_lshrrev_b32_e32 v0, 16, v0
	v_cmp_o_f32_e32 vcc, v58, v58
	v_bfe_u32 v19, v57, 16, 1
	v_add3_u32 v18, v56, v18, s64
	v_lshrrev_b32_e32 v1, 16, v1
	v_cndmask_b32_e32 v0, v114, v0, vcc
	v_cmp_o_f32_e32 vcc, v59, v59
	v_add3_u32 v19, v57, v19, s64
	v_lshrrev_b32_e32 v18, 16, v18
	v_cndmask_b32_e32 v1, v114, v1, vcc
	v_cmp_o_f32_e32 vcc, v56, v56
	v_bfe_u32 v20, v54, 16, 1
	v_lshrrev_b32_e32 v19, 16, v19
	v_cndmask_b32_e32 v18, v114, v18, vcc
	v_cmp_o_f32_e32 vcc, v57, v57
	v_bfe_u32 v21, v55, 16, 1
	v_add3_u32 v20, v54, v20, s64
	v_cndmask_b32_e32 v19, v114, v19, vcc
	v_bfe_u32 v22, v52, 16, 1
	v_add3_u32 v21, v55, v21, s64
	v_lshrrev_b32_e32 v20, 16, v20
	v_cmp_o_f32_e32 vcc, v54, v54
	v_bfe_u32 v23, v53, 16, 1
	v_add3_u32 v22, v52, v22, s64
	v_lshrrev_b32_e32 v21, 16, v21
	v_cndmask_b32_e32 v20, v114, v20, vcc
	v_cmp_o_f32_e32 vcc, v55, v55
	v_add3_u32 v23, v53, v23, s64
	v_lshrrev_b32_e32 v22, 16, v22
	v_cndmask_b32_e32 v24, v114, v21, vcc
	v_cmp_o_f32_e32 vcc, v52, v52
	v_lshrrev_b32_e32 v23, 16, v23
	s_mov_b32 s0, 0x5040100
	v_cndmask_b32_e32 v21, v114, v22, vcc
	v_cmp_o_f32_e32 vcc, v53, v53
	v_perm_b32 v19, v19, v18, s0
	v_perm_b32 v18, v1, v0, s0
	v_cndmask_b32_e32 v22, v114, v23, vcc
	v_bfe_u32 v0, v50, 16, 1
	v_perm_b32 v21, v22, v21, s0
	v_perm_b32 v20, v24, v20, s0
	v_bfe_u32 v1, v51, 16, 1
	v_add3_u32 v0, v50, v0, s64
	s_barrier
	ds_write_b128 v88, v[18:21]
	v_bfe_u32 v18, v48, 16, 1
	v_add3_u32 v1, v51, v1, s64
	v_lshrrev_b32_e32 v0, 16, v0
	v_cmp_o_f32_e32 vcc, v50, v50
	v_bfe_u32 v19, v49, 16, 1
	v_add3_u32 v18, v48, v18, s64
	v_lshrrev_b32_e32 v1, 16, v1
	v_cndmask_b32_e32 v0, v114, v0, vcc
	v_cmp_o_f32_e32 vcc, v51, v51
	v_add3_u32 v19, v49, v19, s64
	v_lshrrev_b32_e32 v18, 16, v18
	v_cndmask_b32_e32 v1, v114, v1, vcc
	v_cmp_o_f32_e32 vcc, v48, v48
	v_bfe_u32 v20, v46, 16, 1
	v_lshrrev_b32_e32 v19, 16, v19
	v_cndmask_b32_e32 v18, v114, v18, vcc
	v_cmp_o_f32_e32 vcc, v49, v49
	v_bfe_u32 v21, v47, 16, 1
	v_add3_u32 v20, v46, v20, s64
	v_cndmask_b32_e32 v19, v114, v19, vcc
	v_bfe_u32 v22, v44, 16, 1
	v_add3_u32 v21, v47, v21, s64
	v_lshrrev_b32_e32 v20, 16, v20
	v_cmp_o_f32_e32 vcc, v46, v46
	v_bfe_u32 v23, v45, 16, 1
	v_add3_u32 v22, v44, v22, s64
	v_lshrrev_b32_e32 v21, 16, v21
	v_cndmask_b32_e32 v20, v114, v20, vcc
	v_cmp_o_f32_e32 vcc, v47, v47
	s_add_u32 s86, s86, 0x1000
	v_add3_u32 v23, v45, v23, s64
	v_lshrrev_b32_e32 v22, 16, v22
	v_cndmask_b32_e32 v24, v114, v21, vcc
	v_cmp_o_f32_e32 vcc, v44, v44
	s_addc_u32 s87, s87, 0
	v_lshrrev_b32_e32 v23, 16, v23
	v_cndmask_b32_e32 v21, v114, v22, vcc
	v_cmp_o_f32_e32 vcc, v45, v45
	s_add_u32 s74, s74, 0x1000
	v_perm_b32 v20, v24, v20, s0
	v_cndmask_b32_e32 v22, v114, v23, vcc
	v_perm_b32 v21, v22, v21, s0
	v_perm_b32 v19, v19, v18, s0
	;; [unrolled: 1-line block ×3, first 2 shown]
	s_addc_u32 s75, s75, 0
	v_readlane_b32 s0, v155, 2
	v_readlane_b32 s1, v155, 3
	s_add_u32 s0, s0, 0x1000
	s_addc_u32 s1, s1, 0
	v_writelane_b32 v155, s0, 2
	ds_write_b128 v88, v[18:21] offset:16
	; wave barrier
	ds_read_b128 v[18:21], v86
	ds_read_b128 v[22:25], v87 offset:1024
	v_writelane_b32 v155, s1, 3
	s_mov_b32 s91, s83
	v_readlane_b32 s0, v155, 4
	v_readlane_b32 s1, v155, 5
	s_add_u32 s0, s0, 0x1000
	s_addc_u32 s1, s1, 0
	s_add_i32 s13, s13, 1
	v_lshl_add_u64 v[0:1], s[90:91], 1, v[36:37]
	v_writelane_b32 v155, s0, 4
	s_cmp_eq_u32 s13, s8
	s_waitcnt lgkmcnt(1)
	global_store_short v[0:1], v18, off
	v_alignbit_b32 v27, v20, v19, 16
	v_alignbit_b32 v26, v19, v18, 16
	;; [unrolled: 1-line block ×3, first 2 shown]
	global_store_short_d16_hi v[0:1], v21, off offset:14
	global_store_dword v[0:1], v18, off offset:10
	global_store_dwordx2 v[0:1], v[26:27], off offset:2
	v_writelane_b32 v155, s1, 5
	s_waitcnt lgkmcnt(0)
	global_store_dwordx4 v[0:1], v[22:25], off offset:1024
	s_cbranch_scc1 .LBB27_86
.LBB27_14:                              ; =>This Loop Header: Depth=1
                                        ;     Child Loop BB27_57 Depth 2
	v_lshl_add_u64 v[0:1], s[74:75], 0, v[34:35]
	v_lshl_add_u64 v[0:1], v[0:1], 0, v[40:41]
	s_barrier
	s_mov_b64 s[0:1], exec
	v_readlane_b32 s2, v155, 10
	v_readlane_b32 s3, v155, 11
	s_and_b64 s[2:3], s[0:1], s[2:3]
	s_mov_b64 exec, s[2:3]
	s_cbranch_execz .LBB27_16
; %bb.15:                               ;   in Loop: Header=BB27_14 Depth=1
	global_load_dwordx4 v[14:17], v[0:1], off
.LBB27_16:                              ;   in Loop: Header=BB27_14 Depth=1
	s_or_b64 exec, exec, s[0:1]
	s_mov_b64 s[0:1], exec
	v_readlane_b32 s2, v155, 12
	v_readlane_b32 s3, v155, 13
	s_and_b64 s[2:3], s[0:1], s[2:3]
	s_mov_b64 exec, s[2:3]
	s_cbranch_execz .LBB27_18
; %bb.17:                               ;   in Loop: Header=BB27_14 Depth=1
	global_load_dwordx4 v[6:9], v[0:1], off offset:1024
.LBB27_18:                              ;   in Loop: Header=BB27_14 Depth=1
	s_or_b64 exec, exec, s[0:1]
	s_waitcnt vmcnt(0)
	ds_write_b128 v86, v[14:17]
	ds_write_b128 v87, v[6:9] offset:1024
	; wave barrier
	ds_read_b128 v[14:17], v88
	ds_read_b128 v[6:9], v88 offset:16
	v_lshl_add_u64 v[0:1], s[86:87], 0, v[34:35]
	v_mov_b32_e32 v39, v35
	v_lshl_add_u64 v[0:1], v[0:1], 0, v[38:39]
	s_waitcnt lgkmcnt(0)
	s_barrier
	s_mov_b64 s[0:1], exec
	v_readlane_b32 s2, v155, 10
	v_readlane_b32 s3, v155, 11
	s_and_b64 s[2:3], s[0:1], s[2:3]
	s_mov_b64 exec, s[2:3]
	s_cbranch_execz .LBB27_20
; %bb.19:                               ;   in Loop: Header=BB27_14 Depth=1
	global_load_dwordx4 v[10:13], v[0:1], off
.LBB27_20:                              ;   in Loop: Header=BB27_14 Depth=1
	s_or_b64 exec, exec, s[0:1]
	s_mov_b64 s[0:1], exec
	v_readlane_b32 s2, v155, 12
	v_readlane_b32 s3, v155, 13
	s_and_b64 s[2:3], s[0:1], s[2:3]
	s_mov_b64 exec, s[2:3]
	s_cbranch_execz .LBB27_22
; %bb.21:                               ;   in Loop: Header=BB27_14 Depth=1
	global_load_dwordx4 v[2:5], v[0:1], off offset:1024
.LBB27_22:                              ;   in Loop: Header=BB27_14 Depth=1
	s_or_b64 exec, exec, s[0:1]
	s_waitcnt vmcnt(0)
	ds_write_b128 v86, v[10:13]
	ds_write_b128 v87, v[2:5] offset:1024
	; wave barrier
	ds_read_b128 v[10:13], v88
	ds_read_b128 v[2:5], v88 offset:16
	s_mov_b32 s0, 0x41a00000
	s_waitcnt lgkmcnt(1)
	v_lshlrev_b32_e32 v0, 16, v10
	v_add_f32_e32 v115, s33, v0
	v_cmp_ge_f32_e32 vcc, s0, v115
	s_and_b64 s[0:1], s[88:89], vcc
	s_and_saveexec_b64 s[30:31], s[0:1]
	s_cbranch_execz .LBB27_24
; %bb.23:                               ;   in Loop: Header=BB27_14 Depth=1
	v_mul_f32_e32 v0, 0x3fb8aa3b, v115
	v_rndne_f32_e32 v1, v0
	s_mov_b32 s0, 0x3fb8aa3b
	v_sub_f32_e32 v18, v0, v1
	v_fma_f32 v0, v115, s0, -v0
	v_fmac_f32_e32 v0, 0x32a5705f, v115
	v_add_f32_e32 v0, v18, v0
	v_cvt_i32_f32_e32 v1, v1
	v_exp_f32_e32 v0, v0
	s_mov_b32 s0, 0xc2ce8ed0
	v_cmp_ngt_f32_e32 vcc, s0, v115
	s_mov_b32 s0, 0x42b17218
	v_ldexp_f32 v0, v0, v1
	v_cndmask_b32_e32 v0, 0, v0, vcc
	v_cmp_nlt_f32_e32 vcc, s0, v115
	s_mov_b32 s0, 0x3f2aaaab
	s_nop 0
	v_cndmask_b32_e32 v32, v111, v0, vcc
	v_add_f32_e32 v18, 1.0, v32
	v_add_f32_e32 v0, -1.0, v18
	v_sub_f32_e32 v1, v0, v18
	v_add_f32_e32 v1, 1.0, v1
	v_sub_f32_e32 v0, v32, v0
	v_add_f32_e32 v19, v0, v1
	v_frexp_mant_f32_e32 v20, v18
	v_cvt_f64_f32_e32 v[0:1], v18
	v_frexp_exp_i32_f64_e32 v0, v[0:1]
	v_cmp_gt_f32_e32 vcc, s0, v20
	s_mov_b32 s0, 0x3f317218
	s_nop 0
	v_subbrev_co_u32_e32 v24, vcc, 0, v0, vcc
	v_sub_u32_e32 v0, 0, v24
	v_ldexp_f32 v1, v18, v0
	v_add_f32_e32 v18, -1.0, v1
	v_add_f32_e32 v20, 1.0, v1
	v_ldexp_f32 v0, v19, v0
	v_add_f32_e32 v19, 1.0, v18
	v_add_f32_e32 v21, -1.0, v20
	v_sub_f32_e32 v19, v1, v19
	v_sub_f32_e32 v1, v1, v21
	v_add_f32_e32 v19, v0, v19
	v_add_f32_e32 v0, v0, v1
	v_add_f32_e32 v25, v20, v0
	v_rcp_f32_e32 v27, v25
	v_sub_f32_e32 v1, v20, v25
	v_add_f32_e32 v26, v0, v1
	v_add_f32_e32 v1, v18, v19
	v_mul_f32_e32 v29, v1, v27
	v_sub_f32_e32 v0, v18, v1
	v_mul_f32_e32 v18, v25, v29
	v_fma_f32 v20, v29, v25, -v18
	v_fmac_f32_e32 v20, v29, v26
	v_add_f32_e32 v28, v19, v0
	v_add_f32_e32 v0, v18, v20
	v_sub_f32_e32 v19, v1, v0
	v_pk_add_f32 v[22:23], v[0:1], v[18:19] neg_lo:[0,1] neg_hi:[0,1]
	v_mov_b32_e32 v21, v0
	v_pk_add_f32 v[0:1], v[22:23], v[20:21] neg_lo:[0,1] neg_hi:[0,1]
	s_nop 0
	v_add_f32_e32 v1, v28, v1
	v_add_f32_e32 v0, v0, v1
	;; [unrolled: 1-line block ×3, first 2 shown]
	v_mul_f32_e32 v28, v27, v1
	v_mul_f32_e32 v18, v25, v28
	v_fma_f32 v20, v28, v25, -v18
	v_fmac_f32_e32 v20, v28, v26
	v_sub_f32_e32 v19, v19, v1
	v_add_f32_e32 v25, v0, v19
	v_add_f32_e32 v0, v18, v20
	v_sub_f32_e32 v19, v1, v0
	v_pk_add_f32 v[22:23], v[0:1], v[18:19] neg_lo:[0,1] neg_hi:[0,1]
	v_mov_b32_e32 v21, v0
	v_pk_add_f32 v[0:1], v[22:23], v[20:21] neg_lo:[0,1] neg_hi:[0,1]
	s_nop 0
	v_add_f32_e32 v1, v25, v1
	v_add_f32_e32 v0, v0, v1
	;; [unrolled: 1-line block ×4, first 2 shown]
	v_sub_f32_e32 v18, v1, v29
	v_mul_f32_e32 v0, v27, v0
	v_sub_f32_e32 v18, v28, v18
	v_add_f32_e32 v18, v18, v0
	v_add_f32_e32 v20, v1, v18
	v_mul_f32_e32 v21, v20, v20
	v_fmamk_f32 v0, v21, 0x3e9b6dac, v110
	v_fmaak_f32 v43, v21, v0, 0x3f2aaada
	v_cvt_f32_i32_e32 v0, v24
	v_sub_f32_e32 v1, v20, v1
	v_sub_f32_e32 v1, v18, v1
	v_ldexp_f32 v22, v1, 1
	v_mul_f32_e32 v1, v20, v21
	v_ldexp_f32 v19, v20, 1
	v_pk_mul_f32 v[20:21], v[0:1], v[42:43]
	s_nop 0
	v_fma_f32 v18, v0, s0, -v20
	v_fmac_f32_e32 v18, 0xb102e308, v0
	v_pk_add_f32 v[0:1], v[20:21], v[18:19]
	s_mov_b32 s0, 0x7f800000
	v_sub_f32_e32 v19, v1, v19
	v_sub_f32_e32 v19, v21, v19
	v_add_f32_e32 v23, v22, v19
	v_mov_b32_e32 v22, v20
	v_pk_add_f32 v[20:21], v[0:1], v[20:21] neg_lo:[0,1] neg_hi:[0,1]
	v_pk_add_f32 v[24:25], v[0:1], v[22:23]
	v_mov_b32_e32 v19, v0
	v_mov_b32_e32 v21, v25
	v_pk_add_f32 v[26:27], v[18:19], v[20:21] neg_lo:[0,1] neg_hi:[0,1]
	v_pk_add_f32 v[18:19], v[18:19], v[20:21]
	v_mov_b32_e32 v22, v23
	v_mov_b32_e32 v20, v19
	v_pk_add_f32 v[28:29], v[20:21], v[0:1] neg_lo:[0,1] neg_hi:[0,1]
	v_mov_b32_e32 v18, v25
	v_mov_b32_e32 v21, v28
	v_pk_add_f32 v[30:31], v[24:25], v[20:21] neg_lo:[0,1] neg_hi:[0,1]
	v_mov_b32_e32 v24, v1
	v_mov_b32_e32 v25, v28
	;; [unrolled: 1-line block ×3, first 2 shown]
	v_pk_add_f32 v[18:19], v[18:19], v[24:25] neg_lo:[0,1] neg_hi:[0,1]
	v_mov_b32_e32 v23, v0
	v_pk_add_f32 v[0:1], v[22:23], v[18:19] neg_lo:[0,1] neg_hi:[0,1]
	v_mov_b32_e32 v30, v26
	v_pk_add_f32 v[18:19], v[30:31], v[0:1]
	v_cmp_eq_f32_e32 vcc, s0, v32
	v_mov_b32_e32 v22, v19
	v_pk_add_f32 v[22:23], v[18:19], v[22:23]
	s_mov_b32 s0, 0x33800000
	v_pk_add_f32 v[20:21], v[20:21], v[22:23]
	v_mov_b32_e32 v1, v22
	v_mov_b32_e32 v19, v20
	v_pk_add_f32 v[24:25], v[18:19], v[26:27] neg_lo:[0,1] neg_hi:[0,1]
	v_cmp_gt_f32_e64 s[2:3], s0, v32
	v_sub_f32_e32 v18, v18, v24
	v_pk_add_f32 v[0:1], v[0:1], v[24:25] neg_lo:[0,1] neg_hi:[0,1]
	v_sub_f32_e32 v18, v26, v18
	v_add_f32_e32 v0, v0, v18
	v_add_f32_e32 v0, v0, v1
	v_add_f32_e32 v0, v20, v0
	s_or_b64 vcc, s[2:3], vcc
	v_cndmask_b32_e32 v115, v0, v32, vcc
.LBB27_24:                              ;   in Loop: Header=BB27_14 Depth=1
	s_or_b64 exec, exec, s[30:31]
	v_and_b32_e32 v0, 0xffff0000, v10
	v_add_f32_e32 v116, s33, v0
	s_mov_b32 s0, 0x41a00000
	v_cmp_ge_f32_e32 vcc, s0, v116
	s_and_b64 s[0:1], s[88:89], vcc
	s_and_saveexec_b64 s[30:31], s[0:1]
	s_cbranch_execz .LBB27_26
; %bb.25:                               ;   in Loop: Header=BB27_14 Depth=1
	v_mul_f32_e32 v0, 0x3fb8aa3b, v116
	v_rndne_f32_e32 v1, v0
	s_mov_b32 s0, 0x3fb8aa3b
	v_sub_f32_e32 v18, v0, v1
	v_fma_f32 v0, v116, s0, -v0
	v_fmac_f32_e32 v0, 0x32a5705f, v116
	v_add_f32_e32 v0, v18, v0
	v_cvt_i32_f32_e32 v1, v1
	v_exp_f32_e32 v0, v0
	s_mov_b32 s0, 0xc2ce8ed0
	v_cmp_ngt_f32_e32 vcc, s0, v116
	s_mov_b32 s0, 0x42b17218
	v_ldexp_f32 v0, v0, v1
	v_cndmask_b32_e32 v0, 0, v0, vcc
	v_cmp_nlt_f32_e32 vcc, s0, v116
	s_mov_b32 s0, 0x3f2aaaab
	s_nop 0
	v_cndmask_b32_e32 v32, v111, v0, vcc
	v_add_f32_e32 v18, 1.0, v32
	v_add_f32_e32 v0, -1.0, v18
	v_sub_f32_e32 v1, v0, v18
	v_add_f32_e32 v1, 1.0, v1
	v_sub_f32_e32 v0, v32, v0
	v_add_f32_e32 v19, v0, v1
	v_frexp_mant_f32_e32 v20, v18
	v_cvt_f64_f32_e32 v[0:1], v18
	v_frexp_exp_i32_f64_e32 v0, v[0:1]
	v_cmp_gt_f32_e32 vcc, s0, v20
	s_mov_b32 s0, 0x3f317218
	s_nop 0
	v_subbrev_co_u32_e32 v24, vcc, 0, v0, vcc
	v_sub_u32_e32 v0, 0, v24
	v_ldexp_f32 v1, v18, v0
	v_add_f32_e32 v18, -1.0, v1
	v_add_f32_e32 v20, 1.0, v1
	v_ldexp_f32 v0, v19, v0
	v_add_f32_e32 v19, 1.0, v18
	v_add_f32_e32 v21, -1.0, v20
	v_sub_f32_e32 v19, v1, v19
	v_sub_f32_e32 v1, v1, v21
	v_add_f32_e32 v19, v0, v19
	v_add_f32_e32 v0, v0, v1
	;; [unrolled: 1-line block ×3, first 2 shown]
	v_rcp_f32_e32 v27, v25
	v_sub_f32_e32 v1, v20, v25
	v_add_f32_e32 v26, v0, v1
	v_add_f32_e32 v1, v18, v19
	v_mul_f32_e32 v29, v1, v27
	v_sub_f32_e32 v0, v18, v1
	v_mul_f32_e32 v18, v25, v29
	v_fma_f32 v20, v29, v25, -v18
	v_fmac_f32_e32 v20, v29, v26
	v_add_f32_e32 v28, v19, v0
	v_add_f32_e32 v0, v18, v20
	v_sub_f32_e32 v19, v1, v0
	v_pk_add_f32 v[22:23], v[0:1], v[18:19] neg_lo:[0,1] neg_hi:[0,1]
	v_mov_b32_e32 v21, v0
	v_pk_add_f32 v[0:1], v[22:23], v[20:21] neg_lo:[0,1] neg_hi:[0,1]
	s_nop 0
	v_add_f32_e32 v1, v28, v1
	v_add_f32_e32 v0, v0, v1
	;; [unrolled: 1-line block ×3, first 2 shown]
	v_mul_f32_e32 v28, v27, v1
	v_mul_f32_e32 v18, v25, v28
	v_fma_f32 v20, v28, v25, -v18
	v_fmac_f32_e32 v20, v28, v26
	v_sub_f32_e32 v19, v19, v1
	v_add_f32_e32 v25, v0, v19
	v_add_f32_e32 v0, v18, v20
	v_sub_f32_e32 v19, v1, v0
	v_pk_add_f32 v[22:23], v[0:1], v[18:19] neg_lo:[0,1] neg_hi:[0,1]
	v_mov_b32_e32 v21, v0
	v_pk_add_f32 v[0:1], v[22:23], v[20:21] neg_lo:[0,1] neg_hi:[0,1]
	s_nop 0
	v_add_f32_e32 v1, v25, v1
	v_add_f32_e32 v0, v0, v1
	;; [unrolled: 1-line block ×4, first 2 shown]
	v_sub_f32_e32 v18, v1, v29
	v_mul_f32_e32 v0, v27, v0
	v_sub_f32_e32 v18, v28, v18
	v_add_f32_e32 v18, v18, v0
	v_add_f32_e32 v20, v1, v18
	v_mul_f32_e32 v21, v20, v20
	v_fmamk_f32 v0, v21, 0x3e9b6dac, v110
	v_fmaak_f32 v43, v21, v0, 0x3f2aaada
	v_cvt_f32_i32_e32 v0, v24
	v_sub_f32_e32 v1, v20, v1
	v_sub_f32_e32 v1, v18, v1
	v_ldexp_f32 v22, v1, 1
	v_mul_f32_e32 v1, v20, v21
	v_ldexp_f32 v19, v20, 1
	v_pk_mul_f32 v[20:21], v[0:1], v[42:43]
	s_nop 0
	v_fma_f32 v18, v0, s0, -v20
	v_fmac_f32_e32 v18, 0xb102e308, v0
	v_pk_add_f32 v[0:1], v[20:21], v[18:19]
	s_mov_b32 s0, 0x7f800000
	v_sub_f32_e32 v19, v1, v19
	v_sub_f32_e32 v19, v21, v19
	v_add_f32_e32 v23, v22, v19
	v_mov_b32_e32 v22, v20
	v_pk_add_f32 v[20:21], v[0:1], v[20:21] neg_lo:[0,1] neg_hi:[0,1]
	v_pk_add_f32 v[24:25], v[0:1], v[22:23]
	v_mov_b32_e32 v19, v0
	v_mov_b32_e32 v21, v25
	v_pk_add_f32 v[26:27], v[18:19], v[20:21] neg_lo:[0,1] neg_hi:[0,1]
	v_pk_add_f32 v[18:19], v[18:19], v[20:21]
	v_mov_b32_e32 v22, v23
	v_mov_b32_e32 v20, v19
	v_pk_add_f32 v[28:29], v[20:21], v[0:1] neg_lo:[0,1] neg_hi:[0,1]
	v_mov_b32_e32 v18, v25
	v_mov_b32_e32 v21, v28
	v_pk_add_f32 v[30:31], v[24:25], v[20:21] neg_lo:[0,1] neg_hi:[0,1]
	v_mov_b32_e32 v24, v1
	v_mov_b32_e32 v25, v28
	;; [unrolled: 1-line block ×3, first 2 shown]
	v_pk_add_f32 v[18:19], v[18:19], v[24:25] neg_lo:[0,1] neg_hi:[0,1]
	v_mov_b32_e32 v23, v0
	v_pk_add_f32 v[0:1], v[22:23], v[18:19] neg_lo:[0,1] neg_hi:[0,1]
	v_mov_b32_e32 v30, v26
	v_pk_add_f32 v[18:19], v[30:31], v[0:1]
	v_cmp_eq_f32_e32 vcc, s0, v32
	v_mov_b32_e32 v22, v19
	v_pk_add_f32 v[22:23], v[18:19], v[22:23]
	s_mov_b32 s0, 0x33800000
	v_pk_add_f32 v[20:21], v[20:21], v[22:23]
	v_mov_b32_e32 v1, v22
	v_mov_b32_e32 v19, v20
	v_pk_add_f32 v[24:25], v[18:19], v[26:27] neg_lo:[0,1] neg_hi:[0,1]
	v_cmp_gt_f32_e64 s[2:3], s0, v32
	v_sub_f32_e32 v18, v18, v24
	v_pk_add_f32 v[0:1], v[0:1], v[24:25] neg_lo:[0,1] neg_hi:[0,1]
	v_sub_f32_e32 v18, v26, v18
	v_add_f32_e32 v0, v0, v18
	v_add_f32_e32 v0, v0, v1
	;; [unrolled: 1-line block ×3, first 2 shown]
	s_or_b64 vcc, s[2:3], vcc
	v_cndmask_b32_e32 v116, v0, v32, vcc
.LBB27_26:                              ;   in Loop: Header=BB27_14 Depth=1
	s_or_b64 exec, exec, s[30:31]
	v_lshlrev_b32_e32 v0, 16, v11
	v_add_f32_e32 v117, s33, v0
	s_mov_b32 s0, 0x41a00000
	v_cmp_ge_f32_e32 vcc, s0, v117
	s_and_b64 s[0:1], s[88:89], vcc
	s_and_saveexec_b64 s[30:31], s[0:1]
	s_cbranch_execz .LBB27_28
; %bb.27:                               ;   in Loop: Header=BB27_14 Depth=1
	v_mul_f32_e32 v0, 0x3fb8aa3b, v117
	v_rndne_f32_e32 v1, v0
	s_mov_b32 s0, 0x3fb8aa3b
	v_sub_f32_e32 v18, v0, v1
	v_fma_f32 v0, v117, s0, -v0
	v_fmac_f32_e32 v0, 0x32a5705f, v117
	v_add_f32_e32 v0, v18, v0
	v_cvt_i32_f32_e32 v1, v1
	v_exp_f32_e32 v0, v0
	s_mov_b32 s0, 0xc2ce8ed0
	v_cmp_ngt_f32_e32 vcc, s0, v117
	s_mov_b32 s0, 0x42b17218
	v_ldexp_f32 v0, v0, v1
	v_cndmask_b32_e32 v0, 0, v0, vcc
	v_cmp_nlt_f32_e32 vcc, s0, v117
	s_mov_b32 s0, 0x3f2aaaab
	s_nop 0
	v_cndmask_b32_e32 v32, v111, v0, vcc
	v_add_f32_e32 v18, 1.0, v32
	v_add_f32_e32 v0, -1.0, v18
	v_sub_f32_e32 v1, v0, v18
	v_add_f32_e32 v1, 1.0, v1
	v_sub_f32_e32 v0, v32, v0
	v_add_f32_e32 v19, v0, v1
	v_frexp_mant_f32_e32 v20, v18
	v_cvt_f64_f32_e32 v[0:1], v18
	v_frexp_exp_i32_f64_e32 v0, v[0:1]
	v_cmp_gt_f32_e32 vcc, s0, v20
	s_mov_b32 s0, 0x3f317218
	s_nop 0
	v_subbrev_co_u32_e32 v24, vcc, 0, v0, vcc
	v_sub_u32_e32 v0, 0, v24
	v_ldexp_f32 v1, v18, v0
	v_add_f32_e32 v18, -1.0, v1
	v_add_f32_e32 v20, 1.0, v1
	v_ldexp_f32 v0, v19, v0
	v_add_f32_e32 v19, 1.0, v18
	v_add_f32_e32 v21, -1.0, v20
	v_sub_f32_e32 v19, v1, v19
	v_sub_f32_e32 v1, v1, v21
	v_add_f32_e32 v19, v0, v19
	v_add_f32_e32 v0, v0, v1
	;; [unrolled: 1-line block ×3, first 2 shown]
	v_rcp_f32_e32 v27, v25
	v_sub_f32_e32 v1, v20, v25
	v_add_f32_e32 v26, v0, v1
	v_add_f32_e32 v1, v18, v19
	v_mul_f32_e32 v29, v1, v27
	v_sub_f32_e32 v0, v18, v1
	v_mul_f32_e32 v18, v25, v29
	v_fma_f32 v20, v29, v25, -v18
	v_fmac_f32_e32 v20, v29, v26
	v_add_f32_e32 v28, v19, v0
	v_add_f32_e32 v0, v18, v20
	v_sub_f32_e32 v19, v1, v0
	v_pk_add_f32 v[22:23], v[0:1], v[18:19] neg_lo:[0,1] neg_hi:[0,1]
	v_mov_b32_e32 v21, v0
	v_pk_add_f32 v[0:1], v[22:23], v[20:21] neg_lo:[0,1] neg_hi:[0,1]
	s_nop 0
	v_add_f32_e32 v1, v28, v1
	v_add_f32_e32 v0, v0, v1
	v_add_f32_e32 v1, v19, v0
	v_mul_f32_e32 v28, v27, v1
	v_mul_f32_e32 v18, v25, v28
	v_fma_f32 v20, v28, v25, -v18
	v_fmac_f32_e32 v20, v28, v26
	v_sub_f32_e32 v19, v19, v1
	v_add_f32_e32 v25, v0, v19
	v_add_f32_e32 v0, v18, v20
	v_sub_f32_e32 v19, v1, v0
	v_pk_add_f32 v[22:23], v[0:1], v[18:19] neg_lo:[0,1] neg_hi:[0,1]
	v_mov_b32_e32 v21, v0
	v_pk_add_f32 v[0:1], v[22:23], v[20:21] neg_lo:[0,1] neg_hi:[0,1]
	s_nop 0
	v_add_f32_e32 v1, v25, v1
	v_add_f32_e32 v0, v0, v1
	;; [unrolled: 1-line block ×4, first 2 shown]
	v_sub_f32_e32 v18, v1, v29
	v_mul_f32_e32 v0, v27, v0
	v_sub_f32_e32 v18, v28, v18
	v_add_f32_e32 v18, v18, v0
	v_add_f32_e32 v20, v1, v18
	v_mul_f32_e32 v21, v20, v20
	v_fmamk_f32 v0, v21, 0x3e9b6dac, v110
	v_fmaak_f32 v43, v21, v0, 0x3f2aaada
	v_cvt_f32_i32_e32 v0, v24
	v_sub_f32_e32 v1, v20, v1
	v_sub_f32_e32 v1, v18, v1
	v_ldexp_f32 v22, v1, 1
	v_mul_f32_e32 v1, v20, v21
	v_ldexp_f32 v19, v20, 1
	v_pk_mul_f32 v[20:21], v[0:1], v[42:43]
	s_nop 0
	v_fma_f32 v18, v0, s0, -v20
	v_fmac_f32_e32 v18, 0xb102e308, v0
	v_pk_add_f32 v[0:1], v[20:21], v[18:19]
	s_mov_b32 s0, 0x7f800000
	v_sub_f32_e32 v19, v1, v19
	v_sub_f32_e32 v19, v21, v19
	v_add_f32_e32 v23, v22, v19
	v_mov_b32_e32 v22, v20
	v_pk_add_f32 v[20:21], v[0:1], v[20:21] neg_lo:[0,1] neg_hi:[0,1]
	v_pk_add_f32 v[24:25], v[0:1], v[22:23]
	v_mov_b32_e32 v19, v0
	v_mov_b32_e32 v21, v25
	v_pk_add_f32 v[26:27], v[18:19], v[20:21] neg_lo:[0,1] neg_hi:[0,1]
	v_pk_add_f32 v[18:19], v[18:19], v[20:21]
	v_mov_b32_e32 v22, v23
	v_mov_b32_e32 v20, v19
	v_pk_add_f32 v[28:29], v[20:21], v[0:1] neg_lo:[0,1] neg_hi:[0,1]
	v_mov_b32_e32 v18, v25
	v_mov_b32_e32 v21, v28
	v_pk_add_f32 v[30:31], v[24:25], v[20:21] neg_lo:[0,1] neg_hi:[0,1]
	v_mov_b32_e32 v24, v1
	v_mov_b32_e32 v25, v28
	v_mov_b32_e32 v27, v19
	v_pk_add_f32 v[18:19], v[18:19], v[24:25] neg_lo:[0,1] neg_hi:[0,1]
	v_mov_b32_e32 v23, v0
	v_pk_add_f32 v[0:1], v[22:23], v[18:19] neg_lo:[0,1] neg_hi:[0,1]
	v_mov_b32_e32 v30, v26
	v_pk_add_f32 v[18:19], v[30:31], v[0:1]
	v_cmp_eq_f32_e32 vcc, s0, v32
	v_mov_b32_e32 v22, v19
	v_pk_add_f32 v[22:23], v[18:19], v[22:23]
	s_mov_b32 s0, 0x33800000
	v_pk_add_f32 v[20:21], v[20:21], v[22:23]
	v_mov_b32_e32 v1, v22
	v_mov_b32_e32 v19, v20
	v_pk_add_f32 v[24:25], v[18:19], v[26:27] neg_lo:[0,1] neg_hi:[0,1]
	v_cmp_gt_f32_e64 s[2:3], s0, v32
	v_sub_f32_e32 v18, v18, v24
	v_pk_add_f32 v[0:1], v[0:1], v[24:25] neg_lo:[0,1] neg_hi:[0,1]
	v_sub_f32_e32 v18, v26, v18
	v_add_f32_e32 v0, v0, v18
	v_add_f32_e32 v0, v0, v1
	;; [unrolled: 1-line block ×3, first 2 shown]
	s_or_b64 vcc, s[2:3], vcc
	v_cndmask_b32_e32 v117, v0, v32, vcc
.LBB27_28:                              ;   in Loop: Header=BB27_14 Depth=1
	s_or_b64 exec, exec, s[30:31]
	v_and_b32_e32 v0, 0xffff0000, v11
	v_add_f32_e32 v118, s33, v0
	s_mov_b32 s0, 0x41a00000
	v_cmp_ge_f32_e32 vcc, s0, v118
	s_and_b64 s[0:1], s[88:89], vcc
	s_and_saveexec_b64 s[30:31], s[0:1]
	s_cbranch_execz .LBB27_30
; %bb.29:                               ;   in Loop: Header=BB27_14 Depth=1
	v_mul_f32_e32 v0, 0x3fb8aa3b, v118
	v_rndne_f32_e32 v1, v0
	s_mov_b32 s0, 0x3fb8aa3b
	v_sub_f32_e32 v18, v0, v1
	v_fma_f32 v0, v118, s0, -v0
	v_fmac_f32_e32 v0, 0x32a5705f, v118
	v_add_f32_e32 v0, v18, v0
	v_cvt_i32_f32_e32 v1, v1
	v_exp_f32_e32 v0, v0
	s_mov_b32 s0, 0xc2ce8ed0
	v_cmp_ngt_f32_e32 vcc, s0, v118
	s_mov_b32 s0, 0x42b17218
	v_ldexp_f32 v0, v0, v1
	v_cndmask_b32_e32 v0, 0, v0, vcc
	v_cmp_nlt_f32_e32 vcc, s0, v118
	s_mov_b32 s0, 0x3f2aaaab
	s_nop 0
	v_cndmask_b32_e32 v32, v111, v0, vcc
	v_add_f32_e32 v18, 1.0, v32
	v_add_f32_e32 v0, -1.0, v18
	v_sub_f32_e32 v1, v0, v18
	v_add_f32_e32 v1, 1.0, v1
	v_sub_f32_e32 v0, v32, v0
	v_add_f32_e32 v19, v0, v1
	v_frexp_mant_f32_e32 v20, v18
	v_cvt_f64_f32_e32 v[0:1], v18
	v_frexp_exp_i32_f64_e32 v0, v[0:1]
	v_cmp_gt_f32_e32 vcc, s0, v20
	s_mov_b32 s0, 0x3f317218
	s_nop 0
	v_subbrev_co_u32_e32 v24, vcc, 0, v0, vcc
	v_sub_u32_e32 v0, 0, v24
	v_ldexp_f32 v1, v18, v0
	v_add_f32_e32 v18, -1.0, v1
	v_add_f32_e32 v20, 1.0, v1
	v_ldexp_f32 v0, v19, v0
	v_add_f32_e32 v19, 1.0, v18
	v_add_f32_e32 v21, -1.0, v20
	v_sub_f32_e32 v19, v1, v19
	v_sub_f32_e32 v1, v1, v21
	v_add_f32_e32 v19, v0, v19
	v_add_f32_e32 v0, v0, v1
	;; [unrolled: 1-line block ×3, first 2 shown]
	v_rcp_f32_e32 v27, v25
	v_sub_f32_e32 v1, v20, v25
	v_add_f32_e32 v26, v0, v1
	v_add_f32_e32 v1, v18, v19
	v_mul_f32_e32 v29, v1, v27
	v_sub_f32_e32 v0, v18, v1
	v_mul_f32_e32 v18, v25, v29
	v_fma_f32 v20, v29, v25, -v18
	v_fmac_f32_e32 v20, v29, v26
	v_add_f32_e32 v28, v19, v0
	v_add_f32_e32 v0, v18, v20
	v_sub_f32_e32 v19, v1, v0
	v_pk_add_f32 v[22:23], v[0:1], v[18:19] neg_lo:[0,1] neg_hi:[0,1]
	v_mov_b32_e32 v21, v0
	v_pk_add_f32 v[0:1], v[22:23], v[20:21] neg_lo:[0,1] neg_hi:[0,1]
	s_nop 0
	v_add_f32_e32 v1, v28, v1
	v_add_f32_e32 v0, v0, v1
	;; [unrolled: 1-line block ×3, first 2 shown]
	v_mul_f32_e32 v28, v27, v1
	v_mul_f32_e32 v18, v25, v28
	v_fma_f32 v20, v28, v25, -v18
	v_fmac_f32_e32 v20, v28, v26
	v_sub_f32_e32 v19, v19, v1
	v_add_f32_e32 v25, v0, v19
	v_add_f32_e32 v0, v18, v20
	v_sub_f32_e32 v19, v1, v0
	v_pk_add_f32 v[22:23], v[0:1], v[18:19] neg_lo:[0,1] neg_hi:[0,1]
	v_mov_b32_e32 v21, v0
	v_pk_add_f32 v[0:1], v[22:23], v[20:21] neg_lo:[0,1] neg_hi:[0,1]
	s_nop 0
	v_add_f32_e32 v1, v25, v1
	v_add_f32_e32 v0, v0, v1
	;; [unrolled: 1-line block ×4, first 2 shown]
	v_sub_f32_e32 v18, v1, v29
	v_mul_f32_e32 v0, v27, v0
	v_sub_f32_e32 v18, v28, v18
	v_add_f32_e32 v18, v18, v0
	v_add_f32_e32 v20, v1, v18
	v_mul_f32_e32 v21, v20, v20
	v_fmamk_f32 v0, v21, 0x3e9b6dac, v110
	v_fmaak_f32 v43, v21, v0, 0x3f2aaada
	v_cvt_f32_i32_e32 v0, v24
	v_sub_f32_e32 v1, v20, v1
	v_sub_f32_e32 v1, v18, v1
	v_ldexp_f32 v22, v1, 1
	v_mul_f32_e32 v1, v20, v21
	v_ldexp_f32 v19, v20, 1
	v_pk_mul_f32 v[20:21], v[0:1], v[42:43]
	s_nop 0
	v_fma_f32 v18, v0, s0, -v20
	v_fmac_f32_e32 v18, 0xb102e308, v0
	v_pk_add_f32 v[0:1], v[20:21], v[18:19]
	s_mov_b32 s0, 0x7f800000
	v_sub_f32_e32 v19, v1, v19
	v_sub_f32_e32 v19, v21, v19
	v_add_f32_e32 v23, v22, v19
	v_mov_b32_e32 v22, v20
	v_pk_add_f32 v[20:21], v[0:1], v[20:21] neg_lo:[0,1] neg_hi:[0,1]
	v_pk_add_f32 v[24:25], v[0:1], v[22:23]
	v_mov_b32_e32 v19, v0
	v_mov_b32_e32 v21, v25
	v_pk_add_f32 v[26:27], v[18:19], v[20:21] neg_lo:[0,1] neg_hi:[0,1]
	v_pk_add_f32 v[18:19], v[18:19], v[20:21]
	v_mov_b32_e32 v22, v23
	v_mov_b32_e32 v20, v19
	v_pk_add_f32 v[28:29], v[20:21], v[0:1] neg_lo:[0,1] neg_hi:[0,1]
	v_mov_b32_e32 v18, v25
	v_mov_b32_e32 v21, v28
	v_pk_add_f32 v[30:31], v[24:25], v[20:21] neg_lo:[0,1] neg_hi:[0,1]
	v_mov_b32_e32 v24, v1
	v_mov_b32_e32 v25, v28
	;; [unrolled: 1-line block ×3, first 2 shown]
	v_pk_add_f32 v[18:19], v[18:19], v[24:25] neg_lo:[0,1] neg_hi:[0,1]
	v_mov_b32_e32 v23, v0
	v_pk_add_f32 v[0:1], v[22:23], v[18:19] neg_lo:[0,1] neg_hi:[0,1]
	v_mov_b32_e32 v30, v26
	v_pk_add_f32 v[18:19], v[30:31], v[0:1]
	v_cmp_eq_f32_e32 vcc, s0, v32
	v_mov_b32_e32 v22, v19
	v_pk_add_f32 v[22:23], v[18:19], v[22:23]
	s_mov_b32 s0, 0x33800000
	v_pk_add_f32 v[20:21], v[20:21], v[22:23]
	v_mov_b32_e32 v1, v22
	v_mov_b32_e32 v19, v20
	v_pk_add_f32 v[24:25], v[18:19], v[26:27] neg_lo:[0,1] neg_hi:[0,1]
	v_cmp_gt_f32_e64 s[2:3], s0, v32
	v_sub_f32_e32 v18, v18, v24
	v_pk_add_f32 v[0:1], v[0:1], v[24:25] neg_lo:[0,1] neg_hi:[0,1]
	v_sub_f32_e32 v18, v26, v18
	v_add_f32_e32 v0, v0, v18
	v_add_f32_e32 v0, v0, v1
	;; [unrolled: 1-line block ×3, first 2 shown]
	s_or_b64 vcc, s[2:3], vcc
	v_cndmask_b32_e32 v118, v0, v32, vcc
.LBB27_30:                              ;   in Loop: Header=BB27_14 Depth=1
	s_or_b64 exec, exec, s[30:31]
	v_lshlrev_b32_e32 v0, 16, v12
	v_add_f32_e32 v119, s33, v0
	s_mov_b32 s0, 0x41a00000
	v_cmp_ge_f32_e32 vcc, s0, v119
	s_and_b64 s[0:1], s[88:89], vcc
	s_and_saveexec_b64 s[30:31], s[0:1]
	s_cbranch_execz .LBB27_32
; %bb.31:                               ;   in Loop: Header=BB27_14 Depth=1
	v_mul_f32_e32 v0, 0x3fb8aa3b, v119
	v_rndne_f32_e32 v1, v0
	s_mov_b32 s0, 0x3fb8aa3b
	v_sub_f32_e32 v18, v0, v1
	v_fma_f32 v0, v119, s0, -v0
	v_fmac_f32_e32 v0, 0x32a5705f, v119
	v_add_f32_e32 v0, v18, v0
	v_cvt_i32_f32_e32 v1, v1
	v_exp_f32_e32 v0, v0
	s_mov_b32 s0, 0xc2ce8ed0
	v_cmp_ngt_f32_e32 vcc, s0, v119
	s_mov_b32 s0, 0x42b17218
	v_ldexp_f32 v0, v0, v1
	v_cndmask_b32_e32 v0, 0, v0, vcc
	v_cmp_nlt_f32_e32 vcc, s0, v119
	s_mov_b32 s0, 0x3f2aaaab
	s_nop 0
	v_cndmask_b32_e32 v32, v111, v0, vcc
	v_add_f32_e32 v18, 1.0, v32
	v_add_f32_e32 v0, -1.0, v18
	v_sub_f32_e32 v1, v0, v18
	v_add_f32_e32 v1, 1.0, v1
	v_sub_f32_e32 v0, v32, v0
	v_add_f32_e32 v19, v0, v1
	v_frexp_mant_f32_e32 v20, v18
	v_cvt_f64_f32_e32 v[0:1], v18
	v_frexp_exp_i32_f64_e32 v0, v[0:1]
	v_cmp_gt_f32_e32 vcc, s0, v20
	s_mov_b32 s0, 0x3f317218
	s_nop 0
	v_subbrev_co_u32_e32 v24, vcc, 0, v0, vcc
	v_sub_u32_e32 v0, 0, v24
	v_ldexp_f32 v1, v18, v0
	v_add_f32_e32 v18, -1.0, v1
	v_add_f32_e32 v20, 1.0, v1
	v_ldexp_f32 v0, v19, v0
	v_add_f32_e32 v19, 1.0, v18
	v_add_f32_e32 v21, -1.0, v20
	v_sub_f32_e32 v19, v1, v19
	v_sub_f32_e32 v1, v1, v21
	v_add_f32_e32 v19, v0, v19
	v_add_f32_e32 v0, v0, v1
	;; [unrolled: 1-line block ×3, first 2 shown]
	v_rcp_f32_e32 v27, v25
	v_sub_f32_e32 v1, v20, v25
	v_add_f32_e32 v26, v0, v1
	v_add_f32_e32 v1, v18, v19
	v_mul_f32_e32 v29, v1, v27
	v_sub_f32_e32 v0, v18, v1
	v_mul_f32_e32 v18, v25, v29
	v_fma_f32 v20, v29, v25, -v18
	v_fmac_f32_e32 v20, v29, v26
	v_add_f32_e32 v28, v19, v0
	v_add_f32_e32 v0, v18, v20
	v_sub_f32_e32 v19, v1, v0
	v_pk_add_f32 v[22:23], v[0:1], v[18:19] neg_lo:[0,1] neg_hi:[0,1]
	v_mov_b32_e32 v21, v0
	v_pk_add_f32 v[0:1], v[22:23], v[20:21] neg_lo:[0,1] neg_hi:[0,1]
	s_nop 0
	v_add_f32_e32 v1, v28, v1
	v_add_f32_e32 v0, v0, v1
	;; [unrolled: 1-line block ×3, first 2 shown]
	v_mul_f32_e32 v28, v27, v1
	v_mul_f32_e32 v18, v25, v28
	v_fma_f32 v20, v28, v25, -v18
	v_fmac_f32_e32 v20, v28, v26
	v_sub_f32_e32 v19, v19, v1
	v_add_f32_e32 v25, v0, v19
	v_add_f32_e32 v0, v18, v20
	v_sub_f32_e32 v19, v1, v0
	v_pk_add_f32 v[22:23], v[0:1], v[18:19] neg_lo:[0,1] neg_hi:[0,1]
	v_mov_b32_e32 v21, v0
	v_pk_add_f32 v[0:1], v[22:23], v[20:21] neg_lo:[0,1] neg_hi:[0,1]
	s_nop 0
	v_add_f32_e32 v1, v25, v1
	v_add_f32_e32 v0, v0, v1
	;; [unrolled: 1-line block ×4, first 2 shown]
	v_sub_f32_e32 v18, v1, v29
	v_mul_f32_e32 v0, v27, v0
	v_sub_f32_e32 v18, v28, v18
	v_add_f32_e32 v18, v18, v0
	v_add_f32_e32 v20, v1, v18
	v_mul_f32_e32 v21, v20, v20
	v_fmamk_f32 v0, v21, 0x3e9b6dac, v110
	v_fmaak_f32 v43, v21, v0, 0x3f2aaada
	v_cvt_f32_i32_e32 v0, v24
	v_sub_f32_e32 v1, v20, v1
	v_sub_f32_e32 v1, v18, v1
	v_ldexp_f32 v22, v1, 1
	v_mul_f32_e32 v1, v20, v21
	v_ldexp_f32 v19, v20, 1
	v_pk_mul_f32 v[20:21], v[0:1], v[42:43]
	s_nop 0
	v_fma_f32 v18, v0, s0, -v20
	v_fmac_f32_e32 v18, 0xb102e308, v0
	v_pk_add_f32 v[0:1], v[20:21], v[18:19]
	s_mov_b32 s0, 0x7f800000
	v_sub_f32_e32 v19, v1, v19
	v_sub_f32_e32 v19, v21, v19
	v_add_f32_e32 v23, v22, v19
	v_mov_b32_e32 v22, v20
	v_pk_add_f32 v[20:21], v[0:1], v[20:21] neg_lo:[0,1] neg_hi:[0,1]
	v_pk_add_f32 v[24:25], v[0:1], v[22:23]
	v_mov_b32_e32 v19, v0
	v_mov_b32_e32 v21, v25
	v_pk_add_f32 v[26:27], v[18:19], v[20:21] neg_lo:[0,1] neg_hi:[0,1]
	v_pk_add_f32 v[18:19], v[18:19], v[20:21]
	v_mov_b32_e32 v22, v23
	v_mov_b32_e32 v20, v19
	v_pk_add_f32 v[28:29], v[20:21], v[0:1] neg_lo:[0,1] neg_hi:[0,1]
	v_mov_b32_e32 v18, v25
	v_mov_b32_e32 v21, v28
	v_pk_add_f32 v[30:31], v[24:25], v[20:21] neg_lo:[0,1] neg_hi:[0,1]
	v_mov_b32_e32 v24, v1
	v_mov_b32_e32 v25, v28
	;; [unrolled: 1-line block ×3, first 2 shown]
	v_pk_add_f32 v[18:19], v[18:19], v[24:25] neg_lo:[0,1] neg_hi:[0,1]
	v_mov_b32_e32 v23, v0
	v_pk_add_f32 v[0:1], v[22:23], v[18:19] neg_lo:[0,1] neg_hi:[0,1]
	v_mov_b32_e32 v30, v26
	v_pk_add_f32 v[18:19], v[30:31], v[0:1]
	v_cmp_eq_f32_e32 vcc, s0, v32
	v_mov_b32_e32 v22, v19
	v_pk_add_f32 v[22:23], v[18:19], v[22:23]
	s_mov_b32 s0, 0x33800000
	v_pk_add_f32 v[20:21], v[20:21], v[22:23]
	v_mov_b32_e32 v1, v22
	v_mov_b32_e32 v19, v20
	v_pk_add_f32 v[24:25], v[18:19], v[26:27] neg_lo:[0,1] neg_hi:[0,1]
	v_cmp_gt_f32_e64 s[2:3], s0, v32
	v_sub_f32_e32 v18, v18, v24
	v_pk_add_f32 v[0:1], v[0:1], v[24:25] neg_lo:[0,1] neg_hi:[0,1]
	v_sub_f32_e32 v18, v26, v18
	v_add_f32_e32 v0, v0, v18
	v_add_f32_e32 v0, v0, v1
	;; [unrolled: 1-line block ×3, first 2 shown]
	s_or_b64 vcc, s[2:3], vcc
	v_cndmask_b32_e32 v119, v0, v32, vcc
.LBB27_32:                              ;   in Loop: Header=BB27_14 Depth=1
	s_or_b64 exec, exec, s[30:31]
	v_and_b32_e32 v0, 0xffff0000, v12
	v_add_f32_e32 v120, s33, v0
	s_mov_b32 s0, 0x41a00000
	v_cmp_ge_f32_e32 vcc, s0, v120
	s_and_b64 s[0:1], s[88:89], vcc
	s_and_saveexec_b64 s[30:31], s[0:1]
	s_cbranch_execz .LBB27_34
; %bb.33:                               ;   in Loop: Header=BB27_14 Depth=1
	v_mul_f32_e32 v0, 0x3fb8aa3b, v120
	v_rndne_f32_e32 v1, v0
	s_mov_b32 s0, 0x3fb8aa3b
	v_sub_f32_e32 v18, v0, v1
	v_fma_f32 v0, v120, s0, -v0
	v_fmac_f32_e32 v0, 0x32a5705f, v120
	v_add_f32_e32 v0, v18, v0
	v_cvt_i32_f32_e32 v1, v1
	v_exp_f32_e32 v0, v0
	s_mov_b32 s0, 0xc2ce8ed0
	v_cmp_ngt_f32_e32 vcc, s0, v120
	s_mov_b32 s0, 0x42b17218
	v_ldexp_f32 v0, v0, v1
	v_cndmask_b32_e32 v0, 0, v0, vcc
	v_cmp_nlt_f32_e32 vcc, s0, v120
	s_mov_b32 s0, 0x3f2aaaab
	s_nop 0
	v_cndmask_b32_e32 v32, v111, v0, vcc
	v_add_f32_e32 v18, 1.0, v32
	v_add_f32_e32 v0, -1.0, v18
	v_sub_f32_e32 v1, v0, v18
	v_add_f32_e32 v1, 1.0, v1
	v_sub_f32_e32 v0, v32, v0
	v_add_f32_e32 v19, v0, v1
	v_frexp_mant_f32_e32 v20, v18
	v_cvt_f64_f32_e32 v[0:1], v18
	v_frexp_exp_i32_f64_e32 v0, v[0:1]
	v_cmp_gt_f32_e32 vcc, s0, v20
	s_mov_b32 s0, 0x3f317218
	s_nop 0
	v_subbrev_co_u32_e32 v24, vcc, 0, v0, vcc
	v_sub_u32_e32 v0, 0, v24
	v_ldexp_f32 v1, v18, v0
	v_add_f32_e32 v18, -1.0, v1
	v_add_f32_e32 v20, 1.0, v1
	v_ldexp_f32 v0, v19, v0
	v_add_f32_e32 v19, 1.0, v18
	v_add_f32_e32 v21, -1.0, v20
	v_sub_f32_e32 v19, v1, v19
	v_sub_f32_e32 v1, v1, v21
	v_add_f32_e32 v19, v0, v19
	v_add_f32_e32 v0, v0, v1
	;; [unrolled: 1-line block ×3, first 2 shown]
	v_rcp_f32_e32 v27, v25
	v_sub_f32_e32 v1, v20, v25
	v_add_f32_e32 v26, v0, v1
	v_add_f32_e32 v1, v18, v19
	v_mul_f32_e32 v29, v1, v27
	v_sub_f32_e32 v0, v18, v1
	v_mul_f32_e32 v18, v25, v29
	v_fma_f32 v20, v29, v25, -v18
	v_fmac_f32_e32 v20, v29, v26
	v_add_f32_e32 v28, v19, v0
	v_add_f32_e32 v0, v18, v20
	v_sub_f32_e32 v19, v1, v0
	v_pk_add_f32 v[22:23], v[0:1], v[18:19] neg_lo:[0,1] neg_hi:[0,1]
	v_mov_b32_e32 v21, v0
	v_pk_add_f32 v[0:1], v[22:23], v[20:21] neg_lo:[0,1] neg_hi:[0,1]
	s_nop 0
	v_add_f32_e32 v1, v28, v1
	v_add_f32_e32 v0, v0, v1
	;; [unrolled: 1-line block ×3, first 2 shown]
	v_mul_f32_e32 v28, v27, v1
	v_mul_f32_e32 v18, v25, v28
	v_fma_f32 v20, v28, v25, -v18
	v_fmac_f32_e32 v20, v28, v26
	v_sub_f32_e32 v19, v19, v1
	v_add_f32_e32 v25, v0, v19
	v_add_f32_e32 v0, v18, v20
	v_sub_f32_e32 v19, v1, v0
	v_pk_add_f32 v[22:23], v[0:1], v[18:19] neg_lo:[0,1] neg_hi:[0,1]
	v_mov_b32_e32 v21, v0
	v_pk_add_f32 v[0:1], v[22:23], v[20:21] neg_lo:[0,1] neg_hi:[0,1]
	s_nop 0
	v_add_f32_e32 v1, v25, v1
	v_add_f32_e32 v0, v0, v1
	;; [unrolled: 1-line block ×4, first 2 shown]
	v_sub_f32_e32 v18, v1, v29
	v_mul_f32_e32 v0, v27, v0
	v_sub_f32_e32 v18, v28, v18
	v_add_f32_e32 v18, v18, v0
	v_add_f32_e32 v20, v1, v18
	v_mul_f32_e32 v21, v20, v20
	v_fmamk_f32 v0, v21, 0x3e9b6dac, v110
	v_fmaak_f32 v43, v21, v0, 0x3f2aaada
	v_cvt_f32_i32_e32 v0, v24
	v_sub_f32_e32 v1, v20, v1
	v_sub_f32_e32 v1, v18, v1
	v_ldexp_f32 v22, v1, 1
	v_mul_f32_e32 v1, v20, v21
	v_ldexp_f32 v19, v20, 1
	v_pk_mul_f32 v[20:21], v[0:1], v[42:43]
	s_nop 0
	v_fma_f32 v18, v0, s0, -v20
	v_fmac_f32_e32 v18, 0xb102e308, v0
	v_pk_add_f32 v[0:1], v[20:21], v[18:19]
	s_mov_b32 s0, 0x7f800000
	v_sub_f32_e32 v19, v1, v19
	v_sub_f32_e32 v19, v21, v19
	v_add_f32_e32 v23, v22, v19
	v_mov_b32_e32 v22, v20
	v_pk_add_f32 v[20:21], v[0:1], v[20:21] neg_lo:[0,1] neg_hi:[0,1]
	v_pk_add_f32 v[24:25], v[0:1], v[22:23]
	v_mov_b32_e32 v19, v0
	v_mov_b32_e32 v21, v25
	v_pk_add_f32 v[26:27], v[18:19], v[20:21] neg_lo:[0,1] neg_hi:[0,1]
	v_pk_add_f32 v[18:19], v[18:19], v[20:21]
	v_mov_b32_e32 v22, v23
	v_mov_b32_e32 v20, v19
	v_pk_add_f32 v[28:29], v[20:21], v[0:1] neg_lo:[0,1] neg_hi:[0,1]
	v_mov_b32_e32 v18, v25
	v_mov_b32_e32 v21, v28
	v_pk_add_f32 v[30:31], v[24:25], v[20:21] neg_lo:[0,1] neg_hi:[0,1]
	v_mov_b32_e32 v24, v1
	v_mov_b32_e32 v25, v28
	;; [unrolled: 1-line block ×3, first 2 shown]
	v_pk_add_f32 v[18:19], v[18:19], v[24:25] neg_lo:[0,1] neg_hi:[0,1]
	v_mov_b32_e32 v23, v0
	v_pk_add_f32 v[0:1], v[22:23], v[18:19] neg_lo:[0,1] neg_hi:[0,1]
	v_mov_b32_e32 v30, v26
	v_pk_add_f32 v[18:19], v[30:31], v[0:1]
	v_cmp_eq_f32_e32 vcc, s0, v32
	v_mov_b32_e32 v22, v19
	v_pk_add_f32 v[22:23], v[18:19], v[22:23]
	s_mov_b32 s0, 0x33800000
	v_pk_add_f32 v[20:21], v[20:21], v[22:23]
	v_mov_b32_e32 v1, v22
	v_mov_b32_e32 v19, v20
	v_pk_add_f32 v[24:25], v[18:19], v[26:27] neg_lo:[0,1] neg_hi:[0,1]
	v_cmp_gt_f32_e64 s[2:3], s0, v32
	v_sub_f32_e32 v18, v18, v24
	v_pk_add_f32 v[0:1], v[0:1], v[24:25] neg_lo:[0,1] neg_hi:[0,1]
	v_sub_f32_e32 v18, v26, v18
	v_add_f32_e32 v0, v0, v18
	v_add_f32_e32 v0, v0, v1
	;; [unrolled: 1-line block ×3, first 2 shown]
	s_or_b64 vcc, s[2:3], vcc
	v_cndmask_b32_e32 v120, v0, v32, vcc
.LBB27_34:                              ;   in Loop: Header=BB27_14 Depth=1
	s_or_b64 exec, exec, s[30:31]
	v_lshlrev_b32_e32 v0, 16, v13
	v_add_f32_e32 v121, s33, v0
	s_mov_b32 s0, 0x41a00000
	v_cmp_ge_f32_e32 vcc, s0, v121
	s_and_b64 s[0:1], s[88:89], vcc
	s_and_saveexec_b64 s[30:31], s[0:1]
	s_cbranch_execz .LBB27_36
; %bb.35:                               ;   in Loop: Header=BB27_14 Depth=1
	v_mul_f32_e32 v0, 0x3fb8aa3b, v121
	v_rndne_f32_e32 v1, v0
	s_mov_b32 s0, 0x3fb8aa3b
	v_sub_f32_e32 v18, v0, v1
	v_fma_f32 v0, v121, s0, -v0
	v_fmac_f32_e32 v0, 0x32a5705f, v121
	v_add_f32_e32 v0, v18, v0
	v_cvt_i32_f32_e32 v1, v1
	v_exp_f32_e32 v0, v0
	s_mov_b32 s0, 0xc2ce8ed0
	v_cmp_ngt_f32_e32 vcc, s0, v121
	s_mov_b32 s0, 0x42b17218
	v_ldexp_f32 v0, v0, v1
	v_cndmask_b32_e32 v0, 0, v0, vcc
	v_cmp_nlt_f32_e32 vcc, s0, v121
	s_mov_b32 s0, 0x3f2aaaab
	s_nop 0
	v_cndmask_b32_e32 v32, v111, v0, vcc
	v_add_f32_e32 v18, 1.0, v32
	v_add_f32_e32 v0, -1.0, v18
	v_sub_f32_e32 v1, v0, v18
	v_add_f32_e32 v1, 1.0, v1
	v_sub_f32_e32 v0, v32, v0
	v_add_f32_e32 v19, v0, v1
	v_frexp_mant_f32_e32 v20, v18
	v_cvt_f64_f32_e32 v[0:1], v18
	v_frexp_exp_i32_f64_e32 v0, v[0:1]
	v_cmp_gt_f32_e32 vcc, s0, v20
	s_mov_b32 s0, 0x3f317218
	s_nop 0
	v_subbrev_co_u32_e32 v24, vcc, 0, v0, vcc
	v_sub_u32_e32 v0, 0, v24
	v_ldexp_f32 v1, v18, v0
	v_add_f32_e32 v18, -1.0, v1
	v_add_f32_e32 v20, 1.0, v1
	v_ldexp_f32 v0, v19, v0
	v_add_f32_e32 v19, 1.0, v18
	v_add_f32_e32 v21, -1.0, v20
	v_sub_f32_e32 v19, v1, v19
	v_sub_f32_e32 v1, v1, v21
	v_add_f32_e32 v19, v0, v19
	v_add_f32_e32 v0, v0, v1
	v_add_f32_e32 v25, v20, v0
	v_rcp_f32_e32 v27, v25
	v_sub_f32_e32 v1, v20, v25
	v_add_f32_e32 v26, v0, v1
	v_add_f32_e32 v1, v18, v19
	v_mul_f32_e32 v29, v1, v27
	v_sub_f32_e32 v0, v18, v1
	v_mul_f32_e32 v18, v25, v29
	v_fma_f32 v20, v29, v25, -v18
	v_fmac_f32_e32 v20, v29, v26
	v_add_f32_e32 v28, v19, v0
	v_add_f32_e32 v0, v18, v20
	v_sub_f32_e32 v19, v1, v0
	v_pk_add_f32 v[22:23], v[0:1], v[18:19] neg_lo:[0,1] neg_hi:[0,1]
	v_mov_b32_e32 v21, v0
	v_pk_add_f32 v[0:1], v[22:23], v[20:21] neg_lo:[0,1] neg_hi:[0,1]
	s_nop 0
	v_add_f32_e32 v1, v28, v1
	v_add_f32_e32 v0, v0, v1
	;; [unrolled: 1-line block ×3, first 2 shown]
	v_mul_f32_e32 v28, v27, v1
	v_mul_f32_e32 v18, v25, v28
	v_fma_f32 v20, v28, v25, -v18
	v_fmac_f32_e32 v20, v28, v26
	v_sub_f32_e32 v19, v19, v1
	v_add_f32_e32 v25, v0, v19
	v_add_f32_e32 v0, v18, v20
	v_sub_f32_e32 v19, v1, v0
	v_pk_add_f32 v[22:23], v[0:1], v[18:19] neg_lo:[0,1] neg_hi:[0,1]
	v_mov_b32_e32 v21, v0
	v_pk_add_f32 v[0:1], v[22:23], v[20:21] neg_lo:[0,1] neg_hi:[0,1]
	s_nop 0
	v_add_f32_e32 v1, v25, v1
	v_add_f32_e32 v0, v0, v1
	;; [unrolled: 1-line block ×4, first 2 shown]
	v_sub_f32_e32 v18, v1, v29
	v_mul_f32_e32 v0, v27, v0
	v_sub_f32_e32 v18, v28, v18
	v_add_f32_e32 v18, v18, v0
	v_add_f32_e32 v20, v1, v18
	v_mul_f32_e32 v21, v20, v20
	v_fmamk_f32 v0, v21, 0x3e9b6dac, v110
	v_fmaak_f32 v43, v21, v0, 0x3f2aaada
	v_cvt_f32_i32_e32 v0, v24
	v_sub_f32_e32 v1, v20, v1
	v_sub_f32_e32 v1, v18, v1
	v_ldexp_f32 v22, v1, 1
	v_mul_f32_e32 v1, v20, v21
	v_ldexp_f32 v19, v20, 1
	v_pk_mul_f32 v[20:21], v[0:1], v[42:43]
	s_nop 0
	v_fma_f32 v18, v0, s0, -v20
	v_fmac_f32_e32 v18, 0xb102e308, v0
	v_pk_add_f32 v[0:1], v[20:21], v[18:19]
	s_mov_b32 s0, 0x7f800000
	v_sub_f32_e32 v19, v1, v19
	v_sub_f32_e32 v19, v21, v19
	v_add_f32_e32 v23, v22, v19
	v_mov_b32_e32 v22, v20
	v_pk_add_f32 v[20:21], v[0:1], v[20:21] neg_lo:[0,1] neg_hi:[0,1]
	v_pk_add_f32 v[24:25], v[0:1], v[22:23]
	v_mov_b32_e32 v19, v0
	v_mov_b32_e32 v21, v25
	v_pk_add_f32 v[26:27], v[18:19], v[20:21] neg_lo:[0,1] neg_hi:[0,1]
	v_pk_add_f32 v[18:19], v[18:19], v[20:21]
	v_mov_b32_e32 v22, v23
	v_mov_b32_e32 v20, v19
	v_pk_add_f32 v[28:29], v[20:21], v[0:1] neg_lo:[0,1] neg_hi:[0,1]
	v_mov_b32_e32 v18, v25
	v_mov_b32_e32 v21, v28
	v_pk_add_f32 v[30:31], v[24:25], v[20:21] neg_lo:[0,1] neg_hi:[0,1]
	v_mov_b32_e32 v24, v1
	v_mov_b32_e32 v25, v28
	;; [unrolled: 1-line block ×3, first 2 shown]
	v_pk_add_f32 v[18:19], v[18:19], v[24:25] neg_lo:[0,1] neg_hi:[0,1]
	v_mov_b32_e32 v23, v0
	v_pk_add_f32 v[0:1], v[22:23], v[18:19] neg_lo:[0,1] neg_hi:[0,1]
	v_mov_b32_e32 v30, v26
	v_pk_add_f32 v[18:19], v[30:31], v[0:1]
	v_cmp_eq_f32_e32 vcc, s0, v32
	v_mov_b32_e32 v22, v19
	v_pk_add_f32 v[22:23], v[18:19], v[22:23]
	s_mov_b32 s0, 0x33800000
	v_pk_add_f32 v[20:21], v[20:21], v[22:23]
	v_mov_b32_e32 v1, v22
	v_mov_b32_e32 v19, v20
	v_pk_add_f32 v[24:25], v[18:19], v[26:27] neg_lo:[0,1] neg_hi:[0,1]
	v_cmp_gt_f32_e64 s[2:3], s0, v32
	v_sub_f32_e32 v18, v18, v24
	v_pk_add_f32 v[0:1], v[0:1], v[24:25] neg_lo:[0,1] neg_hi:[0,1]
	v_sub_f32_e32 v18, v26, v18
	v_add_f32_e32 v0, v0, v18
	v_add_f32_e32 v0, v0, v1
	;; [unrolled: 1-line block ×3, first 2 shown]
	s_or_b64 vcc, s[2:3], vcc
	v_cndmask_b32_e32 v121, v0, v32, vcc
.LBB27_36:                              ;   in Loop: Header=BB27_14 Depth=1
	s_or_b64 exec, exec, s[30:31]
	v_and_b32_e32 v0, 0xffff0000, v13
	v_add_f32_e32 v122, s33, v0
	s_mov_b32 s0, 0x41a00000
	v_cmp_ge_f32_e32 vcc, s0, v122
	s_and_b64 s[0:1], s[88:89], vcc
	s_and_saveexec_b64 s[30:31], s[0:1]
	s_cbranch_execz .LBB27_38
; %bb.37:                               ;   in Loop: Header=BB27_14 Depth=1
	v_mul_f32_e32 v0, 0x3fb8aa3b, v122
	v_rndne_f32_e32 v1, v0
	s_mov_b32 s0, 0x3fb8aa3b
	v_sub_f32_e32 v18, v0, v1
	v_fma_f32 v0, v122, s0, -v0
	v_fmac_f32_e32 v0, 0x32a5705f, v122
	v_add_f32_e32 v0, v18, v0
	v_cvt_i32_f32_e32 v1, v1
	v_exp_f32_e32 v0, v0
	s_mov_b32 s0, 0xc2ce8ed0
	v_cmp_ngt_f32_e32 vcc, s0, v122
	s_mov_b32 s0, 0x42b17218
	v_ldexp_f32 v0, v0, v1
	v_cndmask_b32_e32 v0, 0, v0, vcc
	v_cmp_nlt_f32_e32 vcc, s0, v122
	s_mov_b32 s0, 0x3f2aaaab
	s_nop 0
	v_cndmask_b32_e32 v32, v111, v0, vcc
	v_add_f32_e32 v18, 1.0, v32
	v_add_f32_e32 v0, -1.0, v18
	v_sub_f32_e32 v1, v0, v18
	v_add_f32_e32 v1, 1.0, v1
	v_sub_f32_e32 v0, v32, v0
	v_add_f32_e32 v19, v0, v1
	v_frexp_mant_f32_e32 v20, v18
	v_cvt_f64_f32_e32 v[0:1], v18
	v_frexp_exp_i32_f64_e32 v0, v[0:1]
	v_cmp_gt_f32_e32 vcc, s0, v20
	s_mov_b32 s0, 0x3f317218
	s_nop 0
	v_subbrev_co_u32_e32 v24, vcc, 0, v0, vcc
	v_sub_u32_e32 v0, 0, v24
	v_ldexp_f32 v1, v18, v0
	v_add_f32_e32 v18, -1.0, v1
	v_add_f32_e32 v20, 1.0, v1
	v_ldexp_f32 v0, v19, v0
	v_add_f32_e32 v19, 1.0, v18
	v_add_f32_e32 v21, -1.0, v20
	v_sub_f32_e32 v19, v1, v19
	v_sub_f32_e32 v1, v1, v21
	v_add_f32_e32 v19, v0, v19
	v_add_f32_e32 v0, v0, v1
	;; [unrolled: 1-line block ×3, first 2 shown]
	v_rcp_f32_e32 v27, v25
	v_sub_f32_e32 v1, v20, v25
	v_add_f32_e32 v26, v0, v1
	v_add_f32_e32 v1, v18, v19
	v_mul_f32_e32 v29, v1, v27
	v_sub_f32_e32 v0, v18, v1
	v_mul_f32_e32 v18, v25, v29
	v_fma_f32 v20, v29, v25, -v18
	v_fmac_f32_e32 v20, v29, v26
	v_add_f32_e32 v28, v19, v0
	v_add_f32_e32 v0, v18, v20
	v_sub_f32_e32 v19, v1, v0
	v_pk_add_f32 v[22:23], v[0:1], v[18:19] neg_lo:[0,1] neg_hi:[0,1]
	v_mov_b32_e32 v21, v0
	v_pk_add_f32 v[0:1], v[22:23], v[20:21] neg_lo:[0,1] neg_hi:[0,1]
	s_nop 0
	v_add_f32_e32 v1, v28, v1
	v_add_f32_e32 v0, v0, v1
	;; [unrolled: 1-line block ×3, first 2 shown]
	v_mul_f32_e32 v28, v27, v1
	v_mul_f32_e32 v18, v25, v28
	v_fma_f32 v20, v28, v25, -v18
	v_fmac_f32_e32 v20, v28, v26
	v_sub_f32_e32 v19, v19, v1
	v_add_f32_e32 v25, v0, v19
	v_add_f32_e32 v0, v18, v20
	v_sub_f32_e32 v19, v1, v0
	v_pk_add_f32 v[22:23], v[0:1], v[18:19] neg_lo:[0,1] neg_hi:[0,1]
	v_mov_b32_e32 v21, v0
	v_pk_add_f32 v[0:1], v[22:23], v[20:21] neg_lo:[0,1] neg_hi:[0,1]
	s_nop 0
	v_add_f32_e32 v1, v25, v1
	v_add_f32_e32 v0, v0, v1
	;; [unrolled: 1-line block ×4, first 2 shown]
	v_sub_f32_e32 v18, v1, v29
	v_mul_f32_e32 v0, v27, v0
	v_sub_f32_e32 v18, v28, v18
	v_add_f32_e32 v18, v18, v0
	v_add_f32_e32 v20, v1, v18
	v_mul_f32_e32 v21, v20, v20
	v_fmamk_f32 v0, v21, 0x3e9b6dac, v110
	v_fmaak_f32 v43, v21, v0, 0x3f2aaada
	v_cvt_f32_i32_e32 v0, v24
	v_sub_f32_e32 v1, v20, v1
	v_sub_f32_e32 v1, v18, v1
	v_ldexp_f32 v22, v1, 1
	v_mul_f32_e32 v1, v20, v21
	v_ldexp_f32 v19, v20, 1
	v_pk_mul_f32 v[20:21], v[0:1], v[42:43]
	s_nop 0
	v_fma_f32 v18, v0, s0, -v20
	v_fmac_f32_e32 v18, 0xb102e308, v0
	v_pk_add_f32 v[0:1], v[20:21], v[18:19]
	s_mov_b32 s0, 0x7f800000
	v_sub_f32_e32 v19, v1, v19
	v_sub_f32_e32 v19, v21, v19
	v_add_f32_e32 v23, v22, v19
	v_mov_b32_e32 v22, v20
	v_pk_add_f32 v[20:21], v[0:1], v[20:21] neg_lo:[0,1] neg_hi:[0,1]
	v_pk_add_f32 v[24:25], v[0:1], v[22:23]
	v_mov_b32_e32 v19, v0
	v_mov_b32_e32 v21, v25
	v_pk_add_f32 v[26:27], v[18:19], v[20:21] neg_lo:[0,1] neg_hi:[0,1]
	v_pk_add_f32 v[18:19], v[18:19], v[20:21]
	v_mov_b32_e32 v22, v23
	v_mov_b32_e32 v20, v19
	v_pk_add_f32 v[28:29], v[20:21], v[0:1] neg_lo:[0,1] neg_hi:[0,1]
	v_mov_b32_e32 v18, v25
	v_mov_b32_e32 v21, v28
	v_pk_add_f32 v[30:31], v[24:25], v[20:21] neg_lo:[0,1] neg_hi:[0,1]
	v_mov_b32_e32 v24, v1
	v_mov_b32_e32 v25, v28
	;; [unrolled: 1-line block ×3, first 2 shown]
	v_pk_add_f32 v[18:19], v[18:19], v[24:25] neg_lo:[0,1] neg_hi:[0,1]
	v_mov_b32_e32 v23, v0
	v_pk_add_f32 v[0:1], v[22:23], v[18:19] neg_lo:[0,1] neg_hi:[0,1]
	v_mov_b32_e32 v30, v26
	v_pk_add_f32 v[18:19], v[30:31], v[0:1]
	v_cmp_eq_f32_e32 vcc, s0, v32
	v_mov_b32_e32 v22, v19
	v_pk_add_f32 v[22:23], v[18:19], v[22:23]
	s_mov_b32 s0, 0x33800000
	v_pk_add_f32 v[20:21], v[20:21], v[22:23]
	v_mov_b32_e32 v1, v22
	v_mov_b32_e32 v19, v20
	v_pk_add_f32 v[24:25], v[18:19], v[26:27] neg_lo:[0,1] neg_hi:[0,1]
	v_cmp_gt_f32_e64 s[2:3], s0, v32
	v_sub_f32_e32 v18, v18, v24
	v_pk_add_f32 v[0:1], v[0:1], v[24:25] neg_lo:[0,1] neg_hi:[0,1]
	v_sub_f32_e32 v18, v26, v18
	v_add_f32_e32 v0, v0, v18
	v_add_f32_e32 v0, v0, v1
	;; [unrolled: 1-line block ×3, first 2 shown]
	s_or_b64 vcc, s[2:3], vcc
	v_cndmask_b32_e32 v122, v0, v32, vcc
.LBB27_38:                              ;   in Loop: Header=BB27_14 Depth=1
	s_or_b64 exec, exec, s[30:31]
	s_waitcnt lgkmcnt(0)
	v_lshlrev_b32_e32 v0, 16, v2
	v_add_f32_e32 v123, s33, v0
	s_mov_b32 s0, 0x41a00000
	v_cmp_ge_f32_e32 vcc, s0, v123
	s_and_b64 s[0:1], s[88:89], vcc
	s_and_saveexec_b64 s[30:31], s[0:1]
	s_cbranch_execz .LBB27_40
; %bb.39:                               ;   in Loop: Header=BB27_14 Depth=1
	v_mul_f32_e32 v0, 0x3fb8aa3b, v123
	v_rndne_f32_e32 v1, v0
	s_mov_b32 s0, 0x3fb8aa3b
	v_sub_f32_e32 v18, v0, v1
	v_fma_f32 v0, v123, s0, -v0
	v_fmac_f32_e32 v0, 0x32a5705f, v123
	v_add_f32_e32 v0, v18, v0
	v_cvt_i32_f32_e32 v1, v1
	v_exp_f32_e32 v0, v0
	s_mov_b32 s0, 0xc2ce8ed0
	v_cmp_ngt_f32_e32 vcc, s0, v123
	s_mov_b32 s0, 0x42b17218
	v_ldexp_f32 v0, v0, v1
	v_cndmask_b32_e32 v0, 0, v0, vcc
	v_cmp_nlt_f32_e32 vcc, s0, v123
	s_mov_b32 s0, 0x3f2aaaab
	s_nop 0
	v_cndmask_b32_e32 v32, v111, v0, vcc
	v_add_f32_e32 v18, 1.0, v32
	v_add_f32_e32 v0, -1.0, v18
	v_sub_f32_e32 v1, v0, v18
	v_add_f32_e32 v1, 1.0, v1
	v_sub_f32_e32 v0, v32, v0
	v_add_f32_e32 v19, v0, v1
	v_frexp_mant_f32_e32 v20, v18
	v_cvt_f64_f32_e32 v[0:1], v18
	v_frexp_exp_i32_f64_e32 v0, v[0:1]
	v_cmp_gt_f32_e32 vcc, s0, v20
	s_mov_b32 s0, 0x3f317218
	s_nop 0
	v_subbrev_co_u32_e32 v24, vcc, 0, v0, vcc
	v_sub_u32_e32 v0, 0, v24
	v_ldexp_f32 v1, v18, v0
	v_add_f32_e32 v18, -1.0, v1
	v_add_f32_e32 v20, 1.0, v1
	v_ldexp_f32 v0, v19, v0
	v_add_f32_e32 v19, 1.0, v18
	v_add_f32_e32 v21, -1.0, v20
	v_sub_f32_e32 v19, v1, v19
	v_sub_f32_e32 v1, v1, v21
	v_add_f32_e32 v19, v0, v19
	v_add_f32_e32 v0, v0, v1
	;; [unrolled: 1-line block ×3, first 2 shown]
	v_rcp_f32_e32 v27, v25
	v_sub_f32_e32 v1, v20, v25
	v_add_f32_e32 v26, v0, v1
	v_add_f32_e32 v1, v18, v19
	v_mul_f32_e32 v29, v1, v27
	v_sub_f32_e32 v0, v18, v1
	v_mul_f32_e32 v18, v25, v29
	v_fma_f32 v20, v29, v25, -v18
	v_fmac_f32_e32 v20, v29, v26
	v_add_f32_e32 v28, v19, v0
	v_add_f32_e32 v0, v18, v20
	v_sub_f32_e32 v19, v1, v0
	v_pk_add_f32 v[22:23], v[0:1], v[18:19] neg_lo:[0,1] neg_hi:[0,1]
	v_mov_b32_e32 v21, v0
	v_pk_add_f32 v[0:1], v[22:23], v[20:21] neg_lo:[0,1] neg_hi:[0,1]
	s_nop 0
	v_add_f32_e32 v1, v28, v1
	v_add_f32_e32 v0, v0, v1
	;; [unrolled: 1-line block ×3, first 2 shown]
	v_mul_f32_e32 v28, v27, v1
	v_mul_f32_e32 v18, v25, v28
	v_fma_f32 v20, v28, v25, -v18
	v_fmac_f32_e32 v20, v28, v26
	v_sub_f32_e32 v19, v19, v1
	v_add_f32_e32 v25, v0, v19
	v_add_f32_e32 v0, v18, v20
	v_sub_f32_e32 v19, v1, v0
	v_pk_add_f32 v[22:23], v[0:1], v[18:19] neg_lo:[0,1] neg_hi:[0,1]
	v_mov_b32_e32 v21, v0
	v_pk_add_f32 v[0:1], v[22:23], v[20:21] neg_lo:[0,1] neg_hi:[0,1]
	s_nop 0
	v_add_f32_e32 v1, v25, v1
	v_add_f32_e32 v0, v0, v1
	;; [unrolled: 1-line block ×4, first 2 shown]
	v_sub_f32_e32 v18, v1, v29
	v_mul_f32_e32 v0, v27, v0
	v_sub_f32_e32 v18, v28, v18
	v_add_f32_e32 v18, v18, v0
	v_add_f32_e32 v20, v1, v18
	v_mul_f32_e32 v21, v20, v20
	v_fmamk_f32 v0, v21, 0x3e9b6dac, v110
	v_fmaak_f32 v43, v21, v0, 0x3f2aaada
	v_cvt_f32_i32_e32 v0, v24
	v_sub_f32_e32 v1, v20, v1
	v_sub_f32_e32 v1, v18, v1
	v_ldexp_f32 v22, v1, 1
	v_mul_f32_e32 v1, v20, v21
	v_ldexp_f32 v19, v20, 1
	v_pk_mul_f32 v[20:21], v[0:1], v[42:43]
	s_nop 0
	v_fma_f32 v18, v0, s0, -v20
	v_fmac_f32_e32 v18, 0xb102e308, v0
	v_pk_add_f32 v[0:1], v[20:21], v[18:19]
	s_mov_b32 s0, 0x7f800000
	v_sub_f32_e32 v19, v1, v19
	v_sub_f32_e32 v19, v21, v19
	v_add_f32_e32 v23, v22, v19
	v_mov_b32_e32 v22, v20
	v_pk_add_f32 v[20:21], v[0:1], v[20:21] neg_lo:[0,1] neg_hi:[0,1]
	v_pk_add_f32 v[24:25], v[0:1], v[22:23]
	v_mov_b32_e32 v19, v0
	v_mov_b32_e32 v21, v25
	v_pk_add_f32 v[26:27], v[18:19], v[20:21] neg_lo:[0,1] neg_hi:[0,1]
	v_pk_add_f32 v[18:19], v[18:19], v[20:21]
	v_mov_b32_e32 v22, v23
	v_mov_b32_e32 v20, v19
	v_pk_add_f32 v[28:29], v[20:21], v[0:1] neg_lo:[0,1] neg_hi:[0,1]
	v_mov_b32_e32 v18, v25
	v_mov_b32_e32 v21, v28
	v_pk_add_f32 v[30:31], v[24:25], v[20:21] neg_lo:[0,1] neg_hi:[0,1]
	v_mov_b32_e32 v24, v1
	v_mov_b32_e32 v25, v28
	;; [unrolled: 1-line block ×3, first 2 shown]
	v_pk_add_f32 v[18:19], v[18:19], v[24:25] neg_lo:[0,1] neg_hi:[0,1]
	v_mov_b32_e32 v23, v0
	v_pk_add_f32 v[0:1], v[22:23], v[18:19] neg_lo:[0,1] neg_hi:[0,1]
	v_mov_b32_e32 v30, v26
	v_pk_add_f32 v[18:19], v[30:31], v[0:1]
	v_cmp_eq_f32_e32 vcc, s0, v32
	v_mov_b32_e32 v22, v19
	v_pk_add_f32 v[22:23], v[18:19], v[22:23]
	s_mov_b32 s0, 0x33800000
	v_pk_add_f32 v[20:21], v[20:21], v[22:23]
	v_mov_b32_e32 v1, v22
	v_mov_b32_e32 v19, v20
	v_pk_add_f32 v[24:25], v[18:19], v[26:27] neg_lo:[0,1] neg_hi:[0,1]
	v_cmp_gt_f32_e64 s[2:3], s0, v32
	v_sub_f32_e32 v18, v18, v24
	v_pk_add_f32 v[0:1], v[0:1], v[24:25] neg_lo:[0,1] neg_hi:[0,1]
	v_sub_f32_e32 v18, v26, v18
	v_add_f32_e32 v0, v0, v18
	v_add_f32_e32 v0, v0, v1
	;; [unrolled: 1-line block ×3, first 2 shown]
	s_or_b64 vcc, s[2:3], vcc
	v_cndmask_b32_e32 v123, v0, v32, vcc
.LBB27_40:                              ;   in Loop: Header=BB27_14 Depth=1
	s_or_b64 exec, exec, s[30:31]
	v_and_b32_e32 v0, 0xffff0000, v2
	v_add_f32_e32 v124, s33, v0
	s_mov_b32 s0, 0x41a00000
	v_cmp_ge_f32_e32 vcc, s0, v124
	s_and_b64 s[0:1], s[88:89], vcc
	s_and_saveexec_b64 s[30:31], s[0:1]
	s_cbranch_execz .LBB27_42
; %bb.41:                               ;   in Loop: Header=BB27_14 Depth=1
	v_mul_f32_e32 v0, 0x3fb8aa3b, v124
	v_rndne_f32_e32 v1, v0
	s_mov_b32 s0, 0x3fb8aa3b
	v_sub_f32_e32 v18, v0, v1
	v_fma_f32 v0, v124, s0, -v0
	v_fmac_f32_e32 v0, 0x32a5705f, v124
	v_add_f32_e32 v0, v18, v0
	v_cvt_i32_f32_e32 v1, v1
	v_exp_f32_e32 v0, v0
	s_mov_b32 s0, 0xc2ce8ed0
	v_cmp_ngt_f32_e32 vcc, s0, v124
	s_mov_b32 s0, 0x42b17218
	v_ldexp_f32 v0, v0, v1
	v_cndmask_b32_e32 v0, 0, v0, vcc
	v_cmp_nlt_f32_e32 vcc, s0, v124
	s_mov_b32 s0, 0x3f2aaaab
	s_nop 0
	v_cndmask_b32_e32 v32, v111, v0, vcc
	v_add_f32_e32 v18, 1.0, v32
	v_add_f32_e32 v0, -1.0, v18
	v_sub_f32_e32 v1, v0, v18
	v_add_f32_e32 v1, 1.0, v1
	v_sub_f32_e32 v0, v32, v0
	v_add_f32_e32 v19, v0, v1
	v_frexp_mant_f32_e32 v20, v18
	v_cvt_f64_f32_e32 v[0:1], v18
	v_frexp_exp_i32_f64_e32 v0, v[0:1]
	v_cmp_gt_f32_e32 vcc, s0, v20
	s_mov_b32 s0, 0x3f317218
	s_nop 0
	v_subbrev_co_u32_e32 v24, vcc, 0, v0, vcc
	v_sub_u32_e32 v0, 0, v24
	v_ldexp_f32 v1, v18, v0
	v_add_f32_e32 v18, -1.0, v1
	v_add_f32_e32 v20, 1.0, v1
	v_ldexp_f32 v0, v19, v0
	v_add_f32_e32 v19, 1.0, v18
	v_add_f32_e32 v21, -1.0, v20
	v_sub_f32_e32 v19, v1, v19
	v_sub_f32_e32 v1, v1, v21
	v_add_f32_e32 v19, v0, v19
	v_add_f32_e32 v0, v0, v1
	;; [unrolled: 1-line block ×3, first 2 shown]
	v_rcp_f32_e32 v27, v25
	v_sub_f32_e32 v1, v20, v25
	v_add_f32_e32 v26, v0, v1
	v_add_f32_e32 v1, v18, v19
	v_mul_f32_e32 v29, v1, v27
	v_sub_f32_e32 v0, v18, v1
	v_mul_f32_e32 v18, v25, v29
	v_fma_f32 v20, v29, v25, -v18
	v_fmac_f32_e32 v20, v29, v26
	v_add_f32_e32 v28, v19, v0
	v_add_f32_e32 v0, v18, v20
	v_sub_f32_e32 v19, v1, v0
	v_pk_add_f32 v[22:23], v[0:1], v[18:19] neg_lo:[0,1] neg_hi:[0,1]
	v_mov_b32_e32 v21, v0
	v_pk_add_f32 v[0:1], v[22:23], v[20:21] neg_lo:[0,1] neg_hi:[0,1]
	s_nop 0
	v_add_f32_e32 v1, v28, v1
	v_add_f32_e32 v0, v0, v1
	;; [unrolled: 1-line block ×3, first 2 shown]
	v_mul_f32_e32 v28, v27, v1
	v_mul_f32_e32 v18, v25, v28
	v_fma_f32 v20, v28, v25, -v18
	v_fmac_f32_e32 v20, v28, v26
	v_sub_f32_e32 v19, v19, v1
	v_add_f32_e32 v25, v0, v19
	v_add_f32_e32 v0, v18, v20
	v_sub_f32_e32 v19, v1, v0
	v_pk_add_f32 v[22:23], v[0:1], v[18:19] neg_lo:[0,1] neg_hi:[0,1]
	v_mov_b32_e32 v21, v0
	v_pk_add_f32 v[0:1], v[22:23], v[20:21] neg_lo:[0,1] neg_hi:[0,1]
	s_nop 0
	v_add_f32_e32 v1, v25, v1
	v_add_f32_e32 v0, v0, v1
	;; [unrolled: 1-line block ×4, first 2 shown]
	v_sub_f32_e32 v18, v1, v29
	v_mul_f32_e32 v0, v27, v0
	v_sub_f32_e32 v18, v28, v18
	v_add_f32_e32 v18, v18, v0
	v_add_f32_e32 v20, v1, v18
	v_mul_f32_e32 v21, v20, v20
	v_fmamk_f32 v0, v21, 0x3e9b6dac, v110
	v_fmaak_f32 v43, v21, v0, 0x3f2aaada
	v_cvt_f32_i32_e32 v0, v24
	v_sub_f32_e32 v1, v20, v1
	v_sub_f32_e32 v1, v18, v1
	v_ldexp_f32 v22, v1, 1
	v_mul_f32_e32 v1, v20, v21
	v_ldexp_f32 v19, v20, 1
	v_pk_mul_f32 v[20:21], v[0:1], v[42:43]
	s_nop 0
	v_fma_f32 v18, v0, s0, -v20
	v_fmac_f32_e32 v18, 0xb102e308, v0
	v_pk_add_f32 v[0:1], v[20:21], v[18:19]
	s_mov_b32 s0, 0x7f800000
	v_sub_f32_e32 v19, v1, v19
	v_sub_f32_e32 v19, v21, v19
	v_add_f32_e32 v23, v22, v19
	v_mov_b32_e32 v22, v20
	v_pk_add_f32 v[20:21], v[0:1], v[20:21] neg_lo:[0,1] neg_hi:[0,1]
	v_pk_add_f32 v[24:25], v[0:1], v[22:23]
	v_mov_b32_e32 v19, v0
	v_mov_b32_e32 v21, v25
	v_pk_add_f32 v[26:27], v[18:19], v[20:21] neg_lo:[0,1] neg_hi:[0,1]
	v_pk_add_f32 v[18:19], v[18:19], v[20:21]
	v_mov_b32_e32 v22, v23
	v_mov_b32_e32 v20, v19
	v_pk_add_f32 v[28:29], v[20:21], v[0:1] neg_lo:[0,1] neg_hi:[0,1]
	v_mov_b32_e32 v18, v25
	v_mov_b32_e32 v21, v28
	v_pk_add_f32 v[30:31], v[24:25], v[20:21] neg_lo:[0,1] neg_hi:[0,1]
	v_mov_b32_e32 v24, v1
	v_mov_b32_e32 v25, v28
	;; [unrolled: 1-line block ×3, first 2 shown]
	v_pk_add_f32 v[18:19], v[18:19], v[24:25] neg_lo:[0,1] neg_hi:[0,1]
	v_mov_b32_e32 v23, v0
	v_pk_add_f32 v[0:1], v[22:23], v[18:19] neg_lo:[0,1] neg_hi:[0,1]
	v_mov_b32_e32 v30, v26
	v_pk_add_f32 v[18:19], v[30:31], v[0:1]
	v_cmp_eq_f32_e32 vcc, s0, v32
	v_mov_b32_e32 v22, v19
	v_pk_add_f32 v[22:23], v[18:19], v[22:23]
	s_mov_b32 s0, 0x33800000
	v_pk_add_f32 v[20:21], v[20:21], v[22:23]
	v_mov_b32_e32 v1, v22
	v_mov_b32_e32 v19, v20
	v_pk_add_f32 v[24:25], v[18:19], v[26:27] neg_lo:[0,1] neg_hi:[0,1]
	v_cmp_gt_f32_e64 s[2:3], s0, v32
	v_sub_f32_e32 v18, v18, v24
	v_pk_add_f32 v[0:1], v[0:1], v[24:25] neg_lo:[0,1] neg_hi:[0,1]
	v_sub_f32_e32 v18, v26, v18
	v_add_f32_e32 v0, v0, v18
	v_add_f32_e32 v0, v0, v1
	;; [unrolled: 1-line block ×3, first 2 shown]
	s_or_b64 vcc, s[2:3], vcc
	v_cndmask_b32_e32 v124, v0, v32, vcc
.LBB27_42:                              ;   in Loop: Header=BB27_14 Depth=1
	s_or_b64 exec, exec, s[30:31]
	v_lshlrev_b32_e32 v0, 16, v3
	v_add_f32_e32 v125, s33, v0
	s_mov_b32 s0, 0x41a00000
	v_cmp_ge_f32_e32 vcc, s0, v125
	s_and_b64 s[0:1], s[88:89], vcc
	s_and_saveexec_b64 s[30:31], s[0:1]
	s_cbranch_execz .LBB27_44
; %bb.43:                               ;   in Loop: Header=BB27_14 Depth=1
	v_mul_f32_e32 v0, 0x3fb8aa3b, v125
	v_rndne_f32_e32 v1, v0
	s_mov_b32 s0, 0x3fb8aa3b
	v_sub_f32_e32 v18, v0, v1
	v_fma_f32 v0, v125, s0, -v0
	v_fmac_f32_e32 v0, 0x32a5705f, v125
	v_add_f32_e32 v0, v18, v0
	v_cvt_i32_f32_e32 v1, v1
	v_exp_f32_e32 v0, v0
	s_mov_b32 s0, 0xc2ce8ed0
	v_cmp_ngt_f32_e32 vcc, s0, v125
	s_mov_b32 s0, 0x42b17218
	v_ldexp_f32 v0, v0, v1
	v_cndmask_b32_e32 v0, 0, v0, vcc
	v_cmp_nlt_f32_e32 vcc, s0, v125
	s_mov_b32 s0, 0x3f2aaaab
	s_nop 0
	v_cndmask_b32_e32 v32, v111, v0, vcc
	v_add_f32_e32 v18, 1.0, v32
	v_add_f32_e32 v0, -1.0, v18
	v_sub_f32_e32 v1, v0, v18
	v_add_f32_e32 v1, 1.0, v1
	v_sub_f32_e32 v0, v32, v0
	v_add_f32_e32 v19, v0, v1
	v_frexp_mant_f32_e32 v20, v18
	v_cvt_f64_f32_e32 v[0:1], v18
	v_frexp_exp_i32_f64_e32 v0, v[0:1]
	v_cmp_gt_f32_e32 vcc, s0, v20
	s_mov_b32 s0, 0x3f317218
	s_nop 0
	v_subbrev_co_u32_e32 v24, vcc, 0, v0, vcc
	v_sub_u32_e32 v0, 0, v24
	v_ldexp_f32 v1, v18, v0
	v_add_f32_e32 v18, -1.0, v1
	v_add_f32_e32 v20, 1.0, v1
	v_ldexp_f32 v0, v19, v0
	v_add_f32_e32 v19, 1.0, v18
	v_add_f32_e32 v21, -1.0, v20
	v_sub_f32_e32 v19, v1, v19
	v_sub_f32_e32 v1, v1, v21
	v_add_f32_e32 v19, v0, v19
	v_add_f32_e32 v0, v0, v1
	;; [unrolled: 1-line block ×3, first 2 shown]
	v_rcp_f32_e32 v27, v25
	v_sub_f32_e32 v1, v20, v25
	v_add_f32_e32 v26, v0, v1
	v_add_f32_e32 v1, v18, v19
	v_mul_f32_e32 v29, v1, v27
	v_sub_f32_e32 v0, v18, v1
	v_mul_f32_e32 v18, v25, v29
	v_fma_f32 v20, v29, v25, -v18
	v_fmac_f32_e32 v20, v29, v26
	v_add_f32_e32 v28, v19, v0
	v_add_f32_e32 v0, v18, v20
	v_sub_f32_e32 v19, v1, v0
	v_pk_add_f32 v[22:23], v[0:1], v[18:19] neg_lo:[0,1] neg_hi:[0,1]
	v_mov_b32_e32 v21, v0
	v_pk_add_f32 v[0:1], v[22:23], v[20:21] neg_lo:[0,1] neg_hi:[0,1]
	s_nop 0
	v_add_f32_e32 v1, v28, v1
	v_add_f32_e32 v0, v0, v1
	;; [unrolled: 1-line block ×3, first 2 shown]
	v_mul_f32_e32 v28, v27, v1
	v_mul_f32_e32 v18, v25, v28
	v_fma_f32 v20, v28, v25, -v18
	v_fmac_f32_e32 v20, v28, v26
	v_sub_f32_e32 v19, v19, v1
	v_add_f32_e32 v25, v0, v19
	v_add_f32_e32 v0, v18, v20
	v_sub_f32_e32 v19, v1, v0
	v_pk_add_f32 v[22:23], v[0:1], v[18:19] neg_lo:[0,1] neg_hi:[0,1]
	v_mov_b32_e32 v21, v0
	v_pk_add_f32 v[0:1], v[22:23], v[20:21] neg_lo:[0,1] neg_hi:[0,1]
	s_nop 0
	v_add_f32_e32 v1, v25, v1
	v_add_f32_e32 v0, v0, v1
	;; [unrolled: 1-line block ×4, first 2 shown]
	v_sub_f32_e32 v18, v1, v29
	v_mul_f32_e32 v0, v27, v0
	v_sub_f32_e32 v18, v28, v18
	v_add_f32_e32 v18, v18, v0
	v_add_f32_e32 v20, v1, v18
	v_mul_f32_e32 v21, v20, v20
	v_fmamk_f32 v0, v21, 0x3e9b6dac, v110
	v_fmaak_f32 v43, v21, v0, 0x3f2aaada
	v_cvt_f32_i32_e32 v0, v24
	v_sub_f32_e32 v1, v20, v1
	v_sub_f32_e32 v1, v18, v1
	v_ldexp_f32 v22, v1, 1
	v_mul_f32_e32 v1, v20, v21
	v_ldexp_f32 v19, v20, 1
	v_pk_mul_f32 v[20:21], v[0:1], v[42:43]
	s_nop 0
	v_fma_f32 v18, v0, s0, -v20
	v_fmac_f32_e32 v18, 0xb102e308, v0
	v_pk_add_f32 v[0:1], v[20:21], v[18:19]
	s_mov_b32 s0, 0x7f800000
	v_sub_f32_e32 v19, v1, v19
	v_sub_f32_e32 v19, v21, v19
	v_add_f32_e32 v23, v22, v19
	v_mov_b32_e32 v22, v20
	v_pk_add_f32 v[20:21], v[0:1], v[20:21] neg_lo:[0,1] neg_hi:[0,1]
	v_pk_add_f32 v[24:25], v[0:1], v[22:23]
	v_mov_b32_e32 v19, v0
	v_mov_b32_e32 v21, v25
	v_pk_add_f32 v[26:27], v[18:19], v[20:21] neg_lo:[0,1] neg_hi:[0,1]
	v_pk_add_f32 v[18:19], v[18:19], v[20:21]
	v_mov_b32_e32 v22, v23
	v_mov_b32_e32 v20, v19
	v_pk_add_f32 v[28:29], v[20:21], v[0:1] neg_lo:[0,1] neg_hi:[0,1]
	v_mov_b32_e32 v18, v25
	v_mov_b32_e32 v21, v28
	v_pk_add_f32 v[30:31], v[24:25], v[20:21] neg_lo:[0,1] neg_hi:[0,1]
	v_mov_b32_e32 v24, v1
	v_mov_b32_e32 v25, v28
	;; [unrolled: 1-line block ×3, first 2 shown]
	v_pk_add_f32 v[18:19], v[18:19], v[24:25] neg_lo:[0,1] neg_hi:[0,1]
	v_mov_b32_e32 v23, v0
	v_pk_add_f32 v[0:1], v[22:23], v[18:19] neg_lo:[0,1] neg_hi:[0,1]
	v_mov_b32_e32 v30, v26
	v_pk_add_f32 v[18:19], v[30:31], v[0:1]
	v_cmp_eq_f32_e32 vcc, s0, v32
	v_mov_b32_e32 v22, v19
	v_pk_add_f32 v[22:23], v[18:19], v[22:23]
	s_mov_b32 s0, 0x33800000
	v_pk_add_f32 v[20:21], v[20:21], v[22:23]
	v_mov_b32_e32 v1, v22
	v_mov_b32_e32 v19, v20
	v_pk_add_f32 v[24:25], v[18:19], v[26:27] neg_lo:[0,1] neg_hi:[0,1]
	v_cmp_gt_f32_e64 s[2:3], s0, v32
	v_sub_f32_e32 v18, v18, v24
	v_pk_add_f32 v[0:1], v[0:1], v[24:25] neg_lo:[0,1] neg_hi:[0,1]
	v_sub_f32_e32 v18, v26, v18
	v_add_f32_e32 v0, v0, v18
	v_add_f32_e32 v0, v0, v1
	;; [unrolled: 1-line block ×3, first 2 shown]
	s_or_b64 vcc, s[2:3], vcc
	v_cndmask_b32_e32 v125, v0, v32, vcc
.LBB27_44:                              ;   in Loop: Header=BB27_14 Depth=1
	s_or_b64 exec, exec, s[30:31]
	v_and_b32_e32 v0, 0xffff0000, v3
	v_add_f32_e32 v126, s33, v0
	s_mov_b32 s0, 0x41a00000
	v_cmp_ge_f32_e32 vcc, s0, v126
	s_and_b64 s[0:1], s[88:89], vcc
	s_and_saveexec_b64 s[30:31], s[0:1]
	s_cbranch_execz .LBB27_46
; %bb.45:                               ;   in Loop: Header=BB27_14 Depth=1
	v_mul_f32_e32 v0, 0x3fb8aa3b, v126
	v_rndne_f32_e32 v1, v0
	s_mov_b32 s0, 0x3fb8aa3b
	v_sub_f32_e32 v18, v0, v1
	v_fma_f32 v0, v126, s0, -v0
	v_fmac_f32_e32 v0, 0x32a5705f, v126
	v_add_f32_e32 v0, v18, v0
	v_cvt_i32_f32_e32 v1, v1
	v_exp_f32_e32 v0, v0
	s_mov_b32 s0, 0xc2ce8ed0
	v_cmp_ngt_f32_e32 vcc, s0, v126
	s_mov_b32 s0, 0x42b17218
	v_ldexp_f32 v0, v0, v1
	v_cndmask_b32_e32 v0, 0, v0, vcc
	v_cmp_nlt_f32_e32 vcc, s0, v126
	s_mov_b32 s0, 0x3f2aaaab
	s_nop 0
	v_cndmask_b32_e32 v32, v111, v0, vcc
	v_add_f32_e32 v18, 1.0, v32
	v_add_f32_e32 v0, -1.0, v18
	v_sub_f32_e32 v1, v0, v18
	v_add_f32_e32 v1, 1.0, v1
	v_sub_f32_e32 v0, v32, v0
	v_add_f32_e32 v19, v0, v1
	v_frexp_mant_f32_e32 v20, v18
	v_cvt_f64_f32_e32 v[0:1], v18
	v_frexp_exp_i32_f64_e32 v0, v[0:1]
	v_cmp_gt_f32_e32 vcc, s0, v20
	s_mov_b32 s0, 0x3f317218
	s_nop 0
	v_subbrev_co_u32_e32 v24, vcc, 0, v0, vcc
	v_sub_u32_e32 v0, 0, v24
	v_ldexp_f32 v1, v18, v0
	v_add_f32_e32 v18, -1.0, v1
	v_add_f32_e32 v20, 1.0, v1
	v_ldexp_f32 v0, v19, v0
	v_add_f32_e32 v19, 1.0, v18
	v_add_f32_e32 v21, -1.0, v20
	v_sub_f32_e32 v19, v1, v19
	v_sub_f32_e32 v1, v1, v21
	v_add_f32_e32 v19, v0, v19
	v_add_f32_e32 v0, v0, v1
	;; [unrolled: 1-line block ×3, first 2 shown]
	v_rcp_f32_e32 v27, v25
	v_sub_f32_e32 v1, v20, v25
	v_add_f32_e32 v26, v0, v1
	v_add_f32_e32 v1, v18, v19
	v_mul_f32_e32 v29, v1, v27
	v_sub_f32_e32 v0, v18, v1
	v_mul_f32_e32 v18, v25, v29
	v_fma_f32 v20, v29, v25, -v18
	v_fmac_f32_e32 v20, v29, v26
	v_add_f32_e32 v28, v19, v0
	v_add_f32_e32 v0, v18, v20
	v_sub_f32_e32 v19, v1, v0
	v_pk_add_f32 v[22:23], v[0:1], v[18:19] neg_lo:[0,1] neg_hi:[0,1]
	v_mov_b32_e32 v21, v0
	v_pk_add_f32 v[0:1], v[22:23], v[20:21] neg_lo:[0,1] neg_hi:[0,1]
	s_nop 0
	v_add_f32_e32 v1, v28, v1
	v_add_f32_e32 v0, v0, v1
	;; [unrolled: 1-line block ×3, first 2 shown]
	v_mul_f32_e32 v28, v27, v1
	v_mul_f32_e32 v18, v25, v28
	v_fma_f32 v20, v28, v25, -v18
	v_fmac_f32_e32 v20, v28, v26
	v_sub_f32_e32 v19, v19, v1
	v_add_f32_e32 v25, v0, v19
	v_add_f32_e32 v0, v18, v20
	v_sub_f32_e32 v19, v1, v0
	v_pk_add_f32 v[22:23], v[0:1], v[18:19] neg_lo:[0,1] neg_hi:[0,1]
	v_mov_b32_e32 v21, v0
	v_pk_add_f32 v[0:1], v[22:23], v[20:21] neg_lo:[0,1] neg_hi:[0,1]
	s_nop 0
	v_add_f32_e32 v1, v25, v1
	v_add_f32_e32 v0, v0, v1
	;; [unrolled: 1-line block ×4, first 2 shown]
	v_sub_f32_e32 v18, v1, v29
	v_mul_f32_e32 v0, v27, v0
	v_sub_f32_e32 v18, v28, v18
	v_add_f32_e32 v18, v18, v0
	v_add_f32_e32 v20, v1, v18
	v_mul_f32_e32 v21, v20, v20
	v_fmamk_f32 v0, v21, 0x3e9b6dac, v110
	v_fmaak_f32 v43, v21, v0, 0x3f2aaada
	v_cvt_f32_i32_e32 v0, v24
	v_sub_f32_e32 v1, v20, v1
	v_sub_f32_e32 v1, v18, v1
	v_ldexp_f32 v22, v1, 1
	v_mul_f32_e32 v1, v20, v21
	v_ldexp_f32 v19, v20, 1
	v_pk_mul_f32 v[20:21], v[0:1], v[42:43]
	s_nop 0
	v_fma_f32 v18, v0, s0, -v20
	v_fmac_f32_e32 v18, 0xb102e308, v0
	v_pk_add_f32 v[0:1], v[20:21], v[18:19]
	s_mov_b32 s0, 0x7f800000
	v_sub_f32_e32 v19, v1, v19
	v_sub_f32_e32 v19, v21, v19
	v_add_f32_e32 v23, v22, v19
	v_mov_b32_e32 v22, v20
	v_pk_add_f32 v[20:21], v[0:1], v[20:21] neg_lo:[0,1] neg_hi:[0,1]
	v_pk_add_f32 v[24:25], v[0:1], v[22:23]
	v_mov_b32_e32 v19, v0
	v_mov_b32_e32 v21, v25
	v_pk_add_f32 v[26:27], v[18:19], v[20:21] neg_lo:[0,1] neg_hi:[0,1]
	v_pk_add_f32 v[18:19], v[18:19], v[20:21]
	v_mov_b32_e32 v22, v23
	v_mov_b32_e32 v20, v19
	v_pk_add_f32 v[28:29], v[20:21], v[0:1] neg_lo:[0,1] neg_hi:[0,1]
	v_mov_b32_e32 v18, v25
	v_mov_b32_e32 v21, v28
	v_pk_add_f32 v[30:31], v[24:25], v[20:21] neg_lo:[0,1] neg_hi:[0,1]
	v_mov_b32_e32 v24, v1
	v_mov_b32_e32 v25, v28
	;; [unrolled: 1-line block ×3, first 2 shown]
	v_pk_add_f32 v[18:19], v[18:19], v[24:25] neg_lo:[0,1] neg_hi:[0,1]
	v_mov_b32_e32 v23, v0
	v_pk_add_f32 v[0:1], v[22:23], v[18:19] neg_lo:[0,1] neg_hi:[0,1]
	v_mov_b32_e32 v30, v26
	v_pk_add_f32 v[18:19], v[30:31], v[0:1]
	v_cmp_eq_f32_e32 vcc, s0, v32
	v_mov_b32_e32 v22, v19
	v_pk_add_f32 v[22:23], v[18:19], v[22:23]
	s_mov_b32 s0, 0x33800000
	v_pk_add_f32 v[20:21], v[20:21], v[22:23]
	v_mov_b32_e32 v1, v22
	v_mov_b32_e32 v19, v20
	v_pk_add_f32 v[24:25], v[18:19], v[26:27] neg_lo:[0,1] neg_hi:[0,1]
	v_cmp_gt_f32_e64 s[2:3], s0, v32
	v_sub_f32_e32 v18, v18, v24
	v_pk_add_f32 v[0:1], v[0:1], v[24:25] neg_lo:[0,1] neg_hi:[0,1]
	v_sub_f32_e32 v18, v26, v18
	v_add_f32_e32 v0, v0, v18
	v_add_f32_e32 v0, v0, v1
	;; [unrolled: 1-line block ×3, first 2 shown]
	s_or_b64 vcc, s[2:3], vcc
	v_cndmask_b32_e32 v126, v0, v32, vcc
.LBB27_46:                              ;   in Loop: Header=BB27_14 Depth=1
	s_or_b64 exec, exec, s[30:31]
	v_lshlrev_b32_e32 v0, 16, v4
	v_add_f32_e32 v127, s33, v0
	s_mov_b32 s0, 0x41a00000
	v_cmp_ge_f32_e32 vcc, s0, v127
	s_and_b64 s[0:1], s[88:89], vcc
	s_and_saveexec_b64 s[30:31], s[0:1]
	s_cbranch_execz .LBB27_48
; %bb.47:                               ;   in Loop: Header=BB27_14 Depth=1
	v_mul_f32_e32 v0, 0x3fb8aa3b, v127
	v_rndne_f32_e32 v1, v0
	s_mov_b32 s0, 0x3fb8aa3b
	v_sub_f32_e32 v18, v0, v1
	v_fma_f32 v0, v127, s0, -v0
	v_fmac_f32_e32 v0, 0x32a5705f, v127
	v_add_f32_e32 v0, v18, v0
	v_cvt_i32_f32_e32 v1, v1
	v_exp_f32_e32 v0, v0
	s_mov_b32 s0, 0xc2ce8ed0
	v_cmp_ngt_f32_e32 vcc, s0, v127
	s_mov_b32 s0, 0x42b17218
	v_ldexp_f32 v0, v0, v1
	v_cndmask_b32_e32 v0, 0, v0, vcc
	v_cmp_nlt_f32_e32 vcc, s0, v127
	s_mov_b32 s0, 0x3f2aaaab
	s_nop 0
	v_cndmask_b32_e32 v32, v111, v0, vcc
	v_add_f32_e32 v18, 1.0, v32
	v_add_f32_e32 v0, -1.0, v18
	v_sub_f32_e32 v1, v0, v18
	v_add_f32_e32 v1, 1.0, v1
	v_sub_f32_e32 v0, v32, v0
	v_add_f32_e32 v19, v0, v1
	v_frexp_mant_f32_e32 v20, v18
	v_cvt_f64_f32_e32 v[0:1], v18
	v_frexp_exp_i32_f64_e32 v0, v[0:1]
	v_cmp_gt_f32_e32 vcc, s0, v20
	s_mov_b32 s0, 0x3f317218
	s_nop 0
	v_subbrev_co_u32_e32 v24, vcc, 0, v0, vcc
	v_sub_u32_e32 v0, 0, v24
	v_ldexp_f32 v1, v18, v0
	v_add_f32_e32 v18, -1.0, v1
	v_add_f32_e32 v20, 1.0, v1
	v_ldexp_f32 v0, v19, v0
	v_add_f32_e32 v19, 1.0, v18
	v_add_f32_e32 v21, -1.0, v20
	v_sub_f32_e32 v19, v1, v19
	v_sub_f32_e32 v1, v1, v21
	v_add_f32_e32 v19, v0, v19
	v_add_f32_e32 v0, v0, v1
	;; [unrolled: 1-line block ×3, first 2 shown]
	v_rcp_f32_e32 v27, v25
	v_sub_f32_e32 v1, v20, v25
	v_add_f32_e32 v26, v0, v1
	v_add_f32_e32 v1, v18, v19
	v_mul_f32_e32 v29, v1, v27
	v_sub_f32_e32 v0, v18, v1
	v_mul_f32_e32 v18, v25, v29
	v_fma_f32 v20, v29, v25, -v18
	v_fmac_f32_e32 v20, v29, v26
	v_add_f32_e32 v28, v19, v0
	v_add_f32_e32 v0, v18, v20
	v_sub_f32_e32 v19, v1, v0
	v_pk_add_f32 v[22:23], v[0:1], v[18:19] neg_lo:[0,1] neg_hi:[0,1]
	v_mov_b32_e32 v21, v0
	v_pk_add_f32 v[0:1], v[22:23], v[20:21] neg_lo:[0,1] neg_hi:[0,1]
	s_nop 0
	v_add_f32_e32 v1, v28, v1
	v_add_f32_e32 v0, v0, v1
	;; [unrolled: 1-line block ×3, first 2 shown]
	v_mul_f32_e32 v28, v27, v1
	v_mul_f32_e32 v18, v25, v28
	v_fma_f32 v20, v28, v25, -v18
	v_fmac_f32_e32 v20, v28, v26
	v_sub_f32_e32 v19, v19, v1
	v_add_f32_e32 v25, v0, v19
	v_add_f32_e32 v0, v18, v20
	v_sub_f32_e32 v19, v1, v0
	v_pk_add_f32 v[22:23], v[0:1], v[18:19] neg_lo:[0,1] neg_hi:[0,1]
	v_mov_b32_e32 v21, v0
	v_pk_add_f32 v[0:1], v[22:23], v[20:21] neg_lo:[0,1] neg_hi:[0,1]
	s_nop 0
	v_add_f32_e32 v1, v25, v1
	v_add_f32_e32 v0, v0, v1
	;; [unrolled: 1-line block ×4, first 2 shown]
	v_sub_f32_e32 v18, v1, v29
	v_mul_f32_e32 v0, v27, v0
	v_sub_f32_e32 v18, v28, v18
	v_add_f32_e32 v18, v18, v0
	v_add_f32_e32 v20, v1, v18
	v_mul_f32_e32 v21, v20, v20
	v_fmamk_f32 v0, v21, 0x3e9b6dac, v110
	v_fmaak_f32 v43, v21, v0, 0x3f2aaada
	v_cvt_f32_i32_e32 v0, v24
	v_sub_f32_e32 v1, v20, v1
	v_sub_f32_e32 v1, v18, v1
	v_ldexp_f32 v22, v1, 1
	v_mul_f32_e32 v1, v20, v21
	v_ldexp_f32 v19, v20, 1
	v_pk_mul_f32 v[20:21], v[0:1], v[42:43]
	s_nop 0
	v_fma_f32 v18, v0, s0, -v20
	v_fmac_f32_e32 v18, 0xb102e308, v0
	v_pk_add_f32 v[0:1], v[20:21], v[18:19]
	s_mov_b32 s0, 0x7f800000
	v_sub_f32_e32 v19, v1, v19
	v_sub_f32_e32 v19, v21, v19
	v_add_f32_e32 v23, v22, v19
	v_mov_b32_e32 v22, v20
	v_pk_add_f32 v[20:21], v[0:1], v[20:21] neg_lo:[0,1] neg_hi:[0,1]
	v_pk_add_f32 v[24:25], v[0:1], v[22:23]
	v_mov_b32_e32 v19, v0
	v_mov_b32_e32 v21, v25
	v_pk_add_f32 v[26:27], v[18:19], v[20:21] neg_lo:[0,1] neg_hi:[0,1]
	v_pk_add_f32 v[18:19], v[18:19], v[20:21]
	v_mov_b32_e32 v22, v23
	v_mov_b32_e32 v20, v19
	v_pk_add_f32 v[28:29], v[20:21], v[0:1] neg_lo:[0,1] neg_hi:[0,1]
	v_mov_b32_e32 v18, v25
	v_mov_b32_e32 v21, v28
	v_pk_add_f32 v[30:31], v[24:25], v[20:21] neg_lo:[0,1] neg_hi:[0,1]
	v_mov_b32_e32 v24, v1
	v_mov_b32_e32 v25, v28
	;; [unrolled: 1-line block ×3, first 2 shown]
	v_pk_add_f32 v[18:19], v[18:19], v[24:25] neg_lo:[0,1] neg_hi:[0,1]
	v_mov_b32_e32 v23, v0
	v_pk_add_f32 v[0:1], v[22:23], v[18:19] neg_lo:[0,1] neg_hi:[0,1]
	v_mov_b32_e32 v30, v26
	v_pk_add_f32 v[18:19], v[30:31], v[0:1]
	v_cmp_eq_f32_e32 vcc, s0, v32
	v_mov_b32_e32 v22, v19
	v_pk_add_f32 v[22:23], v[18:19], v[22:23]
	s_mov_b32 s0, 0x33800000
	v_pk_add_f32 v[20:21], v[20:21], v[22:23]
	v_mov_b32_e32 v1, v22
	v_mov_b32_e32 v19, v20
	v_pk_add_f32 v[24:25], v[18:19], v[26:27] neg_lo:[0,1] neg_hi:[0,1]
	v_cmp_gt_f32_e64 s[2:3], s0, v32
	v_sub_f32_e32 v18, v18, v24
	v_pk_add_f32 v[0:1], v[0:1], v[24:25] neg_lo:[0,1] neg_hi:[0,1]
	v_sub_f32_e32 v18, v26, v18
	v_add_f32_e32 v0, v0, v18
	v_add_f32_e32 v0, v0, v1
	;; [unrolled: 1-line block ×3, first 2 shown]
	s_or_b64 vcc, s[2:3], vcc
	v_cndmask_b32_e32 v127, v0, v32, vcc
.LBB27_48:                              ;   in Loop: Header=BB27_14 Depth=1
	s_or_b64 exec, exec, s[30:31]
	v_and_b32_e32 v0, 0xffff0000, v4
	v_add_f32_e32 v128, s33, v0
	s_mov_b32 s0, 0x41a00000
	v_cmp_ge_f32_e32 vcc, s0, v128
	s_and_b64 s[0:1], s[88:89], vcc
	s_and_saveexec_b64 s[30:31], s[0:1]
	s_cbranch_execz .LBB27_50
; %bb.49:                               ;   in Loop: Header=BB27_14 Depth=1
	v_mul_f32_e32 v0, 0x3fb8aa3b, v128
	v_rndne_f32_e32 v1, v0
	s_mov_b32 s0, 0x3fb8aa3b
	v_sub_f32_e32 v18, v0, v1
	v_fma_f32 v0, v128, s0, -v0
	v_fmac_f32_e32 v0, 0x32a5705f, v128
	v_add_f32_e32 v0, v18, v0
	v_cvt_i32_f32_e32 v1, v1
	v_exp_f32_e32 v0, v0
	s_mov_b32 s0, 0xc2ce8ed0
	v_cmp_ngt_f32_e32 vcc, s0, v128
	s_mov_b32 s0, 0x42b17218
	v_ldexp_f32 v0, v0, v1
	v_cndmask_b32_e32 v0, 0, v0, vcc
	v_cmp_nlt_f32_e32 vcc, s0, v128
	s_mov_b32 s0, 0x3f2aaaab
	s_nop 0
	v_cndmask_b32_e32 v32, v111, v0, vcc
	v_add_f32_e32 v18, 1.0, v32
	v_add_f32_e32 v0, -1.0, v18
	v_sub_f32_e32 v1, v0, v18
	v_add_f32_e32 v1, 1.0, v1
	v_sub_f32_e32 v0, v32, v0
	v_add_f32_e32 v19, v0, v1
	v_frexp_mant_f32_e32 v20, v18
	v_cvt_f64_f32_e32 v[0:1], v18
	v_frexp_exp_i32_f64_e32 v0, v[0:1]
	v_cmp_gt_f32_e32 vcc, s0, v20
	s_mov_b32 s0, 0x3f317218
	s_nop 0
	v_subbrev_co_u32_e32 v24, vcc, 0, v0, vcc
	v_sub_u32_e32 v0, 0, v24
	v_ldexp_f32 v1, v18, v0
	v_add_f32_e32 v18, -1.0, v1
	v_add_f32_e32 v20, 1.0, v1
	v_ldexp_f32 v0, v19, v0
	v_add_f32_e32 v19, 1.0, v18
	v_add_f32_e32 v21, -1.0, v20
	v_sub_f32_e32 v19, v1, v19
	v_sub_f32_e32 v1, v1, v21
	v_add_f32_e32 v19, v0, v19
	v_add_f32_e32 v0, v0, v1
	;; [unrolled: 1-line block ×3, first 2 shown]
	v_rcp_f32_e32 v27, v25
	v_sub_f32_e32 v1, v20, v25
	v_add_f32_e32 v26, v0, v1
	v_add_f32_e32 v1, v18, v19
	v_mul_f32_e32 v29, v1, v27
	v_sub_f32_e32 v0, v18, v1
	v_mul_f32_e32 v18, v25, v29
	v_fma_f32 v20, v29, v25, -v18
	v_fmac_f32_e32 v20, v29, v26
	v_add_f32_e32 v28, v19, v0
	v_add_f32_e32 v0, v18, v20
	v_sub_f32_e32 v19, v1, v0
	v_pk_add_f32 v[22:23], v[0:1], v[18:19] neg_lo:[0,1] neg_hi:[0,1]
	v_mov_b32_e32 v21, v0
	v_pk_add_f32 v[0:1], v[22:23], v[20:21] neg_lo:[0,1] neg_hi:[0,1]
	s_nop 0
	v_add_f32_e32 v1, v28, v1
	v_add_f32_e32 v0, v0, v1
	;; [unrolled: 1-line block ×3, first 2 shown]
	v_mul_f32_e32 v28, v27, v1
	v_mul_f32_e32 v18, v25, v28
	v_fma_f32 v20, v28, v25, -v18
	v_fmac_f32_e32 v20, v28, v26
	v_sub_f32_e32 v19, v19, v1
	v_add_f32_e32 v25, v0, v19
	v_add_f32_e32 v0, v18, v20
	v_sub_f32_e32 v19, v1, v0
	v_pk_add_f32 v[22:23], v[0:1], v[18:19] neg_lo:[0,1] neg_hi:[0,1]
	v_mov_b32_e32 v21, v0
	v_pk_add_f32 v[0:1], v[22:23], v[20:21] neg_lo:[0,1] neg_hi:[0,1]
	s_nop 0
	v_add_f32_e32 v1, v25, v1
	v_add_f32_e32 v0, v0, v1
	;; [unrolled: 1-line block ×4, first 2 shown]
	v_sub_f32_e32 v18, v1, v29
	v_mul_f32_e32 v0, v27, v0
	v_sub_f32_e32 v18, v28, v18
	v_add_f32_e32 v18, v18, v0
	v_add_f32_e32 v20, v1, v18
	v_mul_f32_e32 v21, v20, v20
	v_fmamk_f32 v0, v21, 0x3e9b6dac, v110
	v_fmaak_f32 v43, v21, v0, 0x3f2aaada
	v_cvt_f32_i32_e32 v0, v24
	v_sub_f32_e32 v1, v20, v1
	v_sub_f32_e32 v1, v18, v1
	v_ldexp_f32 v22, v1, 1
	v_mul_f32_e32 v1, v20, v21
	v_ldexp_f32 v19, v20, 1
	v_pk_mul_f32 v[20:21], v[0:1], v[42:43]
	s_nop 0
	v_fma_f32 v18, v0, s0, -v20
	v_fmac_f32_e32 v18, 0xb102e308, v0
	v_pk_add_f32 v[0:1], v[20:21], v[18:19]
	s_mov_b32 s0, 0x7f800000
	v_sub_f32_e32 v19, v1, v19
	v_sub_f32_e32 v19, v21, v19
	v_add_f32_e32 v23, v22, v19
	v_mov_b32_e32 v22, v20
	v_pk_add_f32 v[20:21], v[0:1], v[20:21] neg_lo:[0,1] neg_hi:[0,1]
	v_pk_add_f32 v[24:25], v[0:1], v[22:23]
	v_mov_b32_e32 v19, v0
	v_mov_b32_e32 v21, v25
	v_pk_add_f32 v[26:27], v[18:19], v[20:21] neg_lo:[0,1] neg_hi:[0,1]
	v_pk_add_f32 v[18:19], v[18:19], v[20:21]
	v_mov_b32_e32 v22, v23
	v_mov_b32_e32 v20, v19
	v_pk_add_f32 v[28:29], v[20:21], v[0:1] neg_lo:[0,1] neg_hi:[0,1]
	v_mov_b32_e32 v18, v25
	v_mov_b32_e32 v21, v28
	v_pk_add_f32 v[30:31], v[24:25], v[20:21] neg_lo:[0,1] neg_hi:[0,1]
	v_mov_b32_e32 v24, v1
	v_mov_b32_e32 v25, v28
	;; [unrolled: 1-line block ×3, first 2 shown]
	v_pk_add_f32 v[18:19], v[18:19], v[24:25] neg_lo:[0,1] neg_hi:[0,1]
	v_mov_b32_e32 v23, v0
	v_pk_add_f32 v[0:1], v[22:23], v[18:19] neg_lo:[0,1] neg_hi:[0,1]
	v_mov_b32_e32 v30, v26
	v_pk_add_f32 v[18:19], v[30:31], v[0:1]
	v_cmp_eq_f32_e32 vcc, s0, v32
	v_mov_b32_e32 v22, v19
	v_pk_add_f32 v[22:23], v[18:19], v[22:23]
	s_mov_b32 s0, 0x33800000
	v_pk_add_f32 v[20:21], v[20:21], v[22:23]
	v_mov_b32_e32 v1, v22
	v_mov_b32_e32 v19, v20
	v_pk_add_f32 v[24:25], v[18:19], v[26:27] neg_lo:[0,1] neg_hi:[0,1]
	v_cmp_gt_f32_e64 s[2:3], s0, v32
	v_sub_f32_e32 v18, v18, v24
	v_pk_add_f32 v[0:1], v[0:1], v[24:25] neg_lo:[0,1] neg_hi:[0,1]
	v_sub_f32_e32 v18, v26, v18
	v_add_f32_e32 v0, v0, v18
	v_add_f32_e32 v0, v0, v1
	;; [unrolled: 1-line block ×3, first 2 shown]
	s_or_b64 vcc, s[2:3], vcc
	v_cndmask_b32_e32 v128, v0, v32, vcc
.LBB27_50:                              ;   in Loop: Header=BB27_14 Depth=1
	s_or_b64 exec, exec, s[30:31]
	v_lshlrev_b32_e32 v0, 16, v5
	v_add_f32_e32 v0, s33, v0
	s_mov_b32 s0, 0x41a00000
	v_cmp_ge_f32_e32 vcc, s0, v0
	s_and_b64 s[0:1], s[88:89], vcc
	s_and_saveexec_b64 s[30:31], s[0:1]
	s_cbranch_execz .LBB27_52
; %bb.51:                               ;   in Loop: Header=BB27_14 Depth=1
	v_mul_f32_e32 v1, 0x3fb8aa3b, v0
	v_rndne_f32_e32 v18, v1
	s_mov_b32 s0, 0x3fb8aa3b
	v_sub_f32_e32 v19, v1, v18
	v_fma_f32 v1, v0, s0, -v1
	v_fmac_f32_e32 v1, 0x32a5705f, v0
	v_add_f32_e32 v1, v19, v1
	v_cvt_i32_f32_e32 v18, v18
	v_exp_f32_e32 v1, v1
	s_mov_b32 s0, 0xc2ce8ed0
	v_cmp_ngt_f32_e32 vcc, s0, v0
	s_mov_b32 s0, 0x42b17218
	v_ldexp_f32 v1, v1, v18
	v_cndmask_b32_e32 v1, 0, v1, vcc
	v_cmp_nlt_f32_e32 vcc, s0, v0
	s_mov_b32 s0, 0x3f2aaaab
	s_nop 0
	v_cndmask_b32_e32 v32, v111, v1, vcc
	v_add_f32_e32 v18, 1.0, v32
	v_add_f32_e32 v0, -1.0, v18
	v_sub_f32_e32 v1, v0, v18
	v_add_f32_e32 v1, 1.0, v1
	v_sub_f32_e32 v0, v32, v0
	v_add_f32_e32 v19, v0, v1
	v_frexp_mant_f32_e32 v20, v18
	v_cvt_f64_f32_e32 v[0:1], v18
	v_frexp_exp_i32_f64_e32 v0, v[0:1]
	v_cmp_gt_f32_e32 vcc, s0, v20
	s_mov_b32 s0, 0x3f317218
	s_nop 0
	v_subbrev_co_u32_e32 v24, vcc, 0, v0, vcc
	v_sub_u32_e32 v0, 0, v24
	v_ldexp_f32 v1, v18, v0
	v_add_f32_e32 v18, -1.0, v1
	v_add_f32_e32 v20, 1.0, v1
	v_ldexp_f32 v0, v19, v0
	v_add_f32_e32 v19, 1.0, v18
	v_add_f32_e32 v21, -1.0, v20
	v_sub_f32_e32 v19, v1, v19
	v_sub_f32_e32 v1, v1, v21
	v_add_f32_e32 v19, v0, v19
	v_add_f32_e32 v0, v0, v1
	;; [unrolled: 1-line block ×3, first 2 shown]
	v_rcp_f32_e32 v27, v25
	v_sub_f32_e32 v1, v20, v25
	v_add_f32_e32 v26, v0, v1
	v_add_f32_e32 v1, v18, v19
	v_mul_f32_e32 v29, v1, v27
	v_sub_f32_e32 v0, v18, v1
	v_mul_f32_e32 v18, v25, v29
	v_fma_f32 v20, v29, v25, -v18
	v_fmac_f32_e32 v20, v29, v26
	v_add_f32_e32 v28, v19, v0
	v_add_f32_e32 v0, v18, v20
	v_sub_f32_e32 v19, v1, v0
	v_pk_add_f32 v[22:23], v[0:1], v[18:19] neg_lo:[0,1] neg_hi:[0,1]
	v_mov_b32_e32 v21, v0
	v_pk_add_f32 v[0:1], v[22:23], v[20:21] neg_lo:[0,1] neg_hi:[0,1]
	s_nop 0
	v_add_f32_e32 v1, v28, v1
	v_add_f32_e32 v0, v0, v1
	;; [unrolled: 1-line block ×3, first 2 shown]
	v_mul_f32_e32 v28, v27, v1
	v_mul_f32_e32 v18, v25, v28
	v_fma_f32 v20, v28, v25, -v18
	v_fmac_f32_e32 v20, v28, v26
	v_sub_f32_e32 v19, v19, v1
	v_add_f32_e32 v25, v0, v19
	v_add_f32_e32 v0, v18, v20
	v_sub_f32_e32 v19, v1, v0
	v_pk_add_f32 v[22:23], v[0:1], v[18:19] neg_lo:[0,1] neg_hi:[0,1]
	v_mov_b32_e32 v21, v0
	v_pk_add_f32 v[0:1], v[22:23], v[20:21] neg_lo:[0,1] neg_hi:[0,1]
	s_nop 0
	v_add_f32_e32 v1, v25, v1
	v_add_f32_e32 v0, v0, v1
	;; [unrolled: 1-line block ×4, first 2 shown]
	v_sub_f32_e32 v18, v1, v29
	v_mul_f32_e32 v0, v27, v0
	v_sub_f32_e32 v18, v28, v18
	v_add_f32_e32 v18, v18, v0
	v_add_f32_e32 v20, v1, v18
	v_mul_f32_e32 v21, v20, v20
	v_fmamk_f32 v0, v21, 0x3e9b6dac, v110
	v_fmaak_f32 v43, v21, v0, 0x3f2aaada
	v_cvt_f32_i32_e32 v0, v24
	v_sub_f32_e32 v1, v20, v1
	v_sub_f32_e32 v1, v18, v1
	v_ldexp_f32 v22, v1, 1
	v_mul_f32_e32 v1, v20, v21
	v_ldexp_f32 v19, v20, 1
	v_pk_mul_f32 v[20:21], v[0:1], v[42:43]
	s_nop 0
	v_fma_f32 v18, v0, s0, -v20
	v_fmac_f32_e32 v18, 0xb102e308, v0
	v_pk_add_f32 v[0:1], v[20:21], v[18:19]
	s_mov_b32 s0, 0x7f800000
	v_sub_f32_e32 v19, v1, v19
	v_sub_f32_e32 v19, v21, v19
	v_add_f32_e32 v23, v22, v19
	v_mov_b32_e32 v22, v20
	v_pk_add_f32 v[20:21], v[0:1], v[20:21] neg_lo:[0,1] neg_hi:[0,1]
	v_pk_add_f32 v[24:25], v[0:1], v[22:23]
	v_mov_b32_e32 v19, v0
	v_mov_b32_e32 v21, v25
	v_pk_add_f32 v[26:27], v[18:19], v[20:21] neg_lo:[0,1] neg_hi:[0,1]
	v_pk_add_f32 v[18:19], v[18:19], v[20:21]
	v_mov_b32_e32 v22, v23
	v_mov_b32_e32 v20, v19
	v_pk_add_f32 v[28:29], v[20:21], v[0:1] neg_lo:[0,1] neg_hi:[0,1]
	v_mov_b32_e32 v18, v25
	v_mov_b32_e32 v21, v28
	v_pk_add_f32 v[30:31], v[24:25], v[20:21] neg_lo:[0,1] neg_hi:[0,1]
	v_mov_b32_e32 v24, v1
	v_mov_b32_e32 v25, v28
	;; [unrolled: 1-line block ×3, first 2 shown]
	v_pk_add_f32 v[18:19], v[18:19], v[24:25] neg_lo:[0,1] neg_hi:[0,1]
	v_mov_b32_e32 v23, v0
	v_pk_add_f32 v[0:1], v[22:23], v[18:19] neg_lo:[0,1] neg_hi:[0,1]
	v_mov_b32_e32 v30, v26
	v_pk_add_f32 v[18:19], v[30:31], v[0:1]
	v_cmp_eq_f32_e32 vcc, s0, v32
	v_mov_b32_e32 v22, v19
	v_pk_add_f32 v[22:23], v[18:19], v[22:23]
	s_mov_b32 s0, 0x33800000
	v_pk_add_f32 v[20:21], v[20:21], v[22:23]
	v_mov_b32_e32 v1, v22
	v_mov_b32_e32 v19, v20
	v_pk_add_f32 v[24:25], v[18:19], v[26:27] neg_lo:[0,1] neg_hi:[0,1]
	v_cmp_gt_f32_e64 s[2:3], s0, v32
	v_sub_f32_e32 v18, v18, v24
	v_pk_add_f32 v[0:1], v[0:1], v[24:25] neg_lo:[0,1] neg_hi:[0,1]
	v_sub_f32_e32 v18, v26, v18
	v_add_f32_e32 v0, v0, v18
	v_add_f32_e32 v0, v0, v1
	;; [unrolled: 1-line block ×3, first 2 shown]
	s_or_b64 vcc, s[2:3], vcc
	v_cndmask_b32_e32 v0, v0, v32, vcc
.LBB27_52:                              ;   in Loop: Header=BB27_14 Depth=1
	s_or_b64 exec, exec, s[30:31]
	v_and_b32_e32 v1, 0xffff0000, v5
	v_add_f32_e32 v1, s33, v1
	s_mov_b32 s0, 0x41a00000
	v_cmp_ge_f32_e32 vcc, s0, v1
	s_and_b64 s[0:1], s[88:89], vcc
	s_and_saveexec_b64 s[30:31], s[0:1]
	s_cbranch_execz .LBB27_54
; %bb.53:                               ;   in Loop: Header=BB27_14 Depth=1
	v_mul_f32_e32 v18, 0x3fb8aa3b, v1
	v_rndne_f32_e32 v19, v18
	s_mov_b32 s0, 0x3fb8aa3b
	v_sub_f32_e32 v20, v18, v19
	v_fma_f32 v18, v1, s0, -v18
	v_fmac_f32_e32 v18, 0x32a5705f, v1
	v_add_f32_e32 v18, v20, v18
	v_cvt_i32_f32_e32 v19, v19
	v_exp_f32_e32 v18, v18
	s_mov_b32 s0, 0xc2ce8ed0
	v_cmp_ngt_f32_e32 vcc, s0, v1
	s_mov_b32 s0, 0x42b17218
	v_ldexp_f32 v18, v18, v19
	v_cndmask_b32_e32 v18, 0, v18, vcc
	v_cmp_nlt_f32_e32 vcc, s0, v1
	s_mov_b32 s0, 0x3f2aaaab
	s_nop 0
	v_cndmask_b32_e32 v39, v111, v18, vcc
	v_add_f32_e32 v1, 1.0, v39
	v_add_f32_e32 v18, -1.0, v1
	v_sub_f32_e32 v19, v18, v1
	v_add_f32_e32 v19, 1.0, v19
	v_sub_f32_e32 v18, v39, v18
	v_add_f32_e32 v20, v18, v19
	v_frexp_mant_f32_e32 v21, v1
	v_cvt_f64_f32_e32 v[18:19], v1
	v_frexp_exp_i32_f64_e32 v18, v[18:19]
	v_cmp_gt_f32_e32 vcc, s0, v21
	s_mov_b32 s0, 0x3f317218
	s_nop 0
	v_subbrev_co_u32_e32 v26, vcc, 0, v18, vcc
	v_sub_u32_e32 v18, 0, v26
	v_ldexp_f32 v1, v1, v18
	v_ldexp_f32 v18, v20, v18
	v_add_f32_e32 v20, -1.0, v1
	v_add_f32_e32 v19, 1.0, v20
	v_sub_f32_e32 v19, v1, v19
	v_add_f32_e32 v21, v18, v19
	v_add_f32_e32 v19, 1.0, v1
	v_add_f32_e32 v22, -1.0, v19
	v_sub_f32_e32 v1, v1, v22
	v_add_f32_e32 v1, v18, v1
	v_add_f32_e32 v27, v19, v1
	v_rcp_f32_e32 v28, v27
	v_sub_f32_e32 v18, v19, v27
	v_add_f32_e32 v19, v20, v21
	v_add_f32_e32 v1, v1, v18
	v_mul_f32_e32 v30, v19, v28
	v_sub_f32_e32 v18, v20, v19
	v_mul_f32_e32 v20, v27, v30
	v_fma_f32 v22, v30, v27, -v20
	v_fmac_f32_e32 v22, v30, v1
	v_add_f32_e32 v29, v21, v18
	v_add_f32_e32 v18, v20, v22
	v_sub_f32_e32 v21, v19, v18
	v_pk_add_f32 v[24:25], v[18:19], v[20:21] neg_lo:[0,1] neg_hi:[0,1]
	v_mov_b32_e32 v23, v18
	v_pk_add_f32 v[18:19], v[24:25], v[22:23] neg_lo:[0,1] neg_hi:[0,1]
	s_nop 0
	v_add_f32_e32 v19, v29, v19
	v_add_f32_e32 v18, v18, v19
	;; [unrolled: 1-line block ×3, first 2 shown]
	v_mul_f32_e32 v29, v28, v19
	v_mul_f32_e32 v20, v27, v29
	v_fma_f32 v22, v29, v27, -v20
	v_fmac_f32_e32 v22, v29, v1
	v_sub_f32_e32 v1, v21, v19
	v_add_f32_e32 v1, v18, v1
	v_add_f32_e32 v18, v20, v22
	v_sub_f32_e32 v21, v19, v18
	v_pk_add_f32 v[24:25], v[18:19], v[20:21] neg_lo:[0,1] neg_hi:[0,1]
	v_mov_b32_e32 v23, v18
	v_pk_add_f32 v[18:19], v[24:25], v[22:23] neg_lo:[0,1] neg_hi:[0,1]
	s_nop 0
	v_add_f32_e32 v1, v1, v19
	v_add_f32_e32 v1, v18, v1
	;; [unrolled: 1-line block ×4, first 2 shown]
	v_sub_f32_e32 v18, v19, v30
	v_mul_f32_e32 v1, v28, v1
	v_sub_f32_e32 v18, v29, v18
	v_add_f32_e32 v1, v18, v1
	v_add_f32_e32 v20, v19, v1
	v_mul_f32_e32 v22, v20, v20
	v_fmamk_f32 v18, v22, 0x3e9b6dac, v110
	v_fmaak_f32 v43, v22, v18, 0x3f2aaada
	v_cvt_f32_i32_e32 v18, v26
	v_sub_f32_e32 v19, v20, v19
	v_sub_f32_e32 v1, v1, v19
	v_mul_f32_e32 v19, v20, v22
	v_pk_mul_f32 v[22:23], v[18:19], v[42:43]
	v_ldexp_f32 v21, v20, 1
	v_fma_f32 v20, v18, s0, -v22
	v_fmac_f32_e32 v20, 0xb102e308, v18
	v_pk_add_f32 v[18:19], v[22:23], v[20:21]
	v_ldexp_f32 v1, v1, 1
	v_sub_f32_e32 v21, v19, v21
	v_sub_f32_e32 v21, v23, v21
	v_add_f32_e32 v25, v1, v21
	v_mov_b32_e32 v24, v22
	v_pk_add_f32 v[22:23], v[18:19], v[22:23] neg_lo:[0,1] neg_hi:[0,1]
	v_pk_add_f32 v[26:27], v[18:19], v[24:25]
	v_mov_b32_e32 v21, v18
	v_mov_b32_e32 v23, v27
	v_pk_add_f32 v[28:29], v[20:21], v[22:23] neg_lo:[0,1] neg_hi:[0,1]
	v_pk_add_f32 v[20:21], v[20:21], v[22:23]
	v_mov_b32_e32 v24, v25
	v_mov_b32_e32 v22, v21
	v_pk_add_f32 v[30:31], v[22:23], v[18:19] neg_lo:[0,1] neg_hi:[0,1]
	v_mov_b32_e32 v20, v27
	v_mov_b32_e32 v1, v30
	v_pk_add_f32 v[32:33], v[26:27], v[0:1] neg_lo:[0,1] neg_hi:[0,1]
	v_mov_b32_e32 v26, v19
	v_mov_b32_e32 v27, v30
	;; [unrolled: 1-line block ×3, first 2 shown]
	v_pk_add_f32 v[20:21], v[20:21], v[26:27] neg_lo:[0,1] neg_hi:[0,1]
	v_mov_b32_e32 v25, v18
	v_pk_add_f32 v[18:19], v[24:25], v[20:21] neg_lo:[0,1] neg_hi:[0,1]
	v_mov_b32_e32 v32, v28
	v_pk_add_f32 v[20:21], v[32:33], v[18:19]
	s_mov_b32 s0, 0x7f800000
	v_mov_b32_e32 v24, v21
	v_pk_add_f32 v[24:25], v[20:21], v[24:25]
	v_cmp_eq_f32_e32 vcc, s0, v39
	v_pk_add_f32 v[22:23], v[22:23], v[24:25]
	v_mov_b32_e32 v19, v24
	v_mov_b32_e32 v21, v22
	v_pk_add_f32 v[26:27], v[20:21], v[28:29] neg_lo:[0,1] neg_hi:[0,1]
	s_mov_b32 s0, 0x33800000
	v_sub_f32_e32 v1, v20, v26
	v_pk_add_f32 v[18:19], v[18:19], v[26:27] neg_lo:[0,1] neg_hi:[0,1]
	v_sub_f32_e32 v1, v28, v1
	v_add_f32_e32 v1, v18, v1
	v_add_f32_e32 v1, v1, v19
	v_cmp_gt_f32_e64 s[2:3], s0, v39
	v_add_f32_e32 v1, v22, v1
	s_or_b64 vcc, s[2:3], vcc
	v_cndmask_b32_e32 v1, v1, v39, vcc
.LBB27_54:                              ;   in Loop: Header=BB27_14 Depth=1
	s_or_b64 exec, exec, s[30:31]
	v_readlane_b32 s0, v155, 14
	v_lshlrev_b32_e32 v18, 16, v9
	v_and_b32_e32 v28, 0xffff0000, v9
	v_and_b32_e32 v19, 0xffff0000, v8
	v_lshlrev_b32_e32 v20, 16, v8
	v_and_b32_e32 v21, 0xffff0000, v7
	v_lshlrev_b32_e32 v22, 16, v7
	;; [unrolled: 2-line block ×7, first 2 shown]
	v_readlane_b32 s1, v155, 15
	v_mul_f32_e32 v44, s80, v18
	v_mul_f32_e32 v47, s80, v19
	;; [unrolled: 1-line block ×15, first 2 shown]
	s_mov_b32 s34, s13
	s_lshl_b32 s90, s13, 11
	v_mul_f32_e32 v45, s80, v28
	s_and_b64 vcc, exec, s[0:1]
	s_barrier
	s_cbranch_vccz .LBB27_12
; %bb.55:                               ;   in Loop: Header=BB27_14 Depth=1
	v_readlane_b32 s0, v155, 2
	v_readlane_b32 s1, v155, 3
	;; [unrolled: 1-line block ×4, first 2 shown]
	v_lshl_add_u64 v[60:61], s[0:1], 0, v[34:35]
	v_readlane_b32 s0, v155, 4
	v_readlane_b32 s1, v155, 5
	v_readlane_b32 s63, v155, 20
	s_mov_b32 s13, s34
	v_lshl_add_u64 v[62:63], s[0:1], 0, v[34:35]
	v_readlane_b32 s0, v155, 16
	s_sub_i32 s0, s0, s90
	s_cmp_lg_u32 s34, 0
	s_cselect_b64 s[96:97], -1, 0
	s_cmp_eq_u32 s34, s2
	v_cmp_gt_u32_e32 vcc, s0, v91
	s_cselect_b64 s[98:99], -1, 0
	s_or_b64 s[30:31], s[62:63], vcc
	v_cmp_gt_u32_e32 vcc, s0, v95
	s_or_b64 s[34:35], s[62:63], vcc
	v_cmp_gt_u32_e32 vcc, s0, v96
	;; [unrolled: 2-line block ×13, first 2 shown]
	v_mov_b32_e32 v39, v35
	v_readlane_b32 s1, v155, 17
	s_mov_b32 s82, 0
	s_or_b64 s[58:59], s[62:63], vcc
	v_cmp_gt_u32_e32 vcc, s0, v108
	v_cmp_gt_u32_e64 s[2:3], s0, v109
	v_mul_f32_e32 v43, v1, v28
	v_lshl_add_u64 v[60:61], v[60:61], 0, v[38:39]
	v_lshl_add_u64 v[62:63], v[62:63], 0, v[38:39]
	v_mul_f32_e32 v39, v0, v18
	v_mul_f32_e32 v129, v128, v19
	;; [unrolled: 1-line block ×15, first 2 shown]
	s_or_b64 s[60:61], s[62:63], s[2:3]
	s_or_b64 s[62:63], s[62:63], vcc
	s_mov_b32 s2, s82
	s_mov_b32 s84, s82
	;; [unrolled: 1-line block ×4, first 2 shown]
	v_readlane_b32 s81, v155, 21
	s_branch .LBB27_57
.LBB27_56:                              ;   in Loop: Header=BB27_57 Depth=2
	s_or_b64 exec, exec, s[0:1]
	v_cndmask_b32_e64 v65, v79, v85, s[28:29]
	v_cndmask_b32_e64 v66, v76, v84, s[28:29]
	v_mul_f32_e32 v66, v66, v143
	v_fma_f32 v65, v65, v143, v26
	v_cndmask_b32_e64 v26, v65, v26, s[26:27]
	v_cndmask_b32_e64 v65, v66, v143, s[26:27]
	s_waitcnt lgkmcnt(0)
	v_fmac_f32_e32 v26, v64, v65
	v_fmac_f32_e32 v27, v26, v144
	;; [unrolled: 1-line block ×14, first 2 shown]
	v_readlane_b32 s76, v155, 6
	v_fmac_f32_e32 v75, v71, v80
	v_readlane_b32 s78, v155, 8
	v_fmac_f32_e32 v77, v75, v81
	v_and_b32_e32 v65, 0xffff0000, v22
	v_and_b32_e32 v67, 0xffff0000, v23
	v_lshlrev_b32_e32 v64, 16, v22
	v_lshlrev_b32_e32 v66, 16, v23
	v_and_b32_e32 v23, 0xffff0000, v24
	v_and_b32_e32 v79, 0xffff0000, v25
	v_lshlrev_b32_e32 v22, 16, v24
	v_lshlrev_b32_e32 v78, 16, v25
	;; [unrolled: 4-line block ×4, first 2 shown]
	v_mov_b32_e32 v76, v75
	s_add_i32 s81, s81, 8
	s_add_i32 s91, s91, -1
	s_add_i32 s94, s94, s78
	s_add_i32 s84, s84, s72
	;; [unrolled: 1-line block ×4, first 2 shown]
	v_pk_fma_f32 v[56:57], v[28:29], v[66:67], v[56:57]
	v_pk_fma_f32 v[58:59], v[26:27], v[64:65], v[58:59]
	;; [unrolled: 1-line block ×7, first 2 shown]
	s_cmp_eq_u32 s91, 0
	v_pk_fma_f32 v[46:47], v[70:71], v[18:19], v[46:47]
	v_readlane_b32 s77, v155, 7
	v_readlane_b32 s79, v155, 9
	s_mov_b32 s73, s9
	s_cbranch_scc1 .LBB27_13
.LBB27_57:                              ;   Parent Loop BB27_14 Depth=1
                                        ; =>  This Inner Loop Header: Depth=2
	s_mov_b32 s3, s83
	v_lshl_add_u64 v[22:23], s[2:3], 1, v[60:61]
	global_load_dwordx4 v[18:21], v[22:23], off
	s_nop 0
	global_load_dwordx4 v[22:25], v[22:23], off offset:1024
	s_lshl_b64 s[0:1], s[82:83], 2
	s_mov_b32 s85, s83
	s_add_u32 s0, s67, s0
	v_lshl_add_u64 v[26:27], s[84:85], 1, v[62:63]
	s_addc_u32 s1, s68, s1
	global_load_dword v64, v35, s[0:1]
	s_andn2_b64 vcc, exec, s[96:97]
	s_waitcnt vmcnt(2)
	ds_write_b128 v86, v[18:21]
	s_waitcnt vmcnt(1)
	ds_write_b128 v87, v[22:25] offset:1024
	; wave barrier
	global_load_dwordx4 v[18:21], v[26:27], off
	global_load_dwordx4 v[22:25], v[26:27], off offset:1024
	ds_read_b128 v[30:33], v88
	ds_read_b128 v[26:29], v88 offset:16
	s_waitcnt vmcnt(1)
	ds_write_b128 v86, v[18:21] offset:4224
	s_waitcnt vmcnt(0)
	ds_write_b128 v89, v[22:25] offset:1024
	; wave barrier
	ds_read_b128 v[22:25], v88 offset:4224
	ds_read_b128 v[18:21], v90 offset:16
	s_cbranch_vccnz .LBB27_59
; %bb.58:                               ;   in Loop: Header=BB27_57 Depth=2
	v_mov_b32_e32 v65, s81
	ds_read_b64 v[66:67], v65
	s_waitcnt lgkmcnt(0)
	v_mov_b32_e32 v65, v67
	s_cbranch_execz .LBB27_60
	s_branch .LBB27_63
.LBB27_59:                              ;   in Loop: Header=BB27_57 Depth=2
                                        ; implicit-def: $vgpr66
                                        ; implicit-def: $vgpr65
.LBB27_60:                              ;   in Loop: Header=BB27_57 Depth=2
	v_readlane_b32 s0, v155, 0
	v_readlane_b32 s1, v155, 1
	s_andn2_b64 vcc, exec, s[0:1]
	v_mov_b32_e32 v65, 0
	s_cbranch_vccnz .LBB27_62
; %bb.61:                               ;   in Loop: Header=BB27_57 Depth=2
	s_mov_b32 s95, s83
	s_lshl_b64 s[0:1], s[94:95], 1
	s_add_u32 s0, s69, s0
	s_addc_u32 s1, s66, s1
	global_load_ushort v65, v35, s[0:1]
	s_waitcnt vmcnt(0)
	v_lshlrev_b32_e32 v65, 16, v65
.LBB27_62:                              ;   in Loop: Header=BB27_57 Depth=2
	v_mov_b32_e32 v66, 1.0
.LBB27_63:                              ;   in Loop: Header=BB27_57 Depth=2
	v_mul_f32_e32 v64, 0x3fb8aa3b, v64
	s_waitcnt lgkmcnt(4)
	v_lshlrev_b32_e32 v72, 16, v26
	v_and_b32_e32 v73, 0xffff0000, v26
	v_mul_f32_e32 v26, v64, v115
	v_cmp_gt_f32_e32 vcc, s65, v26
	v_lshlrev_b32_e32 v74, 16, v27
	v_and_b32_e32 v75, 0xffff0000, v27
	v_cndmask_b32_e32 v26, 0, v112, vcc
	v_fmac_f32_e32 v26, v64, v115
	v_exp_f32_e32 v26, v26
	v_cndmask_b32_e32 v27, 1.0, v113, vcc
	v_lshlrev_b32_e32 v76, 16, v28
	v_and_b32_e32 v77, 0xffff0000, v28
	v_mul_f32_e32 v27, v26, v27
	v_cndmask_b32_e64 v143, 1.0, v27, s[30:31]
	v_mul_f32_e32 v27, v64, v116
	v_cmp_gt_f32_e32 vcc, s65, v27
	v_lshlrev_b32_e32 v79, 16, v29
	v_and_b32_e32 v67, 0xffff0000, v29
	v_cndmask_b32_e32 v27, 0, v112, vcc
	v_fmac_f32_e32 v27, v64, v116
	v_exp_f32_e32 v27, v27
	v_cndmask_b32_e32 v28, 1.0, v113, vcc
	v_lshlrev_b32_e32 v68, 16, v30
	v_and_b32_e32 v30, 0xffff0000, v30
	v_mul_f32_e32 v28, v27, v28
	v_cndmask_b32_e64 v144, 1.0, v28, s[34:35]
	v_mul_f32_e32 v28, v64, v117
	v_cmp_gt_f32_e32 vcc, s65, v28
	v_mul_f32_e32 v27, v141, v30
	v_lshlrev_b32_e32 v69, 16, v31
	v_cndmask_b32_e32 v28, 0, v112, vcc
	v_fmac_f32_e32 v28, v64, v117
	v_exp_f32_e32 v28, v28
	v_cndmask_b32_e32 v29, 1.0, v113, vcc
	v_and_b32_e32 v31, 0xffff0000, v31
	v_lshlrev_b32_e32 v70, 16, v32
	v_mul_f32_e32 v29, v28, v29
	v_cndmask_b32_e64 v145, 1.0, v29, s[36:37]
	v_mul_f32_e32 v29, v64, v118
	v_cmp_gt_f32_e32 vcc, s65, v29
	v_and_b32_e32 v32, 0xffff0000, v32
	v_mul_f32_e32 v26, v142, v68
	v_cndmask_b32_e32 v29, 0, v112, vcc
	v_fmac_f32_e32 v29, v64, v118
	v_exp_f32_e32 v29, v29
	v_cndmask_b32_e32 v30, 1.0, v113, vcc
	v_mul_f32_e32 v28, v140, v69
	v_lshlrev_b32_e32 v71, 16, v33
	v_mul_f32_e32 v30, v29, v30
	v_cndmask_b32_e64 v146, 1.0, v30, s[38:39]
	v_mul_f32_e32 v30, v64, v119
	v_cmp_gt_f32_e32 vcc, s65, v30
	v_mul_f32_e32 v29, v139, v31
	v_cndmask_b32_e64 v26, 0, v26, s[30:31]
	v_cndmask_b32_e32 v30, 0, v112, vcc
	v_fmac_f32_e32 v30, v64, v119
	v_exp_f32_e32 v30, v30
	v_cndmask_b32_e32 v31, 1.0, v113, vcc
	v_cndmask_b32_e64 v27, 0, v27, s[34:35]
	v_mul_f32_e32 v67, v43, v67
	v_mul_f32_e32 v31, v30, v31
	v_cndmask_b32_e64 v147, 1.0, v31, s[40:41]
	v_mul_f32_e32 v31, v64, v120
	v_cmp_gt_f32_e32 vcc, s65, v31
	v_mul_f32_e32 v30, v138, v70
	v_cndmask_b32_e64 v28, 0, v28, s[36:37]
	v_cndmask_b32_e32 v31, 0, v112, vcc
	v_fmac_f32_e32 v31, v64, v120
	v_exp_f32_e32 v31, v31
	v_cndmask_b32_e32 v68, 1.0, v113, vcc
	v_cndmask_b32_e64 v29, 0, v29, s[38:39]
	v_cndmask_b32_e64 v30, 0, v30, s[40:41]
	v_mul_f32_e32 v68, v31, v68
	v_mul_f32_e32 v31, v137, v32
	;; [unrolled: 1-line block ×3, first 2 shown]
	v_cmp_gt_f32_e32 vcc, s65, v32
	v_cndmask_b32_e64 v148, 1.0, v68, s[42:43]
	v_and_b32_e32 v33, 0xffff0000, v33
	v_cndmask_b32_e32 v32, 0, v112, vcc
	v_fmac_f32_e32 v32, v64, v121
	v_exp_f32_e32 v32, v32
	v_cndmask_b32_e32 v68, 1.0, v113, vcc
	v_cndmask_b32_e64 v31, 0, v31, s[42:43]
	v_mul_f32_e32 v33, v135, v33
	v_mul_f32_e32 v68, v32, v68
	v_cndmask_b32_e64 v149, 1.0, v68, s[44:45]
	v_mul_f32_e32 v68, v64, v122
	v_cmp_gt_f32_e32 vcc, s65, v68
	v_mul_f32_e32 v32, v136, v71
	v_cndmask_b32_e64 v32, 0, v32, s[44:45]
	v_cndmask_b32_e32 v68, 0, v112, vcc
	v_fmac_f32_e32 v68, v64, v122
	v_exp_f32_e32 v68, v68
	v_cndmask_b32_e32 v69, 1.0, v113, vcc
	v_cndmask_b32_e64 v33, 0, v33, s[46:47]
	v_mul_f32_e32 v68, v68, v69
	v_cndmask_b32_e64 v150, 1.0, v68, s[46:47]
	v_mul_f32_e32 v68, v64, v123
	v_cmp_gt_f32_e32 vcc, s65, v68
	s_nop 1
	v_cndmask_b32_e32 v68, 0, v112, vcc
	v_fmac_f32_e32 v68, v64, v123
	v_exp_f32_e32 v68, v68
	v_cndmask_b32_e32 v69, 1.0, v113, vcc
	v_mul_f32_e32 v69, v68, v69
	v_cndmask_b32_e64 v151, 1.0, v69, s[48:49]
	v_mul_f32_e32 v69, v64, v124
	v_cmp_gt_f32_e32 vcc, s65, v69
	v_mul_f32_e32 v68, v134, v72
	v_cndmask_b32_e64 v68, 0, v68, s[48:49]
	v_cndmask_b32_e32 v69, 0, v112, vcc
	v_fmac_f32_e32 v69, v64, v124
	v_exp_f32_e32 v69, v69
	v_cndmask_b32_e32 v70, 1.0, v113, vcc
	v_mul_f32_e32 v70, v69, v70
	v_cndmask_b32_e64 v152, 1.0, v70, s[50:51]
	v_mul_f32_e32 v70, v64, v125
	v_cmp_gt_f32_e32 vcc, s65, v70
	v_mul_f32_e32 v69, v133, v73
	v_cndmask_b32_e64 v69, 0, v69, s[50:51]
	v_cndmask_b32_e32 v70, 0, v112, vcc
	v_fmac_f32_e32 v70, v64, v125
	v_exp_f32_e32 v70, v70
	v_cndmask_b32_e32 v71, 1.0, v113, vcc
	v_mul_f32_e32 v70, v70, v71
	v_cndmask_b32_e64 v153, 1.0, v70, s[52:53]
	v_mul_f32_e32 v70, v64, v126
	v_cmp_gt_f32_e32 vcc, s65, v70
	v_mul_f32_e32 v71, v132, v74
	v_cndmask_b32_e64 v72, 0, v71, s[52:53]
	v_cndmask_b32_e32 v70, 0, v112, vcc
	v_fmac_f32_e32 v70, v64, v126
	v_exp_f32_e32 v70, v70
	v_cndmask_b32_e32 v71, 1.0, v113, vcc
	v_mul_f32_e32 v70, v70, v71
	v_cndmask_b32_e64 v154, 1.0, v70, s[54:55]
	v_mul_f32_e32 v70, v64, v127
	v_cmp_gt_f32_e32 vcc, s65, v70
	v_mul_f32_e32 v71, v131, v75
	v_cndmask_b32_e64 v73, 0, v71, s[54:55]
	v_cndmask_b32_e32 v70, 0, v112, vcc
	v_fmac_f32_e32 v70, v64, v127
	v_exp_f32_e32 v70, v70
	v_cndmask_b32_e32 v71, 1.0, v113, vcc
	v_mul_f32_e32 v75, v39, v79
	v_cndmask_b32_e64 v75, 0, v75, s[62:63]
	v_mul_f32_e32 v71, v70, v71
	v_cndmask_b32_e64 v78, 1.0, v71, s[56:57]
	v_mul_f32_e32 v71, v64, v128
	v_cmp_gt_f32_e32 vcc, s65, v71
	v_mul_f32_e32 v70, v130, v76
	v_cndmask_b32_e64 v70, 0, v70, s[56:57]
	v_cndmask_b32_e32 v71, 0, v112, vcc
	v_fmac_f32_e32 v71, v64, v128
	v_exp_f32_e32 v71, v71
	v_cndmask_b32_e32 v74, 1.0, v113, vcc
	v_mul_f32_e32 v74, v71, v74
	v_mul_f32_e32 v71, v129, v77
	v_pk_mul_f32 v[76:77], v[64:65], v[0:1] op_sel_hi:[0,1]
	v_cmp_gt_f32_e32 vcc, s65, v76
	v_cndmask_b32_e64 v71, 0, v71, s[58:59]
	v_cndmask_b32_e64 v74, 1.0, v74, s[58:59]
	v_cndmask_b32_e32 v64, 0, v112, vcc
	v_add_f32_e32 v64, v76, v64
	v_exp_f32_e32 v64, v64
	v_cndmask_b32_e32 v76, 1.0, v113, vcc
	v_cmp_gt_f32_e32 vcc, s65, v77
	v_mul_f32_e32 v64, v64, v76
	s_nop 0
	v_cndmask_b32_e32 v76, 0, v112, vcc
	v_add_f32_e32 v76, v77, v76
	v_exp_f32_e32 v76, v76
	v_cndmask_b32_e32 v77, 1.0, v113, vcc
	v_cndmask_b32_e64 v80, 1.0, v64, s[62:63]
	v_mul_f32_e32 v64, v144, v143
	v_mul_f32_e32 v76, v76, v77
	v_cndmask_b32_e64 v77, 0, v67, s[60:61]
	v_fma_f32 v67, v144, v26, v27
	v_mul_f32_e32 v64, v64, v145
	v_fma_f32 v67, v67, v145, v28
	v_mul_f32_e32 v64, v64, v146
	;; [unrolled: 2-line block ×10, first 2 shown]
	v_fma_f32 v64, v67, v154, v73
	v_fma_f32 v64, v64, v78, v70
	;; [unrolled: 1-line block ×3, first 2 shown]
	v_mov_b32_e32 v79, v80
	v_pk_mul_f32 v[156:157], v[82:83], v[78:79]
	v_pk_fma_f32 v[82:83], v[82:83], v[78:79], v[74:75]
	v_pk_mul_f32 v[156:157], v[156:157], v[74:75]
	v_cndmask_b32_e64 v81, 1.0, v76, s[60:61]
	v_mov_b32_e32 v157, v83
	v_mov_b32_e32 v84, v81
	;; [unrolled: 1-line block ×3, first 2 shown]
	v_pk_mul_f32 v[82:83], v[156:157], v[80:81]
	v_mov_b32_e32 v76, v81
	v_pk_mul_f32 v[84:85], v[82:83], v[84:85]
	v_pk_fma_f32 v[82:83], v[156:157], v[80:81], v[76:77]
	s_nop 0
	v_mov_b32_dpp v64, v84 row_shr:1 row_mask:0xf bank_mask:0xf
	v_mov_b32_dpp v67, v83 row_shr:1 row_mask:0xf bank_mask:0xf
	v_mul_f32_e32 v76, v84, v64
	v_fma_f32 v67, v84, v67, v83
	v_cndmask_b32_e64 v82, v76, v84, s[4:5]
	v_cndmask_b32_e64 v85, v67, v83, s[4:5]
	;; [unrolled: 1-line block ×4, first 2 shown]
	v_mov_b32_dpp v76, v85 row_shr:2 row_mask:0xf bank_mask:0xf
	v_mov_b32_dpp v67, v84 row_shr:2 row_mask:0xf bank_mask:0xf
	s_and_saveexec_b64 s[0:1], s[6:7]
; %bb.64:                               ;   in Loop: Header=BB27_57 Depth=2
	v_fmac_f32_e32 v85, v84, v76
	v_mul_f32_e32 v84, v84, v67
	v_mov_b32_e32 v82, v84
	v_mov_b32_e32 v64, v85
; %bb.65:                               ;   in Loop: Header=BB27_57 Depth=2
	s_or_b64 exec, exec, s[0:1]
	v_mov_b32_dpp v67, v84 row_shr:4 row_mask:0xf bank_mask:0xf
	v_mov_b32_dpp v76, v85 row_shr:4 row_mask:0xf bank_mask:0xf
	s_and_saveexec_b64 s[0:1], s[10:11]
; %bb.66:                               ;   in Loop: Header=BB27_57 Depth=2
	v_fmac_f32_e32 v85, v84, v76
	v_mul_f32_e32 v84, v84, v67
	v_mov_b32_e32 v82, v84
	v_mov_b32_e32 v64, v85
; %bb.67:                               ;   in Loop: Header=BB27_57 Depth=2
	s_or_b64 exec, exec, s[0:1]
	;; [unrolled: 10-line block ×3, first 2 shown]
	v_mov_b32_dpp v67, v84 row_bcast:15 row_mask:0xf bank_mask:0xf
	v_mov_b32_dpp v76, v85 row_bcast:15 row_mask:0xf bank_mask:0xf
	s_and_saveexec_b64 s[0:1], s[92:93]
; %bb.70:                               ;   in Loop: Header=BB27_57 Depth=2
	v_fmac_f32_e32 v85, v84, v76
	v_mul_f32_e32 v84, v84, v67
	v_mov_b32_e32 v82, v84
	v_mov_b32_e32 v64, v85
; %bb.71:                               ;   in Loop: Header=BB27_57 Depth=2
	s_or_b64 exec, exec, s[0:1]
	v_mov_b32_dpp v76, v84 row_bcast:31 row_mask:0xf bank_mask:0xf
	v_mov_b32_dpp v67, v85 row_bcast:31 row_mask:0xf bank_mask:0xf
	s_and_saveexec_b64 s[0:1], s[70:71]
; %bb.72:                               ;   in Loop: Header=BB27_57 Depth=2
	v_fmac_f32_e32 v85, v84, v67
	v_mul_f32_e32 v82, v84, v76
	v_mov_b32_e32 v83, v85
	v_mov_b32_e32 v64, v85
	v_mov_b64_e32 v[84:85], v[82:83]
; %bb.73:                               ;   in Loop: Header=BB27_57 Depth=2
	s_or_b64 exec, exec, s[0:1]
	s_and_saveexec_b64 s[0:1], s[16:17]
	s_cbranch_execz .LBB27_75
; %bb.74:                               ;   in Loop: Header=BB27_57 Depth=2
	ds_write_b64 v92, v[84:85] offset:8448
.LBB27_75:                              ;   in Loop: Header=BB27_57 Depth=2
	s_or_b64 exec, exec, s[0:1]
	s_waitcnt lgkmcnt(0)
	s_barrier
	s_and_saveexec_b64 s[0:1], s[18:19]
	s_cbranch_execz .LBB27_77
; %bb.76:                               ;   in Loop: Header=BB27_57 Depth=2
	ds_read_b64 v[84:85], v93 offset:8448
	s_waitcnt lgkmcnt(0)
	s_nop 0
	v_mov_b32_dpp v67, v84 row_shr:1 row_mask:0xf bank_mask:0xf
	v_mov_b32_dpp v76, v85 row_shr:1 row_mask:0xf bank_mask:0xf
	v_fma_f32 v76, v84, v76, v85
	v_mul_f32_e32 v67, v84, v67
	v_cndmask_b32_e64 v84, v67, v84, s[20:21]
	v_cndmask_b32_e64 v85, v76, v85, s[20:21]
	ds_write_b64 v93, v[84:85] offset:8448
.LBB27_77:                              ;   in Loop: Header=BB27_57 Depth=2
	s_or_b64 exec, exec, s[0:1]
	s_waitcnt lgkmcnt(0)
	s_barrier
	s_waitcnt lgkmcnt(0)
                                        ; implicit-def: $vgpr84
	s_and_saveexec_b64 s[0:1], s[24:25]
	s_cbranch_execz .LBB27_79
; %bb.78:                               ;   in Loop: Header=BB27_57 Depth=2
	ds_read_b64 v[84:85], v92 offset:8440
	s_waitcnt lgkmcnt(0)
	v_mul_f32_e32 v67, v82, v84
	v_fmac_f32_e32 v64, v82, v85
	v_mov_b32_e32 v82, v67
.LBB27_79:                              ;   in Loop: Header=BB27_57 Depth=2
	s_or_b64 exec, exec, s[0:1]
	ds_bpermute_b32 v76, v94, v82
	ds_bpermute_b32 v79, v94, v64
	s_and_saveexec_b64 s[0:1], s[22:23]
	s_cbranch_execz .LBB27_83
; %bb.80:                               ;   in Loop: Header=BB27_57 Depth=2
	ds_read_b64 v[82:83], v35 offset:8456
	s_and_saveexec_b64 vcc, s[26:27]
	s_cbranch_execz .LBB27_82
; %bb.81:                               ;   in Loop: Header=BB27_57 Depth=2
	v_mov_b32_e32 v67, v65
	ds_write_b64 v35, v[66:67] offset:8456
.LBB27_82:                              ;   in Loop: Header=BB27_57 Depth=2
	s_or_b64 exec, exec, vcc
	s_waitcnt lgkmcnt(0)
	v_mul_f32_e32 v67, v82, v65
	v_pk_add_f32 v[64:65], v[66:67], v[82:83]
	v_mul_f32_e32 v66, v66, v82
.LBB27_83:                              ;   in Loop: Header=BB27_57 Depth=2
	s_or_b64 exec, exec, s[0:1]
	s_waitcnt lgkmcnt(0)
	s_barrier
	ds_read_b32 v64, v35 offset:8460
	s_and_saveexec_b64 s[0:1], s[26:27]
	s_cbranch_execz .LBB27_56
; %bb.84:                               ;   in Loop: Header=BB27_57 Depth=2
	v_mov_b32_e32 v67, v65
	v_mov_b32_e32 v82, s81
	s_andn2_b64 vcc, exec, s[98:99]
	ds_write_b64 v82, v[66:67]
	s_cbranch_vccnz .LBB27_56
; %bb.85:                               ;   in Loop: Header=BB27_57 Depth=2
	v_bfe_u32 v66, v65, 16, 1
	s_mov_b32 s95, s83
	v_add3_u32 v66, v65, v66, s64
	s_lshl_b64 s[76:77], s[94:95], 1
	v_lshrrev_b32_e32 v66, 16, v66
	v_cmp_o_f32_e32 vcc, v65, v65
	s_add_u32 s76, s69, s76
	s_addc_u32 s77, s66, s77
	v_cndmask_b32_e32 v65, v114, v66, vcc
	global_store_short v35, v65, s[76:77]
	s_branch .LBB27_56
.LBB27_86:
	s_endpgm
	.section	.rodata,"a",@progbits
	.p2align	6, 0x0
	.amdhsa_kernel _Z25selective_scan_fwd_kernelI32Selective_Scan_fwd_kernel_traitsILi128ELi16ELi1ELb1ELb1ELb1ELb0ELb0EN3c108BFloat16EfS2_EEv13SSMParamsBase
		.amdhsa_group_segment_fixed_size 0
		.amdhsa_private_segment_fixed_size 0
		.amdhsa_kernarg_size 248
		.amdhsa_user_sgpr_count 2
		.amdhsa_user_sgpr_dispatch_ptr 0
		.amdhsa_user_sgpr_queue_ptr 0
		.amdhsa_user_sgpr_kernarg_segment_ptr 1
		.amdhsa_user_sgpr_dispatch_id 0
		.amdhsa_user_sgpr_kernarg_preload_length 0
		.amdhsa_user_sgpr_kernarg_preload_offset 0
		.amdhsa_user_sgpr_private_segment_size 0
		.amdhsa_uses_dynamic_stack 0
		.amdhsa_enable_private_segment 0
		.amdhsa_system_sgpr_workgroup_id_x 1
		.amdhsa_system_sgpr_workgroup_id_y 1
		.amdhsa_system_sgpr_workgroup_id_z 0
		.amdhsa_system_sgpr_workgroup_info 0
		.amdhsa_system_vgpr_workitem_id 0
		.amdhsa_next_free_vgpr 158
		.amdhsa_next_free_sgpr 100
		.amdhsa_accum_offset 160
		.amdhsa_reserve_vcc 1
		.amdhsa_float_round_mode_32 0
		.amdhsa_float_round_mode_16_64 0
		.amdhsa_float_denorm_mode_32 3
		.amdhsa_float_denorm_mode_16_64 3
		.amdhsa_dx10_clamp 1
		.amdhsa_ieee_mode 1
		.amdhsa_fp16_overflow 0
		.amdhsa_tg_split 0
		.amdhsa_exception_fp_ieee_invalid_op 0
		.amdhsa_exception_fp_denorm_src 0
		.amdhsa_exception_fp_ieee_div_zero 0
		.amdhsa_exception_fp_ieee_overflow 0
		.amdhsa_exception_fp_ieee_underflow 0
		.amdhsa_exception_fp_ieee_inexact 0
		.amdhsa_exception_int_div_zero 0
	.end_amdhsa_kernel
	.section	.text._Z25selective_scan_fwd_kernelI32Selective_Scan_fwd_kernel_traitsILi128ELi16ELi1ELb1ELb1ELb1ELb0ELb0EN3c108BFloat16EfS2_EEv13SSMParamsBase,"axG",@progbits,_Z25selective_scan_fwd_kernelI32Selective_Scan_fwd_kernel_traitsILi128ELi16ELi1ELb1ELb1ELb1ELb0ELb0EN3c108BFloat16EfS2_EEv13SSMParamsBase,comdat
.Lfunc_end27:
	.size	_Z25selective_scan_fwd_kernelI32Selective_Scan_fwd_kernel_traitsILi128ELi16ELi1ELb1ELb1ELb1ELb0ELb0EN3c108BFloat16EfS2_EEv13SSMParamsBase, .Lfunc_end27-_Z25selective_scan_fwd_kernelI32Selective_Scan_fwd_kernel_traitsILi128ELi16ELi1ELb1ELb1ELb1ELb0ELb0EN3c108BFloat16EfS2_EEv13SSMParamsBase
                                        ; -- End function
	.section	.AMDGPU.csdata,"",@progbits
; Kernel info:
; codeLenInByte = 17444
; NumSgprs: 106
; NumVgprs: 158
; NumAgprs: 0
; TotalNumVgprs: 158
; ScratchSize: 0
; MemoryBound: 1
; FloatMode: 240
; IeeeMode: 1
; LDSByteSize: 0 bytes/workgroup (compile time only)
; SGPRBlocks: 13
; VGPRBlocks: 19
; NumSGPRsForWavesPerEU: 106
; NumVGPRsForWavesPerEU: 158
; AccumOffset: 160
; Occupancy: 3
; WaveLimiterHint : 1
; COMPUTE_PGM_RSRC2:SCRATCH_EN: 0
; COMPUTE_PGM_RSRC2:USER_SGPR: 2
; COMPUTE_PGM_RSRC2:TRAP_HANDLER: 0
; COMPUTE_PGM_RSRC2:TGID_X_EN: 1
; COMPUTE_PGM_RSRC2:TGID_Y_EN: 1
; COMPUTE_PGM_RSRC2:TGID_Z_EN: 0
; COMPUTE_PGM_RSRC2:TIDIG_COMP_CNT: 0
; COMPUTE_PGM_RSRC3_GFX90A:ACCUM_OFFSET: 39
; COMPUTE_PGM_RSRC3_GFX90A:TG_SPLIT: 0
	.section	.text._Z25selective_scan_fwd_kernelI32Selective_Scan_fwd_kernel_traitsILi128ELi16ELi1ELb0ELb1ELb1ELb1ELb1EN3c108BFloat16EfS2_EEv13SSMParamsBase,"axG",@progbits,_Z25selective_scan_fwd_kernelI32Selective_Scan_fwd_kernel_traitsILi128ELi16ELi1ELb0ELb1ELb1ELb1ELb1EN3c108BFloat16EfS2_EEv13SSMParamsBase,comdat
	.protected	_Z25selective_scan_fwd_kernelI32Selective_Scan_fwd_kernel_traitsILi128ELi16ELi1ELb0ELb1ELb1ELb1ELb1EN3c108BFloat16EfS2_EEv13SSMParamsBase ; -- Begin function _Z25selective_scan_fwd_kernelI32Selective_Scan_fwd_kernel_traitsILi128ELi16ELi1ELb0ELb1ELb1ELb1ELb1EN3c108BFloat16EfS2_EEv13SSMParamsBase
	.globl	_Z25selective_scan_fwd_kernelI32Selective_Scan_fwd_kernel_traitsILi128ELi16ELi1ELb0ELb1ELb1ELb1ELb1EN3c108BFloat16EfS2_EEv13SSMParamsBase
	.p2align	8
	.type	_Z25selective_scan_fwd_kernelI32Selective_Scan_fwd_kernel_traitsILi128ELi16ELi1ELb0ELb1ELb1ELb1ELb1EN3c108BFloat16EfS2_EEv13SSMParamsBase,@function
_Z25selective_scan_fwd_kernelI32Selective_Scan_fwd_kernel_traitsILi128ELi16ELi1ELb0ELb1ELb1ELb1ELb1EN3c108BFloat16EfS2_EEv13SSMParamsBase: ; @_Z25selective_scan_fwd_kernelI32Selective_Scan_fwd_kernel_traitsILi128ELi16ELi1ELb0ELb1ELb1ELb1ELb1EN3c108BFloat16EfS2_EEv13SSMParamsBase
; %bb.0:
	s_load_dword s15, s[0:1], 0x18
	s_load_dwordx4 s[4:7], s[0:1], 0xe8
	s_load_dwordx8 s[20:27], s[0:1], 0xc8
	s_mov_b32 s8, s3
	s_ashr_i32 s3, s2, 31
	s_lshl_b64 s[12:13], s[2:3], 2
	s_waitcnt lgkmcnt(0)
	s_abs_i32 s14, s15
	v_cvt_f32_u32_e32 v1, s14
	s_add_u32 s10, s26, s12
	s_addc_u32 s11, s27, s13
	s_cmp_eq_u64 s[6:7], 0
	v_rcp_iflag_f32_e32 v1, v1
                                        ; implicit-def: $vgpr166 : SGPR spill to VGPR lane
	s_nop 0
	v_mul_f32_e32 v1, 0x4f7ffffe, v1
	v_cvt_u32_f32_e32 v1, v1
	s_nop 0
	v_readfirstlane_b32 s16, v1
	s_cbranch_scc1 .LBB28_2
; %bb.1:
	s_add_u32 s6, s6, s2
	s_addc_u32 s7, s7, s3
	v_mov_b32_e32 v1, 0
	global_load_ubyte v1, v1, s[6:7]
	s_waitcnt vmcnt(0)
	v_and_b32_e32 v1, 1, v1
	v_cmp_eq_u32_e64 s[6:7], 1, v1
	s_branch .LBB28_3
.LBB28_2:
	s_mov_b64 s[6:7], 0
.LBB28_3:
	s_nop 0
	v_writelane_b32 v166, s6, 0
	s_cmp_eq_u64 s[4:5], 0
	s_nop 0
	v_writelane_b32 v166, s7, 1
	s_load_dwordx2 s[6:7], s[0:1], 0x20
	s_cbranch_scc1 .LBB28_5
; %bb.4:
	s_add_u32 s2, s4, s12
	s_addc_u32 s3, s5, s13
	s_load_dword s2, s[2:3], 0x0
	s_waitcnt lgkmcnt(0)
	s_ashr_i32 s3, s2, 31
.LBB28_5:
	s_waitcnt lgkmcnt(0)
	s_cmp_eq_u64 s[6:7], s[2:3]
	s_cbranch_scc1 .LBB28_302
; %bb.6:
	s_load_dwordx16 s[36:51], s[0:1], 0x88
	s_load_dwordx2 s[4:5], s[10:11], 0x0
	s_mov_b32 s3, 0
	v_writelane_b32 v166, s3, 2
	v_writelane_b32 v166, s3, 3
	s_waitcnt lgkmcnt(0)
	s_cmp_eq_u64 s[42:43], 0
	s_cbranch_scc1 .LBB28_8
; %bb.7:
	s_ashr_i32 s9, s8, 31
	s_lshl_b64 s[6:7], s[8:9], 2
	s_add_u32 s6, s42, s6
	s_addc_u32 s7, s43, s7
	s_load_dword s3, s[6:7], 0x0
	s_waitcnt lgkmcnt(0)
	v_writelane_b32 v166, s3, 3
.LBB28_8:
	s_cmp_eq_u64 s[48:49], 0
	s_cbranch_scc1 .LBB28_10
; %bb.9:
	s_ashr_i32 s9, s8, 31
	s_lshl_b64 s[6:7], s[8:9], 2
	s_add_u32 s6, s48, s6
	s_addc_u32 s7, s49, s7
	s_load_dword s3, s[6:7], 0x0
	s_waitcnt lgkmcnt(0)
	v_writelane_b32 v166, s3, 2
.LBB28_10:
	s_sub_i32 s17, s5, s4
	s_cmp_lt_i32 s17, 1
	s_cbranch_scc1 .LBB28_302
; %bb.11:
	s_sub_i32 s3, 0, s14
	s_mul_i32 s3, s3, s16
	s_mul_hi_u32 s3, s16, s3
	s_add_i32 s16, s16, s3
	s_load_dword s3, s[0:1], 0x84
	s_abs_i32 s5, s8
	s_load_dwordx8 s[52:59], s[0:1], 0x2c
	s_load_dwordx2 s[10:11], s[0:1], 0x7c
	s_load_dwordx4 s[28:31], s[0:1], 0x6c
	s_load_dwordx8 s[60:67], s[0:1], 0x4c
	s_load_dword s13, s[0:1], 0xc
	s_load_dword s9, s[0:1], 0x28
	s_ashr_i32 s0, s8, 31
	s_waitcnt lgkmcnt(0)
	v_writelane_b32 v166, s3, 4
	s_mul_hi_u32 s3, s5, s16
	s_ashr_i32 s1, s15, 31
	s_xor_b32 s0, s0, s1
	s_mul_i32 s1, s3, s14
	s_sub_i32 s1, s5, s1
	s_add_i32 s5, s3, 1
	s_sub_i32 s6, s1, s14
	s_cmp_ge_u32 s1, s14
	s_cselect_b32 s3, s5, s3
	s_cselect_b32 s1, s6, s1
	s_add_i32 s5, s3, 1
	s_cmp_ge_u32 s1, s14
	s_cselect_b32 s1, s5, s3
	s_xor_b32 s1, s1, s0
	s_mul_i32 s6, s4, s62
	s_mov_b32 s7, 0
	s_sub_i32 s3, s1, s0
	s_lshl_b64 s[0:1], s[6:7], 1
	s_add_u32 s5, s44, s0
	s_mul_i32 s6, s63, s8
	s_addc_u32 s12, s45, s1
	s_lshl_b64 s[0:1], s[6:7], 1
	s_add_u32 s14, s5, s0
	s_mul_i32 s6, s4, s64
	s_addc_u32 s15, s12, s1
	;; [unrolled: 4-line block ×3, first 2 shown]
	s_lshl_b64 s[0:1], s[6:7], 1
	s_add_u32 s0, s5, s0
	s_addc_u32 s1, s12, s1
	v_writelane_b32 v166, s0, 5
	s_mul_i32 s6, s52, s8
	v_mbcnt_lo_u32_b32 v1, -1, 0
	v_writelane_b32 v166, s1, 6
	s_lshl_b64 s[0:1], s[6:7], 2
	s_add_u32 s0, s36, s0
	v_writelane_b32 v166, s0, 7
	s_addc_u32 s0, s37, s1
	s_mul_i32 s6, s4, s54
	v_writelane_b32 v166, s0, 8
	s_lshl_b64 s[0:1], s[6:7], 1
	s_add_u32 s5, s38, s0
	s_mul_i32 s6, s3, s57
	s_addc_u32 s12, s39, s1
	s_lshl_b64 s[0:1], s[6:7], 1
	s_add_u32 s0, s5, s0
	s_addc_u32 s1, s12, s1
	v_writelane_b32 v166, s0, 9
	v_lshlrev_b32_e32 v19, 4, v0
	v_mbcnt_hi_u32_b32 v18, -1, v1
	v_writelane_b32 v166, s1, 10
	v_writelane_b32 v166, s52, 11
	v_and_b32_e32 v2, 0x400, v19
	v_or_b32_e32 v74, v18, v2
	v_writelane_b32 v166, s53, 12
	v_writelane_b32 v166, s54, 13
	s_mul_i32 s6, s4, s58
	v_lshrrev_b32_e32 v1, 5, v74
	v_writelane_b32 v166, s55, 14
	s_lshl_b64 s[0:1], s[6:7], 1
	v_and_b32_e32 v1, 34, v1
	v_writelane_b32 v166, s56, 15
	s_add_u32 s5, s40, s0
	s_mul_i32 s6, s3, s61
	v_add_u32_e32 v3, 64, v74
	v_or_b32_e32 v4, 0x80, v74
	v_add_u32_e32 v5, 0xc0, v74
	v_add_u32_e32 v1, v1, v74
	v_writelane_b32 v166, s57, 16
	s_addc_u32 s12, s41, s1
	s_lshl_b64 s[0:1], s[6:7], 1
	v_lshl_add_u32 v90, v1, 1, 0
	v_lshrrev_b32_e32 v1, 5, v3
	v_lshrrev_b32_e32 v3, 5, v4
	;; [unrolled: 1-line block ×3, first 2 shown]
	v_writelane_b32 v166, s58, 17
	s_add_u32 s0, s5, s0
	v_or_b32_e32 v6, 0x100, v74
	v_and_b32_e32 v4, 46, v4
	v_writelane_b32 v166, s59, 18
	s_addc_u32 s1, s12, s1
	v_add_lshl_u32 v8, v4, v74, 1
	v_lshrrev_b32_e32 v4, 5, v6
	v_writelane_b32 v166, s0, 19
	s_mul_i32 s6, s2, s10
	v_add_u32_e32 v7, 0x140, v74
	v_and_b32_e32 v4, 42, v4
	v_writelane_b32 v166, s1, 20
	s_lshl_b64 s[0:1], s[6:7], 1
	v_add_lshl_u32 v9, v4, v74, 1
	v_lshrrev_b32_e32 v4, 5, v7
	s_add_u32 s2, s20, s0
	s_mul_i32 s6, s11, s8
	v_or_b32_e32 v11, 0x180, v74
	v_and_b32_e32 v4, 46, v4
	s_addc_u32 s3, s21, s1
	s_lshl_b64 s[0:1], s[6:7], 1
	v_add_lshl_u32 v10, v4, v74, 1
	v_lshrrev_b32_e32 v4, 5, v11
	s_add_u32 s0, s2, s0
	v_add_u32_e32 v12, 0x1c0, v74
	v_and_b32_e32 v4, 46, v4
	v_writelane_b32 v166, s0, 21
	s_addc_u32 s0, s3, s1
	v_add_lshl_u32 v11, v4, v74, 1
	v_lshrrev_b32_e32 v4, 5, v12
	v_writelane_b32 v166, s0, 22
	s_add_i32 s0, s17, 0x7ff
	v_or_b32_e32 v82, 0x200, v74
	v_and_b32_e32 v4, 62, v4
	s_lshr_b32 s0, s0, 11
	v_add_lshl_u32 v12, v4, v74, 1
	v_lshrrev_b32_e32 v4, 5, v82
	v_add_u32_e32 v83, 0x240, v74
	v_and_b32_e32 v4, 50, v4
	s_bitcmp1_b32 s9, 0
	v_add_lshl_u32 v13, v4, v74, 1
	v_lshrrev_b32_e32 v4, 5, v83
	s_cselect_b64 s[2:3], -1, 0
	v_or_b32_e32 v84, 0x280, v74
	v_and_b32_e32 v4, 54, v4
	v_writelane_b32 v166, s2, 23
	v_add_lshl_u32 v14, v4, v74, 1
	v_lshrrev_b32_e32 v4, 5, v84
	v_writelane_b32 v166, s3, 24
	s_cmp_gt_i32 s13, 0
	v_add_u32_e32 v85, 0x2c0, v74
	v_and_b32_e32 v4, 54, v4
	v_writelane_b32 v166, s13, 25
	s_cselect_b64 s[2:3], -1, 0
	v_add_lshl_u32 v15, v4, v74, 1
	v_lshrrev_b32_e32 v4, 5, v85
	v_writelane_b32 v166, s2, 26
	v_or_b32_e32 v86, 0x300, v74
	v_and_b32_e32 v4, 62, v4
	v_writelane_b32 v166, s3, 27
	v_add_lshl_u32 v26, v4, v74, 1
	v_lshrrev_b32_e32 v4, 5, v86
	v_writelane_b32 v166, s17, 28
	v_add_u32_e32 v87, 0x340, v74
	v_and_b32_e32 v4, 58, v4
	v_writelane_b32 v166, s0, 29
	s_add_i32 s0, s0, -1
	s_mul_i32 s6, s4, s28
	v_add_lshl_u32 v27, v4, v74, 1
	v_lshrrev_b32_e32 v4, 5, v87
	s_add_i32 s9, 0, 0x1080
	s_and_b32 s10, s17, 0x7ff
	v_writelane_b32 v166, s0, 30
	s_lshl_b64 s[0:1], s[6:7], 1
	v_or_b32_e32 v88, 0x380, v74
	v_and_b32_e32 v4, 62, v4
	s_add_u32 s2, s50, s0
	s_mul_i32 s6, s29, s8
	v_add_lshl_u32 v28, v4, v74, 1
	v_lshrrev_b32_e32 v4, 5, v88
	s_addc_u32 s3, s51, s1
	s_lshl_b64 s[0:1], s[6:7], 1
	s_mul_i32 s6, s4, s66
	v_writelane_b32 v166, s60, 31
	v_and_b32_e32 v4, 62, v4
	v_add_lshl_u32 v29, v4, v74, 1
	v_writelane_b32 v166, s61, 32
	v_and_b32_e32 v4, 64, v0
	v_writelane_b32 v166, s62, 33
	v_add_u16_e32 v6, v18, v4
	s_add_u32 s2, s2, s0
	v_writelane_b32 v166, s63, 34
	v_lshrrev_b16_e32 v6, 1, v6
	s_addc_u32 s3, s3, s1
	s_lshl_b64 s[0:1], s[6:7], 1
	v_writelane_b32 v166, s64, 35
	v_add_lshl_u32 v5, v18, v4, 4
	v_and_b32_e32 v6, 0x7e, v6
	s_add_u32 s5, s22, s0
	v_writelane_b32 v166, s65, 36
	s_mul_i32 s6, s67, s8
	v_add_lshl_u32 v30, v6, v5, 1
	s_addc_u32 s11, s23, s1
	v_writelane_b32 v166, s66, 37
	s_lshl_b64 s[0:1], s[6:7], 1
	v_and_b32_e32 v5, 15, v18
	v_writelane_b32 v166, s67, 38
	s_add_u32 s12, s5, s0
	s_mul_i32 s6, s4, s30
	v_cmp_lt_u32_e64 s[16:17], 1, v5
	s_addc_u32 s13, s11, s1
	s_lshl_b64 s[0:1], s[6:7], 1
	v_writelane_b32 v166, s16, 39
	s_add_u32 s4, s24, s0
	s_mul_i32 s6, s31, s8
	v_writelane_b32 v166, s17, 40
	v_cmp_lt_u32_e64 s[16:17], 3, v5
	s_addc_u32 s5, s25, s1
	s_lshl_b64 s[0:1], s[6:7], 1
	v_writelane_b32 v166, s16, 41
	s_add_u32 s4, s4, s0
	s_addc_u32 s5, s5, s1
	v_writelane_b32 v166, s17, 42
	v_cmp_lt_u32_e64 s[16:17], 7, v5
	v_cmp_eq_u32_e64 s[0:1], 0, v5
	v_and_b32_e32 v5, 16, v18
	v_writelane_b32 v166, s16, 43
	v_or_b32_e32 v4, 63, v4
	v_mov_b32_e32 v17, 0
	v_writelane_b32 v166, s17, 44
	v_cmp_ne_u32_e64 s[16:17], 0, v5
	v_lshlrev_b32_e32 v16, 1, v18
	s_cmp_eq_u32 s10, 0
	v_writelane_b32 v166, s16, 45
	v_lshlrev_b32_e32 v6, 1, v2
	v_mov_b32_e32 v7, v17
	v_writelane_b32 v166, s17, 46
	v_cmp_eq_u32_e64 s[16:17], v4, v0
	v_and_b32_e32 v4, 1, v18
	v_add_u32_e32 v89, 0x3c0, v74
	v_writelane_b32 v166, s16, 47
	v_and_b32_e32 v1, 38, v1
	v_add_lshl_u32 v1, v1, v74, 1
	v_writelane_b32 v166, s17, 48
	v_cmp_eq_u32_e64 s[16:17], 0, v4
	v_lshl_add_u64 v[4:5], s[2:3], 0, v[16:17]
	s_cselect_b64 s[2:3], -1, 0
	v_writelane_b32 v166, s16, 49
	v_lshl_add_u64 v[20:21], v[4:5], 0, v[6:7]
	v_lshl_add_u64 v[4:5], s[12:13], 0, v[16:17]
	v_writelane_b32 v166, s17, 50
	v_writelane_b32 v166, s2, 51
	v_lshl_add_u64 v[22:23], v[4:5], 0, v[6:7]
	v_lshl_add_u64 v[4:5], s[4:5], 0, v[16:17]
	v_writelane_b32 v166, s3, 52
	v_cmp_lt_u32_e64 s[2:3], 31, v18
	v_lshl_add_u64 v[24:25], v[4:5], 0, v[6:7]
	v_add_u32_e32 v4, -1, v18
	v_writelane_b32 v166, s2, 53
	v_and_b32_e32 v5, 64, v18
	v_lshrrev_b32_e32 v6, 5, v89
	v_writelane_b32 v166, s3, 54
	v_cmp_gt_u32_e64 s[2:3], 2, v0
	v_add_u32_e32 v91, 0, v1
	v_and_b32_e32 v3, 38, v3
	v_writelane_b32 v166, s2, 55
	v_and_b32_e32 v6, 0x7e, v6
	v_add_u32_e32 v103, s9, v1
	v_writelane_b32 v166, s3, 56
	v_cmp_gt_u32_e64 s[2:3], 64, v0
	v_lshrrev_b32_e32 v1, 3, v0
	v_cmp_lt_i32_e32 vcc, v4, v5
	v_writelane_b32 v166, s2, 57
	v_add_lshl_u32 v3, v3, v74, 1
	v_add_lshl_u32 v6, v6, v74, 1
	v_and_b32_e32 v1, 8, v1
	v_writelane_b32 v166, s3, 58
	v_cmp_lt_u32_e64 s[20:21], 63, v0
	v_cmp_eq_u32_e64 s[22:23], 0, v0
	v_lshl_add_u32 v124, v0, 3, 0
	v_cndmask_b32_e32 v0, v4, v18, vcc
	s_add_i32 s2, 0, 0x2110
	v_add_u32_e32 v92, 0, v3
	v_add_u32_e32 v93, 0, v8
	;; [unrolled: 1-line block ×31, first 2 shown]
	v_lshlrev_b32_e32 v125, 2, v0
	v_cmp_eq_u32_e64 s[24:25], 0, v18
	v_lshlrev_b32_e32 v26, 1, v2
	s_mov_b32 s6, 0x41a00000
	s_mov_b32 s8, 0x3fb8aa3b
	;; [unrolled: 1-line block ×8, first 2 shown]
	v_writelane_b32 v166, s2, 59
	s_mov_b32 s33, 0xc2fc0000
	s_mov_b32 s3, 0
	v_mov_b32_e32 v141, 0x3ecc95a3
	v_mov_b32_e32 v142, 0x7f800000
	;; [unrolled: 1-line block ×6, first 2 shown]
                                        ; implicit-def: $vgpr0
	s_branch .LBB28_13
.LBB28_12:                              ;   in Loop: Header=BB28_13 Depth=1
	s_or_b64 exec, exec, s[2:3]
	v_readlane_b32 s2, v166, 5
	v_readlane_b32 s3, v166, 6
	s_add_u32 s2, s2, 0x1000
	s_addc_u32 s3, s3, 0
	v_writelane_b32 v166, s2, 5
	s_nop 1
	v_writelane_b32 v166, s3, 6
	s_nop 0
	v_readlane_b32 s14, v166, 63
	v_readlane_b32 s15, v167, 0
	s_add_u32 s14, s14, 0x1000
	s_addc_u32 s15, s15, 0
	v_readlane_b32 s2, v166, 9
	v_readlane_b32 s3, v166, 10
	s_add_u32 s2, s2, 0x1000
	s_addc_u32 s3, s3, 0
	v_writelane_b32 v166, s2, 9
	s_nop 1
	v_writelane_b32 v166, s3, 10
	s_nop 0
	v_readlane_b32 s2, v166, 19
	v_readlane_b32 s3, v166, 20
	s_add_u32 s2, s2, 0x1000
	s_addc_u32 s3, s3, 0
	v_writelane_b32 v166, s2, 19
	s_nop 1
	v_writelane_b32 v166, s3, 20
	s_nop 0
	v_readlane_b32 s3, v166, 60
	s_add_i32 s3, s3, 1
	v_readlane_b32 s2, v166, 29
	s_cmp_lg_u32 s3, s2
	s_cbranch_scc0 .LBB28_302
.LBB28_13:                              ; =>This Loop Header: Depth=1
                                        ;     Child Loop BB28_110 Depth 2
	s_lshl_b32 s18, s3, 11
	v_writelane_b32 v166, s3, 60
	s_mov_b32 s4, s18
	v_readlane_b32 s2, v166, 28
	v_writelane_b32 v166, s4, 61
	s_waitcnt lgkmcnt(14)
	v_lshlrev_b32_e32 v16, 1, v18
	s_sub_i32 s88, s2, s18
	v_writelane_b32 v166, s5, 62
                                        ; implicit-def: $vgpr167 : SGPR spill to VGPR lane
	v_writelane_b32 v166, s14, 63
	v_mov_b32_e32 v27, v17
	v_cmp_gt_u32_e64 s[26:27], s88, v74
	v_lshl_add_u64 v[0:1], s[14:15], 0, v[16:17]
	v_writelane_b32 v167, s15, 0
	v_lshl_add_u64 v[0:1], v[0:1], 0, v[26:27]
	s_waitcnt lgkmcnt(0)
	v_mov_b32_e32 v2, 0
	s_barrier
	s_and_saveexec_b64 s[2:3], s[26:27]
	s_cbranch_execz .LBB28_15
; %bb.14:                               ;   in Loop: Header=BB28_13 Depth=1
	global_load_ushort v2, v[0:1], off
.LBB28_15:                              ;   in Loop: Header=BB28_13 Depth=1
	s_or_b64 exec, exec, s[2:3]
	v_add_u32_e32 v3, 64, v74
	v_cmp_gt_u32_e64 s[28:29], s88, v3
	v_mov_b32_e32 v3, 0
	v_mov_b32_e32 v4, 0
	s_and_saveexec_b64 s[2:3], s[28:29]
	s_cbranch_execz .LBB28_17
; %bb.16:                               ;   in Loop: Header=BB28_13 Depth=1
	global_load_ushort v4, v[0:1], off offset:128
.LBB28_17:                              ;   in Loop: Header=BB28_13 Depth=1
	s_or_b64 exec, exec, s[2:3]
	v_or_b32_e32 v5, 0x80, v74
	v_cmp_gt_u32_e64 s[30:31], s88, v5
	s_and_saveexec_b64 s[2:3], s[30:31]
	s_cbranch_execz .LBB28_19
; %bb.18:                               ;   in Loop: Header=BB28_13 Depth=1
	global_load_ushort v3, v[0:1], off offset:256
.LBB28_19:                              ;   in Loop: Header=BB28_13 Depth=1
	s_or_b64 exec, exec, s[2:3]
	v_add_u32_e32 v5, 0xc0, v74
	v_cmp_gt_u32_e64 s[34:35], s88, v5
	v_mov_b32_e32 v5, 0
	v_mov_b32_e32 v6, 0
	s_and_saveexec_b64 s[2:3], s[34:35]
	s_cbranch_execz .LBB28_21
; %bb.20:                               ;   in Loop: Header=BB28_13 Depth=1
	global_load_ushort v6, v[0:1], off offset:384
.LBB28_21:                              ;   in Loop: Header=BB28_13 Depth=1
	s_or_b64 exec, exec, s[2:3]
	v_or_b32_e32 v7, 0x100, v74
	v_cmp_gt_u32_e64 s[36:37], s88, v7
	s_and_saveexec_b64 s[2:3], s[36:37]
	s_cbranch_execz .LBB28_23
; %bb.22:                               ;   in Loop: Header=BB28_13 Depth=1
	global_load_ushort v5, v[0:1], off offset:512
.LBB28_23:                              ;   in Loop: Header=BB28_13 Depth=1
	;; [unrolled: 18-line block ×3, first 2 shown]
	s_or_b64 exec, exec, s[2:3]
	v_add_u32_e32 v9, 0x1c0, v74
	v_cmp_gt_u32_e64 s[42:43], s88, v9
	v_mov_b32_e32 v9, 0
	v_mov_b32_e32 v11, 0
	s_and_saveexec_b64 s[2:3], s[42:43]
	s_cbranch_execz .LBB28_29
; %bb.28:                               ;   in Loop: Header=BB28_13 Depth=1
	global_load_ushort v11, v[0:1], off offset:896
.LBB28_29:                              ;   in Loop: Header=BB28_13 Depth=1
	s_or_b64 exec, exec, s[2:3]
	v_cmp_gt_u32_e64 s[44:45], s88, v82
	s_and_saveexec_b64 s[2:3], s[44:45]
	s_cbranch_execz .LBB28_31
; %bb.30:                               ;   in Loop: Header=BB28_13 Depth=1
	global_load_ushort v9, v[0:1], off offset:1024
.LBB28_31:                              ;   in Loop: Header=BB28_13 Depth=1
	s_or_b64 exec, exec, s[2:3]
	v_cmp_gt_u32_e64 s[46:47], s88, v83
	v_mov_b32_e32 v12, 0
	v_mov_b32_e32 v13, 0
	s_and_saveexec_b64 s[2:3], s[46:47]
	s_cbranch_execz .LBB28_33
; %bb.32:                               ;   in Loop: Header=BB28_13 Depth=1
	global_load_ushort v13, v[0:1], off offset:1152
.LBB28_33:                              ;   in Loop: Header=BB28_13 Depth=1
	s_or_b64 exec, exec, s[2:3]
	v_cmp_gt_u32_e64 s[48:49], s88, v84
	s_and_saveexec_b64 s[2:3], s[48:49]
	s_cbranch_execz .LBB28_35
; %bb.34:                               ;   in Loop: Header=BB28_13 Depth=1
	global_load_ushort v12, v[0:1], off offset:1280
.LBB28_35:                              ;   in Loop: Header=BB28_13 Depth=1
	s_or_b64 exec, exec, s[2:3]
	;; [unrolled: 16-line block ×4, first 2 shown]
	v_cmp_gt_u32_e64 s[58:59], s88, v89
	v_mov_b32_e32 v10, 0
	v_mov_b32_e32 v30, 0
	s_and_saveexec_b64 s[2:3], s[58:59]
	s_cbranch_execz .LBB28_45
; %bb.44:                               ;   in Loop: Header=BB28_13 Depth=1
	global_load_ushort v30, v[0:1], off offset:1920
.LBB28_45:                              ;   in Loop: Header=BB28_13 Depth=1
	s_or_b64 exec, exec, s[2:3]
	s_waitcnt vmcnt(0)
	ds_write_b16 v90, v2
	ds_write_b16 v91, v4 offset:128
	ds_write_b16 v92, v3 offset:256
	;; [unrolled: 1-line block ×15, first 2 shown]
	; wave barrier
	ds_read_b128 v[0:3], v121
	ds_read_b128 v[4:7], v121 offset:16
	v_readlane_b32 s2, v166, 5
	v_readlane_b32 s3, v166, 6
	v_mov_b32_e32 v27, v17
	s_waitcnt lgkmcnt(0)
	v_lshl_add_u64 v[8:9], s[2:3], 0, v[16:17]
	v_lshl_add_u64 v[8:9], v[8:9], 0, v[26:27]
	s_barrier
	s_and_saveexec_b64 s[2:3], s[26:27]
	s_cbranch_execz .LBB28_47
; %bb.46:                               ;   in Loop: Header=BB28_13 Depth=1
	global_load_ushort v10, v[8:9], off
.LBB28_47:                              ;   in Loop: Header=BB28_13 Depth=1
	s_or_b64 exec, exec, s[2:3]
	v_mov_b32_e32 v11, 0
	v_mov_b32_e32 v12, 0
	s_and_saveexec_b64 s[2:3], s[28:29]
	s_cbranch_execz .LBB28_49
; %bb.48:                               ;   in Loop: Header=BB28_13 Depth=1
	global_load_ushort v12, v[8:9], off offset:128
.LBB28_49:                              ;   in Loop: Header=BB28_13 Depth=1
	s_or_b64 exec, exec, s[2:3]
	s_and_saveexec_b64 s[2:3], s[30:31]
	s_cbranch_execz .LBB28_51
; %bb.50:                               ;   in Loop: Header=BB28_13 Depth=1
	global_load_ushort v11, v[8:9], off offset:256
.LBB28_51:                              ;   in Loop: Header=BB28_13 Depth=1
	s_or_b64 exec, exec, s[2:3]
	v_mov_b32_e32 v13, 0
	v_mov_b32_e32 v14, 0
	s_and_saveexec_b64 s[2:3], s[34:35]
	s_cbranch_execz .LBB28_53
; %bb.52:                               ;   in Loop: Header=BB28_13 Depth=1
	global_load_ushort v14, v[8:9], off offset:384
.LBB28_53:                              ;   in Loop: Header=BB28_13 Depth=1
	s_or_b64 exec, exec, s[2:3]
	s_and_saveexec_b64 s[2:3], s[36:37]
	s_cbranch_execz .LBB28_55
; %bb.54:                               ;   in Loop: Header=BB28_13 Depth=1
	global_load_ushort v13, v[8:9], off offset:512
.LBB28_55:                              ;   in Loop: Header=BB28_13 Depth=1
	s_or_b64 exec, exec, s[2:3]
	v_mov_b32_e32 v15, 0
	v_mov_b32_e32 v27, 0
	s_and_saveexec_b64 s[2:3], s[38:39]
	s_cbranch_execz .LBB28_57
; %bb.56:                               ;   in Loop: Header=BB28_13 Depth=1
	global_load_ushort v27, v[8:9], off offset:640
.LBB28_57:                              ;   in Loop: Header=BB28_13 Depth=1
	s_or_b64 exec, exec, s[2:3]
	s_and_saveexec_b64 s[2:3], s[40:41]
	s_cbranch_execz .LBB28_59
; %bb.58:                               ;   in Loop: Header=BB28_13 Depth=1
	global_load_ushort v15, v[8:9], off offset:768
.LBB28_59:                              ;   in Loop: Header=BB28_13 Depth=1
	s_or_b64 exec, exec, s[2:3]
	v_mov_b32_e32 v29, 0
	v_mov_b32_e32 v30, 0
	s_and_saveexec_b64 s[2:3], s[42:43]
	s_cbranch_execz .LBB28_61
; %bb.60:                               ;   in Loop: Header=BB28_13 Depth=1
	global_load_ushort v30, v[8:9], off offset:896
.LBB28_61:                              ;   in Loop: Header=BB28_13 Depth=1
	s_or_b64 exec, exec, s[2:3]
	s_and_saveexec_b64 s[2:3], s[44:45]
	s_cbranch_execz .LBB28_63
; %bb.62:                               ;   in Loop: Header=BB28_13 Depth=1
	global_load_ushort v29, v[8:9], off offset:1024
.LBB28_63:                              ;   in Loop: Header=BB28_13 Depth=1
	s_or_b64 exec, exec, s[2:3]
	v_mov_b32_e32 v31, 0
	v_mov_b32_e32 v32, 0
	s_and_saveexec_b64 s[2:3], s[46:47]
	s_cbranch_execz .LBB28_65
; %bb.64:                               ;   in Loop: Header=BB28_13 Depth=1
	global_load_ushort v32, v[8:9], off offset:1152
.LBB28_65:                              ;   in Loop: Header=BB28_13 Depth=1
	s_or_b64 exec, exec, s[2:3]
	s_and_saveexec_b64 s[2:3], s[48:49]
	s_cbranch_execz .LBB28_67
; %bb.66:                               ;   in Loop: Header=BB28_13 Depth=1
	global_load_ushort v31, v[8:9], off offset:1280
.LBB28_67:                              ;   in Loop: Header=BB28_13 Depth=1
	s_or_b64 exec, exec, s[2:3]
	v_mov_b32_e32 v33, 0
	v_mov_b32_e32 v34, 0
	s_and_saveexec_b64 s[2:3], s[50:51]
	s_cbranch_execz .LBB28_69
; %bb.68:                               ;   in Loop: Header=BB28_13 Depth=1
	global_load_ushort v34, v[8:9], off offset:1408
.LBB28_69:                              ;   in Loop: Header=BB28_13 Depth=1
	s_or_b64 exec, exec, s[2:3]
	s_and_saveexec_b64 s[2:3], s[52:53]
	s_cbranch_execz .LBB28_71
; %bb.70:                               ;   in Loop: Header=BB28_13 Depth=1
	global_load_ushort v33, v[8:9], off offset:1536
.LBB28_71:                              ;   in Loop: Header=BB28_13 Depth=1
	s_or_b64 exec, exec, s[2:3]
	v_mov_b32_e32 v35, 0
	v_mov_b32_e32 v36, 0
	s_and_saveexec_b64 s[2:3], s[54:55]
	s_cbranch_execnz .LBB28_269
; %bb.72:                               ;   in Loop: Header=BB28_13 Depth=1
	s_or_b64 exec, exec, s[2:3]
	s_and_saveexec_b64 s[2:3], s[56:57]
	s_cbranch_execnz .LBB28_270
.LBB28_73:                              ;   in Loop: Header=BB28_13 Depth=1
	s_or_b64 exec, exec, s[2:3]
	v_mov_b32_e32 v37, 0
	s_and_saveexec_b64 s[2:3], s[58:59]
	s_cbranch_execz .LBB28_75
.LBB28_74:                              ;   in Loop: Header=BB28_13 Depth=1
	global_load_ushort v37, v[8:9], off offset:1920
.LBB28_75:                              ;   in Loop: Header=BB28_13 Depth=1
	s_or_b64 exec, exec, s[2:3]
	s_waitcnt vmcnt(0)
	ds_write_b16 v90, v10
	ds_write_b16 v91, v12 offset:128
	ds_write_b16 v92, v11 offset:256
	;; [unrolled: 1-line block ×15, first 2 shown]
	; wave barrier
	ds_read_b128 v[12:15], v121
	ds_read_b128 v[8:11], v121 offset:16
	v_readlane_b32 s2, v166, 2
	s_waitcnt lgkmcnt(1)
	v_lshlrev_b32_e32 v27, 16, v12
	v_add_f32_e32 v146, s2, v27
	v_readlane_b32 s2, v166, 23
	v_cmp_ge_f32_e32 vcc, s6, v146
	v_readlane_b32 s3, v166, 24
	s_and_b64 s[2:3], s[2:3], vcc
	s_and_saveexec_b64 s[4:5], s[2:3]
	s_cbranch_execz .LBB28_77
; %bb.76:                               ;   in Loop: Header=BB28_13 Depth=1
	v_mul_f32_e32 v27, 0x3fb8aa3b, v146
	v_rndne_f32_e32 v29, v27
	v_sub_f32_e32 v30, v27, v29
	v_fma_f32 v27, v146, s8, -v27
	v_fmac_f32_e32 v27, 0x32a5705f, v146
	v_add_f32_e32 v27, v30, v27
	v_cvt_i32_f32_e32 v29, v29
	v_exp_f32_e32 v27, v27
	v_cmp_ngt_f32_e32 vcc, s9, v146
	v_ldexp_f32 v27, v27, v29
	s_nop 0
	v_cndmask_b32_e32 v27, 0, v27, vcc
	v_cmp_nlt_f32_e32 vcc, s10, v146
	s_nop 1
	v_cndmask_b32_e32 v46, v142, v27, vcc
	v_add_f32_e32 v27, 1.0, v46
	v_add_f32_e32 v29, -1.0, v27
	v_sub_f32_e32 v30, v29, v27
	v_add_f32_e32 v30, 1.0, v30
	v_sub_f32_e32 v29, v46, v29
	v_add_f32_e32 v29, v29, v30
	v_frexp_mant_f32_e32 v32, v27
	v_cvt_f64_f32_e32 v[30:31], v27
	v_frexp_exp_i32_f64_e32 v30, v[30:31]
	v_cmp_gt_f32_e32 vcc, s12, v32
	v_cmp_gt_f32_e64 s[60:61], s16, v46
	s_nop 0
	v_subbrev_co_u32_e32 v38, vcc, 0, v30, vcc
	v_sub_u32_e32 v30, 0, v38
	v_ldexp_f32 v27, v27, v30
	v_ldexp_f32 v29, v29, v30
	v_add_f32_e32 v30, -1.0, v27
	v_add_f32_e32 v31, 1.0, v30
	v_sub_f32_e32 v31, v27, v31
	v_add_f32_e32 v32, v29, v31
	v_add_f32_e32 v31, 1.0, v27
	v_add_f32_e32 v33, -1.0, v31
	v_sub_f32_e32 v27, v27, v33
	v_add_f32_e32 v27, v29, v27
	v_add_f32_e32 v29, v31, v27
	v_rcp_f32_e32 v39, v29
	v_sub_f32_e32 v31, v31, v29
	v_add_f32_e32 v27, v27, v31
	v_add_f32_e32 v31, v30, v32
	v_sub_f32_e32 v30, v30, v31
	v_mul_f32_e32 v41, v31, v39
	v_add_f32_e32 v40, v32, v30
	v_mul_f32_e32 v32, v29, v41
	v_fma_f32 v34, v41, v29, -v32
	v_fmac_f32_e32 v34, v41, v27
	v_add_f32_e32 v30, v32, v34
	v_sub_f32_e32 v33, v31, v30
	v_pk_add_f32 v[36:37], v[30:31], v[32:33] neg_lo:[0,1] neg_hi:[0,1]
	v_mov_b32_e32 v35, v30
	v_pk_add_f32 v[30:31], v[36:37], v[34:35] neg_lo:[0,1] neg_hi:[0,1]
	v_cmp_eq_f32_e32 vcc, s11, v46
	v_add_f32_e32 v31, v40, v31
	v_add_f32_e32 v30, v30, v31
	;; [unrolled: 1-line block ×3, first 2 shown]
	v_mul_f32_e32 v40, v39, v31
	v_mul_f32_e32 v32, v29, v40
	v_fma_f32 v34, v40, v29, -v32
	v_fmac_f32_e32 v34, v40, v27
	v_sub_f32_e32 v27, v33, v31
	v_add_f32_e32 v27, v30, v27
	v_add_f32_e32 v30, v32, v34
	v_sub_f32_e32 v33, v31, v30
	v_pk_add_f32 v[36:37], v[30:31], v[32:33] neg_lo:[0,1] neg_hi:[0,1]
	v_mov_b32_e32 v35, v30
	v_pk_add_f32 v[30:31], v[36:37], v[34:35] neg_lo:[0,1] neg_hi:[0,1]
	s_or_b64 vcc, s[60:61], vcc
	v_add_f32_e32 v27, v27, v31
	v_add_f32_e32 v27, v30, v27
	;; [unrolled: 1-line block ×4, first 2 shown]
	v_sub_f32_e32 v29, v31, v41
	v_mul_f32_e32 v27, v39, v27
	v_sub_f32_e32 v29, v40, v29
	v_add_f32_e32 v27, v29, v27
	v_add_f32_e32 v32, v31, v27
	v_cvt_f32_i32_e32 v30, v38
	v_mul_f32_e32 v34, v32, v32
	v_fmamk_f32 v29, v34, 0x3e9b6dac, v141
	v_sub_f32_e32 v31, v32, v31
	v_fmaak_f32 v29, v34, v29, 0x3f2aaada
	v_sub_f32_e32 v27, v27, v31
	v_mul_f32_e32 v31, v32, v34
	v_pk_mul_f32 v[34:35], v[30:31], v[28:29]
	v_ldexp_f32 v33, v32, 1
	v_fma_f32 v32, v30, s13, -v34
	v_fmac_f32_e32 v32, 0xb102e308, v30
	v_pk_add_f32 v[30:31], v[34:35], v[32:33]
	v_ldexp_f32 v27, v27, 1
	v_sub_f32_e32 v29, v31, v33
	v_sub_f32_e32 v29, v35, v29
	v_add_f32_e32 v37, v27, v29
	v_mov_b32_e32 v36, v34
	v_pk_add_f32 v[34:35], v[30:31], v[34:35] neg_lo:[0,1] neg_hi:[0,1]
	v_pk_add_f32 v[38:39], v[30:31], v[36:37]
	v_mov_b32_e32 v33, v30
	v_mov_b32_e32 v35, v39
	v_pk_add_f32 v[40:41], v[32:33], v[34:35] neg_lo:[0,1] neg_hi:[0,1]
	v_pk_add_f32 v[32:33], v[32:33], v[34:35]
	v_mov_b32_e32 v36, v37
	v_mov_b32_e32 v34, v33
	v_pk_add_f32 v[42:43], v[34:35], v[30:31] neg_lo:[0,1] neg_hi:[0,1]
	v_mov_b32_e32 v32, v39
	v_mov_b32_e32 v27, v42
	v_pk_add_f32 v[44:45], v[38:39], v[26:27] neg_lo:[0,1] neg_hi:[0,1]
	v_mov_b32_e32 v38, v31
	v_mov_b32_e32 v39, v42
	v_mov_b32_e32 v41, v33
	v_pk_add_f32 v[32:33], v[32:33], v[38:39] neg_lo:[0,1] neg_hi:[0,1]
	v_mov_b32_e32 v37, v30
	v_pk_add_f32 v[30:31], v[36:37], v[32:33] neg_lo:[0,1] neg_hi:[0,1]
	v_mov_b32_e32 v44, v40
	v_pk_add_f32 v[32:33], v[44:45], v[30:31]
	s_nop 0
	v_mov_b32_e32 v36, v33
	v_pk_add_f32 v[36:37], v[32:33], v[36:37]
	s_nop 0
	v_pk_add_f32 v[34:35], v[34:35], v[36:37]
	v_mov_b32_e32 v31, v36
	v_mov_b32_e32 v33, v34
	v_pk_add_f32 v[38:39], v[32:33], v[40:41] neg_lo:[0,1] neg_hi:[0,1]
	s_nop 0
	v_sub_f32_e32 v27, v32, v38
	v_pk_add_f32 v[30:31], v[30:31], v[38:39] neg_lo:[0,1] neg_hi:[0,1]
	v_sub_f32_e32 v27, v40, v27
	v_add_f32_e32 v27, v30, v27
	v_add_f32_e32 v27, v27, v31
	;; [unrolled: 1-line block ×3, first 2 shown]
	v_cndmask_b32_e32 v146, v27, v46, vcc
.LBB28_77:                              ;   in Loop: Header=BB28_13 Depth=1
	s_or_b64 exec, exec, s[4:5]
	v_and_b32_e32 v12, 0xffff0000, v12
	v_readlane_b32 s2, v166, 2
	s_nop 1
	v_add_f32_e32 v147, s2, v12
	v_readlane_b32 s2, v166, 23
	v_cmp_ge_f32_e32 vcc, s6, v147
	v_readlane_b32 s3, v166, 24
	s_and_b64 s[2:3], s[2:3], vcc
	s_and_saveexec_b64 s[4:5], s[2:3]
	s_cbranch_execz .LBB28_79
; %bb.78:                               ;   in Loop: Header=BB28_13 Depth=1
	v_mul_f32_e32 v12, 0x3fb8aa3b, v147
	v_rndne_f32_e32 v27, v12
	v_sub_f32_e32 v29, v12, v27
	v_fma_f32 v12, v147, s8, -v12
	v_fmac_f32_e32 v12, 0x32a5705f, v147
	v_add_f32_e32 v12, v29, v12
	v_cvt_i32_f32_e32 v27, v27
	v_exp_f32_e32 v12, v12
	v_cmp_ngt_f32_e32 vcc, s9, v147
	v_ldexp_f32 v12, v12, v27
	s_nop 0
	v_cndmask_b32_e32 v12, 0, v12, vcc
	v_cmp_nlt_f32_e32 vcc, s10, v147
	s_nop 1
	v_cndmask_b32_e32 v44, v142, v12, vcc
	v_add_f32_e32 v12, 1.0, v44
	v_add_f32_e32 v27, -1.0, v12
	v_sub_f32_e32 v29, v27, v12
	v_add_f32_e32 v29, 1.0, v29
	v_sub_f32_e32 v27, v44, v27
	v_add_f32_e32 v27, v27, v29
	v_frexp_mant_f32_e32 v29, v12
	v_cvt_f64_f32_e32 v[30:31], v12
	v_frexp_exp_i32_f64_e32 v30, v[30:31]
	v_cmp_gt_f32_e32 vcc, s12, v29
	v_cmp_gt_f32_e64 s[60:61], s16, v44
	s_nop 0
	v_subbrev_co_u32_e32 v38, vcc, 0, v30, vcc
	v_sub_u32_e32 v29, 0, v38
	v_ldexp_f32 v12, v12, v29
	v_ldexp_f32 v27, v27, v29
	v_add_f32_e32 v29, -1.0, v12
	v_add_f32_e32 v31, 1.0, v12
	v_add_f32_e32 v30, 1.0, v29
	v_add_f32_e32 v32, -1.0, v31
	v_sub_f32_e32 v30, v12, v30
	v_sub_f32_e32 v12, v12, v32
	v_add_f32_e32 v12, v27, v12
	v_add_f32_e32 v30, v27, v30
	;; [unrolled: 1-line block ×3, first 2 shown]
	v_rcp_f32_e32 v39, v27
	v_sub_f32_e32 v31, v31, v27
	v_add_f32_e32 v12, v12, v31
	v_add_f32_e32 v31, v29, v30
	v_mul_f32_e32 v40, v31, v39
	v_mul_f32_e32 v32, v27, v40
	v_fma_f32 v34, v40, v27, -v32
	v_sub_f32_e32 v29, v29, v31
	v_fmac_f32_e32 v34, v40, v12
	v_add_f32_e32 v29, v30, v29
	v_add_f32_e32 v30, v32, v34
	v_sub_f32_e32 v33, v31, v30
	v_pk_add_f32 v[36:37], v[30:31], v[32:33] neg_lo:[0,1] neg_hi:[0,1]
	v_mov_b32_e32 v35, v30
	v_pk_add_f32 v[30:31], v[36:37], v[34:35] neg_lo:[0,1] neg_hi:[0,1]
	v_cmp_eq_f32_e32 vcc, s11, v44
	v_add_f32_e32 v29, v29, v31
	v_add_f32_e32 v29, v30, v29
	;; [unrolled: 1-line block ×3, first 2 shown]
	v_mul_f32_e32 v41, v39, v31
	v_mul_f32_e32 v32, v27, v41
	v_fma_f32 v34, v41, v27, -v32
	v_fmac_f32_e32 v34, v41, v12
	v_add_f32_e32 v30, v32, v34
	v_sub_f32_e32 v12, v33, v31
	v_sub_f32_e32 v33, v31, v30
	v_pk_add_f32 v[36:37], v[30:31], v[32:33] neg_lo:[0,1] neg_hi:[0,1]
	v_mov_b32_e32 v35, v30
	v_add_f32_e32 v12, v29, v12
	v_pk_add_f32 v[30:31], v[36:37], v[34:35] neg_lo:[0,1] neg_hi:[0,1]
	v_add_f32_e32 v27, v40, v41
	v_add_f32_e32 v12, v12, v31
	;; [unrolled: 1-line block ×4, first 2 shown]
	v_sub_f32_e32 v29, v27, v40
	v_mul_f32_e32 v12, v39, v12
	v_sub_f32_e32 v29, v41, v29
	v_add_f32_e32 v12, v29, v12
	v_add_f32_e32 v31, v27, v12
	v_cvt_f32_i32_e32 v30, v38
	v_mul_f32_e32 v32, v31, v31
	v_fmamk_f32 v29, v32, 0x3e9b6dac, v141
	v_fmaak_f32 v29, v32, v29, 0x3f2aaada
	v_sub_f32_e32 v27, v31, v27
	v_ldexp_f32 v33, v31, 1
	v_mul_f32_e32 v31, v31, v32
	v_pk_mul_f32 v[34:35], v[30:31], v[28:29]
	v_sub_f32_e32 v12, v12, v27
	v_fma_f32 v32, v30, s13, -v34
	v_fmac_f32_e32 v32, 0xb102e308, v30
	v_pk_add_f32 v[30:31], v[34:35], v[32:33]
	v_ldexp_f32 v12, v12, 1
	v_sub_f32_e32 v27, v31, v33
	v_sub_f32_e32 v27, v35, v27
	v_add_f32_e32 v37, v12, v27
	v_mov_b32_e32 v36, v34
	v_pk_add_f32 v[34:35], v[30:31], v[34:35] neg_lo:[0,1] neg_hi:[0,1]
	v_pk_add_f32 v[38:39], v[30:31], v[36:37]
	v_mov_b32_e32 v33, v30
	v_mov_b32_e32 v35, v39
	v_pk_add_f32 v[40:41], v[32:33], v[34:35] neg_lo:[0,1] neg_hi:[0,1]
	v_pk_add_f32 v[32:33], v[32:33], v[34:35]
	s_or_b64 vcc, s[60:61], vcc
	v_mov_b32_e32 v12, v33
	v_pk_add_f32 v[34:35], v[12:13], v[30:31] neg_lo:[0,1] neg_hi:[0,1]
	v_mov_b32_e32 v32, v39
	v_mov_b32_e32 v27, v34
	v_pk_add_f32 v[42:43], v[38:39], v[26:27] neg_lo:[0,1] neg_hi:[0,1]
	v_mov_b32_e32 v38, v31
	v_mov_b32_e32 v39, v34
	;; [unrolled: 1-line block ×3, first 2 shown]
	v_pk_add_f32 v[32:33], v[32:33], v[38:39] neg_lo:[0,1] neg_hi:[0,1]
	v_mov_b32_e32 v34, v37
	v_mov_b32_e32 v35, v30
	v_pk_add_f32 v[30:31], v[34:35], v[32:33] neg_lo:[0,1] neg_hi:[0,1]
	v_mov_b32_e32 v42, v40
	v_pk_add_f32 v[32:33], v[42:43], v[30:31]
	s_nop 0
	v_mov_b32_e32 v34, v33
	v_pk_add_f32 v[34:35], v[32:33], v[34:35]
	s_nop 0
	v_pk_add_f32 v[36:37], v[12:13], v[34:35]
	v_mov_b32_e32 v31, v34
	v_mov_b32_e32 v33, v36
	v_pk_add_f32 v[38:39], v[32:33], v[40:41] neg_lo:[0,1] neg_hi:[0,1]
	s_nop 0
	v_sub_f32_e32 v12, v32, v38
	v_pk_add_f32 v[30:31], v[30:31], v[38:39] neg_lo:[0,1] neg_hi:[0,1]
	v_sub_f32_e32 v12, v40, v12
	v_add_f32_e32 v12, v30, v12
	v_add_f32_e32 v12, v12, v31
	;; [unrolled: 1-line block ×3, first 2 shown]
	v_cndmask_b32_e32 v147, v12, v44, vcc
.LBB28_79:                              ;   in Loop: Header=BB28_13 Depth=1
	s_or_b64 exec, exec, s[4:5]
	v_lshlrev_b32_e32 v12, 16, v13
	v_readlane_b32 s2, v166, 2
	s_nop 1
	v_add_f32_e32 v148, s2, v12
	v_readlane_b32 s2, v166, 23
	v_cmp_ge_f32_e32 vcc, s6, v148
	v_readlane_b32 s3, v166, 24
	s_and_b64 s[2:3], s[2:3], vcc
	s_and_saveexec_b64 s[4:5], s[2:3]
	s_cbranch_execz .LBB28_81
; %bb.80:                               ;   in Loop: Header=BB28_13 Depth=1
	v_mul_f32_e32 v12, 0x3fb8aa3b, v148
	v_rndne_f32_e32 v27, v12
	v_sub_f32_e32 v29, v12, v27
	v_fma_f32 v12, v148, s8, -v12
	v_fmac_f32_e32 v12, 0x32a5705f, v148
	v_add_f32_e32 v12, v29, v12
	v_cvt_i32_f32_e32 v27, v27
	v_exp_f32_e32 v12, v12
	v_cmp_ngt_f32_e32 vcc, s9, v148
	v_ldexp_f32 v12, v12, v27
	s_nop 0
	v_cndmask_b32_e32 v12, 0, v12, vcc
	v_cmp_nlt_f32_e32 vcc, s10, v148
	s_nop 1
	v_cndmask_b32_e32 v44, v142, v12, vcc
	v_add_f32_e32 v12, 1.0, v44
	v_add_f32_e32 v27, -1.0, v12
	v_sub_f32_e32 v29, v27, v12
	v_add_f32_e32 v29, 1.0, v29
	v_sub_f32_e32 v27, v44, v27
	v_add_f32_e32 v27, v27, v29
	v_frexp_mant_f32_e32 v29, v12
	v_cvt_f64_f32_e32 v[30:31], v12
	v_frexp_exp_i32_f64_e32 v30, v[30:31]
	v_cmp_gt_f32_e32 vcc, s12, v29
	v_cmp_gt_f32_e64 s[60:61], s16, v44
	s_nop 0
	v_subbrev_co_u32_e32 v38, vcc, 0, v30, vcc
	v_sub_u32_e32 v29, 0, v38
	v_ldexp_f32 v12, v12, v29
	v_ldexp_f32 v27, v27, v29
	v_add_f32_e32 v29, -1.0, v12
	v_add_f32_e32 v31, 1.0, v12
	v_add_f32_e32 v30, 1.0, v29
	v_add_f32_e32 v32, -1.0, v31
	v_sub_f32_e32 v30, v12, v30
	v_sub_f32_e32 v12, v12, v32
	v_add_f32_e32 v12, v27, v12
	v_add_f32_e32 v30, v27, v30
	;; [unrolled: 1-line block ×3, first 2 shown]
	v_rcp_f32_e32 v39, v27
	v_sub_f32_e32 v31, v31, v27
	v_add_f32_e32 v12, v12, v31
	v_add_f32_e32 v31, v29, v30
	v_mul_f32_e32 v40, v31, v39
	v_mul_f32_e32 v32, v27, v40
	v_fma_f32 v34, v40, v27, -v32
	v_sub_f32_e32 v29, v29, v31
	v_fmac_f32_e32 v34, v40, v12
	v_add_f32_e32 v29, v30, v29
	v_add_f32_e32 v30, v32, v34
	v_sub_f32_e32 v33, v31, v30
	v_pk_add_f32 v[36:37], v[30:31], v[32:33] neg_lo:[0,1] neg_hi:[0,1]
	v_mov_b32_e32 v35, v30
	v_pk_add_f32 v[30:31], v[36:37], v[34:35] neg_lo:[0,1] neg_hi:[0,1]
	v_cmp_eq_f32_e32 vcc, s11, v44
	v_add_f32_e32 v29, v29, v31
	v_add_f32_e32 v29, v30, v29
	v_add_f32_e32 v31, v33, v29
	v_mul_f32_e32 v41, v39, v31
	v_mul_f32_e32 v32, v27, v41
	v_fma_f32 v34, v41, v27, -v32
	v_fmac_f32_e32 v34, v41, v12
	v_add_f32_e32 v30, v32, v34
	v_sub_f32_e32 v12, v33, v31
	v_sub_f32_e32 v33, v31, v30
	v_pk_add_f32 v[36:37], v[30:31], v[32:33] neg_lo:[0,1] neg_hi:[0,1]
	v_mov_b32_e32 v35, v30
	v_add_f32_e32 v12, v29, v12
	v_pk_add_f32 v[30:31], v[36:37], v[34:35] neg_lo:[0,1] neg_hi:[0,1]
	v_add_f32_e32 v27, v40, v41
	v_add_f32_e32 v12, v12, v31
	;; [unrolled: 1-line block ×4, first 2 shown]
	v_sub_f32_e32 v29, v27, v40
	v_mul_f32_e32 v12, v39, v12
	v_sub_f32_e32 v29, v41, v29
	v_add_f32_e32 v12, v29, v12
	v_add_f32_e32 v31, v27, v12
	v_cvt_f32_i32_e32 v30, v38
	v_mul_f32_e32 v32, v31, v31
	v_fmamk_f32 v29, v32, 0x3e9b6dac, v141
	v_fmaak_f32 v29, v32, v29, 0x3f2aaada
	v_sub_f32_e32 v27, v31, v27
	v_ldexp_f32 v33, v31, 1
	v_mul_f32_e32 v31, v31, v32
	v_pk_mul_f32 v[34:35], v[30:31], v[28:29]
	v_sub_f32_e32 v12, v12, v27
	v_fma_f32 v32, v30, s13, -v34
	v_fmac_f32_e32 v32, 0xb102e308, v30
	v_pk_add_f32 v[30:31], v[34:35], v[32:33]
	v_ldexp_f32 v12, v12, 1
	v_sub_f32_e32 v27, v31, v33
	v_sub_f32_e32 v27, v35, v27
	v_add_f32_e32 v37, v12, v27
	v_mov_b32_e32 v36, v34
	v_pk_add_f32 v[34:35], v[30:31], v[34:35] neg_lo:[0,1] neg_hi:[0,1]
	v_pk_add_f32 v[38:39], v[30:31], v[36:37]
	v_mov_b32_e32 v33, v30
	v_mov_b32_e32 v35, v39
	v_pk_add_f32 v[40:41], v[32:33], v[34:35] neg_lo:[0,1] neg_hi:[0,1]
	v_pk_add_f32 v[32:33], v[32:33], v[34:35]
	s_or_b64 vcc, s[60:61], vcc
	v_mov_b32_e32 v12, v33
	v_pk_add_f32 v[34:35], v[12:13], v[30:31] neg_lo:[0,1] neg_hi:[0,1]
	v_mov_b32_e32 v32, v39
	v_mov_b32_e32 v27, v34
	v_pk_add_f32 v[42:43], v[38:39], v[26:27] neg_lo:[0,1] neg_hi:[0,1]
	v_mov_b32_e32 v38, v31
	v_mov_b32_e32 v39, v34
	;; [unrolled: 1-line block ×3, first 2 shown]
	v_pk_add_f32 v[32:33], v[32:33], v[38:39] neg_lo:[0,1] neg_hi:[0,1]
	v_mov_b32_e32 v34, v37
	v_mov_b32_e32 v35, v30
	v_pk_add_f32 v[30:31], v[34:35], v[32:33] neg_lo:[0,1] neg_hi:[0,1]
	v_mov_b32_e32 v42, v40
	v_pk_add_f32 v[32:33], v[42:43], v[30:31]
	s_nop 0
	v_mov_b32_e32 v34, v33
	v_pk_add_f32 v[34:35], v[32:33], v[34:35]
	s_nop 0
	v_pk_add_f32 v[36:37], v[12:13], v[34:35]
	v_mov_b32_e32 v31, v34
	v_mov_b32_e32 v33, v36
	v_pk_add_f32 v[38:39], v[32:33], v[40:41] neg_lo:[0,1] neg_hi:[0,1]
	s_nop 0
	v_sub_f32_e32 v12, v32, v38
	v_pk_add_f32 v[30:31], v[30:31], v[38:39] neg_lo:[0,1] neg_hi:[0,1]
	v_sub_f32_e32 v12, v40, v12
	v_add_f32_e32 v12, v30, v12
	v_add_f32_e32 v12, v12, v31
	;; [unrolled: 1-line block ×3, first 2 shown]
	v_cndmask_b32_e32 v148, v12, v44, vcc
.LBB28_81:                              ;   in Loop: Header=BB28_13 Depth=1
	s_or_b64 exec, exec, s[4:5]
	v_and_b32_e32 v12, 0xffff0000, v13
	v_readlane_b32 s2, v166, 2
	s_nop 1
	v_add_f32_e32 v149, s2, v12
	v_readlane_b32 s2, v166, 23
	v_cmp_ge_f32_e32 vcc, s6, v149
	v_readlane_b32 s3, v166, 24
	s_and_b64 s[2:3], s[2:3], vcc
	s_and_saveexec_b64 s[4:5], s[2:3]
	s_cbranch_execz .LBB28_83
; %bb.82:                               ;   in Loop: Header=BB28_13 Depth=1
	v_mul_f32_e32 v12, 0x3fb8aa3b, v149
	v_rndne_f32_e32 v13, v12
	v_sub_f32_e32 v27, v12, v13
	v_fma_f32 v12, v149, s8, -v12
	v_fmac_f32_e32 v12, 0x32a5705f, v149
	v_add_f32_e32 v12, v27, v12
	v_cvt_i32_f32_e32 v13, v13
	v_exp_f32_e32 v12, v12
	v_cmp_ngt_f32_e32 vcc, s9, v149
	v_ldexp_f32 v12, v12, v13
	s_nop 0
	v_cndmask_b32_e32 v12, 0, v12, vcc
	v_cmp_nlt_f32_e32 vcc, s10, v149
	s_nop 1
	v_cndmask_b32_e32 v44, v142, v12, vcc
	v_add_f32_e32 v27, 1.0, v44
	v_add_f32_e32 v12, -1.0, v27
	v_sub_f32_e32 v13, v12, v27
	v_add_f32_e32 v13, 1.0, v13
	v_sub_f32_e32 v12, v44, v12
	v_add_f32_e32 v29, v12, v13
	v_frexp_mant_f32_e32 v30, v27
	v_cvt_f64_f32_e32 v[12:13], v27
	v_frexp_exp_i32_f64_e32 v12, v[12:13]
	v_cmp_gt_f32_e32 vcc, s12, v30
	v_cmp_gt_f32_e64 s[60:61], s16, v44
	s_nop 0
	v_subbrev_co_u32_e32 v36, vcc, 0, v12, vcc
	v_sub_u32_e32 v12, 0, v36
	v_ldexp_f32 v13, v27, v12
	v_add_f32_e32 v27, -1.0, v13
	v_add_f32_e32 v30, 1.0, v13
	v_ldexp_f32 v12, v29, v12
	v_add_f32_e32 v29, 1.0, v27
	v_add_f32_e32 v31, -1.0, v30
	v_sub_f32_e32 v29, v13, v29
	v_sub_f32_e32 v13, v13, v31
	v_add_f32_e32 v29, v12, v29
	v_add_f32_e32 v12, v12, v13
	;; [unrolled: 1-line block ×3, first 2 shown]
	v_rcp_f32_e32 v39, v37
	v_sub_f32_e32 v13, v30, v37
	v_add_f32_e32 v38, v12, v13
	v_add_f32_e32 v13, v27, v29
	v_sub_f32_e32 v12, v27, v13
	v_add_f32_e32 v27, v29, v12
	v_mul_f32_e32 v29, v13, v39
	v_mul_f32_e32 v30, v37, v29
	v_fma_f32 v32, v29, v37, -v30
	v_fmac_f32_e32 v32, v29, v38
	v_add_f32_e32 v12, v30, v32
	v_sub_f32_e32 v31, v13, v12
	v_pk_add_f32 v[34:35], v[12:13], v[30:31] neg_lo:[0,1] neg_hi:[0,1]
	v_mov_b32_e32 v33, v12
	v_pk_add_f32 v[12:13], v[34:35], v[32:33] neg_lo:[0,1] neg_hi:[0,1]
	v_cmp_eq_f32_e32 vcc, s11, v44
	v_add_f32_e32 v13, v27, v13
	v_add_f32_e32 v12, v12, v13
	;; [unrolled: 1-line block ×3, first 2 shown]
	v_mul_f32_e32 v27, v39, v13
	v_mul_f32_e32 v30, v37, v27
	v_fma_f32 v32, v27, v37, -v30
	v_fmac_f32_e32 v32, v27, v38
	v_sub_f32_e32 v31, v31, v13
	v_add_f32_e32 v37, v12, v31
	v_add_f32_e32 v12, v30, v32
	v_sub_f32_e32 v31, v13, v12
	v_pk_add_f32 v[34:35], v[12:13], v[30:31] neg_lo:[0,1] neg_hi:[0,1]
	v_mov_b32_e32 v33, v12
	v_pk_add_f32 v[12:13], v[34:35], v[32:33] neg_lo:[0,1] neg_hi:[0,1]
	s_or_b64 vcc, s[60:61], vcc
	v_add_f32_e32 v13, v37, v13
	v_add_f32_e32 v12, v12, v13
	;; [unrolled: 1-line block ×4, first 2 shown]
	v_sub_f32_e32 v29, v13, v29
	v_mul_f32_e32 v12, v39, v12
	v_sub_f32_e32 v27, v27, v29
	v_add_f32_e32 v27, v27, v12
	v_add_f32_e32 v30, v13, v27
	v_mul_f32_e32 v32, v30, v30
	v_fmamk_f32 v12, v32, 0x3e9b6dac, v141
	v_fmaak_f32 v29, v32, v12, 0x3f2aaada
	v_cvt_f32_i32_e32 v12, v36
	v_sub_f32_e32 v13, v30, v13
	v_sub_f32_e32 v13, v27, v13
	v_ldexp_f32 v27, v13, 1
	v_mul_f32_e32 v13, v30, v32
	v_pk_mul_f32 v[32:33], v[12:13], v[28:29]
	v_ldexp_f32 v31, v30, 1
	v_fma_f32 v30, v12, s13, -v32
	v_fmac_f32_e32 v30, 0xb102e308, v12
	v_pk_add_f32 v[12:13], v[32:33], v[30:31]
	v_mov_b32_e32 v34, v32
	v_sub_f32_e32 v29, v13, v31
	v_sub_f32_e32 v29, v33, v29
	v_add_f32_e32 v35, v27, v29
	v_pk_add_f32 v[32:33], v[12:13], v[32:33] neg_lo:[0,1] neg_hi:[0,1]
	v_pk_add_f32 v[36:37], v[12:13], v[34:35]
	v_mov_b32_e32 v31, v12
	v_mov_b32_e32 v33, v37
	v_pk_add_f32 v[38:39], v[30:31], v[32:33] neg_lo:[0,1] neg_hi:[0,1]
	v_pk_add_f32 v[30:31], v[30:31], v[32:33]
	v_mov_b32_e32 v34, v35
	v_mov_b32_e32 v32, v31
	v_pk_add_f32 v[40:41], v[32:33], v[12:13] neg_lo:[0,1] neg_hi:[0,1]
	v_mov_b32_e32 v30, v37
	v_mov_b32_e32 v27, v40
	v_pk_add_f32 v[42:43], v[36:37], v[26:27] neg_lo:[0,1] neg_hi:[0,1]
	v_mov_b32_e32 v36, v13
	v_mov_b32_e32 v37, v40
	;; [unrolled: 1-line block ×3, first 2 shown]
	v_pk_add_f32 v[30:31], v[30:31], v[36:37] neg_lo:[0,1] neg_hi:[0,1]
	v_mov_b32_e32 v35, v12
	v_pk_add_f32 v[12:13], v[34:35], v[30:31] neg_lo:[0,1] neg_hi:[0,1]
	v_mov_b32_e32 v42, v38
	v_pk_add_f32 v[30:31], v[42:43], v[12:13]
	s_nop 0
	v_mov_b32_e32 v34, v31
	v_pk_add_f32 v[34:35], v[30:31], v[34:35]
	s_nop 0
	v_pk_add_f32 v[32:33], v[32:33], v[34:35]
	v_mov_b32_e32 v13, v34
	v_mov_b32_e32 v31, v32
	v_pk_add_f32 v[36:37], v[30:31], v[38:39] neg_lo:[0,1] neg_hi:[0,1]
	s_nop 0
	v_sub_f32_e32 v27, v30, v36
	v_pk_add_f32 v[12:13], v[12:13], v[36:37] neg_lo:[0,1] neg_hi:[0,1]
	v_sub_f32_e32 v27, v38, v27
	v_add_f32_e32 v12, v12, v27
	v_add_f32_e32 v12, v12, v13
	;; [unrolled: 1-line block ×3, first 2 shown]
	v_cndmask_b32_e32 v149, v12, v44, vcc
.LBB28_83:                              ;   in Loop: Header=BB28_13 Depth=1
	s_or_b64 exec, exec, s[4:5]
	v_lshlrev_b32_e32 v12, 16, v14
	v_readlane_b32 s2, v166, 2
	s_nop 1
	v_add_f32_e32 v150, s2, v12
	v_readlane_b32 s2, v166, 23
	v_cmp_ge_f32_e32 vcc, s6, v150
	v_readlane_b32 s3, v166, 24
	s_and_b64 s[2:3], s[2:3], vcc
	s_and_saveexec_b64 s[4:5], s[2:3]
	s_cbranch_execz .LBB28_85
; %bb.84:                               ;   in Loop: Header=BB28_13 Depth=1
	v_mul_f32_e32 v12, 0x3fb8aa3b, v150
	v_rndne_f32_e32 v13, v12
	v_sub_f32_e32 v27, v12, v13
	v_fma_f32 v12, v150, s8, -v12
	v_fmac_f32_e32 v12, 0x32a5705f, v150
	v_add_f32_e32 v12, v27, v12
	v_cvt_i32_f32_e32 v13, v13
	v_exp_f32_e32 v12, v12
	v_cmp_ngt_f32_e32 vcc, s9, v150
	v_ldexp_f32 v12, v12, v13
	s_nop 0
	v_cndmask_b32_e32 v12, 0, v12, vcc
	v_cmp_nlt_f32_e32 vcc, s10, v150
	s_nop 1
	v_cndmask_b32_e32 v44, v142, v12, vcc
	v_add_f32_e32 v27, 1.0, v44
	v_add_f32_e32 v12, -1.0, v27
	v_sub_f32_e32 v13, v12, v27
	v_add_f32_e32 v13, 1.0, v13
	v_sub_f32_e32 v12, v44, v12
	v_add_f32_e32 v29, v12, v13
	v_frexp_mant_f32_e32 v30, v27
	v_cvt_f64_f32_e32 v[12:13], v27
	v_frexp_exp_i32_f64_e32 v12, v[12:13]
	v_cmp_gt_f32_e32 vcc, s12, v30
	v_cmp_gt_f32_e64 s[60:61], s16, v44
	s_nop 0
	v_subbrev_co_u32_e32 v36, vcc, 0, v12, vcc
	v_sub_u32_e32 v12, 0, v36
	v_ldexp_f32 v13, v27, v12
	v_add_f32_e32 v27, -1.0, v13
	v_add_f32_e32 v30, 1.0, v13
	v_ldexp_f32 v12, v29, v12
	v_add_f32_e32 v29, 1.0, v27
	v_add_f32_e32 v31, -1.0, v30
	v_sub_f32_e32 v29, v13, v29
	v_sub_f32_e32 v13, v13, v31
	v_add_f32_e32 v29, v12, v29
	v_add_f32_e32 v12, v12, v13
	;; [unrolled: 1-line block ×3, first 2 shown]
	v_rcp_f32_e32 v39, v37
	v_sub_f32_e32 v13, v30, v37
	v_add_f32_e32 v38, v12, v13
	v_add_f32_e32 v13, v27, v29
	v_sub_f32_e32 v12, v27, v13
	v_add_f32_e32 v27, v29, v12
	v_mul_f32_e32 v29, v13, v39
	v_mul_f32_e32 v30, v37, v29
	v_fma_f32 v32, v29, v37, -v30
	v_fmac_f32_e32 v32, v29, v38
	v_add_f32_e32 v12, v30, v32
	v_sub_f32_e32 v31, v13, v12
	v_pk_add_f32 v[34:35], v[12:13], v[30:31] neg_lo:[0,1] neg_hi:[0,1]
	v_mov_b32_e32 v33, v12
	v_pk_add_f32 v[12:13], v[34:35], v[32:33] neg_lo:[0,1] neg_hi:[0,1]
	v_cmp_eq_f32_e32 vcc, s11, v44
	v_add_f32_e32 v13, v27, v13
	v_add_f32_e32 v12, v12, v13
	;; [unrolled: 1-line block ×3, first 2 shown]
	v_mul_f32_e32 v27, v39, v13
	v_mul_f32_e32 v30, v37, v27
	v_fma_f32 v32, v27, v37, -v30
	v_fmac_f32_e32 v32, v27, v38
	v_sub_f32_e32 v31, v31, v13
	v_add_f32_e32 v37, v12, v31
	v_add_f32_e32 v12, v30, v32
	v_sub_f32_e32 v31, v13, v12
	v_pk_add_f32 v[34:35], v[12:13], v[30:31] neg_lo:[0,1] neg_hi:[0,1]
	v_mov_b32_e32 v33, v12
	v_pk_add_f32 v[12:13], v[34:35], v[32:33] neg_lo:[0,1] neg_hi:[0,1]
	s_or_b64 vcc, s[60:61], vcc
	v_add_f32_e32 v13, v37, v13
	v_add_f32_e32 v12, v12, v13
	;; [unrolled: 1-line block ×4, first 2 shown]
	v_sub_f32_e32 v29, v13, v29
	v_mul_f32_e32 v12, v39, v12
	v_sub_f32_e32 v27, v27, v29
	v_add_f32_e32 v27, v27, v12
	v_add_f32_e32 v30, v13, v27
	v_mul_f32_e32 v32, v30, v30
	v_fmamk_f32 v12, v32, 0x3e9b6dac, v141
	v_fmaak_f32 v29, v32, v12, 0x3f2aaada
	v_cvt_f32_i32_e32 v12, v36
	v_sub_f32_e32 v13, v30, v13
	v_sub_f32_e32 v13, v27, v13
	v_ldexp_f32 v27, v13, 1
	v_mul_f32_e32 v13, v30, v32
	v_pk_mul_f32 v[32:33], v[12:13], v[28:29]
	v_ldexp_f32 v31, v30, 1
	v_fma_f32 v30, v12, s13, -v32
	v_fmac_f32_e32 v30, 0xb102e308, v12
	v_pk_add_f32 v[12:13], v[32:33], v[30:31]
	v_mov_b32_e32 v34, v32
	v_sub_f32_e32 v29, v13, v31
	v_sub_f32_e32 v29, v33, v29
	v_add_f32_e32 v35, v27, v29
	v_pk_add_f32 v[32:33], v[12:13], v[32:33] neg_lo:[0,1] neg_hi:[0,1]
	v_pk_add_f32 v[36:37], v[12:13], v[34:35]
	v_mov_b32_e32 v31, v12
	v_mov_b32_e32 v33, v37
	v_pk_add_f32 v[38:39], v[30:31], v[32:33] neg_lo:[0,1] neg_hi:[0,1]
	v_pk_add_f32 v[30:31], v[30:31], v[32:33]
	v_mov_b32_e32 v34, v35
	v_mov_b32_e32 v32, v31
	v_pk_add_f32 v[40:41], v[32:33], v[12:13] neg_lo:[0,1] neg_hi:[0,1]
	v_mov_b32_e32 v30, v37
	v_mov_b32_e32 v27, v40
	v_pk_add_f32 v[42:43], v[36:37], v[26:27] neg_lo:[0,1] neg_hi:[0,1]
	v_mov_b32_e32 v36, v13
	v_mov_b32_e32 v37, v40
	;; [unrolled: 1-line block ×3, first 2 shown]
	v_pk_add_f32 v[30:31], v[30:31], v[36:37] neg_lo:[0,1] neg_hi:[0,1]
	v_mov_b32_e32 v35, v12
	v_pk_add_f32 v[12:13], v[34:35], v[30:31] neg_lo:[0,1] neg_hi:[0,1]
	v_mov_b32_e32 v42, v38
	v_pk_add_f32 v[30:31], v[42:43], v[12:13]
	s_nop 0
	v_mov_b32_e32 v34, v31
	v_pk_add_f32 v[34:35], v[30:31], v[34:35]
	s_nop 0
	v_pk_add_f32 v[32:33], v[32:33], v[34:35]
	v_mov_b32_e32 v13, v34
	v_mov_b32_e32 v31, v32
	v_pk_add_f32 v[36:37], v[30:31], v[38:39] neg_lo:[0,1] neg_hi:[0,1]
	s_nop 0
	v_sub_f32_e32 v27, v30, v36
	v_pk_add_f32 v[12:13], v[12:13], v[36:37] neg_lo:[0,1] neg_hi:[0,1]
	v_sub_f32_e32 v27, v38, v27
	v_add_f32_e32 v12, v12, v27
	v_add_f32_e32 v12, v12, v13
	;; [unrolled: 1-line block ×3, first 2 shown]
	v_cndmask_b32_e32 v150, v12, v44, vcc
.LBB28_85:                              ;   in Loop: Header=BB28_13 Depth=1
	s_or_b64 exec, exec, s[4:5]
	v_and_b32_e32 v12, 0xffff0000, v14
	v_readlane_b32 s2, v166, 2
	s_nop 1
	v_add_f32_e32 v151, s2, v12
	v_readlane_b32 s2, v166, 23
	v_cmp_ge_f32_e32 vcc, s6, v151
	v_readlane_b32 s3, v166, 24
	s_and_b64 s[2:3], s[2:3], vcc
	s_and_saveexec_b64 s[4:5], s[2:3]
	s_cbranch_execz .LBB28_87
; %bb.86:                               ;   in Loop: Header=BB28_13 Depth=1
	v_mul_f32_e32 v12, 0x3fb8aa3b, v151
	v_rndne_f32_e32 v13, v12
	v_sub_f32_e32 v14, v12, v13
	v_fma_f32 v12, v151, s8, -v12
	v_fmac_f32_e32 v12, 0x32a5705f, v151
	v_add_f32_e32 v12, v14, v12
	v_cvt_i32_f32_e32 v13, v13
	v_exp_f32_e32 v12, v12
	v_cmp_ngt_f32_e32 vcc, s9, v151
	v_ldexp_f32 v12, v12, v13
	s_nop 0
	v_cndmask_b32_e32 v12, 0, v12, vcc
	v_cmp_nlt_f32_e32 vcc, s10, v151
	s_nop 1
	v_cndmask_b32_e32 v42, v142, v12, vcc
	v_add_f32_e32 v14, 1.0, v42
	v_add_f32_e32 v12, -1.0, v14
	v_sub_f32_e32 v13, v12, v14
	v_add_f32_e32 v13, 1.0, v13
	v_sub_f32_e32 v12, v42, v12
	v_add_f32_e32 v27, v12, v13
	v_frexp_mant_f32_e32 v29, v14
	v_cvt_f64_f32_e32 v[12:13], v14
	v_frexp_exp_i32_f64_e32 v12, v[12:13]
	v_cmp_gt_f32_e32 vcc, s12, v29
	v_cmp_gt_f32_e64 s[60:61], s16, v42
	s_nop 0
	v_subbrev_co_u32_e32 v36, vcc, 0, v12, vcc
	v_sub_u32_e32 v12, 0, v36
	v_ldexp_f32 v13, v14, v12
	v_add_f32_e32 v14, -1.0, v13
	v_add_f32_e32 v29, 1.0, v13
	v_ldexp_f32 v12, v27, v12
	v_add_f32_e32 v27, 1.0, v14
	v_add_f32_e32 v30, -1.0, v29
	v_sub_f32_e32 v27, v13, v27
	v_sub_f32_e32 v13, v13, v30
	v_add_f32_e32 v27, v12, v27
	v_add_f32_e32 v12, v12, v13
	v_add_f32_e32 v37, v29, v12
	v_rcp_f32_e32 v38, v37
	v_sub_f32_e32 v13, v29, v37
	v_add_f32_e32 v29, v12, v13
	v_add_f32_e32 v13, v14, v27
	v_sub_f32_e32 v12, v14, v13
	v_add_f32_e32 v14, v27, v12
	v_mul_f32_e32 v27, v13, v38
	v_mul_f32_e32 v30, v37, v27
	v_fma_f32 v32, v27, v37, -v30
	v_fmac_f32_e32 v32, v27, v29
	v_add_f32_e32 v12, v30, v32
	v_sub_f32_e32 v31, v13, v12
	v_pk_add_f32 v[34:35], v[12:13], v[30:31] neg_lo:[0,1] neg_hi:[0,1]
	v_mov_b32_e32 v33, v12
	v_pk_add_f32 v[12:13], v[34:35], v[32:33] neg_lo:[0,1] neg_hi:[0,1]
	v_cmp_eq_f32_e32 vcc, s11, v42
	v_add_f32_e32 v13, v14, v13
	v_add_f32_e32 v12, v12, v13
	;; [unrolled: 1-line block ×3, first 2 shown]
	v_mul_f32_e32 v14, v38, v13
	v_mul_f32_e32 v30, v37, v14
	v_fma_f32 v32, v14, v37, -v30
	v_fmac_f32_e32 v32, v14, v29
	v_sub_f32_e32 v29, v31, v13
	v_add_f32_e32 v29, v12, v29
	v_add_f32_e32 v12, v30, v32
	v_sub_f32_e32 v31, v13, v12
	v_pk_add_f32 v[34:35], v[12:13], v[30:31] neg_lo:[0,1] neg_hi:[0,1]
	v_mov_b32_e32 v33, v12
	v_pk_add_f32 v[12:13], v[34:35], v[32:33] neg_lo:[0,1] neg_hi:[0,1]
	s_or_b64 vcc, s[60:61], vcc
	v_add_f32_e32 v13, v29, v13
	v_add_f32_e32 v12, v12, v13
	;; [unrolled: 1-line block ×4, first 2 shown]
	v_sub_f32_e32 v27, v13, v27
	v_mul_f32_e32 v12, v38, v12
	v_sub_f32_e32 v14, v14, v27
	v_add_f32_e32 v14, v14, v12
	v_add_f32_e32 v27, v13, v14
	v_mul_f32_e32 v30, v27, v27
	v_fmamk_f32 v12, v30, 0x3e9b6dac, v141
	v_fmaak_f32 v29, v30, v12, 0x3f2aaada
	v_cvt_f32_i32_e32 v12, v36
	v_sub_f32_e32 v13, v27, v13
	v_sub_f32_e32 v13, v14, v13
	v_ldexp_f32 v14, v13, 1
	v_mul_f32_e32 v13, v27, v30
	v_pk_mul_f32 v[32:33], v[12:13], v[28:29]
	v_ldexp_f32 v31, v27, 1
	v_fma_f32 v30, v12, s13, -v32
	v_fmac_f32_e32 v30, 0xb102e308, v12
	v_pk_add_f32 v[12:13], v[32:33], v[30:31]
	v_mov_b32_e32 v34, v32
	v_sub_f32_e32 v27, v13, v31
	v_sub_f32_e32 v27, v33, v27
	v_add_f32_e32 v35, v14, v27
	v_pk_add_f32 v[32:33], v[12:13], v[32:33] neg_lo:[0,1] neg_hi:[0,1]
	v_pk_add_f32 v[36:37], v[12:13], v[34:35]
	v_mov_b32_e32 v31, v12
	v_mov_b32_e32 v33, v37
	v_pk_add_f32 v[38:39], v[30:31], v[32:33] neg_lo:[0,1] neg_hi:[0,1]
	v_pk_add_f32 v[30:31], v[30:31], v[32:33]
	s_nop 0
	v_mov_b32_e32 v14, v31
	v_pk_add_f32 v[32:33], v[14:15], v[12:13] neg_lo:[0,1] neg_hi:[0,1]
	v_mov_b32_e32 v30, v37
	v_mov_b32_e32 v27, v32
	v_pk_add_f32 v[40:41], v[36:37], v[26:27] neg_lo:[0,1] neg_hi:[0,1]
	v_mov_b32_e32 v36, v13
	v_mov_b32_e32 v37, v32
	;; [unrolled: 1-line block ×3, first 2 shown]
	v_pk_add_f32 v[30:31], v[30:31], v[36:37] neg_lo:[0,1] neg_hi:[0,1]
	v_mov_b32_e32 v32, v35
	v_mov_b32_e32 v33, v12
	v_pk_add_f32 v[12:13], v[32:33], v[30:31] neg_lo:[0,1] neg_hi:[0,1]
	v_mov_b32_e32 v40, v38
	v_pk_add_f32 v[30:31], v[40:41], v[12:13]
	s_nop 0
	v_mov_b32_e32 v32, v31
	v_pk_add_f32 v[32:33], v[30:31], v[32:33]
	s_nop 0
	v_pk_add_f32 v[34:35], v[14:15], v[32:33]
	v_mov_b32_e32 v13, v32
	v_mov_b32_e32 v31, v34
	v_pk_add_f32 v[36:37], v[30:31], v[38:39] neg_lo:[0,1] neg_hi:[0,1]
	s_nop 0
	v_sub_f32_e32 v14, v30, v36
	v_pk_add_f32 v[12:13], v[12:13], v[36:37] neg_lo:[0,1] neg_hi:[0,1]
	v_sub_f32_e32 v14, v38, v14
	v_add_f32_e32 v12, v12, v14
	v_add_f32_e32 v12, v12, v13
	;; [unrolled: 1-line block ×3, first 2 shown]
	v_cndmask_b32_e32 v151, v12, v42, vcc
.LBB28_87:                              ;   in Loop: Header=BB28_13 Depth=1
	s_or_b64 exec, exec, s[4:5]
	v_lshlrev_b32_e32 v12, 16, v15
	v_readlane_b32 s2, v166, 2
	s_nop 1
	v_add_f32_e32 v152, s2, v12
	v_readlane_b32 s2, v166, 23
	v_cmp_ge_f32_e32 vcc, s6, v152
	v_readlane_b32 s3, v166, 24
	s_and_b64 s[2:3], s[2:3], vcc
	s_and_saveexec_b64 s[4:5], s[2:3]
	s_cbranch_execz .LBB28_89
; %bb.88:                               ;   in Loop: Header=BB28_13 Depth=1
	v_mul_f32_e32 v12, 0x3fb8aa3b, v152
	v_rndne_f32_e32 v13, v12
	v_sub_f32_e32 v14, v12, v13
	v_fma_f32 v12, v152, s8, -v12
	v_fmac_f32_e32 v12, 0x32a5705f, v152
	v_add_f32_e32 v12, v14, v12
	v_cvt_i32_f32_e32 v13, v13
	v_exp_f32_e32 v12, v12
	v_cmp_ngt_f32_e32 vcc, s9, v152
	v_ldexp_f32 v12, v12, v13
	s_nop 0
	v_cndmask_b32_e32 v12, 0, v12, vcc
	v_cmp_nlt_f32_e32 vcc, s10, v152
	s_nop 1
	v_cndmask_b32_e32 v42, v142, v12, vcc
	v_add_f32_e32 v14, 1.0, v42
	v_add_f32_e32 v12, -1.0, v14
	v_sub_f32_e32 v13, v12, v14
	v_add_f32_e32 v13, 1.0, v13
	v_sub_f32_e32 v12, v42, v12
	v_add_f32_e32 v27, v12, v13
	v_frexp_mant_f32_e32 v29, v14
	v_cvt_f64_f32_e32 v[12:13], v14
	v_frexp_exp_i32_f64_e32 v12, v[12:13]
	v_cmp_gt_f32_e32 vcc, s12, v29
	v_cmp_gt_f32_e64 s[60:61], s16, v42
	s_nop 0
	v_subbrev_co_u32_e32 v36, vcc, 0, v12, vcc
	v_sub_u32_e32 v12, 0, v36
	v_ldexp_f32 v13, v14, v12
	v_add_f32_e32 v14, -1.0, v13
	v_add_f32_e32 v29, 1.0, v13
	v_ldexp_f32 v12, v27, v12
	v_add_f32_e32 v27, 1.0, v14
	v_add_f32_e32 v30, -1.0, v29
	v_sub_f32_e32 v27, v13, v27
	v_sub_f32_e32 v13, v13, v30
	v_add_f32_e32 v27, v12, v27
	v_add_f32_e32 v12, v12, v13
	;; [unrolled: 1-line block ×3, first 2 shown]
	v_rcp_f32_e32 v38, v37
	v_sub_f32_e32 v13, v29, v37
	v_add_f32_e32 v29, v12, v13
	v_add_f32_e32 v13, v14, v27
	v_sub_f32_e32 v12, v14, v13
	v_add_f32_e32 v14, v27, v12
	v_mul_f32_e32 v27, v13, v38
	v_mul_f32_e32 v30, v37, v27
	v_fma_f32 v32, v27, v37, -v30
	v_fmac_f32_e32 v32, v27, v29
	v_add_f32_e32 v12, v30, v32
	v_sub_f32_e32 v31, v13, v12
	v_pk_add_f32 v[34:35], v[12:13], v[30:31] neg_lo:[0,1] neg_hi:[0,1]
	v_mov_b32_e32 v33, v12
	v_pk_add_f32 v[12:13], v[34:35], v[32:33] neg_lo:[0,1] neg_hi:[0,1]
	v_cmp_eq_f32_e32 vcc, s11, v42
	v_add_f32_e32 v13, v14, v13
	v_add_f32_e32 v12, v12, v13
	v_add_f32_e32 v13, v31, v12
	v_mul_f32_e32 v14, v38, v13
	v_mul_f32_e32 v30, v37, v14
	v_fma_f32 v32, v14, v37, -v30
	v_fmac_f32_e32 v32, v14, v29
	v_sub_f32_e32 v29, v31, v13
	v_add_f32_e32 v29, v12, v29
	v_add_f32_e32 v12, v30, v32
	v_sub_f32_e32 v31, v13, v12
	v_pk_add_f32 v[34:35], v[12:13], v[30:31] neg_lo:[0,1] neg_hi:[0,1]
	v_mov_b32_e32 v33, v12
	v_pk_add_f32 v[12:13], v[34:35], v[32:33] neg_lo:[0,1] neg_hi:[0,1]
	s_or_b64 vcc, s[60:61], vcc
	v_add_f32_e32 v13, v29, v13
	v_add_f32_e32 v12, v12, v13
	;; [unrolled: 1-line block ×4, first 2 shown]
	v_sub_f32_e32 v27, v13, v27
	v_mul_f32_e32 v12, v38, v12
	v_sub_f32_e32 v14, v14, v27
	v_add_f32_e32 v14, v14, v12
	v_add_f32_e32 v27, v13, v14
	v_mul_f32_e32 v30, v27, v27
	v_fmamk_f32 v12, v30, 0x3e9b6dac, v141
	v_fmaak_f32 v29, v30, v12, 0x3f2aaada
	v_cvt_f32_i32_e32 v12, v36
	v_sub_f32_e32 v13, v27, v13
	v_sub_f32_e32 v13, v14, v13
	v_ldexp_f32 v14, v13, 1
	v_mul_f32_e32 v13, v27, v30
	v_pk_mul_f32 v[32:33], v[12:13], v[28:29]
	v_ldexp_f32 v31, v27, 1
	v_fma_f32 v30, v12, s13, -v32
	v_fmac_f32_e32 v30, 0xb102e308, v12
	v_pk_add_f32 v[12:13], v[32:33], v[30:31]
	v_mov_b32_e32 v34, v32
	v_sub_f32_e32 v27, v13, v31
	v_sub_f32_e32 v27, v33, v27
	v_add_f32_e32 v35, v14, v27
	v_pk_add_f32 v[32:33], v[12:13], v[32:33] neg_lo:[0,1] neg_hi:[0,1]
	v_pk_add_f32 v[36:37], v[12:13], v[34:35]
	v_mov_b32_e32 v31, v12
	v_mov_b32_e32 v33, v37
	v_pk_add_f32 v[38:39], v[30:31], v[32:33] neg_lo:[0,1] neg_hi:[0,1]
	v_pk_add_f32 v[30:31], v[30:31], v[32:33]
	s_nop 0
	v_mov_b32_e32 v14, v31
	v_pk_add_f32 v[32:33], v[14:15], v[12:13] neg_lo:[0,1] neg_hi:[0,1]
	v_mov_b32_e32 v30, v37
	v_mov_b32_e32 v27, v32
	v_pk_add_f32 v[40:41], v[36:37], v[26:27] neg_lo:[0,1] neg_hi:[0,1]
	v_mov_b32_e32 v36, v13
	v_mov_b32_e32 v37, v32
	;; [unrolled: 1-line block ×3, first 2 shown]
	v_pk_add_f32 v[30:31], v[30:31], v[36:37] neg_lo:[0,1] neg_hi:[0,1]
	v_mov_b32_e32 v32, v35
	v_mov_b32_e32 v33, v12
	v_pk_add_f32 v[12:13], v[32:33], v[30:31] neg_lo:[0,1] neg_hi:[0,1]
	v_mov_b32_e32 v40, v38
	v_pk_add_f32 v[30:31], v[40:41], v[12:13]
	s_nop 0
	v_mov_b32_e32 v32, v31
	v_pk_add_f32 v[32:33], v[30:31], v[32:33]
	s_nop 0
	v_pk_add_f32 v[34:35], v[14:15], v[32:33]
	v_mov_b32_e32 v13, v32
	v_mov_b32_e32 v31, v34
	v_pk_add_f32 v[36:37], v[30:31], v[38:39] neg_lo:[0,1] neg_hi:[0,1]
	s_nop 0
	v_sub_f32_e32 v14, v30, v36
	v_pk_add_f32 v[12:13], v[12:13], v[36:37] neg_lo:[0,1] neg_hi:[0,1]
	v_sub_f32_e32 v14, v38, v14
	v_add_f32_e32 v12, v12, v14
	v_add_f32_e32 v12, v12, v13
	;; [unrolled: 1-line block ×3, first 2 shown]
	v_cndmask_b32_e32 v152, v12, v42, vcc
.LBB28_89:                              ;   in Loop: Header=BB28_13 Depth=1
	s_or_b64 exec, exec, s[4:5]
	v_and_b32_e32 v12, 0xffff0000, v15
	v_readlane_b32 s2, v166, 2
	s_nop 1
	v_add_f32_e32 v153, s2, v12
	v_readlane_b32 s2, v166, 23
	v_cmp_ge_f32_e32 vcc, s6, v153
	v_readlane_b32 s3, v166, 24
	s_and_b64 s[2:3], s[2:3], vcc
	s_and_saveexec_b64 s[4:5], s[2:3]
	s_cbranch_execz .LBB28_91
; %bb.90:                               ;   in Loop: Header=BB28_13 Depth=1
	v_mul_f32_e32 v12, 0x3fb8aa3b, v153
	v_rndne_f32_e32 v13, v12
	v_sub_f32_e32 v14, v12, v13
	v_fma_f32 v12, v153, s8, -v12
	v_fmac_f32_e32 v12, 0x32a5705f, v153
	v_add_f32_e32 v12, v14, v12
	v_cvt_i32_f32_e32 v13, v13
	v_exp_f32_e32 v12, v12
	v_cmp_ngt_f32_e32 vcc, s9, v153
	v_ldexp_f32 v12, v12, v13
	s_nop 0
	v_cndmask_b32_e32 v12, 0, v12, vcc
	v_cmp_nlt_f32_e32 vcc, s10, v153
	s_nop 1
	v_cndmask_b32_e32 v42, v142, v12, vcc
	v_add_f32_e32 v14, 1.0, v42
	v_add_f32_e32 v12, -1.0, v14
	v_sub_f32_e32 v13, v12, v14
	v_add_f32_e32 v13, 1.0, v13
	v_sub_f32_e32 v12, v42, v12
	v_add_f32_e32 v15, v12, v13
	v_frexp_mant_f32_e32 v27, v14
	v_cvt_f64_f32_e32 v[12:13], v14
	v_frexp_exp_i32_f64_e32 v12, v[12:13]
	v_cmp_gt_f32_e32 vcc, s12, v27
	v_cmp_gt_f32_e64 s[60:61], s16, v42
	s_nop 0
	v_subbrev_co_u32_e32 v27, vcc, 0, v12, vcc
	v_sub_u32_e32 v12, 0, v27
	v_ldexp_f32 v13, v14, v12
	v_add_f32_e32 v14, -1.0, v13
	v_add_f32_e32 v29, 1.0, v13
	v_ldexp_f32 v12, v15, v12
	v_add_f32_e32 v15, 1.0, v14
	v_add_f32_e32 v30, -1.0, v29
	v_sub_f32_e32 v15, v13, v15
	v_sub_f32_e32 v13, v13, v30
	v_add_f32_e32 v15, v12, v15
	v_add_f32_e32 v12, v12, v13
	;; [unrolled: 1-line block ×3, first 2 shown]
	v_rcp_f32_e32 v35, v34
	v_sub_f32_e32 v13, v29, v34
	v_add_f32_e32 v29, v12, v13
	v_add_f32_e32 v13, v14, v15
	v_mul_f32_e32 v37, v13, v35
	v_sub_f32_e32 v12, v14, v13
	v_mul_f32_e32 v14, v34, v37
	v_fma_f32 v30, v37, v34, -v14
	v_fmac_f32_e32 v30, v37, v29
	v_add_f32_e32 v36, v15, v12
	v_add_f32_e32 v12, v14, v30
	v_sub_f32_e32 v15, v13, v12
	v_pk_add_f32 v[32:33], v[12:13], v[14:15] neg_lo:[0,1] neg_hi:[0,1]
	v_mov_b32_e32 v31, v12
	v_pk_add_f32 v[12:13], v[32:33], v[30:31] neg_lo:[0,1] neg_hi:[0,1]
	v_cmp_eq_f32_e32 vcc, s11, v42
	v_add_f32_e32 v13, v36, v13
	v_add_f32_e32 v12, v12, v13
	;; [unrolled: 1-line block ×3, first 2 shown]
	v_mul_f32_e32 v36, v35, v13
	v_mul_f32_e32 v14, v34, v36
	v_fma_f32 v30, v36, v34, -v14
	v_fmac_f32_e32 v30, v36, v29
	v_sub_f32_e32 v15, v15, v13
	v_add_f32_e32 v29, v12, v15
	v_add_f32_e32 v12, v14, v30
	v_sub_f32_e32 v15, v13, v12
	v_pk_add_f32 v[32:33], v[12:13], v[14:15] neg_lo:[0,1] neg_hi:[0,1]
	v_mov_b32_e32 v31, v12
	v_pk_add_f32 v[12:13], v[32:33], v[30:31] neg_lo:[0,1] neg_hi:[0,1]
	s_or_b64 vcc, s[60:61], vcc
	v_add_f32_e32 v13, v29, v13
	v_add_f32_e32 v12, v12, v13
	;; [unrolled: 1-line block ×4, first 2 shown]
	v_sub_f32_e32 v14, v13, v37
	v_mul_f32_e32 v12, v35, v12
	v_sub_f32_e32 v14, v36, v14
	v_add_f32_e32 v14, v14, v12
	v_add_f32_e32 v30, v13, v14
	v_mul_f32_e32 v31, v30, v30
	v_fmamk_f32 v12, v31, 0x3e9b6dac, v141
	v_fmaak_f32 v29, v31, v12, 0x3f2aaada
	v_cvt_f32_i32_e32 v12, v27
	v_sub_f32_e32 v13, v30, v13
	v_sub_f32_e32 v13, v14, v13
	v_ldexp_f32 v27, v13, 1
	v_mul_f32_e32 v13, v30, v31
	v_ldexp_f32 v15, v30, 1
	v_pk_mul_f32 v[30:31], v[12:13], v[28:29]
	s_nop 0
	v_fma_f32 v14, v12, s13, -v30
	v_fmac_f32_e32 v14, 0xb102e308, v12
	v_pk_add_f32 v[12:13], v[30:31], v[14:15]
	v_mov_b32_e32 v32, v30
	v_sub_f32_e32 v15, v13, v15
	v_sub_f32_e32 v15, v31, v15
	v_add_f32_e32 v33, v27, v15
	v_pk_add_f32 v[30:31], v[12:13], v[30:31] neg_lo:[0,1] neg_hi:[0,1]
	v_pk_add_f32 v[34:35], v[12:13], v[32:33]
	v_mov_b32_e32 v15, v12
	v_mov_b32_e32 v31, v35
	v_pk_add_f32 v[36:37], v[14:15], v[30:31] neg_lo:[0,1] neg_hi:[0,1]
	v_pk_add_f32 v[14:15], v[14:15], v[30:31]
	v_mov_b32_e32 v32, v33
	v_mov_b32_e32 v30, v15
	v_pk_add_f32 v[38:39], v[30:31], v[12:13] neg_lo:[0,1] neg_hi:[0,1]
	v_mov_b32_e32 v14, v35
	v_mov_b32_e32 v27, v38
	v_pk_add_f32 v[40:41], v[34:35], v[26:27] neg_lo:[0,1] neg_hi:[0,1]
	v_mov_b32_e32 v34, v13
	v_mov_b32_e32 v35, v38
	;; [unrolled: 1-line block ×3, first 2 shown]
	v_pk_add_f32 v[14:15], v[14:15], v[34:35] neg_lo:[0,1] neg_hi:[0,1]
	v_mov_b32_e32 v33, v12
	v_pk_add_f32 v[12:13], v[32:33], v[14:15] neg_lo:[0,1] neg_hi:[0,1]
	v_mov_b32_e32 v40, v36
	v_pk_add_f32 v[14:15], v[40:41], v[12:13]
	s_nop 0
	v_mov_b32_e32 v32, v15
	v_pk_add_f32 v[32:33], v[14:15], v[32:33]
	s_nop 0
	v_pk_add_f32 v[30:31], v[30:31], v[32:33]
	v_mov_b32_e32 v13, v32
	v_mov_b32_e32 v15, v30
	v_pk_add_f32 v[34:35], v[14:15], v[36:37] neg_lo:[0,1] neg_hi:[0,1]
	s_nop 0
	v_sub_f32_e32 v14, v14, v34
	v_pk_add_f32 v[12:13], v[12:13], v[34:35] neg_lo:[0,1] neg_hi:[0,1]
	v_sub_f32_e32 v14, v36, v14
	v_add_f32_e32 v12, v12, v14
	v_add_f32_e32 v12, v12, v13
	;; [unrolled: 1-line block ×3, first 2 shown]
	v_cndmask_b32_e32 v153, v12, v42, vcc
.LBB28_91:                              ;   in Loop: Header=BB28_13 Depth=1
	s_or_b64 exec, exec, s[4:5]
	s_waitcnt lgkmcnt(0)
	v_lshlrev_b32_e32 v12, 16, v8
	v_readlane_b32 s2, v166, 2
	s_nop 1
	v_add_f32_e32 v154, s2, v12
	v_readlane_b32 s2, v166, 23
	v_cmp_ge_f32_e32 vcc, s6, v154
	v_readlane_b32 s3, v166, 24
	s_and_b64 s[2:3], s[2:3], vcc
	s_and_saveexec_b64 s[4:5], s[2:3]
	s_cbranch_execz .LBB28_93
; %bb.92:                               ;   in Loop: Header=BB28_13 Depth=1
	v_mul_f32_e32 v12, 0x3fb8aa3b, v154
	v_rndne_f32_e32 v13, v12
	v_sub_f32_e32 v14, v12, v13
	v_fma_f32 v12, v154, s8, -v12
	v_fmac_f32_e32 v12, 0x32a5705f, v154
	v_add_f32_e32 v12, v14, v12
	v_cvt_i32_f32_e32 v13, v13
	v_exp_f32_e32 v12, v12
	v_cmp_ngt_f32_e32 vcc, s9, v154
	v_ldexp_f32 v12, v12, v13
	s_nop 0
	v_cndmask_b32_e32 v12, 0, v12, vcc
	v_cmp_nlt_f32_e32 vcc, s10, v154
	s_nop 1
	v_cndmask_b32_e32 v42, v142, v12, vcc
	v_add_f32_e32 v14, 1.0, v42
	v_add_f32_e32 v12, -1.0, v14
	v_sub_f32_e32 v13, v12, v14
	v_add_f32_e32 v13, 1.0, v13
	v_sub_f32_e32 v12, v42, v12
	v_add_f32_e32 v15, v12, v13
	v_frexp_mant_f32_e32 v27, v14
	v_cvt_f64_f32_e32 v[12:13], v14
	v_frexp_exp_i32_f64_e32 v12, v[12:13]
	v_cmp_gt_f32_e32 vcc, s12, v27
	v_cmp_gt_f32_e64 s[60:61], s16, v42
	s_nop 0
	v_subbrev_co_u32_e32 v27, vcc, 0, v12, vcc
	v_sub_u32_e32 v12, 0, v27
	v_ldexp_f32 v13, v14, v12
	v_add_f32_e32 v14, -1.0, v13
	v_add_f32_e32 v29, 1.0, v13
	v_ldexp_f32 v12, v15, v12
	v_add_f32_e32 v15, 1.0, v14
	v_add_f32_e32 v30, -1.0, v29
	v_sub_f32_e32 v15, v13, v15
	v_sub_f32_e32 v13, v13, v30
	v_add_f32_e32 v15, v12, v15
	v_add_f32_e32 v12, v12, v13
	;; [unrolled: 1-line block ×3, first 2 shown]
	v_rcp_f32_e32 v35, v34
	v_sub_f32_e32 v13, v29, v34
	v_add_f32_e32 v29, v12, v13
	v_add_f32_e32 v13, v14, v15
	v_mul_f32_e32 v37, v13, v35
	v_sub_f32_e32 v12, v14, v13
	v_mul_f32_e32 v14, v34, v37
	v_fma_f32 v30, v37, v34, -v14
	v_fmac_f32_e32 v30, v37, v29
	v_add_f32_e32 v36, v15, v12
	v_add_f32_e32 v12, v14, v30
	v_sub_f32_e32 v15, v13, v12
	v_pk_add_f32 v[32:33], v[12:13], v[14:15] neg_lo:[0,1] neg_hi:[0,1]
	v_mov_b32_e32 v31, v12
	v_pk_add_f32 v[12:13], v[32:33], v[30:31] neg_lo:[0,1] neg_hi:[0,1]
	v_cmp_eq_f32_e32 vcc, s11, v42
	v_add_f32_e32 v13, v36, v13
	v_add_f32_e32 v12, v12, v13
	;; [unrolled: 1-line block ×3, first 2 shown]
	v_mul_f32_e32 v36, v35, v13
	v_mul_f32_e32 v14, v34, v36
	v_fma_f32 v30, v36, v34, -v14
	v_fmac_f32_e32 v30, v36, v29
	v_sub_f32_e32 v15, v15, v13
	v_add_f32_e32 v29, v12, v15
	v_add_f32_e32 v12, v14, v30
	v_sub_f32_e32 v15, v13, v12
	v_pk_add_f32 v[32:33], v[12:13], v[14:15] neg_lo:[0,1] neg_hi:[0,1]
	v_mov_b32_e32 v31, v12
	v_pk_add_f32 v[12:13], v[32:33], v[30:31] neg_lo:[0,1] neg_hi:[0,1]
	s_or_b64 vcc, s[60:61], vcc
	v_add_f32_e32 v13, v29, v13
	v_add_f32_e32 v12, v12, v13
	;; [unrolled: 1-line block ×4, first 2 shown]
	v_sub_f32_e32 v14, v13, v37
	v_mul_f32_e32 v12, v35, v12
	v_sub_f32_e32 v14, v36, v14
	v_add_f32_e32 v14, v14, v12
	v_add_f32_e32 v30, v13, v14
	v_mul_f32_e32 v31, v30, v30
	v_fmamk_f32 v12, v31, 0x3e9b6dac, v141
	v_fmaak_f32 v29, v31, v12, 0x3f2aaada
	v_cvt_f32_i32_e32 v12, v27
	v_sub_f32_e32 v13, v30, v13
	v_sub_f32_e32 v13, v14, v13
	v_ldexp_f32 v27, v13, 1
	v_mul_f32_e32 v13, v30, v31
	v_ldexp_f32 v15, v30, 1
	v_pk_mul_f32 v[30:31], v[12:13], v[28:29]
	s_nop 0
	v_fma_f32 v14, v12, s13, -v30
	v_fmac_f32_e32 v14, 0xb102e308, v12
	v_pk_add_f32 v[12:13], v[30:31], v[14:15]
	v_mov_b32_e32 v32, v30
	v_sub_f32_e32 v15, v13, v15
	v_sub_f32_e32 v15, v31, v15
	v_add_f32_e32 v33, v27, v15
	v_pk_add_f32 v[30:31], v[12:13], v[30:31] neg_lo:[0,1] neg_hi:[0,1]
	v_pk_add_f32 v[34:35], v[12:13], v[32:33]
	v_mov_b32_e32 v15, v12
	v_mov_b32_e32 v31, v35
	v_pk_add_f32 v[36:37], v[14:15], v[30:31] neg_lo:[0,1] neg_hi:[0,1]
	v_pk_add_f32 v[14:15], v[14:15], v[30:31]
	v_mov_b32_e32 v32, v33
	v_mov_b32_e32 v30, v15
	v_pk_add_f32 v[38:39], v[30:31], v[12:13] neg_lo:[0,1] neg_hi:[0,1]
	v_mov_b32_e32 v14, v35
	v_mov_b32_e32 v27, v38
	v_pk_add_f32 v[40:41], v[34:35], v[26:27] neg_lo:[0,1] neg_hi:[0,1]
	v_mov_b32_e32 v34, v13
	v_mov_b32_e32 v35, v38
	;; [unrolled: 1-line block ×3, first 2 shown]
	v_pk_add_f32 v[14:15], v[14:15], v[34:35] neg_lo:[0,1] neg_hi:[0,1]
	v_mov_b32_e32 v33, v12
	v_pk_add_f32 v[12:13], v[32:33], v[14:15] neg_lo:[0,1] neg_hi:[0,1]
	v_mov_b32_e32 v40, v36
	v_pk_add_f32 v[14:15], v[40:41], v[12:13]
	s_nop 0
	v_mov_b32_e32 v32, v15
	v_pk_add_f32 v[32:33], v[14:15], v[32:33]
	s_nop 0
	v_pk_add_f32 v[30:31], v[30:31], v[32:33]
	v_mov_b32_e32 v13, v32
	v_mov_b32_e32 v15, v30
	v_pk_add_f32 v[34:35], v[14:15], v[36:37] neg_lo:[0,1] neg_hi:[0,1]
	s_nop 0
	v_sub_f32_e32 v14, v14, v34
	v_pk_add_f32 v[12:13], v[12:13], v[34:35] neg_lo:[0,1] neg_hi:[0,1]
	v_sub_f32_e32 v14, v36, v14
	v_add_f32_e32 v12, v12, v14
	v_add_f32_e32 v12, v12, v13
	;; [unrolled: 1-line block ×3, first 2 shown]
	v_cndmask_b32_e32 v154, v12, v42, vcc
.LBB28_93:                              ;   in Loop: Header=BB28_13 Depth=1
	s_or_b64 exec, exec, s[4:5]
	v_and_b32_e32 v8, 0xffff0000, v8
	v_readlane_b32 s2, v166, 2
	s_nop 1
	v_add_f32_e32 v155, s2, v8
	v_readlane_b32 s2, v166, 23
	v_cmp_ge_f32_e32 vcc, s6, v155
	v_readlane_b32 s3, v166, 24
	s_and_b64 s[2:3], s[2:3], vcc
	s_and_saveexec_b64 s[4:5], s[2:3]
	s_cbranch_execz .LBB28_95
; %bb.94:                               ;   in Loop: Header=BB28_13 Depth=1
	v_mul_f32_e32 v8, 0x3fb8aa3b, v155
	v_rndne_f32_e32 v12, v8
	v_sub_f32_e32 v13, v8, v12
	v_fma_f32 v8, v155, s8, -v8
	v_fmac_f32_e32 v8, 0x32a5705f, v155
	v_add_f32_e32 v8, v13, v8
	v_cvt_i32_f32_e32 v12, v12
	v_exp_f32_e32 v8, v8
	v_cmp_ngt_f32_e32 vcc, s9, v155
	v_ldexp_f32 v8, v8, v12
	s_nop 0
	v_cndmask_b32_e32 v8, 0, v8, vcc
	v_cmp_nlt_f32_e32 vcc, s10, v155
	s_nop 1
	v_cndmask_b32_e32 v40, v142, v8, vcc
	v_add_f32_e32 v8, 1.0, v40
	v_add_f32_e32 v12, -1.0, v8
	v_sub_f32_e32 v13, v12, v8
	v_add_f32_e32 v13, 1.0, v13
	v_sub_f32_e32 v12, v40, v12
	v_add_f32_e32 v14, v12, v13
	v_frexp_mant_f32_e32 v15, v8
	v_cvt_f64_f32_e32 v[12:13], v8
	v_frexp_exp_i32_f64_e32 v12, v[12:13]
	v_cmp_gt_f32_e32 vcc, s12, v15
	v_cmp_gt_f32_e64 s[60:61], s16, v40
	s_nop 0
	v_subbrev_co_u32_e32 v27, vcc, 0, v12, vcc
	v_sub_u32_e32 v12, 0, v27
	v_ldexp_f32 v8, v8, v12
	v_ldexp_f32 v12, v14, v12
	v_add_f32_e32 v14, -1.0, v8
	v_add_f32_e32 v13, 1.0, v14
	v_sub_f32_e32 v13, v8, v13
	v_add_f32_e32 v15, v12, v13
	v_add_f32_e32 v13, 1.0, v8
	v_add_f32_e32 v29, -1.0, v13
	v_sub_f32_e32 v8, v8, v29
	v_add_f32_e32 v8, v12, v8
	v_add_f32_e32 v29, v13, v8
	v_rcp_f32_e32 v34, v29
	v_sub_f32_e32 v12, v13, v29
	v_add_f32_e32 v13, v14, v15
	v_add_f32_e32 v8, v8, v12
	v_mul_f32_e32 v36, v13, v34
	v_sub_f32_e32 v12, v14, v13
	v_mul_f32_e32 v14, v29, v36
	v_fma_f32 v30, v36, v29, -v14
	v_fmac_f32_e32 v30, v36, v8
	v_add_f32_e32 v35, v15, v12
	v_add_f32_e32 v12, v14, v30
	v_sub_f32_e32 v15, v13, v12
	v_pk_add_f32 v[32:33], v[12:13], v[14:15] neg_lo:[0,1] neg_hi:[0,1]
	v_mov_b32_e32 v31, v12
	v_pk_add_f32 v[12:13], v[32:33], v[30:31] neg_lo:[0,1] neg_hi:[0,1]
	v_cmp_eq_f32_e32 vcc, s11, v40
	v_add_f32_e32 v13, v35, v13
	v_add_f32_e32 v12, v12, v13
	v_add_f32_e32 v13, v15, v12
	v_mul_f32_e32 v35, v34, v13
	v_mul_f32_e32 v14, v29, v35
	v_fma_f32 v30, v35, v29, -v14
	v_fmac_f32_e32 v30, v35, v8
	v_sub_f32_e32 v8, v15, v13
	v_add_f32_e32 v8, v12, v8
	v_add_f32_e32 v12, v14, v30
	v_sub_f32_e32 v15, v13, v12
	v_pk_add_f32 v[32:33], v[12:13], v[14:15] neg_lo:[0,1] neg_hi:[0,1]
	v_mov_b32_e32 v31, v12
	v_pk_add_f32 v[12:13], v[32:33], v[30:31] neg_lo:[0,1] neg_hi:[0,1]
	s_or_b64 vcc, s[60:61], vcc
	v_add_f32_e32 v8, v8, v13
	v_add_f32_e32 v8, v12, v8
	;; [unrolled: 1-line block ×4, first 2 shown]
	v_sub_f32_e32 v12, v13, v36
	v_mul_f32_e32 v8, v34, v8
	v_sub_f32_e32 v12, v35, v12
	v_add_f32_e32 v8, v12, v8
	v_add_f32_e32 v14, v13, v8
	v_mul_f32_e32 v30, v14, v14
	v_fmamk_f32 v12, v30, 0x3e9b6dac, v141
	v_fmaak_f32 v29, v30, v12, 0x3f2aaada
	v_cvt_f32_i32_e32 v12, v27
	v_sub_f32_e32 v13, v14, v13
	v_sub_f32_e32 v8, v8, v13
	v_mul_f32_e32 v13, v14, v30
	v_pk_mul_f32 v[30:31], v[12:13], v[28:29]
	v_ldexp_f32 v15, v14, 1
	v_fma_f32 v14, v12, s13, -v30
	v_fmac_f32_e32 v14, 0xb102e308, v12
	v_pk_add_f32 v[12:13], v[30:31], v[14:15]
	v_ldexp_f32 v8, v8, 1
	v_sub_f32_e32 v15, v13, v15
	v_sub_f32_e32 v15, v31, v15
	v_add_f32_e32 v33, v8, v15
	v_mov_b32_e32 v32, v30
	v_pk_add_f32 v[30:31], v[12:13], v[30:31] neg_lo:[0,1] neg_hi:[0,1]
	v_pk_add_f32 v[34:35], v[12:13], v[32:33]
	v_mov_b32_e32 v15, v12
	v_mov_b32_e32 v31, v35
	v_pk_add_f32 v[36:37], v[14:15], v[30:31] neg_lo:[0,1] neg_hi:[0,1]
	v_pk_add_f32 v[14:15], v[14:15], v[30:31]
	s_nop 0
	v_mov_b32_e32 v8, v15
	v_pk_add_f32 v[30:31], v[8:9], v[12:13] neg_lo:[0,1] neg_hi:[0,1]
	v_mov_b32_e32 v14, v35
	v_mov_b32_e32 v27, v30
	v_pk_add_f32 v[38:39], v[34:35], v[26:27] neg_lo:[0,1] neg_hi:[0,1]
	v_mov_b32_e32 v34, v13
	v_mov_b32_e32 v35, v30
	;; [unrolled: 1-line block ×3, first 2 shown]
	v_pk_add_f32 v[14:15], v[14:15], v[34:35] neg_lo:[0,1] neg_hi:[0,1]
	v_mov_b32_e32 v30, v33
	v_mov_b32_e32 v31, v12
	v_pk_add_f32 v[12:13], v[30:31], v[14:15] neg_lo:[0,1] neg_hi:[0,1]
	v_mov_b32_e32 v38, v36
	v_pk_add_f32 v[14:15], v[38:39], v[12:13]
	s_nop 0
	v_mov_b32_e32 v30, v15
	v_pk_add_f32 v[30:31], v[14:15], v[30:31]
	s_nop 0
	v_pk_add_f32 v[32:33], v[8:9], v[30:31]
	v_mov_b32_e32 v13, v30
	v_mov_b32_e32 v15, v32
	v_pk_add_f32 v[34:35], v[14:15], v[36:37] neg_lo:[0,1] neg_hi:[0,1]
	s_nop 0
	v_sub_f32_e32 v8, v14, v34
	v_pk_add_f32 v[12:13], v[12:13], v[34:35] neg_lo:[0,1] neg_hi:[0,1]
	v_sub_f32_e32 v8, v36, v8
	v_add_f32_e32 v8, v12, v8
	v_add_f32_e32 v8, v8, v13
	;; [unrolled: 1-line block ×3, first 2 shown]
	v_cndmask_b32_e32 v155, v8, v40, vcc
.LBB28_95:                              ;   in Loop: Header=BB28_13 Depth=1
	s_or_b64 exec, exec, s[4:5]
	v_lshlrev_b32_e32 v8, 16, v9
	v_readlane_b32 s2, v166, 2
	s_nop 1
	v_add_f32_e32 v156, s2, v8
	v_readlane_b32 s2, v166, 23
	v_cmp_ge_f32_e32 vcc, s6, v156
	v_readlane_b32 s3, v166, 24
	s_and_b64 s[2:3], s[2:3], vcc
	s_and_saveexec_b64 s[4:5], s[2:3]
	s_cbranch_execz .LBB28_97
; %bb.96:                               ;   in Loop: Header=BB28_13 Depth=1
	v_mul_f32_e32 v8, 0x3fb8aa3b, v156
	v_rndne_f32_e32 v12, v8
	v_sub_f32_e32 v13, v8, v12
	v_fma_f32 v8, v156, s8, -v8
	v_fmac_f32_e32 v8, 0x32a5705f, v156
	v_add_f32_e32 v8, v13, v8
	v_cvt_i32_f32_e32 v12, v12
	v_exp_f32_e32 v8, v8
	v_cmp_ngt_f32_e32 vcc, s9, v156
	v_ldexp_f32 v8, v8, v12
	s_nop 0
	v_cndmask_b32_e32 v8, 0, v8, vcc
	v_cmp_nlt_f32_e32 vcc, s10, v156
	s_nop 1
	v_cndmask_b32_e32 v40, v142, v8, vcc
	v_add_f32_e32 v8, 1.0, v40
	v_add_f32_e32 v12, -1.0, v8
	v_sub_f32_e32 v13, v12, v8
	v_add_f32_e32 v13, 1.0, v13
	v_sub_f32_e32 v12, v40, v12
	v_add_f32_e32 v14, v12, v13
	v_frexp_mant_f32_e32 v15, v8
	v_cvt_f64_f32_e32 v[12:13], v8
	v_frexp_exp_i32_f64_e32 v12, v[12:13]
	v_cmp_gt_f32_e32 vcc, s12, v15
	v_cmp_gt_f32_e64 s[60:61], s16, v40
	s_nop 0
	v_subbrev_co_u32_e32 v27, vcc, 0, v12, vcc
	v_sub_u32_e32 v12, 0, v27
	v_ldexp_f32 v8, v8, v12
	v_ldexp_f32 v12, v14, v12
	v_add_f32_e32 v14, -1.0, v8
	v_add_f32_e32 v13, 1.0, v14
	v_sub_f32_e32 v13, v8, v13
	v_add_f32_e32 v15, v12, v13
	v_add_f32_e32 v13, 1.0, v8
	v_add_f32_e32 v29, -1.0, v13
	v_sub_f32_e32 v8, v8, v29
	v_add_f32_e32 v8, v12, v8
	v_add_f32_e32 v29, v13, v8
	v_rcp_f32_e32 v34, v29
	v_sub_f32_e32 v12, v13, v29
	v_add_f32_e32 v13, v14, v15
	v_add_f32_e32 v8, v8, v12
	v_mul_f32_e32 v36, v13, v34
	v_sub_f32_e32 v12, v14, v13
	v_mul_f32_e32 v14, v29, v36
	v_fma_f32 v30, v36, v29, -v14
	v_fmac_f32_e32 v30, v36, v8
	v_add_f32_e32 v35, v15, v12
	v_add_f32_e32 v12, v14, v30
	v_sub_f32_e32 v15, v13, v12
	v_pk_add_f32 v[32:33], v[12:13], v[14:15] neg_lo:[0,1] neg_hi:[0,1]
	v_mov_b32_e32 v31, v12
	v_pk_add_f32 v[12:13], v[32:33], v[30:31] neg_lo:[0,1] neg_hi:[0,1]
	v_cmp_eq_f32_e32 vcc, s11, v40
	v_add_f32_e32 v13, v35, v13
	v_add_f32_e32 v12, v12, v13
	;; [unrolled: 1-line block ×3, first 2 shown]
	v_mul_f32_e32 v35, v34, v13
	v_mul_f32_e32 v14, v29, v35
	v_fma_f32 v30, v35, v29, -v14
	v_fmac_f32_e32 v30, v35, v8
	v_sub_f32_e32 v8, v15, v13
	v_add_f32_e32 v8, v12, v8
	v_add_f32_e32 v12, v14, v30
	v_sub_f32_e32 v15, v13, v12
	v_pk_add_f32 v[32:33], v[12:13], v[14:15] neg_lo:[0,1] neg_hi:[0,1]
	v_mov_b32_e32 v31, v12
	v_pk_add_f32 v[12:13], v[32:33], v[30:31] neg_lo:[0,1] neg_hi:[0,1]
	s_or_b64 vcc, s[60:61], vcc
	v_add_f32_e32 v8, v8, v13
	v_add_f32_e32 v8, v12, v8
	;; [unrolled: 1-line block ×4, first 2 shown]
	v_sub_f32_e32 v12, v13, v36
	v_mul_f32_e32 v8, v34, v8
	v_sub_f32_e32 v12, v35, v12
	v_add_f32_e32 v8, v12, v8
	v_add_f32_e32 v14, v13, v8
	v_mul_f32_e32 v30, v14, v14
	v_fmamk_f32 v12, v30, 0x3e9b6dac, v141
	v_fmaak_f32 v29, v30, v12, 0x3f2aaada
	v_cvt_f32_i32_e32 v12, v27
	v_sub_f32_e32 v13, v14, v13
	v_sub_f32_e32 v8, v8, v13
	v_mul_f32_e32 v13, v14, v30
	v_pk_mul_f32 v[30:31], v[12:13], v[28:29]
	v_ldexp_f32 v15, v14, 1
	v_fma_f32 v14, v12, s13, -v30
	v_fmac_f32_e32 v14, 0xb102e308, v12
	v_pk_add_f32 v[12:13], v[30:31], v[14:15]
	v_ldexp_f32 v8, v8, 1
	v_sub_f32_e32 v15, v13, v15
	v_sub_f32_e32 v15, v31, v15
	v_add_f32_e32 v33, v8, v15
	v_mov_b32_e32 v32, v30
	v_pk_add_f32 v[30:31], v[12:13], v[30:31] neg_lo:[0,1] neg_hi:[0,1]
	v_pk_add_f32 v[34:35], v[12:13], v[32:33]
	v_mov_b32_e32 v15, v12
	v_mov_b32_e32 v31, v35
	v_pk_add_f32 v[36:37], v[14:15], v[30:31] neg_lo:[0,1] neg_hi:[0,1]
	v_pk_add_f32 v[14:15], v[14:15], v[30:31]
	s_nop 0
	v_mov_b32_e32 v8, v15
	v_pk_add_f32 v[30:31], v[8:9], v[12:13] neg_lo:[0,1] neg_hi:[0,1]
	v_mov_b32_e32 v14, v35
	v_mov_b32_e32 v27, v30
	v_pk_add_f32 v[38:39], v[34:35], v[26:27] neg_lo:[0,1] neg_hi:[0,1]
	v_mov_b32_e32 v34, v13
	v_mov_b32_e32 v35, v30
	;; [unrolled: 1-line block ×3, first 2 shown]
	v_pk_add_f32 v[14:15], v[14:15], v[34:35] neg_lo:[0,1] neg_hi:[0,1]
	v_mov_b32_e32 v30, v33
	v_mov_b32_e32 v31, v12
	v_pk_add_f32 v[12:13], v[30:31], v[14:15] neg_lo:[0,1] neg_hi:[0,1]
	v_mov_b32_e32 v38, v36
	v_pk_add_f32 v[14:15], v[38:39], v[12:13]
	s_nop 0
	v_mov_b32_e32 v30, v15
	v_pk_add_f32 v[30:31], v[14:15], v[30:31]
	s_nop 0
	v_pk_add_f32 v[32:33], v[8:9], v[30:31]
	v_mov_b32_e32 v13, v30
	v_mov_b32_e32 v15, v32
	v_pk_add_f32 v[34:35], v[14:15], v[36:37] neg_lo:[0,1] neg_hi:[0,1]
	s_nop 0
	v_sub_f32_e32 v8, v14, v34
	v_pk_add_f32 v[12:13], v[12:13], v[34:35] neg_lo:[0,1] neg_hi:[0,1]
	v_sub_f32_e32 v8, v36, v8
	v_add_f32_e32 v8, v12, v8
	v_add_f32_e32 v8, v8, v13
	;; [unrolled: 1-line block ×3, first 2 shown]
	v_cndmask_b32_e32 v156, v8, v40, vcc
.LBB28_97:                              ;   in Loop: Header=BB28_13 Depth=1
	s_or_b64 exec, exec, s[4:5]
	v_and_b32_e32 v8, 0xffff0000, v9
	v_readlane_b32 s2, v166, 2
	s_nop 1
	v_add_f32_e32 v157, s2, v8
	v_readlane_b32 s2, v166, 23
	v_cmp_ge_f32_e32 vcc, s6, v157
	v_readlane_b32 s3, v166, 24
	s_and_b64 s[2:3], s[2:3], vcc
	s_and_saveexec_b64 s[4:5], s[2:3]
	s_cbranch_execz .LBB28_99
; %bb.98:                               ;   in Loop: Header=BB28_13 Depth=1
	v_mul_f32_e32 v8, 0x3fb8aa3b, v157
	v_rndne_f32_e32 v9, v8
	v_sub_f32_e32 v12, v8, v9
	v_fma_f32 v8, v157, s8, -v8
	v_fmac_f32_e32 v8, 0x32a5705f, v157
	v_add_f32_e32 v8, v12, v8
	v_cvt_i32_f32_e32 v9, v9
	v_exp_f32_e32 v8, v8
	v_cmp_ngt_f32_e32 vcc, s9, v157
	v_ldexp_f32 v8, v8, v9
	s_nop 0
	v_cndmask_b32_e32 v8, 0, v8, vcc
	v_cmp_nlt_f32_e32 vcc, s10, v157
	s_nop 1
	v_cndmask_b32_e32 v27, v142, v8, vcc
	v_add_f32_e32 v12, 1.0, v27
	v_add_f32_e32 v8, -1.0, v12
	v_sub_f32_e32 v9, v8, v12
	v_add_f32_e32 v9, 1.0, v9
	v_sub_f32_e32 v8, v27, v8
	v_add_f32_e32 v13, v8, v9
	v_frexp_mant_f32_e32 v14, v12
	v_cvt_f64_f32_e32 v[8:9], v12
	v_frexp_exp_i32_f64_e32 v8, v[8:9]
	v_cmp_gt_f32_e32 vcc, s12, v14
	v_cmp_gt_f32_e64 s[60:61], s16, v27
	s_nop 0
	v_subbrev_co_u32_e32 v32, vcc, 0, v8, vcc
	v_sub_u32_e32 v8, 0, v32
	v_ldexp_f32 v9, v12, v8
	v_add_f32_e32 v12, -1.0, v9
	v_add_f32_e32 v14, 1.0, v9
	v_ldexp_f32 v8, v13, v8
	v_add_f32_e32 v13, 1.0, v12
	v_add_f32_e32 v15, -1.0, v14
	v_sub_f32_e32 v13, v9, v13
	v_sub_f32_e32 v9, v9, v15
	v_add_f32_e32 v13, v8, v13
	v_add_f32_e32 v8, v8, v9
	;; [unrolled: 1-line block ×3, first 2 shown]
	v_rcp_f32_e32 v34, v29
	v_sub_f32_e32 v9, v14, v29
	v_add_f32_e32 v33, v8, v9
	v_add_f32_e32 v9, v12, v13
	v_mul_f32_e32 v36, v9, v34
	v_sub_f32_e32 v8, v12, v9
	v_mul_f32_e32 v12, v29, v36
	v_fma_f32 v14, v36, v29, -v12
	v_fmac_f32_e32 v14, v36, v33
	v_add_f32_e32 v35, v13, v8
	v_add_f32_e32 v8, v12, v14
	v_sub_f32_e32 v13, v9, v8
	v_pk_add_f32 v[30:31], v[8:9], v[12:13] neg_lo:[0,1] neg_hi:[0,1]
	v_mov_b32_e32 v15, v8
	v_pk_add_f32 v[8:9], v[30:31], v[14:15] neg_lo:[0,1] neg_hi:[0,1]
	v_cmp_eq_f32_e32 vcc, s11, v27
	v_add_f32_e32 v9, v35, v9
	v_add_f32_e32 v8, v8, v9
	;; [unrolled: 1-line block ×3, first 2 shown]
	v_mul_f32_e32 v35, v34, v9
	v_mul_f32_e32 v12, v29, v35
	v_fma_f32 v14, v35, v29, -v12
	v_fmac_f32_e32 v14, v35, v33
	v_sub_f32_e32 v13, v13, v9
	v_add_f32_e32 v29, v8, v13
	v_add_f32_e32 v8, v12, v14
	v_sub_f32_e32 v13, v9, v8
	v_pk_add_f32 v[30:31], v[8:9], v[12:13] neg_lo:[0,1] neg_hi:[0,1]
	v_mov_b32_e32 v15, v8
	v_pk_add_f32 v[8:9], v[30:31], v[14:15] neg_lo:[0,1] neg_hi:[0,1]
	s_or_b64 vcc, s[60:61], vcc
	v_add_f32_e32 v9, v29, v9
	v_add_f32_e32 v8, v8, v9
	;; [unrolled: 1-line block ×4, first 2 shown]
	v_sub_f32_e32 v12, v9, v36
	v_mul_f32_e32 v8, v34, v8
	v_sub_f32_e32 v12, v35, v12
	v_add_f32_e32 v12, v12, v8
	v_add_f32_e32 v14, v9, v12
	v_mul_f32_e32 v15, v14, v14
	v_fmamk_f32 v8, v15, 0x3e9b6dac, v141
	v_fmaak_f32 v29, v15, v8, 0x3f2aaada
	v_cvt_f32_i32_e32 v8, v32
	v_sub_f32_e32 v9, v14, v9
	v_sub_f32_e32 v9, v12, v9
	v_ldexp_f32 v30, v9, 1
	v_mul_f32_e32 v9, v14, v15
	v_ldexp_f32 v13, v14, 1
	v_pk_mul_f32 v[14:15], v[8:9], v[28:29]
	s_nop 0
	v_fma_f32 v12, v8, s13, -v14
	v_fmac_f32_e32 v12, 0xb102e308, v8
	v_pk_add_f32 v[8:9], v[14:15], v[12:13]
	s_nop 0
	v_sub_f32_e32 v13, v9, v13
	v_sub_f32_e32 v13, v15, v13
	v_add_f32_e32 v31, v30, v13
	v_mov_b32_e32 v30, v14
	v_pk_add_f32 v[14:15], v[8:9], v[14:15] neg_lo:[0,1] neg_hi:[0,1]
	v_pk_add_f32 v[32:33], v[8:9], v[30:31]
	v_mov_b32_e32 v13, v8
	v_mov_b32_e32 v15, v33
	v_pk_add_f32 v[34:35], v[12:13], v[14:15] neg_lo:[0,1] neg_hi:[0,1]
	v_pk_add_f32 v[12:13], v[12:13], v[14:15]
	v_mov_b32_e32 v30, v31
	v_mov_b32_e32 v14, v13
	v_pk_add_f32 v[36:37], v[14:15], v[8:9] neg_lo:[0,1] neg_hi:[0,1]
	v_mov_b32_e32 v12, v33
	v_mov_b32_e32 v15, v36
	v_pk_add_f32 v[38:39], v[32:33], v[14:15] neg_lo:[0,1] neg_hi:[0,1]
	v_mov_b32_e32 v32, v9
	v_mov_b32_e32 v33, v36
	;; [unrolled: 1-line block ×3, first 2 shown]
	v_pk_add_f32 v[12:13], v[12:13], v[32:33] neg_lo:[0,1] neg_hi:[0,1]
	v_mov_b32_e32 v31, v8
	v_pk_add_f32 v[8:9], v[30:31], v[12:13] neg_lo:[0,1] neg_hi:[0,1]
	v_mov_b32_e32 v38, v34
	v_pk_add_f32 v[12:13], v[38:39], v[8:9]
	s_nop 0
	v_mov_b32_e32 v30, v13
	v_pk_add_f32 v[30:31], v[12:13], v[30:31]
	s_nop 0
	v_pk_add_f32 v[14:15], v[14:15], v[30:31]
	v_mov_b32_e32 v9, v30
	v_mov_b32_e32 v13, v14
	v_pk_add_f32 v[32:33], v[12:13], v[34:35] neg_lo:[0,1] neg_hi:[0,1]
	s_nop 0
	v_sub_f32_e32 v12, v12, v32
	v_pk_add_f32 v[8:9], v[8:9], v[32:33] neg_lo:[0,1] neg_hi:[0,1]
	v_sub_f32_e32 v12, v34, v12
	v_add_f32_e32 v8, v8, v12
	v_add_f32_e32 v8, v8, v9
	;; [unrolled: 1-line block ×3, first 2 shown]
	v_cndmask_b32_e32 v157, v8, v27, vcc
.LBB28_99:                              ;   in Loop: Header=BB28_13 Depth=1
	s_or_b64 exec, exec, s[4:5]
	v_lshlrev_b32_e32 v8, 16, v10
	v_readlane_b32 s2, v166, 2
	s_nop 1
	v_add_f32_e32 v158, s2, v8
	v_readlane_b32 s2, v166, 23
	v_cmp_ge_f32_e32 vcc, s6, v158
	v_readlane_b32 s3, v166, 24
	s_and_b64 s[2:3], s[2:3], vcc
	s_and_saveexec_b64 s[4:5], s[2:3]
	s_cbranch_execz .LBB28_101
; %bb.100:                              ;   in Loop: Header=BB28_13 Depth=1
	v_mul_f32_e32 v8, 0x3fb8aa3b, v158
	v_rndne_f32_e32 v9, v8
	v_sub_f32_e32 v12, v8, v9
	v_fma_f32 v8, v158, s8, -v8
	v_fmac_f32_e32 v8, 0x32a5705f, v158
	v_add_f32_e32 v8, v12, v8
	v_cvt_i32_f32_e32 v9, v9
	v_exp_f32_e32 v8, v8
	v_cmp_ngt_f32_e32 vcc, s9, v158
	v_ldexp_f32 v8, v8, v9
	s_nop 0
	v_cndmask_b32_e32 v8, 0, v8, vcc
	v_cmp_nlt_f32_e32 vcc, s10, v158
	s_nop 1
	v_cndmask_b32_e32 v27, v142, v8, vcc
	v_add_f32_e32 v12, 1.0, v27
	v_add_f32_e32 v8, -1.0, v12
	v_sub_f32_e32 v9, v8, v12
	v_add_f32_e32 v9, 1.0, v9
	v_sub_f32_e32 v8, v27, v8
	v_add_f32_e32 v13, v8, v9
	v_frexp_mant_f32_e32 v14, v12
	v_cvt_f64_f32_e32 v[8:9], v12
	v_frexp_exp_i32_f64_e32 v8, v[8:9]
	v_cmp_gt_f32_e32 vcc, s12, v14
	v_cmp_gt_f32_e64 s[60:61], s16, v27
	s_nop 0
	v_subbrev_co_u32_e32 v32, vcc, 0, v8, vcc
	v_sub_u32_e32 v8, 0, v32
	v_ldexp_f32 v9, v12, v8
	v_add_f32_e32 v12, -1.0, v9
	v_add_f32_e32 v14, 1.0, v9
	v_ldexp_f32 v8, v13, v8
	v_add_f32_e32 v13, 1.0, v12
	v_add_f32_e32 v15, -1.0, v14
	v_sub_f32_e32 v13, v9, v13
	v_sub_f32_e32 v9, v9, v15
	v_add_f32_e32 v13, v8, v13
	v_add_f32_e32 v8, v8, v9
	;; [unrolled: 1-line block ×3, first 2 shown]
	v_rcp_f32_e32 v34, v29
	v_sub_f32_e32 v9, v14, v29
	v_add_f32_e32 v33, v8, v9
	v_add_f32_e32 v9, v12, v13
	v_mul_f32_e32 v36, v9, v34
	v_sub_f32_e32 v8, v12, v9
	v_mul_f32_e32 v12, v29, v36
	v_fma_f32 v14, v36, v29, -v12
	v_fmac_f32_e32 v14, v36, v33
	v_add_f32_e32 v35, v13, v8
	v_add_f32_e32 v8, v12, v14
	v_sub_f32_e32 v13, v9, v8
	v_pk_add_f32 v[30:31], v[8:9], v[12:13] neg_lo:[0,1] neg_hi:[0,1]
	v_mov_b32_e32 v15, v8
	v_pk_add_f32 v[8:9], v[30:31], v[14:15] neg_lo:[0,1] neg_hi:[0,1]
	v_cmp_eq_f32_e32 vcc, s11, v27
	v_add_f32_e32 v9, v35, v9
	v_add_f32_e32 v8, v8, v9
	;; [unrolled: 1-line block ×3, first 2 shown]
	v_mul_f32_e32 v35, v34, v9
	v_mul_f32_e32 v12, v29, v35
	v_fma_f32 v14, v35, v29, -v12
	v_fmac_f32_e32 v14, v35, v33
	v_sub_f32_e32 v13, v13, v9
	v_add_f32_e32 v29, v8, v13
	v_add_f32_e32 v8, v12, v14
	v_sub_f32_e32 v13, v9, v8
	v_pk_add_f32 v[30:31], v[8:9], v[12:13] neg_lo:[0,1] neg_hi:[0,1]
	v_mov_b32_e32 v15, v8
	v_pk_add_f32 v[8:9], v[30:31], v[14:15] neg_lo:[0,1] neg_hi:[0,1]
	s_or_b64 vcc, s[60:61], vcc
	v_add_f32_e32 v9, v29, v9
	v_add_f32_e32 v8, v8, v9
	;; [unrolled: 1-line block ×4, first 2 shown]
	v_sub_f32_e32 v12, v9, v36
	v_mul_f32_e32 v8, v34, v8
	v_sub_f32_e32 v12, v35, v12
	v_add_f32_e32 v12, v12, v8
	v_add_f32_e32 v14, v9, v12
	v_mul_f32_e32 v15, v14, v14
	v_fmamk_f32 v8, v15, 0x3e9b6dac, v141
	v_fmaak_f32 v29, v15, v8, 0x3f2aaada
	v_cvt_f32_i32_e32 v8, v32
	v_sub_f32_e32 v9, v14, v9
	v_sub_f32_e32 v9, v12, v9
	v_ldexp_f32 v30, v9, 1
	v_mul_f32_e32 v9, v14, v15
	v_ldexp_f32 v13, v14, 1
	v_pk_mul_f32 v[14:15], v[8:9], v[28:29]
	s_nop 0
	v_fma_f32 v12, v8, s13, -v14
	v_fmac_f32_e32 v12, 0xb102e308, v8
	v_pk_add_f32 v[8:9], v[14:15], v[12:13]
	s_nop 0
	v_sub_f32_e32 v13, v9, v13
	v_sub_f32_e32 v13, v15, v13
	v_add_f32_e32 v31, v30, v13
	v_mov_b32_e32 v30, v14
	v_pk_add_f32 v[14:15], v[8:9], v[14:15] neg_lo:[0,1] neg_hi:[0,1]
	v_pk_add_f32 v[32:33], v[8:9], v[30:31]
	v_mov_b32_e32 v13, v8
	v_mov_b32_e32 v15, v33
	v_pk_add_f32 v[34:35], v[12:13], v[14:15] neg_lo:[0,1] neg_hi:[0,1]
	v_pk_add_f32 v[12:13], v[12:13], v[14:15]
	v_mov_b32_e32 v30, v31
	v_mov_b32_e32 v14, v13
	v_pk_add_f32 v[36:37], v[14:15], v[8:9] neg_lo:[0,1] neg_hi:[0,1]
	v_mov_b32_e32 v12, v33
	v_mov_b32_e32 v15, v36
	v_pk_add_f32 v[38:39], v[32:33], v[14:15] neg_lo:[0,1] neg_hi:[0,1]
	v_mov_b32_e32 v32, v9
	v_mov_b32_e32 v33, v36
	;; [unrolled: 1-line block ×3, first 2 shown]
	v_pk_add_f32 v[12:13], v[12:13], v[32:33] neg_lo:[0,1] neg_hi:[0,1]
	v_mov_b32_e32 v31, v8
	v_pk_add_f32 v[8:9], v[30:31], v[12:13] neg_lo:[0,1] neg_hi:[0,1]
	v_mov_b32_e32 v38, v34
	v_pk_add_f32 v[12:13], v[38:39], v[8:9]
	s_nop 0
	v_mov_b32_e32 v30, v13
	v_pk_add_f32 v[30:31], v[12:13], v[30:31]
	s_nop 0
	v_pk_add_f32 v[14:15], v[14:15], v[30:31]
	v_mov_b32_e32 v9, v30
	v_mov_b32_e32 v13, v14
	v_pk_add_f32 v[32:33], v[12:13], v[34:35] neg_lo:[0,1] neg_hi:[0,1]
	s_nop 0
	v_sub_f32_e32 v12, v12, v32
	v_pk_add_f32 v[8:9], v[8:9], v[32:33] neg_lo:[0,1] neg_hi:[0,1]
	v_sub_f32_e32 v12, v34, v12
	v_add_f32_e32 v8, v8, v12
	v_add_f32_e32 v8, v8, v9
	;; [unrolled: 1-line block ×3, first 2 shown]
	v_cndmask_b32_e32 v158, v8, v27, vcc
.LBB28_101:                             ;   in Loop: Header=BB28_13 Depth=1
	s_or_b64 exec, exec, s[4:5]
	v_and_b32_e32 v8, 0xffff0000, v10
	v_readlane_b32 s2, v166, 2
	s_nop 1
	v_add_f32_e32 v159, s2, v8
	v_readlane_b32 s2, v166, 23
	v_cmp_ge_f32_e32 vcc, s6, v159
	v_readlane_b32 s3, v166, 24
	s_and_b64 s[2:3], s[2:3], vcc
	s_and_saveexec_b64 s[4:5], s[2:3]
	s_cbranch_execz .LBB28_103
; %bb.102:                              ;   in Loop: Header=BB28_13 Depth=1
	v_mul_f32_e32 v8, 0x3fb8aa3b, v159
	v_rndne_f32_e32 v9, v8
	v_sub_f32_e32 v10, v8, v9
	v_fma_f32 v8, v159, s8, -v8
	v_fmac_f32_e32 v8, 0x32a5705f, v159
	v_add_f32_e32 v8, v10, v8
	v_cvt_i32_f32_e32 v9, v9
	v_exp_f32_e32 v8, v8
	v_cmp_ngt_f32_e32 vcc, s9, v159
	v_ldexp_f32 v8, v8, v9
	s_nop 0
	v_cndmask_b32_e32 v8, 0, v8, vcc
	v_cmp_nlt_f32_e32 vcc, s10, v159
	s_nop 1
	v_cndmask_b32_e32 v27, v142, v8, vcc
	v_add_f32_e32 v10, 1.0, v27
	v_add_f32_e32 v8, -1.0, v10
	v_sub_f32_e32 v9, v8, v10
	v_add_f32_e32 v9, 1.0, v9
	v_sub_f32_e32 v8, v27, v8
	v_add_f32_e32 v12, v8, v9
	v_frexp_mant_f32_e32 v13, v10
	v_cvt_f64_f32_e32 v[8:9], v10
	v_frexp_exp_i32_f64_e32 v8, v[8:9]
	v_cmp_gt_f32_e32 vcc, s12, v13
	v_cmp_gt_f32_e64 s[60:61], s16, v27
	s_nop 0
	v_subbrev_co_u32_e32 v32, vcc, 0, v8, vcc
	v_sub_u32_e32 v8, 0, v32
	v_ldexp_f32 v9, v10, v8
	v_add_f32_e32 v10, -1.0, v9
	v_add_f32_e32 v13, 1.0, v9
	v_ldexp_f32 v8, v12, v8
	v_add_f32_e32 v12, 1.0, v10
	v_add_f32_e32 v14, -1.0, v13
	v_sub_f32_e32 v12, v9, v12
	v_sub_f32_e32 v9, v9, v14
	v_add_f32_e32 v12, v8, v12
	v_add_f32_e32 v8, v8, v9
	;; [unrolled: 1-line block ×3, first 2 shown]
	v_rcp_f32_e32 v34, v29
	v_sub_f32_e32 v9, v13, v29
	v_add_f32_e32 v33, v8, v9
	v_add_f32_e32 v9, v10, v12
	v_sub_f32_e32 v8, v10, v9
	v_mul_f32_e32 v35, v9, v34
	v_add_f32_e32 v10, v12, v8
	v_mul_f32_e32 v12, v29, v35
	v_fma_f32 v14, v35, v29, -v12
	v_fmac_f32_e32 v14, v35, v33
	v_add_f32_e32 v8, v12, v14
	v_sub_f32_e32 v13, v9, v8
	v_pk_add_f32 v[30:31], v[8:9], v[12:13] neg_lo:[0,1] neg_hi:[0,1]
	v_mov_b32_e32 v15, v8
	v_pk_add_f32 v[8:9], v[30:31], v[14:15] neg_lo:[0,1] neg_hi:[0,1]
	v_cmp_eq_f32_e32 vcc, s11, v27
	v_add_f32_e32 v9, v10, v9
	v_add_f32_e32 v8, v8, v9
	;; [unrolled: 1-line block ×3, first 2 shown]
	v_mul_f32_e32 v10, v34, v9
	v_mul_f32_e32 v12, v29, v10
	v_fma_f32 v14, v10, v29, -v12
	v_fmac_f32_e32 v14, v10, v33
	v_sub_f32_e32 v13, v13, v9
	v_add_f32_e32 v29, v8, v13
	v_add_f32_e32 v8, v12, v14
	v_sub_f32_e32 v13, v9, v8
	v_pk_add_f32 v[30:31], v[8:9], v[12:13] neg_lo:[0,1] neg_hi:[0,1]
	v_mov_b32_e32 v15, v8
	v_pk_add_f32 v[8:9], v[30:31], v[14:15] neg_lo:[0,1] neg_hi:[0,1]
	s_or_b64 vcc, s[60:61], vcc
	v_add_f32_e32 v9, v29, v9
	v_add_f32_e32 v8, v8, v9
	;; [unrolled: 1-line block ×4, first 2 shown]
	v_sub_f32_e32 v12, v9, v35
	v_mul_f32_e32 v8, v34, v8
	v_sub_f32_e32 v10, v10, v12
	v_add_f32_e32 v10, v10, v8
	v_add_f32_e32 v12, v9, v10
	v_mul_f32_e32 v14, v12, v12
	v_fmamk_f32 v8, v14, 0x3e9b6dac, v141
	v_fmaak_f32 v29, v14, v8, 0x3f2aaada
	v_cvt_f32_i32_e32 v8, v32
	v_sub_f32_e32 v9, v12, v9
	v_sub_f32_e32 v9, v10, v9
	v_ldexp_f32 v10, v9, 1
	v_mul_f32_e32 v9, v12, v14
	v_pk_mul_f32 v[14:15], v[8:9], v[28:29]
	v_ldexp_f32 v13, v12, 1
	v_fma_f32 v12, v8, s13, -v14
	v_fmac_f32_e32 v12, 0xb102e308, v8
	v_pk_add_f32 v[8:9], v[14:15], v[12:13]
	v_mov_b32_e32 v30, v14
	v_sub_f32_e32 v13, v9, v13
	v_sub_f32_e32 v13, v15, v13
	v_add_f32_e32 v31, v10, v13
	v_pk_add_f32 v[14:15], v[8:9], v[14:15] neg_lo:[0,1] neg_hi:[0,1]
	v_pk_add_f32 v[32:33], v[8:9], v[30:31]
	v_mov_b32_e32 v13, v8
	v_mov_b32_e32 v15, v33
	v_pk_add_f32 v[34:35], v[12:13], v[14:15] neg_lo:[0,1] neg_hi:[0,1]
	v_pk_add_f32 v[12:13], v[12:13], v[14:15]
	s_nop 0
	v_mov_b32_e32 v10, v13
	v_pk_add_f32 v[14:15], v[10:11], v[8:9] neg_lo:[0,1] neg_hi:[0,1]
	v_mov_b32_e32 v12, v33
	v_mov_b32_e32 v15, v14
	v_pk_add_f32 v[36:37], v[32:33], v[14:15] neg_lo:[0,1] neg_hi:[0,1]
	v_mov_b32_e32 v32, v9
	v_mov_b32_e32 v33, v14
	;; [unrolled: 1-line block ×3, first 2 shown]
	v_pk_add_f32 v[12:13], v[12:13], v[32:33] neg_lo:[0,1] neg_hi:[0,1]
	v_mov_b32_e32 v14, v31
	v_mov_b32_e32 v15, v8
	v_pk_add_f32 v[8:9], v[14:15], v[12:13] neg_lo:[0,1] neg_hi:[0,1]
	v_mov_b32_e32 v36, v34
	v_pk_add_f32 v[12:13], v[36:37], v[8:9]
	s_nop 0
	v_mov_b32_e32 v14, v13
	v_pk_add_f32 v[14:15], v[12:13], v[14:15]
	s_nop 0
	v_pk_add_f32 v[30:31], v[10:11], v[14:15]
	v_mov_b32_e32 v9, v14
	v_mov_b32_e32 v13, v30
	v_pk_add_f32 v[32:33], v[12:13], v[34:35] neg_lo:[0,1] neg_hi:[0,1]
	s_nop 0
	v_sub_f32_e32 v10, v12, v32
	v_pk_add_f32 v[8:9], v[8:9], v[32:33] neg_lo:[0,1] neg_hi:[0,1]
	v_sub_f32_e32 v10, v34, v10
	v_add_f32_e32 v8, v8, v10
	v_add_f32_e32 v8, v8, v9
	;; [unrolled: 1-line block ×3, first 2 shown]
	v_cndmask_b32_e32 v159, v8, v27, vcc
.LBB28_103:                             ;   in Loop: Header=BB28_13 Depth=1
	s_or_b64 exec, exec, s[4:5]
	v_lshlrev_b32_e32 v8, 16, v11
	v_readlane_b32 s2, v166, 2
	s_nop 1
	v_add_f32_e32 v46, s2, v8
	v_readlane_b32 s2, v166, 23
	v_cmp_ge_f32_e32 vcc, s6, v46
	v_readlane_b32 s3, v166, 24
	s_and_b64 s[2:3], s[2:3], vcc
	s_and_saveexec_b64 s[4:5], s[2:3]
	s_cbranch_execz .LBB28_105
; %bb.104:                              ;   in Loop: Header=BB28_13 Depth=1
	v_mul_f32_e32 v8, 0x3fb8aa3b, v46
	v_rndne_f32_e32 v9, v8
	v_sub_f32_e32 v10, v8, v9
	v_fma_f32 v8, v46, s8, -v8
	v_fmac_f32_e32 v8, 0x32a5705f, v46
	v_add_f32_e32 v8, v10, v8
	v_cvt_i32_f32_e32 v9, v9
	v_exp_f32_e32 v8, v8
	v_cmp_ngt_f32_e32 vcc, s9, v46
	v_ldexp_f32 v8, v8, v9
	s_nop 0
	v_cndmask_b32_e32 v8, 0, v8, vcc
	v_cmp_nlt_f32_e32 vcc, s10, v46
	s_nop 1
	v_cndmask_b32_e32 v27, v142, v8, vcc
	v_add_f32_e32 v10, 1.0, v27
	v_add_f32_e32 v8, -1.0, v10
	v_sub_f32_e32 v9, v8, v10
	v_add_f32_e32 v9, 1.0, v9
	v_sub_f32_e32 v8, v27, v8
	v_add_f32_e32 v12, v8, v9
	v_frexp_mant_f32_e32 v13, v10
	v_cvt_f64_f32_e32 v[8:9], v10
	v_frexp_exp_i32_f64_e32 v8, v[8:9]
	v_cmp_gt_f32_e32 vcc, s12, v13
	v_cmp_gt_f32_e64 s[60:61], s16, v27
	s_nop 0
	v_subbrev_co_u32_e32 v32, vcc, 0, v8, vcc
	v_sub_u32_e32 v8, 0, v32
	v_ldexp_f32 v9, v10, v8
	v_add_f32_e32 v10, -1.0, v9
	v_add_f32_e32 v13, 1.0, v9
	v_ldexp_f32 v8, v12, v8
	v_add_f32_e32 v12, 1.0, v10
	v_add_f32_e32 v14, -1.0, v13
	v_sub_f32_e32 v12, v9, v12
	v_sub_f32_e32 v9, v9, v14
	v_add_f32_e32 v12, v8, v12
	v_add_f32_e32 v8, v8, v9
	;; [unrolled: 1-line block ×3, first 2 shown]
	v_rcp_f32_e32 v34, v29
	v_sub_f32_e32 v9, v13, v29
	v_add_f32_e32 v33, v8, v9
	v_add_f32_e32 v9, v10, v12
	v_sub_f32_e32 v8, v10, v9
	v_mul_f32_e32 v35, v9, v34
	v_add_f32_e32 v10, v12, v8
	v_mul_f32_e32 v12, v29, v35
	v_fma_f32 v14, v35, v29, -v12
	v_fmac_f32_e32 v14, v35, v33
	v_add_f32_e32 v8, v12, v14
	v_sub_f32_e32 v13, v9, v8
	v_pk_add_f32 v[30:31], v[8:9], v[12:13] neg_lo:[0,1] neg_hi:[0,1]
	v_mov_b32_e32 v15, v8
	v_pk_add_f32 v[8:9], v[30:31], v[14:15] neg_lo:[0,1] neg_hi:[0,1]
	v_cmp_eq_f32_e32 vcc, s11, v27
	v_add_f32_e32 v9, v10, v9
	v_add_f32_e32 v8, v8, v9
	;; [unrolled: 1-line block ×3, first 2 shown]
	v_mul_f32_e32 v10, v34, v9
	v_mul_f32_e32 v12, v29, v10
	v_fma_f32 v14, v10, v29, -v12
	v_fmac_f32_e32 v14, v10, v33
	v_sub_f32_e32 v13, v13, v9
	v_add_f32_e32 v29, v8, v13
	v_add_f32_e32 v8, v12, v14
	v_sub_f32_e32 v13, v9, v8
	v_pk_add_f32 v[30:31], v[8:9], v[12:13] neg_lo:[0,1] neg_hi:[0,1]
	v_mov_b32_e32 v15, v8
	v_pk_add_f32 v[8:9], v[30:31], v[14:15] neg_lo:[0,1] neg_hi:[0,1]
	s_or_b64 vcc, s[60:61], vcc
	v_add_f32_e32 v9, v29, v9
	v_add_f32_e32 v8, v8, v9
	;; [unrolled: 1-line block ×4, first 2 shown]
	v_sub_f32_e32 v12, v9, v35
	v_mul_f32_e32 v8, v34, v8
	v_sub_f32_e32 v10, v10, v12
	v_add_f32_e32 v10, v10, v8
	v_add_f32_e32 v12, v9, v10
	v_mul_f32_e32 v14, v12, v12
	v_fmamk_f32 v8, v14, 0x3e9b6dac, v141
	v_fmaak_f32 v29, v14, v8, 0x3f2aaada
	v_cvt_f32_i32_e32 v8, v32
	v_sub_f32_e32 v9, v12, v9
	v_sub_f32_e32 v9, v10, v9
	v_ldexp_f32 v10, v9, 1
	v_mul_f32_e32 v9, v12, v14
	v_pk_mul_f32 v[14:15], v[8:9], v[28:29]
	v_ldexp_f32 v13, v12, 1
	v_fma_f32 v12, v8, s13, -v14
	v_fmac_f32_e32 v12, 0xb102e308, v8
	v_pk_add_f32 v[8:9], v[14:15], v[12:13]
	v_mov_b32_e32 v30, v14
	v_sub_f32_e32 v13, v9, v13
	v_sub_f32_e32 v13, v15, v13
	v_add_f32_e32 v31, v10, v13
	v_pk_add_f32 v[14:15], v[8:9], v[14:15] neg_lo:[0,1] neg_hi:[0,1]
	v_pk_add_f32 v[32:33], v[8:9], v[30:31]
	v_mov_b32_e32 v13, v8
	v_mov_b32_e32 v15, v33
	v_pk_add_f32 v[34:35], v[12:13], v[14:15] neg_lo:[0,1] neg_hi:[0,1]
	v_pk_add_f32 v[12:13], v[12:13], v[14:15]
	s_nop 0
	v_mov_b32_e32 v10, v13
	v_pk_add_f32 v[14:15], v[10:11], v[8:9] neg_lo:[0,1] neg_hi:[0,1]
	v_mov_b32_e32 v12, v33
	v_mov_b32_e32 v15, v14
	v_pk_add_f32 v[36:37], v[32:33], v[14:15] neg_lo:[0,1] neg_hi:[0,1]
	v_mov_b32_e32 v32, v9
	v_mov_b32_e32 v33, v14
	;; [unrolled: 1-line block ×3, first 2 shown]
	v_pk_add_f32 v[12:13], v[12:13], v[32:33] neg_lo:[0,1] neg_hi:[0,1]
	v_mov_b32_e32 v14, v31
	v_mov_b32_e32 v15, v8
	v_pk_add_f32 v[8:9], v[14:15], v[12:13] neg_lo:[0,1] neg_hi:[0,1]
	v_mov_b32_e32 v36, v34
	v_pk_add_f32 v[12:13], v[36:37], v[8:9]
	s_nop 0
	v_mov_b32_e32 v14, v13
	v_pk_add_f32 v[14:15], v[12:13], v[14:15]
	s_nop 0
	v_pk_add_f32 v[30:31], v[10:11], v[14:15]
	v_mov_b32_e32 v9, v14
	v_mov_b32_e32 v13, v30
	v_pk_add_f32 v[32:33], v[12:13], v[34:35] neg_lo:[0,1] neg_hi:[0,1]
	s_nop 0
	v_sub_f32_e32 v10, v12, v32
	v_pk_add_f32 v[8:9], v[8:9], v[32:33] neg_lo:[0,1] neg_hi:[0,1]
	v_sub_f32_e32 v10, v34, v10
	v_add_f32_e32 v8, v8, v10
	v_add_f32_e32 v8, v8, v9
	;; [unrolled: 1-line block ×3, first 2 shown]
	v_cndmask_b32_e32 v46, v8, v27, vcc
.LBB28_105:                             ;   in Loop: Header=BB28_13 Depth=1
	s_or_b64 exec, exec, s[4:5]
	v_and_b32_e32 v8, 0xffff0000, v11
	v_readlane_b32 s2, v166, 2
	s_nop 1
	v_add_f32_e32 v47, s2, v8
	v_readlane_b32 s2, v166, 23
	v_cmp_ge_f32_e32 vcc, s6, v47
	v_readlane_b32 s3, v166, 24
	s_and_b64 s[2:3], s[2:3], vcc
	s_and_saveexec_b64 s[4:5], s[2:3]
	s_cbranch_execz .LBB28_107
; %bb.106:                              ;   in Loop: Header=BB28_13 Depth=1
	v_mul_f32_e32 v8, 0x3fb8aa3b, v47
	v_rndne_f32_e32 v9, v8
	v_sub_f32_e32 v10, v8, v9
	v_fma_f32 v8, v47, s8, -v8
	v_fmac_f32_e32 v8, 0x32a5705f, v47
	v_add_f32_e32 v8, v10, v8
	v_cvt_i32_f32_e32 v9, v9
	v_exp_f32_e32 v8, v8
	v_cmp_ngt_f32_e32 vcc, s9, v47
	v_ldexp_f32 v8, v8, v9
	s_nop 0
	v_cndmask_b32_e32 v8, 0, v8, vcc
	v_cmp_nlt_f32_e32 vcc, s10, v47
	s_nop 1
	v_cndmask_b32_e32 v27, v142, v8, vcc
	v_add_f32_e32 v10, 1.0, v27
	v_add_f32_e32 v8, -1.0, v10
	v_sub_f32_e32 v9, v8, v10
	v_add_f32_e32 v9, 1.0, v9
	v_sub_f32_e32 v8, v27, v8
	v_add_f32_e32 v11, v8, v9
	v_frexp_mant_f32_e32 v12, v10
	v_cvt_f64_f32_e32 v[8:9], v10
	v_frexp_exp_i32_f64_e32 v8, v[8:9]
	v_cmp_gt_f32_e32 vcc, s12, v12
	v_cmp_gt_f32_e64 s[60:61], s16, v27
	s_nop 0
	v_subbrev_co_u32_e32 v30, vcc, 0, v8, vcc
	v_sub_u32_e32 v8, 0, v30
	v_ldexp_f32 v9, v10, v8
	v_add_f32_e32 v10, -1.0, v9
	v_add_f32_e32 v12, 1.0, v9
	v_ldexp_f32 v8, v11, v8
	v_add_f32_e32 v11, 1.0, v10
	v_add_f32_e32 v13, -1.0, v12
	v_sub_f32_e32 v11, v9, v11
	v_sub_f32_e32 v9, v9, v13
	v_add_f32_e32 v11, v8, v11
	v_add_f32_e32 v8, v8, v9
	v_add_f32_e32 v29, v12, v8
	v_rcp_f32_e32 v32, v29
	v_sub_f32_e32 v9, v12, v29
	v_add_f32_e32 v31, v8, v9
	v_add_f32_e32 v9, v10, v11
	v_mul_f32_e32 v34, v9, v32
	v_sub_f32_e32 v8, v10, v9
	v_mul_f32_e32 v10, v29, v34
	v_fma_f32 v12, v34, v29, -v10
	v_fmac_f32_e32 v12, v34, v31
	v_add_f32_e32 v33, v11, v8
	v_add_f32_e32 v8, v10, v12
	v_sub_f32_e32 v11, v9, v8
	v_pk_add_f32 v[14:15], v[8:9], v[10:11] neg_lo:[0,1] neg_hi:[0,1]
	v_mov_b32_e32 v13, v8
	v_pk_add_f32 v[8:9], v[14:15], v[12:13] neg_lo:[0,1] neg_hi:[0,1]
	v_cmp_eq_f32_e32 vcc, s11, v27
	v_add_f32_e32 v9, v33, v9
	v_add_f32_e32 v8, v8, v9
	;; [unrolled: 1-line block ×3, first 2 shown]
	v_mul_f32_e32 v33, v32, v9
	v_mul_f32_e32 v10, v29, v33
	v_fma_f32 v12, v33, v29, -v10
	v_fmac_f32_e32 v12, v33, v31
	v_sub_f32_e32 v11, v11, v9
	v_add_f32_e32 v29, v8, v11
	v_add_f32_e32 v8, v10, v12
	v_sub_f32_e32 v11, v9, v8
	v_pk_add_f32 v[14:15], v[8:9], v[10:11] neg_lo:[0,1] neg_hi:[0,1]
	v_mov_b32_e32 v13, v8
	v_pk_add_f32 v[8:9], v[14:15], v[12:13] neg_lo:[0,1] neg_hi:[0,1]
	s_or_b64 vcc, s[60:61], vcc
	v_add_f32_e32 v9, v29, v9
	v_add_f32_e32 v8, v8, v9
	;; [unrolled: 1-line block ×4, first 2 shown]
	v_sub_f32_e32 v10, v9, v34
	v_mul_f32_e32 v8, v32, v8
	v_sub_f32_e32 v10, v33, v10
	v_add_f32_e32 v10, v10, v8
	v_add_f32_e32 v12, v9, v10
	v_mul_f32_e32 v13, v12, v12
	v_fmamk_f32 v8, v13, 0x3e9b6dac, v141
	v_fmaak_f32 v29, v13, v8, 0x3f2aaada
	v_cvt_f32_i32_e32 v8, v30
	v_sub_f32_e32 v9, v12, v9
	v_sub_f32_e32 v9, v10, v9
	v_ldexp_f32 v14, v9, 1
	v_mul_f32_e32 v9, v12, v13
	v_ldexp_f32 v11, v12, 1
	v_pk_mul_f32 v[12:13], v[8:9], v[28:29]
	s_nop 0
	v_fma_f32 v10, v8, s13, -v12
	v_fmac_f32_e32 v10, 0xb102e308, v8
	v_pk_add_f32 v[8:9], v[12:13], v[10:11]
	s_nop 0
	v_sub_f32_e32 v11, v9, v11
	v_sub_f32_e32 v11, v13, v11
	v_add_f32_e32 v15, v14, v11
	v_mov_b32_e32 v14, v12
	v_pk_add_f32 v[12:13], v[8:9], v[12:13] neg_lo:[0,1] neg_hi:[0,1]
	v_pk_add_f32 v[30:31], v[8:9], v[14:15]
	v_mov_b32_e32 v11, v8
	v_mov_b32_e32 v13, v31
	v_pk_add_f32 v[32:33], v[10:11], v[12:13] neg_lo:[0,1] neg_hi:[0,1]
	v_pk_add_f32 v[10:11], v[10:11], v[12:13]
	v_mov_b32_e32 v14, v15
	v_mov_b32_e32 v12, v11
	v_pk_add_f32 v[34:35], v[12:13], v[8:9] neg_lo:[0,1] neg_hi:[0,1]
	v_mov_b32_e32 v10, v31
	v_mov_b32_e32 v13, v34
	v_pk_add_f32 v[36:37], v[30:31], v[12:13] neg_lo:[0,1] neg_hi:[0,1]
	v_mov_b32_e32 v30, v9
	v_mov_b32_e32 v31, v34
	v_mov_b32_e32 v33, v11
	v_pk_add_f32 v[10:11], v[10:11], v[30:31] neg_lo:[0,1] neg_hi:[0,1]
	v_mov_b32_e32 v15, v8
	v_pk_add_f32 v[8:9], v[14:15], v[10:11] neg_lo:[0,1] neg_hi:[0,1]
	v_mov_b32_e32 v36, v32
	v_pk_add_f32 v[10:11], v[36:37], v[8:9]
	s_nop 0
	v_mov_b32_e32 v14, v11
	v_pk_add_f32 v[14:15], v[10:11], v[14:15]
	s_nop 0
	v_pk_add_f32 v[12:13], v[12:13], v[14:15]
	v_mov_b32_e32 v9, v14
	v_mov_b32_e32 v11, v12
	v_pk_add_f32 v[30:31], v[10:11], v[32:33] neg_lo:[0,1] neg_hi:[0,1]
	s_nop 0
	v_sub_f32_e32 v10, v10, v30
	v_pk_add_f32 v[8:9], v[8:9], v[30:31] neg_lo:[0,1] neg_hi:[0,1]
	v_sub_f32_e32 v10, v32, v10
	v_add_f32_e32 v8, v8, v10
	v_add_f32_e32 v8, v8, v9
	;; [unrolled: 1-line block ×3, first 2 shown]
	v_cndmask_b32_e32 v47, v8, v27, vcc
.LBB28_107:                             ;   in Loop: Header=BB28_13 Depth=1
	s_or_b64 exec, exec, s[4:5]
	v_lshlrev_b32_e32 v8, 16, v7
	v_readlane_b32 s2, v166, 3
	v_and_b32_e32 v15, 0xffff0000, v7
	v_and_b32_e32 v7, 0xffff0000, v6
	v_lshlrev_b32_e32 v6, 16, v6
	v_and_b32_e32 v9, 0xffff0000, v5
	v_lshlrev_b32_e32 v5, 16, v5
	;; [unrolled: 2-line block ×7, first 2 shown]
	v_mul_f32_e32 v30, s2, v8
	v_mul_f32_e32 v33, s2, v7
	;; [unrolled: 1-line block ×16, first 2 shown]
	v_readlane_b32 s2, v166, 26
	v_readlane_b32 s3, v166, 27
	s_and_b64 vcc, exec, s[2:3]
	s_barrier
	s_cbranch_vccz .LBB28_204
; %bb.108:                              ;   in Loop: Header=BB28_13 Depth=1
	v_readlane_b32 s2, v166, 9
	v_readlane_b32 s3, v166, 10
	v_mul_f32_e32 v132, v146, v0
	v_cmp_gt_u32_e32 vcc, s88, v19
	v_lshl_add_u64 v[48:49], s[2:3], 0, v[16:17]
	v_readlane_b32 s2, v166, 19
	v_readlane_b32 s3, v166, 20
	v_or_b32_e32 v0, 1, v19
	v_mov_b32_e32 v27, v17
	v_lshl_add_u64 v[50:51], s[2:3], 0, v[16:17]
	v_readlane_b32 s3, v166, 60
	s_cmp_lg_u32 s3, 0
	v_readlane_b32 s2, v166, 30
	s_cselect_b64 s[94:95], -1, 0
	s_cmp_eq_u32 s3, s2
	v_readlane_b32 s2, v166, 51
	v_readlane_b32 s3, v166, 52
	s_cselect_b64 s[96:97], -1, 0
	s_or_b64 s[60:61], s[2:3], vcc
	v_cmp_gt_u32_e32 vcc, s88, v0
	v_or_b32_e32 v0, 2, v19
	s_or_b64 s[62:63], s[2:3], vcc
	v_cmp_gt_u32_e32 vcc, s88, v0
	v_or_b32_e32 v0, 3, v19
	;; [unrolled: 3-line block ×14, first 2 shown]
	s_mov_b32 s6, 0
	v_cmp_gt_u32_e64 s[88:89], s88, v0
	v_mul_f32_e32 v29, v47, v15
	v_lshl_add_u64 v[48:49], v[48:49], 0, v[26:27]
	v_lshl_add_u64 v[50:51], v[50:51], 0, v[26:27]
	v_mul_f32_e32 v16, v46, v8
	v_mul_f32_e32 v27, v159, v7
	v_mul_f32_e32 v160, v158, v6
	v_mul_f32_e32 v161, v157, v9
	v_mul_f32_e32 v162, v156, v5
	v_mul_f32_e32 v163, v155, v10
	v_mul_f32_e32 v164, v154, v4
	v_mul_f32_e32 v165, v153, v11
	v_mul_f32_e32 v126, v152, v3
	v_mul_f32_e32 v127, v151, v12
	v_mul_f32_e32 v128, v150, v2
	v_mul_f32_e32 v129, v149, v13
	v_mul_f32_e32 v130, v148, v1
	v_mul_f32_e32 v131, v147, v14
	s_or_b64 s[88:89], s[2:3], s[88:89]
	s_or_b64 s[90:91], s[2:3], vcc
	s_mov_b32 s92, s6
	s_mov_b32 s98, s6
	;; [unrolled: 1-line block ×3, first 2 shown]
	v_readlane_b32 s8, v166, 25
	v_readlane_b32 s9, v166, 59
	s_branch .LBB28_110
.LBB28_109:                             ;   in Loop: Header=BB28_110 Depth=2
	s_or_b64 exec, exec, s[2:3]
	v_cndmask_b32_e64 v8, v8, v73, s[24:25]
	v_cndmask_b32_e64 v53, v64, v72, s[24:25]
	v_mul_f32_e32 v53, v53, v134
	v_fma_f32 v8, v8, v134, v133
	v_cndmask_b32_e64 v8, v8, v133, s[22:23]
	v_cndmask_b32_e64 v53, v53, v134, s[22:23]
	s_waitcnt lgkmcnt(0)
	v_fmac_f32_e32 v8, v52, v53
	v_fmac_f32_e32 v9, v8, v135
	;; [unrolled: 1-line block ×12, first 2 shown]
	v_readlane_b32 s12, v166, 31
	v_fmac_f32_e32 v58, v61, v66
	v_readlane_b32 s13, v166, 32
	v_readlane_b32 s14, v166, 33
	;; [unrolled: 1-line block ×7, first 2 shown]
	v_fmac_f32_e32 v59, v58, v62
	s_add_i32 s98, s98, s12
	v_readlane_b32 s12, v166, 11
	v_fmac_f32_e32 v63, v59, v68
	v_readlane_b32 s2, v166, 4
	v_readlane_b32 s13, v166, 12
	;; [unrolled: 1-line block ×3, first 2 shown]
	v_fmac_f32_e32 v65, v63, v69
	v_and_b32_e32 v53, 0xffff0000, v4
	v_and_b32_e32 v55, 0xffff0000, v5
	v_lshlrev_b32_e32 v52, 16, v4
	v_lshlrev_b32_e32 v54, 16, v5
	v_and_b32_e32 v5, 0xffff0000, v6
	v_and_b32_e32 v67, 0xffff0000, v7
	v_lshlrev_b32_e32 v4, 16, v6
	v_lshlrev_b32_e32 v66, 16, v7
	;; [unrolled: 4-line block ×4, first 2 shown]
	v_mov_b32_e32 v64, v63
	s_add_i32 s9, s9, 8
	s_add_i32 s8, s8, -1
	s_add_i32 s4, s4, s2
	s_add_i32 s92, s92, s16
	;; [unrolled: 1-line block ×3, first 2 shown]
	v_pk_fma_f32 v[42:43], v[10:11], v[54:55], v[42:43]
	v_pk_fma_f32 v[44:45], v[8:9], v[52:53], v[44:45]
	;; [unrolled: 1-line block ×7, first 2 shown]
	s_cmp_eq_u32 s8, 0
	v_pk_fma_f32 v[32:33], v[58:59], v[0:1], v[32:33]
	v_readlane_b32 s14, v166, 13
	v_readlane_b32 s15, v166, 14
	;; [unrolled: 1-line block ×5, first 2 shown]
	s_cbranch_scc1 .LBB28_203
.LBB28_110:                             ;   Parent Loop BB28_13 Depth=1
                                        ; =>  This Inner Loop Header: Depth=2
	s_lshl_b64 s[2:3], s[6:7], 2
	v_readlane_b32 s5, v166, 7
	s_add_u32 s2, s5, s2
	v_readlane_b32 s5, v166, 8
	s_addc_u32 s3, s5, s3
	global_load_dword v52, v17, s[2:3]
	s_mov_b32 s93, s7
	v_lshl_add_u64 v[0:1], s[92:93], 1, v[48:49]
	v_mov_b32_e32 v2, 0
	v_mov_b32_e32 v3, 0
	s_and_saveexec_b64 s[2:3], s[26:27]
	s_cbranch_execz .LBB28_112
; %bb.111:                              ;   in Loop: Header=BB28_110 Depth=2
	global_load_ushort v3, v[0:1], off
.LBB28_112:                             ;   in Loop: Header=BB28_110 Depth=2
	s_or_b64 exec, exec, s[2:3]
	s_and_saveexec_b64 s[2:3], s[28:29]
	s_cbranch_execz .LBB28_114
; %bb.113:                              ;   in Loop: Header=BB28_110 Depth=2
	global_load_ushort v2, v[0:1], off offset:128
.LBB28_114:                             ;   in Loop: Header=BB28_110 Depth=2
	s_or_b64 exec, exec, s[2:3]
	v_mov_b32_e32 v4, 0
	v_mov_b32_e32 v5, 0
	s_and_saveexec_b64 s[2:3], s[30:31]
	s_cbranch_execz .LBB28_116
; %bb.115:                              ;   in Loop: Header=BB28_110 Depth=2
	global_load_ushort v5, v[0:1], off offset:256
.LBB28_116:                             ;   in Loop: Header=BB28_110 Depth=2
	s_or_b64 exec, exec, s[2:3]
	s_and_saveexec_b64 s[2:3], s[34:35]
	s_cbranch_execz .LBB28_118
; %bb.117:                              ;   in Loop: Header=BB28_110 Depth=2
	global_load_ushort v4, v[0:1], off offset:384
.LBB28_118:                             ;   in Loop: Header=BB28_110 Depth=2
	s_or_b64 exec, exec, s[2:3]
	v_mov_b32_e32 v6, 0
	v_mov_b32_e32 v7, 0
	s_and_saveexec_b64 s[2:3], s[36:37]
	s_cbranch_execz .LBB28_120
; %bb.119:                              ;   in Loop: Header=BB28_110 Depth=2
	global_load_ushort v7, v[0:1], off offset:512
.LBB28_120:                             ;   in Loop: Header=BB28_110 Depth=2
	s_or_b64 exec, exec, s[2:3]
	s_and_saveexec_b64 s[2:3], s[38:39]
	s_cbranch_execz .LBB28_122
; %bb.121:                              ;   in Loop: Header=BB28_110 Depth=2
	global_load_ushort v6, v[0:1], off offset:640
.LBB28_122:                             ;   in Loop: Header=BB28_110 Depth=2
	s_or_b64 exec, exec, s[2:3]
	v_mov_b32_e32 v8, 0
	v_mov_b32_e32 v9, 0
	s_and_saveexec_b64 s[2:3], s[40:41]
	s_cbranch_execz .LBB28_124
; %bb.123:                              ;   in Loop: Header=BB28_110 Depth=2
	global_load_ushort v9, v[0:1], off offset:768
.LBB28_124:                             ;   in Loop: Header=BB28_110 Depth=2
	s_or_b64 exec, exec, s[2:3]
	s_and_saveexec_b64 s[2:3], s[42:43]
	s_cbranch_execz .LBB28_126
; %bb.125:                              ;   in Loop: Header=BB28_110 Depth=2
	global_load_ushort v8, v[0:1], off offset:896
.LBB28_126:                             ;   in Loop: Header=BB28_110 Depth=2
	s_or_b64 exec, exec, s[2:3]
	v_mov_b32_e32 v10, 0
	v_mov_b32_e32 v11, 0
	s_and_saveexec_b64 s[2:3], s[44:45]
	s_cbranch_execz .LBB28_128
; %bb.127:                              ;   in Loop: Header=BB28_110 Depth=2
	global_load_ushort v11, v[0:1], off offset:1024
.LBB28_128:                             ;   in Loop: Header=BB28_110 Depth=2
	s_or_b64 exec, exec, s[2:3]
	s_and_saveexec_b64 s[2:3], s[46:47]
	s_cbranch_execz .LBB28_130
; %bb.129:                              ;   in Loop: Header=BB28_110 Depth=2
	global_load_ushort v10, v[0:1], off offset:1152
.LBB28_130:                             ;   in Loop: Header=BB28_110 Depth=2
	s_or_b64 exec, exec, s[2:3]
	v_mov_b32_e32 v12, 0
	v_mov_b32_e32 v13, 0
	s_and_saveexec_b64 s[2:3], s[48:49]
	s_cbranch_execz .LBB28_132
; %bb.131:                              ;   in Loop: Header=BB28_110 Depth=2
	global_load_ushort v13, v[0:1], off offset:1280
.LBB28_132:                             ;   in Loop: Header=BB28_110 Depth=2
	s_or_b64 exec, exec, s[2:3]
	s_and_saveexec_b64 s[2:3], s[50:51]
	s_cbranch_execz .LBB28_134
; %bb.133:                              ;   in Loop: Header=BB28_110 Depth=2
	global_load_ushort v12, v[0:1], off offset:1408
.LBB28_134:                             ;   in Loop: Header=BB28_110 Depth=2
	s_or_b64 exec, exec, s[2:3]
	v_mov_b32_e32 v14, 0
	v_mov_b32_e32 v15, 0
	s_and_saveexec_b64 s[2:3], s[52:53]
	s_cbranch_execz .LBB28_136
; %bb.135:                              ;   in Loop: Header=BB28_110 Depth=2
	global_load_ushort v15, v[0:1], off offset:1536
.LBB28_136:                             ;   in Loop: Header=BB28_110 Depth=2
	s_or_b64 exec, exec, s[2:3]
	s_and_saveexec_b64 s[2:3], s[54:55]
	s_cbranch_execz .LBB28_138
; %bb.137:                              ;   in Loop: Header=BB28_110 Depth=2
	global_load_ushort v14, v[0:1], off offset:1664
.LBB28_138:                             ;   in Loop: Header=BB28_110 Depth=2
	s_or_b64 exec, exec, s[2:3]
	v_mov_b32_e32 v53, 0
	v_mov_b32_e32 v54, 0
	s_and_saveexec_b64 s[2:3], s[56:57]
	s_cbranch_execz .LBB28_140
; %bb.139:                              ;   in Loop: Header=BB28_110 Depth=2
	global_load_ushort v54, v[0:1], off offset:1792
.LBB28_140:                             ;   in Loop: Header=BB28_110 Depth=2
	s_or_b64 exec, exec, s[2:3]
	s_and_saveexec_b64 s[2:3], s[58:59]
	s_cbranch_execz .LBB28_142
; %bb.141:                              ;   in Loop: Header=BB28_110 Depth=2
	global_load_ushort v53, v[0:1], off offset:1920
.LBB28_142:                             ;   in Loop: Header=BB28_110 Depth=2
	s_or_b64 exec, exec, s[2:3]
	s_waitcnt vmcnt(0)
	ds_write_b16 v90, v3
	ds_write_b16 v91, v2 offset:128
	ds_write_b16 v92, v5 offset:256
	;; [unrolled: 1-line block ×15, first 2 shown]
	; wave barrier
	ds_read_b128 v[12:15], v121
	ds_read_b128 v[8:11], v121 offset:16
	s_mov_b32 s99, s7
	v_lshl_add_u64 v[0:1], s[98:99], 1, v[50:51]
	v_mov_b32_e32 v2, 0
	v_mov_b32_e32 v3, 0
	s_and_saveexec_b64 s[2:3], s[26:27]
	s_cbranch_execz .LBB28_144
; %bb.143:                              ;   in Loop: Header=BB28_110 Depth=2
	global_load_ushort v3, v[0:1], off
.LBB28_144:                             ;   in Loop: Header=BB28_110 Depth=2
	s_or_b64 exec, exec, s[2:3]
	s_and_saveexec_b64 s[2:3], s[28:29]
	s_cbranch_execz .LBB28_146
; %bb.145:                              ;   in Loop: Header=BB28_110 Depth=2
	global_load_ushort v2, v[0:1], off offset:128
.LBB28_146:                             ;   in Loop: Header=BB28_110 Depth=2
	s_or_b64 exec, exec, s[2:3]
	v_mov_b32_e32 v4, 0
	v_mov_b32_e32 v5, 0
	s_and_saveexec_b64 s[2:3], s[30:31]
	s_cbranch_execz .LBB28_148
; %bb.147:                              ;   in Loop: Header=BB28_110 Depth=2
	global_load_ushort v5, v[0:1], off offset:256
.LBB28_148:                             ;   in Loop: Header=BB28_110 Depth=2
	s_or_b64 exec, exec, s[2:3]
	s_and_saveexec_b64 s[2:3], s[34:35]
	s_cbranch_execz .LBB28_150
; %bb.149:                              ;   in Loop: Header=BB28_110 Depth=2
	global_load_ushort v4, v[0:1], off offset:384
.LBB28_150:                             ;   in Loop: Header=BB28_110 Depth=2
	s_or_b64 exec, exec, s[2:3]
	v_mov_b32_e32 v6, 0
	v_mov_b32_e32 v7, 0
	s_and_saveexec_b64 s[2:3], s[36:37]
	s_cbranch_execz .LBB28_152
; %bb.151:                              ;   in Loop: Header=BB28_110 Depth=2
	global_load_ushort v7, v[0:1], off offset:512
.LBB28_152:                             ;   in Loop: Header=BB28_110 Depth=2
	s_or_b64 exec, exec, s[2:3]
	s_and_saveexec_b64 s[2:3], s[38:39]
	s_cbranch_execz .LBB28_154
; %bb.153:                              ;   in Loop: Header=BB28_110 Depth=2
	global_load_ushort v6, v[0:1], off offset:640
.LBB28_154:                             ;   in Loop: Header=BB28_110 Depth=2
	s_or_b64 exec, exec, s[2:3]
	v_mov_b32_e32 v53, 0
	v_mov_b32_e32 v54, 0
	s_and_saveexec_b64 s[2:3], s[40:41]
	s_cbranch_execz .LBB28_156
; %bb.155:                              ;   in Loop: Header=BB28_110 Depth=2
	global_load_ushort v54, v[0:1], off offset:768
.LBB28_156:                             ;   in Loop: Header=BB28_110 Depth=2
	s_or_b64 exec, exec, s[2:3]
	s_and_saveexec_b64 s[2:3], s[42:43]
	s_cbranch_execz .LBB28_158
; %bb.157:                              ;   in Loop: Header=BB28_110 Depth=2
	global_load_ushort v53, v[0:1], off offset:896
.LBB28_158:                             ;   in Loop: Header=BB28_110 Depth=2
	s_or_b64 exec, exec, s[2:3]
	v_mov_b32_e32 v55, 0
	v_mov_b32_e32 v56, 0
	s_and_saveexec_b64 s[2:3], s[44:45]
	s_cbranch_execz .LBB28_160
; %bb.159:                              ;   in Loop: Header=BB28_110 Depth=2
	global_load_ushort v56, v[0:1], off offset:1024
.LBB28_160:                             ;   in Loop: Header=BB28_110 Depth=2
	s_or_b64 exec, exec, s[2:3]
	s_and_saveexec_b64 s[2:3], s[46:47]
	s_cbranch_execz .LBB28_162
; %bb.161:                              ;   in Loop: Header=BB28_110 Depth=2
	global_load_ushort v55, v[0:1], off offset:1152
.LBB28_162:                             ;   in Loop: Header=BB28_110 Depth=2
	s_or_b64 exec, exec, s[2:3]
	v_mov_b32_e32 v57, 0
	v_mov_b32_e32 v58, 0
	s_and_saveexec_b64 s[2:3], s[48:49]
	s_cbranch_execz .LBB28_164
; %bb.163:                              ;   in Loop: Header=BB28_110 Depth=2
	global_load_ushort v58, v[0:1], off offset:1280
.LBB28_164:                             ;   in Loop: Header=BB28_110 Depth=2
	s_or_b64 exec, exec, s[2:3]
	s_and_saveexec_b64 s[2:3], s[50:51]
	s_cbranch_execz .LBB28_166
; %bb.165:                              ;   in Loop: Header=BB28_110 Depth=2
	global_load_ushort v57, v[0:1], off offset:1408
.LBB28_166:                             ;   in Loop: Header=BB28_110 Depth=2
	s_or_b64 exec, exec, s[2:3]
	v_mov_b32_e32 v59, 0
	v_mov_b32_e32 v60, 0
	s_and_saveexec_b64 s[2:3], s[52:53]
	s_cbranch_execz .LBB28_168
; %bb.167:                              ;   in Loop: Header=BB28_110 Depth=2
	global_load_ushort v60, v[0:1], off offset:1536
.LBB28_168:                             ;   in Loop: Header=BB28_110 Depth=2
	s_or_b64 exec, exec, s[2:3]
	s_and_saveexec_b64 s[2:3], s[54:55]
	s_cbranch_execz .LBB28_170
; %bb.169:                              ;   in Loop: Header=BB28_110 Depth=2
	global_load_ushort v59, v[0:1], off offset:1664
.LBB28_170:                             ;   in Loop: Header=BB28_110 Depth=2
	s_or_b64 exec, exec, s[2:3]
	v_mov_b32_e32 v61, 0
	v_mov_b32_e32 v62, 0
	s_and_saveexec_b64 s[2:3], s[56:57]
	s_cbranch_execz .LBB28_172
; %bb.171:                              ;   in Loop: Header=BB28_110 Depth=2
	global_load_ushort v62, v[0:1], off offset:1792
.LBB28_172:                             ;   in Loop: Header=BB28_110 Depth=2
	s_or_b64 exec, exec, s[2:3]
	s_and_saveexec_b64 s[2:3], s[58:59]
	s_cbranch_execz .LBB28_174
; %bb.173:                              ;   in Loop: Header=BB28_110 Depth=2
	global_load_ushort v61, v[0:1], off offset:1920
.LBB28_174:                             ;   in Loop: Header=BB28_110 Depth=2
	s_or_b64 exec, exec, s[2:3]
	s_waitcnt vmcnt(0)
	ds_write_b16 v90, v3 offset:4224
	ds_write_b16 v103, v2 offset:128
	;; [unrolled: 1-line block ×16, first 2 shown]
	; wave barrier
	ds_read_b128 v[4:7], v121 offset:4224
	ds_read_b128 v[0:3], v122 offset:16
	s_andn2_b64 vcc, exec, s[94:95]
	s_cbranch_vccnz .LBB28_176
; %bb.175:                              ;   in Loop: Header=BB28_110 Depth=2
	v_mov_b32_e32 v53, s9
	ds_read_b64 v[54:55], v53
	s_waitcnt lgkmcnt(0)
	v_mov_b32_e32 v53, v55
	s_cbranch_execz .LBB28_177
	s_branch .LBB28_180
.LBB28_176:                             ;   in Loop: Header=BB28_110 Depth=2
                                        ; implicit-def: $vgpr54
                                        ; implicit-def: $vgpr53
.LBB28_177:                             ;   in Loop: Header=BB28_110 Depth=2
	v_readlane_b32 s2, v166, 0
	v_readlane_b32 s3, v166, 1
	s_andn2_b64 vcc, exec, s[2:3]
	v_mov_b32_e32 v53, 0
	s_cbranch_vccnz .LBB28_179
; %bb.178:                              ;   in Loop: Header=BB28_110 Depth=2
	s_mov_b32 s5, s7
	s_lshl_b64 s[2:3], s[4:5], 1
	v_readlane_b32 s5, v166, 21
	s_add_u32 s2, s5, s2
	v_readlane_b32 s5, v166, 22
	s_addc_u32 s3, s5, s3
	global_load_ushort v53, v17, s[2:3]
	s_waitcnt vmcnt(0)
	v_lshlrev_b32_e32 v53, 16, v53
.LBB28_179:                             ;   in Loop: Header=BB28_110 Depth=2
	v_mov_b32_e32 v54, 1.0
.LBB28_180:                             ;   in Loop: Header=BB28_110 Depth=2
	s_waitcnt lgkmcnt(14)
	v_lshlrev_b32_e32 v60, 16, v8
	v_and_b32_e32 v61, 0xffff0000, v8
	v_mul_f32_e32 v8, 0x3fb8aa3b, v52
	v_lshlrev_b32_e32 v62, 16, v9
	v_and_b32_e32 v63, 0xffff0000, v9
	v_mul_f32_e32 v9, v8, v146
	v_cmp_gt_f32_e32 vcc, s33, v9
	v_lshlrev_b32_e32 v64, 16, v10
	v_and_b32_e32 v65, 0xffff0000, v10
	v_cndmask_b32_e32 v9, 0, v143, vcc
	v_fmac_f32_e32 v9, v8, v146
	v_exp_f32_e32 v9, v9
	v_cndmask_b32_e32 v10, 1.0, v144, vcc
	v_lshlrev_b32_e32 v56, 16, v12
	v_lshlrev_b32_e32 v67, 16, v11
	v_mul_f32_e32 v9, v9, v10
	v_cndmask_b32_e64 v134, 1.0, v9, s[60:61]
	v_mul_f32_e32 v9, v8, v147
	v_cmp_gt_f32_e32 vcc, s33, v9
	v_mul_f32_e32 v10, v132, v56
	v_cndmask_b32_e64 v133, 0, v10, s[60:61]
	v_cndmask_b32_e32 v9, 0, v143, vcc
	v_fmac_f32_e32 v9, v8, v147
	v_exp_f32_e32 v9, v9
	v_cndmask_b32_e32 v10, 1.0, v144, vcc
	v_and_b32_e32 v55, 0xffff0000, v11
	v_and_b32_e32 v12, 0xffff0000, v12
	v_mul_f32_e32 v10, v9, v10
	v_cndmask_b32_e64 v135, 1.0, v10, s[62:63]
	v_mul_f32_e32 v10, v8, v148
	v_cmp_gt_f32_e32 vcc, s33, v10
	v_mul_f32_e32 v9, v131, v12
	v_lshlrev_b32_e32 v57, 16, v13
	v_cndmask_b32_e32 v10, 0, v143, vcc
	v_fmac_f32_e32 v10, v8, v148
	v_exp_f32_e32 v10, v10
	v_cndmask_b32_e32 v11, 1.0, v144, vcc
	v_and_b32_e32 v13, 0xffff0000, v13
	v_lshlrev_b32_e32 v58, 16, v14
	v_mul_f32_e32 v11, v10, v11
	v_cndmask_b32_e64 v136, 1.0, v11, s[64:65]
	v_mul_f32_e32 v11, v8, v149
	v_cmp_gt_f32_e32 vcc, s33, v11
	v_and_b32_e32 v14, 0xffff0000, v14
	v_mul_f32_e32 v10, v130, v57
	v_cndmask_b32_e32 v11, 0, v143, vcc
	v_fmac_f32_e32 v11, v8, v149
	v_exp_f32_e32 v11, v11
	v_cndmask_b32_e32 v12, 1.0, v144, vcc
	v_lshlrev_b32_e32 v59, 16, v15
	v_cndmask_b32_e64 v9, 0, v9, s[62:63]
	v_mul_f32_e32 v12, v11, v12
	v_cndmask_b32_e64 v137, 1.0, v12, s[66:67]
	v_mul_f32_e32 v12, v8, v150
	v_cmp_gt_f32_e32 vcc, s33, v12
	v_mul_f32_e32 v11, v129, v13
	v_cndmask_b32_e64 v10, 0, v10, s[64:65]
	v_cndmask_b32_e32 v12, 0, v143, vcc
	v_fmac_f32_e32 v12, v8, v150
	v_exp_f32_e32 v12, v12
	v_cndmask_b32_e32 v13, 1.0, v144, vcc
	v_cndmask_b32_e64 v11, 0, v11, s[66:67]
	v_and_b32_e32 v15, 0xffff0000, v15
	v_mul_f32_e32 v13, v12, v13
	v_cndmask_b32_e64 v138, 1.0, v13, s[68:69]
	v_mul_f32_e32 v13, v8, v151
	v_cmp_gt_f32_e32 vcc, s33, v13
	v_mul_f32_e32 v12, v128, v58
	v_cndmask_b32_e64 v12, 0, v12, s[68:69]
	v_cndmask_b32_e32 v13, 0, v143, vcc
	v_fmac_f32_e32 v13, v8, v151
	v_exp_f32_e32 v13, v13
	v_cndmask_b32_e32 v52, 1.0, v144, vcc
	v_mul_f32_e32 v15, v165, v15
	v_cndmask_b32_e64 v15, 0, v15, s[74:75]
	v_mul_f32_e32 v52, v13, v52
	v_mul_f32_e32 v13, v127, v14
	;; [unrolled: 1-line block ×3, first 2 shown]
	v_cmp_gt_f32_e32 vcc, s33, v14
	v_cndmask_b32_e64 v139, 1.0, v52, s[70:71]
	v_cndmask_b32_e64 v13, 0, v13, s[70:71]
	v_cndmask_b32_e32 v14, 0, v143, vcc
	v_fmac_f32_e32 v14, v8, v152
	v_exp_f32_e32 v14, v14
	v_cndmask_b32_e32 v52, 1.0, v144, vcc
	v_mul_f32_e32 v55, v29, v55
	v_readlane_b32 s10, v166, 39
	v_mul_f32_e32 v52, v14, v52
	v_cndmask_b32_e64 v140, 1.0, v52, s[72:73]
	v_mul_f32_e32 v52, v8, v153
	v_cmp_gt_f32_e32 vcc, s33, v52
	v_mul_f32_e32 v14, v126, v59
	v_cndmask_b32_e64 v14, 0, v14, s[72:73]
	v_cndmask_b32_e32 v52, 0, v143, vcc
	v_fmac_f32_e32 v52, v8, v153
	v_exp_f32_e32 v52, v52
	v_cndmask_b32_e32 v56, 1.0, v144, vcc
	v_readlane_b32 s11, v166, 40
	v_mul_f32_e32 v52, v52, v56
	v_cndmask_b32_e64 v75, 1.0, v52, s[74:75]
	v_mul_f32_e32 v52, v8, v154
	v_cmp_gt_f32_e32 vcc, s33, v52
	s_nop 1
	v_cndmask_b32_e32 v52, 0, v143, vcc
	v_fmac_f32_e32 v52, v8, v154
	v_exp_f32_e32 v52, v52
	v_cndmask_b32_e32 v56, 1.0, v144, vcc
	v_mul_f32_e32 v52, v52, v56
	v_cndmask_b32_e64 v76, 1.0, v52, s[76:77]
	v_mul_f32_e32 v52, v8, v155
	v_cmp_gt_f32_e32 vcc, s33, v52
	v_mul_f32_e32 v56, v164, v60
	v_cndmask_b32_e64 v56, 0, v56, s[76:77]
	v_cndmask_b32_e32 v52, 0, v143, vcc
	v_fmac_f32_e32 v52, v8, v155
	v_exp_f32_e32 v52, v52
	v_cndmask_b32_e32 v57, 1.0, v144, vcc
	v_mul_f32_e32 v52, v52, v57
	v_cndmask_b32_e64 v77, 1.0, v52, s[78:79]
	v_mul_f32_e32 v52, v8, v156
	v_cmp_gt_f32_e32 vcc, s33, v52
	v_mul_f32_e32 v57, v163, v61
	v_cndmask_b32_e64 v57, 0, v57, s[78:79]
	;; [unrolled: 10-line block ×5, first 2 shown]
	v_cndmask_b32_e32 v52, 0, v143, vcc
	v_fmac_f32_e32 v52, v8, v159
	v_exp_f32_e32 v52, v52
	v_cndmask_b32_e32 v59, 1.0, v144, vcc
	v_mul_f32_e32 v52, v52, v59
	v_mul_f32_e32 v59, v27, v65
	v_pk_mul_f32 v[64:65], v[8:9], v[46:47] op_sel_hi:[0,1]
	v_mul_f32_e32 v8, v16, v67
	v_cmp_gt_f32_e32 vcc, s33, v64
	v_cndmask_b32_e64 v63, 0, v8, s[90:91]
	v_cndmask_b32_e64 v62, 1.0, v52, s[86:87]
	v_cndmask_b32_e32 v8, 0, v143, vcc
	v_add_f32_e32 v8, v64, v8
	v_exp_f32_e32 v8, v8
	v_cndmask_b32_e32 v52, 1.0, v144, vcc
	v_cmp_gt_f32_e32 vcc, s33, v65
	v_cndmask_b32_e64 v59, 0, v59, s[86:87]
	v_mul_f32_e32 v8, v8, v52
	v_cndmask_b32_e32 v52, 0, v143, vcc
	v_add_f32_e32 v52, v65, v52
	v_exp_f32_e32 v52, v52
	v_cndmask_b32_e32 v64, 1.0, v144, vcc
	v_cndmask_b32_e64 v68, 1.0, v8, s[90:91]
	v_mul_f32_e32 v8, v135, v134
	v_mul_f32_e32 v52, v52, v64
	v_cndmask_b32_e64 v69, 1.0, v52, s[88:89]
	v_fma_f32 v52, v135, v133, v9
	v_mul_f32_e32 v8, v8, v136
	v_fma_f32 v52, v52, v136, v10
	v_mul_f32_e32 v8, v8, v137
	;; [unrolled: 2-line block ×10, first 2 shown]
	v_fma_f32 v8, v52, v79, v61
	v_fma_f32 v8, v8, v66, v58
	;; [unrolled: 1-line block ×3, first 2 shown]
	v_mov_b32_e32 v67, v68
	v_pk_mul_f32 v[80:81], v[70:71], v[66:67]
	v_pk_fma_f32 v[70:71], v[70:71], v[66:67], v[62:63]
	v_pk_mul_f32 v[80:81], v[80:81], v[62:63]
	v_cndmask_b32_e64 v65, 0, v55, s[88:89]
	v_mov_b32_e32 v81, v71
	v_mov_b32_e32 v72, v69
	;; [unrolled: 1-line block ×3, first 2 shown]
	v_pk_mul_f32 v[70:71], v[80:81], v[68:69]
	v_mov_b32_e32 v64, v69
	v_pk_mul_f32 v[72:73], v[70:71], v[72:73]
	v_pk_fma_f32 v[70:71], v[80:81], v[68:69], v[64:65]
	s_nop 0
	v_mov_b32_dpp v8, v72 row_shr:1 row_mask:0xf bank_mask:0xf
	v_mov_b32_dpp v52, v71 row_shr:1 row_mask:0xf bank_mask:0xf
	v_mul_f32_e32 v55, v72, v8
	v_fma_f32 v52, v72, v52, v71
	v_cndmask_b32_e64 v70, v55, v72, s[0:1]
	v_cndmask_b32_e64 v73, v52, v71, s[0:1]
	;; [unrolled: 1-line block ×4, first 2 shown]
	v_mov_b32_dpp v55, v73 row_shr:2 row_mask:0xf bank_mask:0xf
	v_mov_b32_dpp v52, v72 row_shr:2 row_mask:0xf bank_mask:0xf
	s_and_saveexec_b64 s[2:3], s[10:11]
; %bb.181:                              ;   in Loop: Header=BB28_110 Depth=2
	v_fmac_f32_e32 v73, v72, v55
	v_mul_f32_e32 v72, v72, v52
	v_mov_b32_e32 v70, v72
	v_mov_b32_e32 v8, v73
; %bb.182:                              ;   in Loop: Header=BB28_110 Depth=2
	s_or_b64 exec, exec, s[2:3]
	v_readlane_b32 s10, v166, 41
	v_mov_b32_dpp v52, v72 row_shr:4 row_mask:0xf bank_mask:0xf
	v_mov_b32_dpp v55, v73 row_shr:4 row_mask:0xf bank_mask:0xf
	v_readlane_b32 s11, v166, 42
	s_and_saveexec_b64 s[2:3], s[10:11]
; %bb.183:                              ;   in Loop: Header=BB28_110 Depth=2
	v_fmac_f32_e32 v73, v72, v55
	v_mul_f32_e32 v72, v72, v52
	v_mov_b32_e32 v70, v72
	v_mov_b32_e32 v8, v73
; %bb.184:                              ;   in Loop: Header=BB28_110 Depth=2
	s_or_b64 exec, exec, s[2:3]
	v_readlane_b32 s10, v166, 43
	v_mov_b32_dpp v52, v72 row_shr:8 row_mask:0xf bank_mask:0xf
	v_mov_b32_dpp v55, v73 row_shr:8 row_mask:0xf bank_mask:0xf
	v_readlane_b32 s11, v166, 44
	s_and_saveexec_b64 s[2:3], s[10:11]
; %bb.185:                              ;   in Loop: Header=BB28_110 Depth=2
	v_fmac_f32_e32 v73, v72, v55
	v_mul_f32_e32 v72, v72, v52
	v_mov_b32_e32 v70, v72
	v_mov_b32_e32 v8, v73
; %bb.186:                              ;   in Loop: Header=BB28_110 Depth=2
	s_or_b64 exec, exec, s[2:3]
	v_readlane_b32 s10, v166, 45
	v_mov_b32_dpp v52, v72 row_bcast:15 row_mask:0xf bank_mask:0xf
	v_mov_b32_dpp v55, v73 row_bcast:15 row_mask:0xf bank_mask:0xf
	v_readlane_b32 s11, v166, 46
	s_and_saveexec_b64 s[2:3], s[10:11]
; %bb.187:                              ;   in Loop: Header=BB28_110 Depth=2
	v_fmac_f32_e32 v73, v72, v55
	v_mul_f32_e32 v72, v72, v52
	v_mov_b32_e32 v70, v72
	v_mov_b32_e32 v8, v73
; %bb.188:                              ;   in Loop: Header=BB28_110 Depth=2
	s_or_b64 exec, exec, s[2:3]
	v_readlane_b32 s10, v166, 53
	v_mov_b32_dpp v55, v72 row_bcast:31 row_mask:0xf bank_mask:0xf
	v_mov_b32_dpp v52, v73 row_bcast:31 row_mask:0xf bank_mask:0xf
	v_readlane_b32 s11, v166, 54
	s_and_saveexec_b64 s[2:3], s[10:11]
; %bb.189:                              ;   in Loop: Header=BB28_110 Depth=2
	v_fmac_f32_e32 v73, v72, v52
	v_mul_f32_e32 v70, v72, v55
	v_mov_b32_e32 v71, v73
	v_mov_b32_e32 v8, v73
	v_mov_b64_e32 v[72:73], v[70:71]
; %bb.190:                              ;   in Loop: Header=BB28_110 Depth=2
	s_or_b64 exec, exec, s[2:3]
	v_readlane_b32 s10, v166, 47
	v_readlane_b32 s11, v166, 48
	s_and_saveexec_b64 s[2:3], s[10:11]
	s_cbranch_execz .LBB28_192
; %bb.191:                              ;   in Loop: Header=BB28_110 Depth=2
	ds_write_b64 v123, v[72:73] offset:8448
.LBB28_192:                             ;   in Loop: Header=BB28_110 Depth=2
	s_or_b64 exec, exec, s[2:3]
	v_readlane_b32 s10, v166, 55
	v_readlane_b32 s11, v166, 56
	s_waitcnt lgkmcnt(0)
	s_barrier
	s_and_saveexec_b64 s[2:3], s[10:11]
	s_cbranch_execz .LBB28_194
; %bb.193:                              ;   in Loop: Header=BB28_110 Depth=2
	ds_read_b64 v[72:73], v124 offset:8448
	v_readlane_b32 s10, v166, 49
	v_readlane_b32 s11, v166, 50
	s_waitcnt lgkmcnt(0)
	v_mov_b32_dpp v52, v72 row_shr:1 row_mask:0xf bank_mask:0xf
	v_mov_b32_dpp v55, v73 row_shr:1 row_mask:0xf bank_mask:0xf
	v_fma_f32 v55, v72, v55, v73
	v_mul_f32_e32 v52, v72, v52
	v_cndmask_b32_e64 v72, v52, v72, s[10:11]
	v_cndmask_b32_e64 v73, v55, v73, s[10:11]
	ds_write_b64 v124, v[72:73] offset:8448
.LBB28_194:                             ;   in Loop: Header=BB28_110 Depth=2
	s_or_b64 exec, exec, s[2:3]
	s_waitcnt lgkmcnt(0)
	s_barrier
	s_waitcnt lgkmcnt(0)
                                        ; implicit-def: $vgpr72
	s_and_saveexec_b64 s[2:3], s[20:21]
	s_cbranch_execz .LBB28_196
; %bb.195:                              ;   in Loop: Header=BB28_110 Depth=2
	ds_read_b64 v[72:73], v123 offset:8440
	s_waitcnt lgkmcnt(0)
	v_mul_f32_e32 v52, v70, v72
	v_fmac_f32_e32 v8, v70, v73
	v_mov_b32_e32 v70, v52
.LBB28_196:                             ;   in Loop: Header=BB28_110 Depth=2
	s_or_b64 exec, exec, s[2:3]
	ds_bpermute_b32 v64, v125, v70
	ds_bpermute_b32 v8, v125, v8
	v_readlane_b32 s10, v166, 57
	v_readlane_b32 s11, v166, 58
	s_and_saveexec_b64 s[2:3], s[10:11]
	s_cbranch_execz .LBB28_200
; %bb.197:                              ;   in Loop: Header=BB28_110 Depth=2
	ds_read_b64 v[70:71], v17 offset:8456
	s_and_saveexec_b64 vcc, s[22:23]
	s_cbranch_execz .LBB28_199
; %bb.198:                              ;   in Loop: Header=BB28_110 Depth=2
	v_mov_b32_e32 v55, v53
	ds_write_b64 v17, v[54:55] offset:8456
.LBB28_199:                             ;   in Loop: Header=BB28_110 Depth=2
	s_or_b64 exec, exec, vcc
	s_waitcnt lgkmcnt(0)
	v_mul_f32_e32 v55, v70, v53
	v_pk_add_f32 v[52:53], v[54:55], v[70:71]
	v_mul_f32_e32 v54, v54, v70
.LBB28_200:                             ;   in Loop: Header=BB28_110 Depth=2
	s_or_b64 exec, exec, s[2:3]
	s_waitcnt lgkmcnt(0)
	s_barrier
	ds_read_b32 v52, v17 offset:8460
	s_and_saveexec_b64 s[2:3], s[22:23]
	s_cbranch_execz .LBB28_109
; %bb.201:                              ;   in Loop: Header=BB28_110 Depth=2
	v_mov_b32_e32 v55, v53
	v_mov_b32_e32 v67, s9
	s_andn2_b64 vcc, exec, s[96:97]
	ds_write_b64 v67, v[54:55]
	s_cbranch_vccnz .LBB28_109
; %bb.202:                              ;   in Loop: Header=BB28_110 Depth=2
	v_bfe_u32 v54, v53, 16, 1
	s_movk_i32 s5, 0x7fff
	v_add3_u32 v54, v53, v54, s5
	s_mov_b32 s5, s7
	s_lshl_b64 s[10:11], s[4:5], 1
	v_readlane_b32 s5, v166, 21
	v_lshrrev_b32_e32 v54, 16, v54
	v_cmp_o_f32_e32 vcc, v53, v53
	s_add_u32 s10, s5, s10
	v_readlane_b32 s5, v166, 22
	v_cndmask_b32_e32 v53, v145, v54, vcc
	s_addc_u32 s11, s5, s11
	global_store_short v17, v53, s[10:11]
	s_branch .LBB28_109
.LBB28_203:                             ;   in Loop: Header=BB28_13 Depth=1
	s_mov_b32 s6, 0x41a00000
	s_mov_b32 s8, 0x3fb8aa3b
	;; [unrolled: 1-line block ×8, first 2 shown]
.LBB28_204:                             ;   in Loop: Header=BB28_13 Depth=1
	v_bfe_u32 v0, v44, 16, 1
	s_movk_i32 s2, 0x7fff
	v_bfe_u32 v1, v45, 16, 1
	v_add3_u32 v0, v44, v0, s2
	v_bfe_u32 v2, v42, 16, 1
	v_add3_u32 v1, v45, v1, s2
	v_lshrrev_b32_e32 v0, 16, v0
	v_cmp_o_f32_e32 vcc, v44, v44
	v_bfe_u32 v3, v43, 16, 1
	v_add3_u32 v2, v42, v2, s2
	v_lshrrev_b32_e32 v1, 16, v1
	v_cndmask_b32_e32 v0, v145, v0, vcc
	v_cmp_o_f32_e32 vcc, v45, v45
	v_add3_u32 v3, v43, v3, s2
	v_lshrrev_b32_e32 v2, 16, v2
	v_cndmask_b32_e32 v4, v145, v1, vcc
	v_cmp_o_f32_e32 vcc, v42, v42
	v_lshrrev_b32_e32 v3, 16, v3
	v_bfe_u32 v6, v38, 16, 1
	v_cndmask_b32_e32 v1, v145, v2, vcc
	v_cmp_o_f32_e32 vcc, v43, v43
	v_bfe_u32 v2, v40, 16, 1
	v_add3_u32 v2, v40, v2, s2
	v_cndmask_b32_e32 v5, v145, v3, vcc
	v_bfe_u32 v3, v41, 16, 1
	v_add3_u32 v3, v41, v3, s2
	v_lshrrev_b32_e32 v2, 16, v2
	v_cmp_o_f32_e32 vcc, v40, v40
	v_bfe_u32 v7, v39, 16, 1
	v_add3_u32 v6, v38, v6, s2
	v_lshrrev_b32_e32 v3, 16, v3
	v_cndmask_b32_e32 v2, v145, v2, vcc
	v_cmp_o_f32_e32 vcc, v41, v41
	v_add3_u32 v7, v39, v7, s2
	v_lshrrev_b32_e32 v6, 16, v6
	v_cndmask_b32_e32 v8, v145, v3, vcc
	v_cmp_o_f32_e32 vcc, v38, v38
	v_lshrrev_b32_e32 v7, 16, v7
	s_mov_b32 s3, 0x5040100
	v_cndmask_b32_e32 v3, v145, v6, vcc
	v_cmp_o_f32_e32 vcc, v39, v39
	v_perm_b32 v2, v8, v2, s3
	v_perm_b32 v1, v5, v1, s3
	v_cndmask_b32_e32 v6, v145, v7, vcc
	v_perm_b32 v3, v6, v3, s3
	v_perm_b32 v0, v4, v0, s3
	s_barrier
	ds_write_b128 v121, v[0:3]
	v_bfe_u32 v0, v36, 16, 1
	v_bfe_u32 v1, v37, 16, 1
	v_add3_u32 v0, v36, v0, s2
	v_bfe_u32 v2, v34, 16, 1
	v_add3_u32 v1, v37, v1, s2
	v_lshrrev_b32_e32 v0, 16, v0
	v_cmp_o_f32_e32 vcc, v36, v36
	v_bfe_u32 v3, v35, 16, 1
	v_add3_u32 v2, v34, v2, s2
	v_lshrrev_b32_e32 v1, 16, v1
	v_cndmask_b32_e32 v0, v145, v0, vcc
	v_cmp_o_f32_e32 vcc, v37, v37
	v_add3_u32 v3, v35, v3, s2
	v_lshrrev_b32_e32 v2, 16, v2
	v_cndmask_b32_e32 v4, v145, v1, vcc
	v_cmp_o_f32_e32 vcc, v34, v34
	v_lshrrev_b32_e32 v3, 16, v3
	v_bfe_u32 v6, v30, 16, 1
	v_cndmask_b32_e32 v1, v145, v2, vcc
	v_cmp_o_f32_e32 vcc, v35, v35
	v_bfe_u32 v2, v32, 16, 1
	v_add3_u32 v2, v32, v2, s2
	v_cndmask_b32_e32 v5, v145, v3, vcc
	v_bfe_u32 v3, v33, 16, 1
	v_add3_u32 v3, v33, v3, s2
	v_lshrrev_b32_e32 v2, 16, v2
	v_cmp_o_f32_e32 vcc, v32, v32
	v_bfe_u32 v7, v31, 16, 1
	v_add3_u32 v6, v30, v6, s2
	v_lshrrev_b32_e32 v3, 16, v3
	v_cndmask_b32_e32 v2, v145, v2, vcc
	v_cmp_o_f32_e32 vcc, v33, v33
	v_add3_u32 v7, v31, v7, s2
	v_lshrrev_b32_e32 v6, 16, v6
	v_cndmask_b32_e32 v8, v145, v3, vcc
	v_cmp_o_f32_e32 vcc, v30, v30
	v_lshrrev_b32_e32 v7, 16, v7
	v_perm_b32 v2, v8, v2, s3
	v_cndmask_b32_e32 v3, v145, v6, vcc
	v_cmp_o_f32_e32 vcc, v31, v31
	v_perm_b32 v1, v5, v1, s3
	v_perm_b32 v0, v4, v0, s3
	v_cndmask_b32_e32 v6, v145, v7, vcc
	v_perm_b32 v3, v6, v3, s3
	ds_write_b128 v121, v[0:3] offset:16
	; wave barrier
	ds_read_u16 v16, v91 offset:128
	ds_read_u16 v15, v92 offset:256
	;; [unrolled: 1-line block ×15, first 2 shown]
	v_readlane_b32 s2, v166, 61
	v_readlane_b32 s3, v166, 62
	s_mov_b32 s3, s7
	s_mov_b64 s[18:19], s[2:3]
	v_lshl_add_u64 v[0:1], s[2:3], 1, v[20:21]
	s_and_saveexec_b64 s[2:3], s[26:27]
	s_cbranch_execnz .LBB28_271
; %bb.205:                              ;   in Loop: Header=BB28_13 Depth=1
	s_or_b64 exec, exec, s[2:3]
	s_and_saveexec_b64 s[2:3], s[28:29]
	s_cbranch_execnz .LBB28_272
.LBB28_206:                             ;   in Loop: Header=BB28_13 Depth=1
	s_or_b64 exec, exec, s[2:3]
	s_and_saveexec_b64 s[2:3], s[30:31]
	s_cbranch_execnz .LBB28_273
.LBB28_207:                             ;   in Loop: Header=BB28_13 Depth=1
	s_or_b64 exec, exec, s[2:3]
	s_and_saveexec_b64 s[2:3], s[34:35]
	s_cbranch_execnz .LBB28_274
.LBB28_208:                             ;   in Loop: Header=BB28_13 Depth=1
	s_or_b64 exec, exec, s[2:3]
	s_and_saveexec_b64 s[2:3], s[36:37]
	s_cbranch_execnz .LBB28_275
.LBB28_209:                             ;   in Loop: Header=BB28_13 Depth=1
	s_or_b64 exec, exec, s[2:3]
	s_and_saveexec_b64 s[2:3], s[38:39]
	s_cbranch_execnz .LBB28_276
.LBB28_210:                             ;   in Loop: Header=BB28_13 Depth=1
	s_or_b64 exec, exec, s[2:3]
	s_and_saveexec_b64 s[2:3], s[40:41]
	s_cbranch_execnz .LBB28_277
.LBB28_211:                             ;   in Loop: Header=BB28_13 Depth=1
	s_or_b64 exec, exec, s[2:3]
	s_and_saveexec_b64 s[2:3], s[42:43]
	s_cbranch_execnz .LBB28_278
.LBB28_212:                             ;   in Loop: Header=BB28_13 Depth=1
	s_or_b64 exec, exec, s[2:3]
	s_and_saveexec_b64 s[2:3], s[44:45]
	s_cbranch_execnz .LBB28_279
.LBB28_213:                             ;   in Loop: Header=BB28_13 Depth=1
	s_or_b64 exec, exec, s[2:3]
	s_and_saveexec_b64 s[2:3], s[46:47]
	s_cbranch_execnz .LBB28_280
.LBB28_214:                             ;   in Loop: Header=BB28_13 Depth=1
	s_or_b64 exec, exec, s[2:3]
	s_and_saveexec_b64 s[2:3], s[48:49]
	s_cbranch_execnz .LBB28_281
.LBB28_215:                             ;   in Loop: Header=BB28_13 Depth=1
	s_or_b64 exec, exec, s[2:3]
	s_and_saveexec_b64 s[2:3], s[50:51]
	s_cbranch_execnz .LBB28_282
.LBB28_216:                             ;   in Loop: Header=BB28_13 Depth=1
	s_or_b64 exec, exec, s[2:3]
	s_and_saveexec_b64 s[2:3], s[52:53]
	s_cbranch_execnz .LBB28_283
.LBB28_217:                             ;   in Loop: Header=BB28_13 Depth=1
	s_or_b64 exec, exec, s[2:3]
	s_and_saveexec_b64 s[2:3], s[54:55]
	s_cbranch_execnz .LBB28_284
.LBB28_218:                             ;   in Loop: Header=BB28_13 Depth=1
	s_or_b64 exec, exec, s[2:3]
	s_and_saveexec_b64 s[2:3], s[56:57]
	s_cbranch_execnz .LBB28_285
.LBB28_219:                             ;   in Loop: Header=BB28_13 Depth=1
	s_or_b64 exec, exec, s[2:3]
	s_and_saveexec_b64 s[2:3], s[58:59]
	s_cbranch_execz .LBB28_221
.LBB28_220:                             ;   in Loop: Header=BB28_13 Depth=1
	s_waitcnt lgkmcnt(0)
	global_store_short v[0:1], v2, off offset:1920
.LBB28_221:                             ;   in Loop: Header=BB28_13 Depth=1
	s_or_b64 exec, exec, s[2:3]
	v_lshl_add_u64 v[0:1], s[18:19], 1, v[22:23]
	s_waitcnt lgkmcnt(0)
	v_mov_b32_e32 v2, 0
	v_mov_b32_e32 v3, 0
	s_barrier
	s_and_saveexec_b64 s[2:3], s[26:27]
	s_cbranch_execz .LBB28_223
; %bb.222:                              ;   in Loop: Header=BB28_13 Depth=1
	global_load_ushort v3, v[0:1], off
.LBB28_223:                             ;   in Loop: Header=BB28_13 Depth=1
	s_or_b64 exec, exec, s[2:3]
	s_and_saveexec_b64 s[2:3], s[28:29]
	s_cbranch_execz .LBB28_225
; %bb.224:                              ;   in Loop: Header=BB28_13 Depth=1
	global_load_ushort v2, v[0:1], off offset:128
.LBB28_225:                             ;   in Loop: Header=BB28_13 Depth=1
	s_or_b64 exec, exec, s[2:3]
	v_mov_b32_e32 v4, 0
	v_mov_b32_e32 v5, 0
	s_and_saveexec_b64 s[2:3], s[30:31]
	s_cbranch_execz .LBB28_227
; %bb.226:                              ;   in Loop: Header=BB28_13 Depth=1
	global_load_ushort v5, v[0:1], off offset:256
.LBB28_227:                             ;   in Loop: Header=BB28_13 Depth=1
	s_or_b64 exec, exec, s[2:3]
	s_and_saveexec_b64 s[2:3], s[34:35]
	s_cbranch_execz .LBB28_229
; %bb.228:                              ;   in Loop: Header=BB28_13 Depth=1
	global_load_ushort v4, v[0:1], off offset:384
.LBB28_229:                             ;   in Loop: Header=BB28_13 Depth=1
	s_or_b64 exec, exec, s[2:3]
	v_mov_b32_e32 v6, 0
	v_mov_b32_e32 v7, 0
	s_and_saveexec_b64 s[2:3], s[36:37]
	s_cbranch_execz .LBB28_231
; %bb.230:                              ;   in Loop: Header=BB28_13 Depth=1
	global_load_ushort v7, v[0:1], off offset:512
.LBB28_231:                             ;   in Loop: Header=BB28_13 Depth=1
	;; [unrolled: 14-line block ×7, first 2 shown]
	s_or_b64 exec, exec, s[2:3]
	s_and_saveexec_b64 s[2:3], s[58:59]
	s_cbranch_execz .LBB28_253
; %bb.252:                              ;   in Loop: Header=BB28_13 Depth=1
	global_load_ushort v16, v[0:1], off offset:1920
.LBB28_253:                             ;   in Loop: Header=BB28_13 Depth=1
	s_or_b64 exec, exec, s[2:3]
	s_waitcnt vmcnt(0)
	ds_write_b16 v90, v3
	ds_write_b16 v91, v2 offset:128
	ds_write_b16 v92, v5 offset:256
	;; [unrolled: 1-line block ×15, first 2 shown]
	; wave barrier
	ds_read_b128 v[4:7], v121
	ds_read_b128 v[0:3], v121 offset:16
	s_mov_b32 s5, 0xbfb8aa3b
	s_mov_b32 s14, 0x42ce8ed0
	;; [unrolled: 1-line block ×3, first 2 shown]
	s_waitcnt lgkmcnt(1)
	v_and_b32_e32 v11, 0xffff0000, v5
	v_and_b32_e32 v10, 0xffff0000, v4
	v_lshlrev_b32_e32 v12, 16, v4
	v_mul_f32_e32 v4, 0xbfb8aa3b, v11
	v_lshlrev_b32_e32 v13, 16, v5
	v_fma_f32 v5, v11, s5, -v4
	v_rndne_f32_e32 v8, v4
	v_fmac_f32_e32 v5, 0xb2a5705f, v11
	v_sub_f32_e32 v4, v4, v8
	v_add_f32_e32 v4, v4, v5
	v_exp_f32_e32 v4, v4
	v_cvt_i32_f32_e32 v5, v8
	v_cmp_nlt_f32_e32 vcc, s14, v11
	s_movk_i32 s4, 0x7fff
	s_waitcnt lgkmcnt(0)
	v_ldexp_f32 v4, v4, v5
	v_cndmask_b32_e32 v4, 0, v4, vcc
	v_cmp_ngt_f32_e32 vcc, s15, v11
	s_barrier
	s_nop 0
	v_cndmask_b32_e32 v5, v142, v4, vcc
	v_mul_f32_e32 v4, 0xbfb8aa3b, v10
	v_fma_f32 v8, v10, s5, -v4
	v_rndne_f32_e32 v9, v4
	v_fmac_f32_e32 v8, 0xb2a5705f, v10
	v_sub_f32_e32 v4, v4, v9
	v_add_f32_e32 v4, v4, v8
	v_exp_f32_e32 v4, v4
	v_cvt_i32_f32_e32 v8, v9
	v_cmp_nlt_f32_e32 vcc, s14, v10
	v_ldexp_f32 v4, v4, v8
	s_nop 0
	v_cndmask_b32_e32 v4, 0, v4, vcc
	v_cmp_ngt_f32_e32 vcc, s15, v10
	s_nop 1
	v_cndmask_b32_e32 v9, v142, v4, vcc
	v_mul_f32_e32 v4, 0xbfb8aa3b, v13
	v_rndne_f32_e32 v8, v4
	v_sub_f32_e32 v14, v4, v8
	v_fma_f32 v4, v13, s5, -v4
	v_fmac_f32_e32 v4, 0xb2a5705f, v13
	v_add_f32_e32 v4, v14, v4
	v_exp_f32_e32 v4, v4
	v_cvt_i32_f32_e32 v8, v8
	v_cmp_nlt_f32_e32 vcc, s14, v13
	v_ldexp_f32 v4, v4, v8
	v_mul_f32_e32 v8, 0xbfb8aa3b, v12
	v_rndne_f32_e32 v14, v8
	v_sub_f32_e32 v15, v8, v14
	v_fma_f32 v8, v12, s5, -v8
	v_fmac_f32_e32 v8, 0xb2a5705f, v12
	v_add_f32_e32 v8, v15, v8
	v_exp_f32_e32 v8, v8
	v_cvt_i32_f32_e32 v14, v14
	v_cndmask_b32_e32 v4, 0, v4, vcc
	v_cmp_ngt_f32_e32 vcc, s15, v13
	v_ldexp_f32 v8, v8, v14
	s_nop 0
	v_cndmask_b32_e32 v4, v142, v4, vcc
	v_pk_add_f32 v[4:5], v[4:5], 1.0 op_sel_hi:[1,0]
	v_cmp_nlt_f32_e32 vcc, s14, v12
	v_div_scale_f32 v14, s[2:3], v5, v5, v11
	v_rcp_f32_e32 v15, v14
	v_cndmask_b32_e32 v8, 0, v8, vcc
	v_cmp_ngt_f32_e32 vcc, s15, v12
	v_fma_f32 v16, -v14, v15, 1.0
	s_nop 0
	v_cndmask_b32_e32 v8, v142, v8, vcc
	v_fmac_f32_e32 v15, v16, v15
	v_div_scale_f32 v16, vcc, v11, v5, v11
	v_mul_f32_e32 v27, v16, v15
	v_fma_f32 v29, -v14, v27, v16
	v_fmac_f32_e32 v27, v29, v15
	v_fma_f32 v14, -v14, v27, v16
	v_div_fmas_f32 v14, v14, v15, v27
	v_div_fixup_f32 v5, v14, v5, v11
	v_div_scale_f32 v11, s[2:3], v4, v4, v13
	v_rcp_f32_e32 v14, v11
	v_pk_add_f32 v[8:9], v[8:9], 1.0 op_sel_hi:[1,0]
	v_fma_f32 v15, -v11, v14, 1.0
	v_fmac_f32_e32 v14, v15, v14
	v_div_scale_f32 v15, vcc, v13, v4, v13
	v_mul_f32_e32 v16, v15, v14
	v_fma_f32 v27, -v11, v16, v15
	v_fmac_f32_e32 v16, v27, v14
	v_fma_f32 v11, -v11, v16, v15
	v_div_fmas_f32 v11, v11, v14, v16
	v_div_fixup_f32 v4, v11, v4, v13
	v_div_scale_f32 v11, s[2:3], v9, v9, v10
	v_rcp_f32_e32 v13, v11
	s_nop 0
	v_fma_f32 v14, -v11, v13, 1.0
	v_fmac_f32_e32 v13, v14, v13
	v_div_scale_f32 v14, vcc, v10, v9, v10
	v_mul_f32_e32 v15, v14, v13
	v_fma_f32 v16, -v11, v15, v14
	v_fmac_f32_e32 v15, v16, v13
	v_fma_f32 v11, -v11, v15, v14
	v_div_fmas_f32 v11, v11, v13, v15
	v_div_fixup_f32 v9, v11, v9, v10
	v_div_scale_f32 v10, s[2:3], v8, v8, v12
	v_rcp_f32_e32 v11, v10
	s_nop 0
	v_fma_f32 v13, -v10, v11, 1.0
	v_fmac_f32_e32 v11, v13, v11
	v_div_scale_f32 v13, vcc, v12, v8, v12
	v_mul_f32_e32 v14, v13, v11
	v_fma_f32 v15, -v10, v14, v13
	v_fmac_f32_e32 v14, v15, v11
	v_fma_f32 v10, -v10, v14, v13
	v_div_fmas_f32 v10, v10, v11, v14
	v_div_fixup_f32 v8, v10, v8, v12
	v_pk_mul_f32 v[8:9], v[44:45], v[8:9]
	v_pk_mul_f32 v[10:11], v[42:43], v[4:5]
	v_bfe_u32 v4, v8, 16, 1
	v_bfe_u32 v5, v9, 16, 1
	v_add3_u32 v4, v8, v4, s4
	v_bfe_u32 v12, v10, 16, 1
	v_add3_u32 v5, v9, v5, s4
	v_lshrrev_b32_e32 v4, 16, v4
	v_cmp_o_f32_e32 vcc, v8, v8
	v_bfe_u32 v13, v11, 16, 1
	v_add3_u32 v12, v10, v12, s4
	v_lshrrev_b32_e32 v5, 16, v5
	v_cndmask_b32_e32 v4, v145, v4, vcc
	v_cmp_o_f32_e32 vcc, v9, v9
	v_add3_u32 v13, v11, v13, s4
	v_lshrrev_b32_e32 v12, 16, v12
	v_cndmask_b32_e32 v5, v145, v5, vcc
	v_cmp_o_f32_e32 vcc, v10, v10
	v_lshrrev_b32_e32 v13, 16, v13
	v_lshlrev_b32_e32 v14, 16, v6
	v_cndmask_b32_e32 v8, v145, v12, vcc
	v_cmp_o_f32_e32 vcc, v11, v11
	v_and_b32_e32 v12, 0xffff0000, v6
	v_lshlrev_b32_e32 v15, 16, v7
	v_cndmask_b32_e32 v9, v145, v13, vcc
	v_and_b32_e32 v13, 0xffff0000, v7
	v_mul_f32_e32 v6, 0xbfb8aa3b, v13
	v_fma_f32 v7, v13, s5, -v6
	v_rndne_f32_e32 v10, v6
	v_fmac_f32_e32 v7, 0xb2a5705f, v13
	v_sub_f32_e32 v6, v6, v10
	v_add_f32_e32 v6, v6, v7
	v_exp_f32_e32 v6, v6
	v_cvt_i32_f32_e32 v7, v10
	v_cmp_nlt_f32_e32 vcc, s14, v13
	v_ldexp_f32 v6, v6, v7
	s_nop 0
	v_cndmask_b32_e32 v6, 0, v6, vcc
	v_cmp_ngt_f32_e32 vcc, s15, v13
	s_nop 1
	v_cndmask_b32_e32 v7, v142, v6, vcc
	v_mul_f32_e32 v6, 0xbfb8aa3b, v12
	v_fma_f32 v10, v12, s5, -v6
	v_rndne_f32_e32 v11, v6
	v_fmac_f32_e32 v10, 0xb2a5705f, v12
	v_sub_f32_e32 v6, v6, v11
	v_add_f32_e32 v6, v6, v10
	v_exp_f32_e32 v6, v6
	v_cvt_i32_f32_e32 v10, v11
	v_cmp_nlt_f32_e32 vcc, s14, v12
	v_ldexp_f32 v6, v6, v10
	s_nop 0
	v_cndmask_b32_e32 v6, 0, v6, vcc
	v_cmp_ngt_f32_e32 vcc, s15, v12
	s_nop 1
	v_cndmask_b32_e32 v11, v142, v6, vcc
	v_mul_f32_e32 v6, 0xbfb8aa3b, v15
	v_rndne_f32_e32 v10, v6
	v_sub_f32_e32 v16, v6, v10
	v_fma_f32 v6, v15, s5, -v6
	v_fmac_f32_e32 v6, 0xb2a5705f, v15
	v_add_f32_e32 v6, v16, v6
	v_exp_f32_e32 v6, v6
	v_cvt_i32_f32_e32 v10, v10
	v_cmp_nlt_f32_e32 vcc, s14, v15
	v_ldexp_f32 v6, v6, v10
	v_mul_f32_e32 v10, 0xbfb8aa3b, v14
	v_rndne_f32_e32 v16, v10
	v_sub_f32_e32 v27, v10, v16
	v_fma_f32 v10, v14, s5, -v10
	v_fmac_f32_e32 v10, 0xb2a5705f, v14
	v_add_f32_e32 v10, v27, v10
	v_exp_f32_e32 v10, v10
	v_cvt_i32_f32_e32 v16, v16
	v_cndmask_b32_e32 v6, 0, v6, vcc
	v_cmp_ngt_f32_e32 vcc, s15, v15
	v_ldexp_f32 v10, v10, v16
	s_nop 0
	v_cndmask_b32_e32 v6, v142, v6, vcc
	v_pk_add_f32 v[6:7], v[6:7], 1.0 op_sel_hi:[1,0]
	v_cmp_nlt_f32_e32 vcc, s14, v14
	v_div_scale_f32 v16, s[2:3], v7, v7, v13
	v_rcp_f32_e32 v27, v16
	v_cndmask_b32_e32 v10, 0, v10, vcc
	v_cmp_ngt_f32_e32 vcc, s15, v14
	v_fma_f32 v29, -v16, v27, 1.0
	s_nop 0
	v_cndmask_b32_e32 v10, v142, v10, vcc
	v_fmac_f32_e32 v27, v29, v27
	v_div_scale_f32 v29, vcc, v13, v7, v13
	v_mul_f32_e32 v42, v29, v27
	v_fma_f32 v43, -v16, v42, v29
	v_fmac_f32_e32 v42, v43, v27
	v_fma_f32 v16, -v16, v42, v29
	v_div_fmas_f32 v16, v16, v27, v42
	v_div_fixup_f32 v7, v16, v7, v13
	v_div_scale_f32 v13, s[2:3], v6, v6, v15
	v_rcp_f32_e32 v16, v13
	v_pk_add_f32 v[10:11], v[10:11], 1.0 op_sel_hi:[1,0]
	v_fma_f32 v27, -v13, v16, 1.0
	v_fmac_f32_e32 v16, v27, v16
	v_div_scale_f32 v27, vcc, v15, v6, v15
	v_mul_f32_e32 v29, v27, v16
	v_fma_f32 v42, -v13, v29, v27
	v_fmac_f32_e32 v29, v42, v16
	v_fma_f32 v13, -v13, v29, v27
	v_div_fmas_f32 v13, v13, v16, v29
	v_div_fixup_f32 v6, v13, v6, v15
	v_div_scale_f32 v13, s[2:3], v11, v11, v12
	v_rcp_f32_e32 v15, v13
	s_nop 0
	v_fma_f32 v16, -v13, v15, 1.0
	v_fmac_f32_e32 v15, v16, v15
	v_div_scale_f32 v16, vcc, v12, v11, v12
	v_mul_f32_e32 v27, v16, v15
	v_fma_f32 v29, -v13, v27, v16
	v_fmac_f32_e32 v27, v29, v15
	v_fma_f32 v13, -v13, v27, v16
	v_div_fmas_f32 v13, v13, v15, v27
	v_div_fixup_f32 v11, v13, v11, v12
	v_div_scale_f32 v12, s[2:3], v10, v10, v14
	v_rcp_f32_e32 v13, v12
	s_nop 0
	v_fma_f32 v15, -v12, v13, 1.0
	v_fmac_f32_e32 v13, v15, v13
	v_div_scale_f32 v15, vcc, v14, v10, v14
	v_mul_f32_e32 v16, v15, v13
	v_fma_f32 v27, -v12, v16, v15
	v_fmac_f32_e32 v16, v27, v13
	v_fma_f32 v12, -v12, v16, v15
	v_div_fmas_f32 v12, v12, v13, v16
	v_div_fixup_f32 v10, v12, v10, v14
	v_pk_mul_f32 v[10:11], v[40:41], v[10:11]
	v_pk_mul_f32 v[12:13], v[38:39], v[6:7]
	v_bfe_u32 v6, v10, 16, 1
	v_bfe_u32 v7, v11, 16, 1
	v_add3_u32 v6, v10, v6, s4
	v_bfe_u32 v14, v12, 16, 1
	v_add3_u32 v7, v11, v7, s4
	v_lshrrev_b32_e32 v6, 16, v6
	v_cmp_o_f32_e32 vcc, v10, v10
	v_bfe_u32 v15, v13, 16, 1
	v_add3_u32 v14, v12, v14, s4
	v_lshrrev_b32_e32 v7, 16, v7
	v_cndmask_b32_e32 v6, v145, v6, vcc
	v_cmp_o_f32_e32 vcc, v11, v11
	v_add3_u32 v15, v13, v15, s4
	v_lshrrev_b32_e32 v14, 16, v14
	v_cndmask_b32_e32 v7, v145, v7, vcc
	v_cmp_o_f32_e32 vcc, v12, v12
	v_lshrrev_b32_e32 v15, 16, v15
	v_lshlrev_b32_e32 v16, 16, v0
	v_cndmask_b32_e32 v10, v145, v14, vcc
	v_cmp_o_f32_e32 vcc, v13, v13
	v_and_b32_e32 v14, 0xffff0000, v0
	v_lshlrev_b32_e32 v27, 16, v1
	v_cndmask_b32_e32 v11, v145, v15, vcc
	v_and_b32_e32 v15, 0xffff0000, v1
	v_mul_f32_e32 v0, 0xbfb8aa3b, v15
	v_fma_f32 v1, v15, s5, -v0
	v_rndne_f32_e32 v12, v0
	v_fmac_f32_e32 v1, 0xb2a5705f, v15
	v_sub_f32_e32 v0, v0, v12
	v_add_f32_e32 v0, v0, v1
	v_exp_f32_e32 v0, v0
	v_cvt_i32_f32_e32 v1, v12
	v_cmp_nlt_f32_e32 vcc, s14, v15
	v_ldexp_f32 v0, v0, v1
	s_nop 0
	v_cndmask_b32_e32 v0, 0, v0, vcc
	v_cmp_ngt_f32_e32 vcc, s15, v15
	s_nop 1
	v_cndmask_b32_e32 v1, v142, v0, vcc
	v_mul_f32_e32 v0, 0xbfb8aa3b, v14
	v_fma_f32 v12, v14, s5, -v0
	v_rndne_f32_e32 v13, v0
	v_fmac_f32_e32 v12, 0xb2a5705f, v14
	v_sub_f32_e32 v0, v0, v13
	v_add_f32_e32 v0, v0, v12
	v_exp_f32_e32 v0, v0
	v_cvt_i32_f32_e32 v12, v13
	v_cmp_nlt_f32_e32 vcc, s14, v14
	v_ldexp_f32 v0, v0, v12
	s_nop 0
	v_cndmask_b32_e32 v0, 0, v0, vcc
	v_cmp_ngt_f32_e32 vcc, s15, v14
	s_nop 1
	v_cndmask_b32_e32 v13, v142, v0, vcc
	v_mul_f32_e32 v0, 0xbfb8aa3b, v27
	v_rndne_f32_e32 v12, v0
	v_sub_f32_e32 v29, v0, v12
	v_fma_f32 v0, v27, s5, -v0
	v_fmac_f32_e32 v0, 0xb2a5705f, v27
	v_add_f32_e32 v0, v29, v0
	v_exp_f32_e32 v0, v0
	v_cvt_i32_f32_e32 v12, v12
	v_cmp_nlt_f32_e32 vcc, s14, v27
	v_ldexp_f32 v0, v0, v12
	v_mul_f32_e32 v12, 0xbfb8aa3b, v16
	v_rndne_f32_e32 v29, v12
	v_sub_f32_e32 v38, v12, v29
	v_fma_f32 v12, v16, s5, -v12
	v_fmac_f32_e32 v12, 0xb2a5705f, v16
	v_add_f32_e32 v12, v38, v12
	v_exp_f32_e32 v12, v12
	v_cvt_i32_f32_e32 v29, v29
	v_cndmask_b32_e32 v0, 0, v0, vcc
	v_cmp_ngt_f32_e32 vcc, s15, v27
	v_ldexp_f32 v12, v12, v29
	s_nop 0
	v_cndmask_b32_e32 v0, v142, v0, vcc
	v_pk_add_f32 v[0:1], v[0:1], 1.0 op_sel_hi:[1,0]
	v_cmp_nlt_f32_e32 vcc, s14, v16
	v_div_scale_f32 v29, s[2:3], v1, v1, v15
	v_rcp_f32_e32 v38, v29
	v_cndmask_b32_e32 v12, 0, v12, vcc
	v_cmp_ngt_f32_e32 vcc, s15, v16
	v_fma_f32 v39, -v29, v38, 1.0
	s_nop 0
	v_cndmask_b32_e32 v12, v142, v12, vcc
	v_fmac_f32_e32 v38, v39, v38
	v_div_scale_f32 v39, vcc, v15, v1, v15
	v_mul_f32_e32 v40, v39, v38
	v_fma_f32 v41, -v29, v40, v39
	v_fmac_f32_e32 v40, v41, v38
	v_fma_f32 v29, -v29, v40, v39
	v_div_fmas_f32 v29, v29, v38, v40
	v_div_fixup_f32 v1, v29, v1, v15
	v_div_scale_f32 v15, s[2:3], v0, v0, v27
	v_rcp_f32_e32 v29, v15
	v_pk_add_f32 v[12:13], v[12:13], 1.0 op_sel_hi:[1,0]
	v_fma_f32 v38, -v15, v29, 1.0
	v_fmac_f32_e32 v29, v38, v29
	v_div_scale_f32 v38, vcc, v27, v0, v27
	v_mul_f32_e32 v39, v38, v29
	v_fma_f32 v40, -v15, v39, v38
	v_fmac_f32_e32 v39, v40, v29
	v_fma_f32 v15, -v15, v39, v38
	v_div_fmas_f32 v15, v15, v29, v39
	v_div_fixup_f32 v0, v15, v0, v27
	v_div_scale_f32 v15, s[2:3], v13, v13, v14
	v_rcp_f32_e32 v27, v15
	s_nop 0
	v_fma_f32 v29, -v15, v27, 1.0
	v_fmac_f32_e32 v27, v29, v27
	v_div_scale_f32 v29, vcc, v14, v13, v14
	v_mul_f32_e32 v38, v29, v27
	v_fma_f32 v39, -v15, v38, v29
	v_fmac_f32_e32 v38, v39, v27
	v_fma_f32 v15, -v15, v38, v29
	v_div_fmas_f32 v15, v15, v27, v38
	v_div_fixup_f32 v13, v15, v13, v14
	v_div_scale_f32 v14, s[2:3], v12, v12, v16
	v_rcp_f32_e32 v15, v14
	s_nop 0
	v_fma_f32 v27, -v14, v15, 1.0
	v_fmac_f32_e32 v15, v27, v15
	v_div_scale_f32 v27, vcc, v16, v12, v16
	v_mul_f32_e32 v29, v27, v15
	v_fma_f32 v38, -v14, v29, v27
	v_fmac_f32_e32 v29, v38, v15
	v_fma_f32 v14, -v14, v29, v27
	v_div_fmas_f32 v14, v14, v15, v29
	v_div_fixup_f32 v12, v14, v12, v16
	v_pk_mul_f32 v[12:13], v[36:37], v[12:13]
	v_pk_mul_f32 v[14:15], v[34:35], v[0:1]
	v_bfe_u32 v0, v12, 16, 1
	v_bfe_u32 v1, v13, 16, 1
	v_add3_u32 v0, v12, v0, s4
	v_bfe_u32 v16, v14, 16, 1
	v_add3_u32 v1, v13, v1, s4
	v_lshrrev_b32_e32 v0, 16, v0
	v_cmp_o_f32_e32 vcc, v12, v12
	v_bfe_u32 v27, v15, 16, 1
	v_add3_u32 v16, v14, v16, s4
	v_lshrrev_b32_e32 v1, 16, v1
	v_cndmask_b32_e32 v0, v145, v0, vcc
	v_cmp_o_f32_e32 vcc, v13, v13
	v_add3_u32 v27, v15, v27, s4
	v_lshrrev_b32_e32 v16, 16, v16
	v_cndmask_b32_e32 v1, v145, v1, vcc
	v_cmp_o_f32_e32 vcc, v14, v14
	v_lshrrev_b32_e32 v27, 16, v27
	v_lshlrev_b32_e32 v29, 16, v2
	v_cndmask_b32_e32 v14, v145, v16, vcc
	v_cmp_o_f32_e32 vcc, v15, v15
	v_and_b32_e32 v16, 0xffff0000, v2
	v_lshlrev_b32_e32 v34, 16, v3
	v_cndmask_b32_e32 v15, v145, v27, vcc
	v_and_b32_e32 v27, 0xffff0000, v3
	v_mul_f32_e32 v2, 0xbfb8aa3b, v27
	v_fma_f32 v3, v27, s5, -v2
	v_rndne_f32_e32 v12, v2
	v_fmac_f32_e32 v3, 0xb2a5705f, v27
	v_sub_f32_e32 v2, v2, v12
	v_add_f32_e32 v2, v2, v3
	v_exp_f32_e32 v2, v2
	v_cvt_i32_f32_e32 v3, v12
	v_cmp_nlt_f32_e32 vcc, s14, v27
	v_ldexp_f32 v2, v2, v3
	s_nop 0
	v_cndmask_b32_e32 v2, 0, v2, vcc
	v_cmp_ngt_f32_e32 vcc, s15, v27
	s_nop 1
	v_cndmask_b32_e32 v3, v142, v2, vcc
	v_mul_f32_e32 v2, 0xbfb8aa3b, v16
	v_fma_f32 v12, v16, s5, -v2
	v_rndne_f32_e32 v13, v2
	v_fmac_f32_e32 v12, 0xb2a5705f, v16
	v_sub_f32_e32 v2, v2, v13
	v_add_f32_e32 v2, v2, v12
	v_exp_f32_e32 v2, v2
	v_cvt_i32_f32_e32 v12, v13
	v_cmp_nlt_f32_e32 vcc, s14, v16
	v_ldexp_f32 v2, v2, v12
	s_nop 0
	v_cndmask_b32_e32 v2, 0, v2, vcc
	v_cmp_ngt_f32_e32 vcc, s15, v16
	s_nop 1
	v_cndmask_b32_e32 v13, v142, v2, vcc
	v_mul_f32_e32 v2, 0xbfb8aa3b, v34
	v_rndne_f32_e32 v12, v2
	v_sub_f32_e32 v35, v2, v12
	v_fma_f32 v2, v34, s5, -v2
	v_fmac_f32_e32 v2, 0xb2a5705f, v34
	v_add_f32_e32 v2, v35, v2
	v_exp_f32_e32 v2, v2
	v_cvt_i32_f32_e32 v12, v12
	v_cmp_nlt_f32_e32 vcc, s14, v34
	v_ldexp_f32 v2, v2, v12
	v_mul_f32_e32 v12, 0xbfb8aa3b, v29
	v_rndne_f32_e32 v35, v12
	v_sub_f32_e32 v36, v12, v35
	v_fma_f32 v12, v29, s5, -v12
	v_fmac_f32_e32 v12, 0xb2a5705f, v29
	v_add_f32_e32 v12, v36, v12
	v_exp_f32_e32 v12, v12
	v_cvt_i32_f32_e32 v35, v35
	v_cndmask_b32_e32 v2, 0, v2, vcc
	v_cmp_ngt_f32_e32 vcc, s15, v34
	v_ldexp_f32 v12, v12, v35
	s_nop 0
	v_cndmask_b32_e32 v2, v142, v2, vcc
	v_pk_add_f32 v[2:3], v[2:3], 1.0 op_sel_hi:[1,0]
	v_cmp_nlt_f32_e32 vcc, s14, v29
	v_div_scale_f32 v35, s[2:3], v3, v3, v27
	v_rcp_f32_e32 v36, v35
	v_cndmask_b32_e32 v12, 0, v12, vcc
	v_cmp_ngt_f32_e32 vcc, s15, v29
	v_fma_f32 v37, -v35, v36, 1.0
	s_nop 0
	v_cndmask_b32_e32 v12, v142, v12, vcc
	v_fmac_f32_e32 v36, v37, v36
	v_div_scale_f32 v37, vcc, v27, v3, v27
	v_mul_f32_e32 v38, v37, v36
	v_fma_f32 v39, -v35, v38, v37
	v_fmac_f32_e32 v38, v39, v36
	v_fma_f32 v35, -v35, v38, v37
	v_div_fmas_f32 v35, v35, v36, v38
	v_div_fixup_f32 v3, v35, v3, v27
	v_div_scale_f32 v27, s[2:3], v2, v2, v34
	v_rcp_f32_e32 v35, v27
	v_pk_add_f32 v[12:13], v[12:13], 1.0 op_sel_hi:[1,0]
	v_fma_f32 v36, -v27, v35, 1.0
	v_fmac_f32_e32 v35, v36, v35
	v_div_scale_f32 v36, vcc, v34, v2, v34
	v_mul_f32_e32 v37, v36, v35
	v_fma_f32 v38, -v27, v37, v36
	v_fmac_f32_e32 v37, v38, v35
	v_fma_f32 v27, -v27, v37, v36
	v_div_fmas_f32 v27, v27, v35, v37
	v_div_fixup_f32 v2, v27, v2, v34
	v_div_scale_f32 v27, s[2:3], v13, v13, v16
	v_rcp_f32_e32 v34, v27
	v_pk_mul_f32 v[2:3], v[30:31], v[2:3]
	v_fma_f32 v35, -v27, v34, 1.0
	v_fmac_f32_e32 v34, v35, v34
	v_div_scale_f32 v35, vcc, v16, v13, v16
	v_mul_f32_e32 v36, v35, v34
	v_fma_f32 v37, -v27, v36, v35
	v_fmac_f32_e32 v36, v37, v34
	v_fma_f32 v27, -v27, v36, v35
	v_div_fmas_f32 v27, v27, v34, v36
	v_div_fixup_f32 v13, v27, v13, v16
	v_div_scale_f32 v16, s[2:3], v12, v12, v29
	v_rcp_f32_e32 v27, v16
	v_bfe_u32 v30, v3, 16, 1
	v_add3_u32 v30, v3, v30, s4
	v_lshrrev_b32_e32 v30, 16, v30
	v_fma_f32 v34, -v16, v27, 1.0
	v_fmac_f32_e32 v27, v34, v27
	v_div_scale_f32 v34, vcc, v29, v12, v29
	v_mul_f32_e32 v35, v34, v27
	v_fma_f32 v36, -v16, v35, v34
	v_fmac_f32_e32 v35, v36, v27
	v_fma_f32 v16, -v16, v35, v34
	v_div_fmas_f32 v16, v16, v27, v35
	v_div_fixup_f32 v12, v16, v12, v29
	v_pk_mul_f32 v[12:13], v[32:33], v[12:13]
	v_bfe_u32 v29, v2, 16, 1
	v_bfe_u32 v16, v12, 16, 1
	;; [unrolled: 1-line block ×3, first 2 shown]
	v_add3_u32 v16, v12, v16, s4
	v_add3_u32 v27, v13, v27, s4
	v_lshrrev_b32_e32 v16, 16, v16
	v_cmp_o_f32_e32 vcc, v12, v12
	v_add3_u32 v29, v2, v29, s4
	v_lshrrev_b32_e32 v27, 16, v27
	v_cndmask_b32_e32 v12, v145, v16, vcc
	v_cmp_o_f32_e32 vcc, v13, v13
	v_lshrrev_b32_e32 v29, 16, v29
	s_mov_b32 s2, 0x5040100
	v_cndmask_b32_e32 v13, v145, v27, vcc
	v_cmp_o_f32_e32 vcc, v2, v2
	v_perm_b32 v11, v11, v10, s2
	v_perm_b32 v10, v7, v6, s2
	v_cndmask_b32_e32 v2, v145, v29, vcc
	v_cmp_o_f32_e32 vcc, v3, v3
	v_perm_b32 v9, v9, v8, s2
	v_perm_b32 v8, v5, v4, s2
	v_cndmask_b32_e32 v3, v145, v30, vcc
	v_perm_b32 v5, v3, v2, s2
	v_perm_b32 v4, v13, v12, s2
	;; [unrolled: 1-line block ×4, first 2 shown]
	ds_write_b128 v121, v[8:11]
	ds_write_b128 v121, v[2:5] offset:16
	; wave barrier
	ds_read_u16 v16, v91 offset:128
	ds_read_u16 v15, v92 offset:256
	;; [unrolled: 1-line block ×15, first 2 shown]
	v_lshl_add_u64 v[0:1], s[18:19], 1, v[24:25]
	s_and_saveexec_b64 s[2:3], s[26:27]
	s_cbranch_execnz .LBB28_286
; %bb.254:                              ;   in Loop: Header=BB28_13 Depth=1
	s_or_b64 exec, exec, s[2:3]
	s_and_saveexec_b64 s[2:3], s[28:29]
	s_cbranch_execnz .LBB28_287
.LBB28_255:                             ;   in Loop: Header=BB28_13 Depth=1
	s_or_b64 exec, exec, s[2:3]
	s_and_saveexec_b64 s[2:3], s[30:31]
	s_cbranch_execnz .LBB28_288
.LBB28_256:                             ;   in Loop: Header=BB28_13 Depth=1
	s_or_b64 exec, exec, s[2:3]
	s_and_saveexec_b64 s[2:3], s[34:35]
	s_cbranch_execnz .LBB28_289
.LBB28_257:                             ;   in Loop: Header=BB28_13 Depth=1
	s_or_b64 exec, exec, s[2:3]
	s_and_saveexec_b64 s[2:3], s[36:37]
	s_cbranch_execnz .LBB28_290
.LBB28_258:                             ;   in Loop: Header=BB28_13 Depth=1
	s_or_b64 exec, exec, s[2:3]
	s_and_saveexec_b64 s[2:3], s[38:39]
	s_cbranch_execnz .LBB28_291
.LBB28_259:                             ;   in Loop: Header=BB28_13 Depth=1
	s_or_b64 exec, exec, s[2:3]
	s_and_saveexec_b64 s[2:3], s[40:41]
	s_cbranch_execnz .LBB28_292
.LBB28_260:                             ;   in Loop: Header=BB28_13 Depth=1
	s_or_b64 exec, exec, s[2:3]
	s_and_saveexec_b64 s[2:3], s[42:43]
	s_cbranch_execnz .LBB28_293
.LBB28_261:                             ;   in Loop: Header=BB28_13 Depth=1
	s_or_b64 exec, exec, s[2:3]
	s_and_saveexec_b64 s[2:3], s[44:45]
	s_cbranch_execnz .LBB28_294
.LBB28_262:                             ;   in Loop: Header=BB28_13 Depth=1
	s_or_b64 exec, exec, s[2:3]
	s_and_saveexec_b64 s[2:3], s[46:47]
	s_cbranch_execnz .LBB28_295
.LBB28_263:                             ;   in Loop: Header=BB28_13 Depth=1
	s_or_b64 exec, exec, s[2:3]
	s_and_saveexec_b64 s[2:3], s[48:49]
	s_cbranch_execnz .LBB28_296
.LBB28_264:                             ;   in Loop: Header=BB28_13 Depth=1
	s_or_b64 exec, exec, s[2:3]
	s_and_saveexec_b64 s[2:3], s[50:51]
	s_cbranch_execnz .LBB28_297
.LBB28_265:                             ;   in Loop: Header=BB28_13 Depth=1
	s_or_b64 exec, exec, s[2:3]
	s_and_saveexec_b64 s[2:3], s[52:53]
	s_cbranch_execnz .LBB28_298
.LBB28_266:                             ;   in Loop: Header=BB28_13 Depth=1
	s_or_b64 exec, exec, s[2:3]
	s_and_saveexec_b64 s[2:3], s[54:55]
	s_cbranch_execnz .LBB28_299
.LBB28_267:                             ;   in Loop: Header=BB28_13 Depth=1
	s_or_b64 exec, exec, s[2:3]
	s_and_saveexec_b64 s[2:3], s[56:57]
	s_cbranch_execnz .LBB28_300
.LBB28_268:                             ;   in Loop: Header=BB28_13 Depth=1
	s_or_b64 exec, exec, s[2:3]
	s_and_saveexec_b64 s[2:3], s[58:59]
	s_cbranch_execz .LBB28_12
	s_branch .LBB28_301
.LBB28_269:                             ;   in Loop: Header=BB28_13 Depth=1
	global_load_ushort v36, v[8:9], off offset:1664
	s_or_b64 exec, exec, s[2:3]
	s_and_saveexec_b64 s[2:3], s[56:57]
	s_cbranch_execz .LBB28_73
.LBB28_270:                             ;   in Loop: Header=BB28_13 Depth=1
	global_load_ushort v35, v[8:9], off offset:1792
	s_or_b64 exec, exec, s[2:3]
	v_mov_b32_e32 v37, 0
	s_and_saveexec_b64 s[2:3], s[58:59]
	s_cbranch_execnz .LBB28_74
	s_branch .LBB28_75
.LBB28_271:                             ;   in Loop: Header=BB28_13 Depth=1
	ds_read_u16 v27, v90
	s_waitcnt lgkmcnt(0)
	global_store_short v[0:1], v27, off
	s_or_b64 exec, exec, s[2:3]
	s_and_saveexec_b64 s[2:3], s[28:29]
	s_cbranch_execz .LBB28_206
.LBB28_272:                             ;   in Loop: Header=BB28_13 Depth=1
	s_waitcnt lgkmcnt(14)
	global_store_short v[0:1], v16, off offset:128
	s_or_b64 exec, exec, s[2:3]
	s_and_saveexec_b64 s[2:3], s[30:31]
	s_cbranch_execz .LBB28_207
.LBB28_273:                             ;   in Loop: Header=BB28_13 Depth=1
	s_waitcnt lgkmcnt(13)
	global_store_short v[0:1], v15, off offset:256
	s_or_b64 exec, exec, s[2:3]
	s_and_saveexec_b64 s[2:3], s[34:35]
	s_cbranch_execz .LBB28_208
.LBB28_274:                             ;   in Loop: Header=BB28_13 Depth=1
	s_waitcnt lgkmcnt(12)
	global_store_short v[0:1], v14, off offset:384
	s_or_b64 exec, exec, s[2:3]
	s_and_saveexec_b64 s[2:3], s[36:37]
	s_cbranch_execz .LBB28_209
.LBB28_275:                             ;   in Loop: Header=BB28_13 Depth=1
	s_waitcnt lgkmcnt(11)
	global_store_short v[0:1], v13, off offset:512
	s_or_b64 exec, exec, s[2:3]
	s_and_saveexec_b64 s[2:3], s[38:39]
	s_cbranch_execz .LBB28_210
.LBB28_276:                             ;   in Loop: Header=BB28_13 Depth=1
	s_waitcnt lgkmcnt(10)
	global_store_short v[0:1], v12, off offset:640
	s_or_b64 exec, exec, s[2:3]
	s_and_saveexec_b64 s[2:3], s[40:41]
	s_cbranch_execz .LBB28_211
.LBB28_277:                             ;   in Loop: Header=BB28_13 Depth=1
	s_waitcnt lgkmcnt(9)
	global_store_short v[0:1], v11, off offset:768
	s_or_b64 exec, exec, s[2:3]
	s_and_saveexec_b64 s[2:3], s[42:43]
	s_cbranch_execz .LBB28_212
.LBB28_278:                             ;   in Loop: Header=BB28_13 Depth=1
	s_waitcnt lgkmcnt(8)
	global_store_short v[0:1], v10, off offset:896
	s_or_b64 exec, exec, s[2:3]
	s_and_saveexec_b64 s[2:3], s[44:45]
	s_cbranch_execz .LBB28_213
.LBB28_279:                             ;   in Loop: Header=BB28_13 Depth=1
	s_waitcnt lgkmcnt(7)
	global_store_short v[0:1], v9, off offset:1024
	s_or_b64 exec, exec, s[2:3]
	s_and_saveexec_b64 s[2:3], s[46:47]
	s_cbranch_execz .LBB28_214
.LBB28_280:                             ;   in Loop: Header=BB28_13 Depth=1
	s_waitcnt lgkmcnt(6)
	global_store_short v[0:1], v8, off offset:1152
	s_or_b64 exec, exec, s[2:3]
	s_and_saveexec_b64 s[2:3], s[48:49]
	s_cbranch_execz .LBB28_215
.LBB28_281:                             ;   in Loop: Header=BB28_13 Depth=1
	s_waitcnt lgkmcnt(5)
	global_store_short v[0:1], v7, off offset:1280
	s_or_b64 exec, exec, s[2:3]
	s_and_saveexec_b64 s[2:3], s[50:51]
	s_cbranch_execz .LBB28_216
.LBB28_282:                             ;   in Loop: Header=BB28_13 Depth=1
	s_waitcnt lgkmcnt(4)
	global_store_short v[0:1], v6, off offset:1408
	s_or_b64 exec, exec, s[2:3]
	s_and_saveexec_b64 s[2:3], s[52:53]
	s_cbranch_execz .LBB28_217
.LBB28_283:                             ;   in Loop: Header=BB28_13 Depth=1
	s_waitcnt lgkmcnt(3)
	global_store_short v[0:1], v5, off offset:1536
	s_or_b64 exec, exec, s[2:3]
	s_and_saveexec_b64 s[2:3], s[54:55]
	s_cbranch_execz .LBB28_218
.LBB28_284:                             ;   in Loop: Header=BB28_13 Depth=1
	s_waitcnt lgkmcnt(2)
	global_store_short v[0:1], v4, off offset:1664
	s_or_b64 exec, exec, s[2:3]
	s_and_saveexec_b64 s[2:3], s[56:57]
	s_cbranch_execz .LBB28_219
.LBB28_285:                             ;   in Loop: Header=BB28_13 Depth=1
	s_waitcnt lgkmcnt(1)
	global_store_short v[0:1], v3, off offset:1792
	s_or_b64 exec, exec, s[2:3]
	s_and_saveexec_b64 s[2:3], s[58:59]
	s_cbranch_execnz .LBB28_220
	s_branch .LBB28_221
.LBB28_286:                             ;   in Loop: Header=BB28_13 Depth=1
	ds_read_u16 v27, v90
	s_waitcnt lgkmcnt(0)
	global_store_short v[0:1], v27, off
	s_or_b64 exec, exec, s[2:3]
	s_and_saveexec_b64 s[2:3], s[28:29]
	s_cbranch_execz .LBB28_255
.LBB28_287:                             ;   in Loop: Header=BB28_13 Depth=1
	s_waitcnt lgkmcnt(14)
	global_store_short v[0:1], v16, off offset:128
	s_or_b64 exec, exec, s[2:3]
	s_and_saveexec_b64 s[2:3], s[30:31]
	s_cbranch_execz .LBB28_256
.LBB28_288:                             ;   in Loop: Header=BB28_13 Depth=1
	s_waitcnt lgkmcnt(13)
	global_store_short v[0:1], v15, off offset:256
	s_or_b64 exec, exec, s[2:3]
	s_and_saveexec_b64 s[2:3], s[34:35]
	s_cbranch_execz .LBB28_257
.LBB28_289:                             ;   in Loop: Header=BB28_13 Depth=1
	s_waitcnt lgkmcnt(12)
	global_store_short v[0:1], v14, off offset:384
	s_or_b64 exec, exec, s[2:3]
	s_and_saveexec_b64 s[2:3], s[36:37]
	s_cbranch_execz .LBB28_258
.LBB28_290:                             ;   in Loop: Header=BB28_13 Depth=1
	s_waitcnt lgkmcnt(11)
	global_store_short v[0:1], v13, off offset:512
	s_or_b64 exec, exec, s[2:3]
	s_and_saveexec_b64 s[2:3], s[38:39]
	s_cbranch_execz .LBB28_259
.LBB28_291:                             ;   in Loop: Header=BB28_13 Depth=1
	s_waitcnt lgkmcnt(10)
	global_store_short v[0:1], v12, off offset:640
	s_or_b64 exec, exec, s[2:3]
	s_and_saveexec_b64 s[2:3], s[40:41]
	s_cbranch_execz .LBB28_260
.LBB28_292:                             ;   in Loop: Header=BB28_13 Depth=1
	s_waitcnt lgkmcnt(9)
	global_store_short v[0:1], v11, off offset:768
	s_or_b64 exec, exec, s[2:3]
	s_and_saveexec_b64 s[2:3], s[42:43]
	s_cbranch_execz .LBB28_261
.LBB28_293:                             ;   in Loop: Header=BB28_13 Depth=1
	s_waitcnt lgkmcnt(8)
	global_store_short v[0:1], v10, off offset:896
	s_or_b64 exec, exec, s[2:3]
	s_and_saveexec_b64 s[2:3], s[44:45]
	s_cbranch_execz .LBB28_262
.LBB28_294:                             ;   in Loop: Header=BB28_13 Depth=1
	s_waitcnt lgkmcnt(7)
	global_store_short v[0:1], v9, off offset:1024
	s_or_b64 exec, exec, s[2:3]
	s_and_saveexec_b64 s[2:3], s[46:47]
	s_cbranch_execz .LBB28_263
.LBB28_295:                             ;   in Loop: Header=BB28_13 Depth=1
	s_waitcnt lgkmcnt(6)
	global_store_short v[0:1], v8, off offset:1152
	s_or_b64 exec, exec, s[2:3]
	s_and_saveexec_b64 s[2:3], s[48:49]
	s_cbranch_execz .LBB28_264
.LBB28_296:                             ;   in Loop: Header=BB28_13 Depth=1
	s_waitcnt lgkmcnt(5)
	global_store_short v[0:1], v7, off offset:1280
	s_or_b64 exec, exec, s[2:3]
	s_and_saveexec_b64 s[2:3], s[50:51]
	s_cbranch_execz .LBB28_265
.LBB28_297:                             ;   in Loop: Header=BB28_13 Depth=1
	s_waitcnt lgkmcnt(4)
	global_store_short v[0:1], v6, off offset:1408
	s_or_b64 exec, exec, s[2:3]
	s_and_saveexec_b64 s[2:3], s[52:53]
	s_cbranch_execz .LBB28_266
.LBB28_298:                             ;   in Loop: Header=BB28_13 Depth=1
	s_waitcnt lgkmcnt(3)
	global_store_short v[0:1], v5, off offset:1536
	s_or_b64 exec, exec, s[2:3]
	s_and_saveexec_b64 s[2:3], s[54:55]
	s_cbranch_execz .LBB28_267
.LBB28_299:                             ;   in Loop: Header=BB28_13 Depth=1
	s_waitcnt lgkmcnt(2)
	global_store_short v[0:1], v4, off offset:1664
	s_or_b64 exec, exec, s[2:3]
	s_and_saveexec_b64 s[2:3], s[56:57]
	s_cbranch_execz .LBB28_268
.LBB28_300:                             ;   in Loop: Header=BB28_13 Depth=1
	s_waitcnt lgkmcnt(1)
	global_store_short v[0:1], v3, off offset:1792
	s_or_b64 exec, exec, s[2:3]
	s_and_saveexec_b64 s[2:3], s[58:59]
	s_cbranch_execz .LBB28_12
.LBB28_301:                             ;   in Loop: Header=BB28_13 Depth=1
	s_waitcnt lgkmcnt(0)
	global_store_short v[0:1], v2, off offset:1920
	s_branch .LBB28_12
.LBB28_302:
	s_endpgm
	.section	.rodata,"a",@progbits
	.p2align	6, 0x0
	.amdhsa_kernel _Z25selective_scan_fwd_kernelI32Selective_Scan_fwd_kernel_traitsILi128ELi16ELi1ELb0ELb1ELb1ELb1ELb1EN3c108BFloat16EfS2_EEv13SSMParamsBase
		.amdhsa_group_segment_fixed_size 0
		.amdhsa_private_segment_fixed_size 0
		.amdhsa_kernarg_size 248
		.amdhsa_user_sgpr_count 2
		.amdhsa_user_sgpr_dispatch_ptr 0
		.amdhsa_user_sgpr_queue_ptr 0
		.amdhsa_user_sgpr_kernarg_segment_ptr 1
		.amdhsa_user_sgpr_dispatch_id 0
		.amdhsa_user_sgpr_kernarg_preload_length 0
		.amdhsa_user_sgpr_kernarg_preload_offset 0
		.amdhsa_user_sgpr_private_segment_size 0
		.amdhsa_uses_dynamic_stack 0
		.amdhsa_enable_private_segment 0
		.amdhsa_system_sgpr_workgroup_id_x 1
		.amdhsa_system_sgpr_workgroup_id_y 1
		.amdhsa_system_sgpr_workgroup_id_z 0
		.amdhsa_system_sgpr_workgroup_info 0
		.amdhsa_system_vgpr_workitem_id 0
		.amdhsa_next_free_vgpr 168
		.amdhsa_next_free_sgpr 100
		.amdhsa_accum_offset 168
		.amdhsa_reserve_vcc 1
		.amdhsa_float_round_mode_32 0
		.amdhsa_float_round_mode_16_64 0
		.amdhsa_float_denorm_mode_32 3
		.amdhsa_float_denorm_mode_16_64 3
		.amdhsa_dx10_clamp 1
		.amdhsa_ieee_mode 1
		.amdhsa_fp16_overflow 0
		.amdhsa_tg_split 0
		.amdhsa_exception_fp_ieee_invalid_op 0
		.amdhsa_exception_fp_denorm_src 0
		.amdhsa_exception_fp_ieee_div_zero 0
		.amdhsa_exception_fp_ieee_overflow 0
		.amdhsa_exception_fp_ieee_underflow 0
		.amdhsa_exception_fp_ieee_inexact 0
		.amdhsa_exception_int_div_zero 0
	.end_amdhsa_kernel
	.section	.text._Z25selective_scan_fwd_kernelI32Selective_Scan_fwd_kernel_traitsILi128ELi16ELi1ELb0ELb1ELb1ELb1ELb1EN3c108BFloat16EfS2_EEv13SSMParamsBase,"axG",@progbits,_Z25selective_scan_fwd_kernelI32Selective_Scan_fwd_kernel_traitsILi128ELi16ELi1ELb0ELb1ELb1ELb1ELb1EN3c108BFloat16EfS2_EEv13SSMParamsBase,comdat
.Lfunc_end28:
	.size	_Z25selective_scan_fwd_kernelI32Selective_Scan_fwd_kernel_traitsILi128ELi16ELi1ELb0ELb1ELb1ELb1ELb1EN3c108BFloat16EfS2_EEv13SSMParamsBase, .Lfunc_end28-_Z25selective_scan_fwd_kernelI32Selective_Scan_fwd_kernel_traitsILi128ELi16ELi1ELb0ELb1ELb1ELb1ELb1EN3c108BFloat16EfS2_EEv13SSMParamsBase
                                        ; -- End function
	.section	.AMDGPU.csdata,"",@progbits
; Kernel info:
; codeLenInByte = 25428
; NumSgprs: 106
; NumVgprs: 168
; NumAgprs: 0
; TotalNumVgprs: 168
; ScratchSize: 0
; MemoryBound: 0
; FloatMode: 240
; IeeeMode: 1
; LDSByteSize: 0 bytes/workgroup (compile time only)
; SGPRBlocks: 13
; VGPRBlocks: 20
; NumSGPRsForWavesPerEU: 106
; NumVGPRsForWavesPerEU: 168
; AccumOffset: 168
; Occupancy: 3
; WaveLimiterHint : 1
; COMPUTE_PGM_RSRC2:SCRATCH_EN: 0
; COMPUTE_PGM_RSRC2:USER_SGPR: 2
; COMPUTE_PGM_RSRC2:TRAP_HANDLER: 0
; COMPUTE_PGM_RSRC2:TGID_X_EN: 1
; COMPUTE_PGM_RSRC2:TGID_Y_EN: 1
; COMPUTE_PGM_RSRC2:TGID_Z_EN: 0
; COMPUTE_PGM_RSRC2:TIDIG_COMP_CNT: 0
; COMPUTE_PGM_RSRC3_GFX90A:ACCUM_OFFSET: 41
; COMPUTE_PGM_RSRC3_GFX90A:TG_SPLIT: 0
	.section	.text._Z25selective_scan_fwd_kernelI32Selective_Scan_fwd_kernel_traitsILi128ELi16ELi1ELb0ELb1ELb1ELb1ELb0EN3c108BFloat16EfS2_EEv13SSMParamsBase,"axG",@progbits,_Z25selective_scan_fwd_kernelI32Selective_Scan_fwd_kernel_traitsILi128ELi16ELi1ELb0ELb1ELb1ELb1ELb0EN3c108BFloat16EfS2_EEv13SSMParamsBase,comdat
	.protected	_Z25selective_scan_fwd_kernelI32Selective_Scan_fwd_kernel_traitsILi128ELi16ELi1ELb0ELb1ELb1ELb1ELb0EN3c108BFloat16EfS2_EEv13SSMParamsBase ; -- Begin function _Z25selective_scan_fwd_kernelI32Selective_Scan_fwd_kernel_traitsILi128ELi16ELi1ELb0ELb1ELb1ELb1ELb0EN3c108BFloat16EfS2_EEv13SSMParamsBase
	.globl	_Z25selective_scan_fwd_kernelI32Selective_Scan_fwd_kernel_traitsILi128ELi16ELi1ELb0ELb1ELb1ELb1ELb0EN3c108BFloat16EfS2_EEv13SSMParamsBase
	.p2align	8
	.type	_Z25selective_scan_fwd_kernelI32Selective_Scan_fwd_kernel_traitsILi128ELi16ELi1ELb0ELb1ELb1ELb1ELb0EN3c108BFloat16EfS2_EEv13SSMParamsBase,@function
_Z25selective_scan_fwd_kernelI32Selective_Scan_fwd_kernel_traitsILi128ELi16ELi1ELb0ELb1ELb1ELb1ELb0EN3c108BFloat16EfS2_EEv13SSMParamsBase: ; @_Z25selective_scan_fwd_kernelI32Selective_Scan_fwd_kernel_traitsILi128ELi16ELi1ELb0ELb1ELb1ELb1ELb0EN3c108BFloat16EfS2_EEv13SSMParamsBase
; %bb.0:
	s_load_dword s13, s[0:1], 0x18
	s_load_dwordx4 s[4:7], s[0:1], 0xe8
	s_mov_b32 s8, s3
                                        ; implicit-def: $vgpr166 : SGPR spill to VGPR lane
	s_waitcnt lgkmcnt(0)
	s_abs_i32 s12, s13
	v_cvt_f32_u32_e32 v1, s12
	s_cmp_eq_u64 s[6:7], 0
	v_rcp_iflag_f32_e32 v1, v1
	s_nop 0
	v_mul_f32_e32 v1, 0x4f7ffffe, v1
	v_cvt_u32_f32_e32 v1, v1
	s_nop 0
	v_readfirstlane_b32 s14, v1
	s_cbranch_scc1 .LBB29_2
; %bb.1:
	s_ashr_i32 s3, s2, 31
	s_add_u32 s6, s6, s2
	s_addc_u32 s7, s7, s3
	v_mov_b32_e32 v1, 0
	global_load_ubyte v1, v1, s[6:7]
	s_waitcnt vmcnt(0)
	v_and_b32_e32 v1, 1, v1
	v_cmp_eq_u32_e64 s[6:7], 1, v1
	s_branch .LBB29_3
.LBB29_2:
	s_mov_b64 s[6:7], 0
.LBB29_3:
	s_nop 0
	v_writelane_b32 v166, s6, 0
	s_cmp_eq_u64 s[4:5], 0
	s_nop 0
	v_writelane_b32 v166, s7, 1
	s_load_dwordx2 s[6:7], s[0:1], 0x20
	s_cbranch_scc1 .LBB29_5
; %bb.4:
	s_ashr_i32 s3, s2, 31
	s_lshl_b64 s[10:11], s[2:3], 2
	s_add_u32 s4, s4, s10
	s_addc_u32 s5, s5, s11
	s_load_dword s10, s[4:5], 0x0
	s_waitcnt lgkmcnt(0)
	s_ashr_i32 s11, s10, 31
	s_cmp_eq_u64 s[6:7], s[10:11]
	s_cbranch_scc0 .LBB29_6
	s_branch .LBB29_302
.LBB29_5:
	s_mov_b32 s10, s2
	s_ashr_i32 s11, s10, 31
	s_waitcnt lgkmcnt(0)
	s_cmp_eq_u64 s[6:7], s[10:11]
	s_cbranch_scc1 .LBB29_302
.LBB29_6:
	s_load_dwordx16 s[36:51], s[0:1], 0x88
	s_load_dwordx2 s[18:19], s[0:1], 0x8
	s_mov_b32 s3, 0
	v_writelane_b32 v166, s3, 2
	v_writelane_b32 v166, s3, 3
	s_waitcnt lgkmcnt(0)
	s_cmp_eq_u64 s[42:43], 0
	s_cbranch_scc1 .LBB29_8
; %bb.7:
	s_ashr_i32 s9, s8, 31
	s_lshl_b64 s[4:5], s[8:9], 2
	s_add_u32 s4, s42, s4
	s_addc_u32 s5, s43, s5
	s_load_dword s3, s[4:5], 0x0
	s_waitcnt lgkmcnt(0)
	v_writelane_b32 v166, s3, 3
.LBB29_8:
	s_cmp_eq_u64 s[48:49], 0
	s_cbranch_scc1 .LBB29_10
; %bb.9:
	s_ashr_i32 s9, s8, 31
	s_lshl_b64 s[4:5], s[8:9], 2
	s_add_u32 s4, s48, s4
	s_addc_u32 s5, s49, s5
	s_load_dword s3, s[4:5], 0x0
	s_waitcnt lgkmcnt(0)
	v_writelane_b32 v166, s3, 2
.LBB29_10:
	s_cmp_lt_i32 s18, 1
	s_cbranch_scc1 .LBB29_302
; %bb.11:
	s_sub_i32 s3, 0, s12
	s_mul_i32 s3, s3, s14
	s_mul_hi_u32 s3, s14, s3
	s_load_dwordx8 s[52:59], s[0:1], 0x2c
	s_load_dwordx2 s[16:17], s[0:1], 0x7c
	s_load_dwordx4 s[20:23], s[0:1], 0x6c
	s_load_dwordx8 s[60:67], s[0:1], 0x4c
	s_load_dwordx2 s[4:5], s[0:1], 0xd8
	s_add_i32 s14, s14, s3
	s_load_dwordx4 s[24:27], s[0:1], 0xc8
	s_load_dword s3, s[0:1], 0x84
	s_abs_i32 s6, s8
	s_load_dword s9, s[0:1], 0x28
	s_ashr_i32 s0, s8, 31
	s_ashr_i32 s1, s13, 31
	s_waitcnt lgkmcnt(0)
	v_writelane_b32 v166, s3, 4
	s_mul_hi_u32 s3, s6, s14
	s_xor_b32 s0, s0, s1
	s_mul_i32 s1, s3, s12
	s_sub_i32 s1, s6, s1
	s_add_i32 s6, s3, 1
	s_sub_i32 s7, s1, s12
	s_cmp_ge_u32 s1, s12
	s_cselect_b32 s3, s6, s3
	s_cselect_b32 s1, s7, s1
	s_add_i32 s6, s3, 1
	s_cmp_ge_u32 s1, s12
	s_cselect_b32 s1, s6, s3
	s_xor_b32 s1, s1, s0
	s_mul_i32 s6, s62, s2
	s_mov_b32 s7, 0
	s_sub_i32 s3, s1, s0
	s_lshl_b64 s[0:1], s[6:7], 1
	s_add_u32 s11, s44, s0
	s_mul_i32 s6, s63, s8
	s_addc_u32 s12, s45, s1
	s_lshl_b64 s[0:1], s[6:7], 1
	s_add_u32 s28, s11, s0
	s_mul_i32 s6, s64, s2
	s_addc_u32 s29, s12, s1
	;; [unrolled: 4-line block ×3, first 2 shown]
	s_lshl_b64 s[0:1], s[6:7], 1
	s_add_u32 s0, s11, s0
	s_addc_u32 s1, s12, s1
	v_writelane_b32 v166, s0, 5
	s_mul_i32 s6, s52, s8
	v_mbcnt_lo_u32_b32 v1, -1, 0
	v_writelane_b32 v166, s1, 6
	s_lshl_b64 s[0:1], s[6:7], 2
	s_add_u32 s0, s36, s0
	v_writelane_b32 v166, s0, 7
	s_addc_u32 s0, s37, s1
	s_mul_i32 s6, s54, s2
	v_writelane_b32 v166, s0, 8
	s_lshl_b64 s[0:1], s[6:7], 1
	s_add_u32 s11, s38, s0
	s_mul_i32 s6, s3, s57
	s_addc_u32 s12, s39, s1
	s_lshl_b64 s[0:1], s[6:7], 1
	s_add_u32 s0, s11, s0
	s_addc_u32 s1, s12, s1
	v_writelane_b32 v166, s0, 9
	v_lshlrev_b32_e32 v19, 4, v0
	v_mbcnt_hi_u32_b32 v18, -1, v1
	v_writelane_b32 v166, s1, 10
	v_writelane_b32 v166, s52, 11
	v_and_b32_e32 v2, 0x400, v19
	s_mul_i32 s6, s58, s2
	v_writelane_b32 v166, s53, 12
	v_writelane_b32 v166, s54, 13
	v_or_b32_e32 v74, v18, v2
	v_writelane_b32 v166, s55, 14
	s_lshl_b64 s[0:1], s[6:7], 1
	v_lshrrev_b32_e32 v1, 5, v74
	v_writelane_b32 v166, s56, 15
	s_add_u32 s11, s40, s0
	s_mul_i32 s6, s3, s61
	v_and_b32_e32 v1, 34, v1
	v_writelane_b32 v166, s57, 16
	s_addc_u32 s12, s41, s1
	s_lshl_b64 s[0:1], s[6:7], 1
	v_add_u32_e32 v3, 64, v74
	v_or_b32_e32 v4, 0x80, v74
	v_add_u32_e32 v5, 0xc0, v74
	v_add_u32_e32 v1, v1, v74
	v_writelane_b32 v166, s58, 17
	s_add_u32 s0, s11, s0
	v_lshl_add_u32 v90, v1, 1, 0
	v_lshrrev_b32_e32 v1, 5, v3
	v_lshrrev_b32_e32 v3, 5, v4
	;; [unrolled: 1-line block ×3, first 2 shown]
	v_writelane_b32 v166, s59, 18
	s_addc_u32 s1, s12, s1
	v_or_b32_e32 v6, 0x100, v74
	v_and_b32_e32 v4, 46, v4
	v_writelane_b32 v166, s0, 19
	s_mul_i32 s6, s10, s16
	v_add_lshl_u32 v8, v4, v74, 1
	v_lshrrev_b32_e32 v4, 5, v6
	v_writelane_b32 v166, s1, 20
	s_lshl_b64 s[0:1], s[6:7], 1
	v_add_u32_e32 v7, 0x140, v74
	v_and_b32_e32 v4, 42, v4
	s_add_u32 s3, s24, s0
	s_mul_i32 s6, s17, s8
	v_add_lshl_u32 v9, v4, v74, 1
	v_lshrrev_b32_e32 v4, 5, v7
	s_addc_u32 s10, s25, s1
	s_lshl_b64 s[0:1], s[6:7], 1
	v_or_b32_e32 v11, 0x180, v74
	v_and_b32_e32 v4, 46, v4
	s_add_u32 s0, s3, s0
	v_add_lshl_u32 v10, v4, v74, 1
	v_lshrrev_b32_e32 v4, 5, v11
	v_writelane_b32 v166, s0, 21
	s_addc_u32 s0, s10, s1
	v_add_u32_e32 v12, 0x1c0, v74
	v_and_b32_e32 v4, 46, v4
	v_writelane_b32 v166, s0, 22
	s_add_i32 s0, s18, 0x7ff
	v_add_lshl_u32 v11, v4, v74, 1
	v_lshrrev_b32_e32 v4, 5, v12
	s_lshr_b32 s0, s0, 11
	v_or_b32_e32 v82, 0x200, v74
	v_and_b32_e32 v4, 62, v4
	v_add_lshl_u32 v12, v4, v74, 1
	v_lshrrev_b32_e32 v4, 5, v82
	s_bitcmp1_b32 s9, 0
	v_add_u32_e32 v83, 0x240, v74
	v_and_b32_e32 v4, 50, v4
	s_cselect_b64 s[10:11], -1, 0
	v_add_lshl_u32 v13, v4, v74, 1
	v_lshrrev_b32_e32 v4, 5, v83
	v_writelane_b32 v166, s10, 23
	s_cmp_gt_i32 s19, 0
	v_or_b32_e32 v84, 0x280, v74
	v_and_b32_e32 v4, 54, v4
	v_writelane_b32 v166, s11, 24
	s_cselect_b64 s[10:11], -1, 0
	v_add_lshl_u32 v14, v4, v74, 1
	v_lshrrev_b32_e32 v4, 5, v84
	v_writelane_b32 v166, s10, 25
	v_add_u32_e32 v85, 0x2c0, v74
	v_and_b32_e32 v4, 54, v4
	v_writelane_b32 v166, s11, 26
	v_add_lshl_u32 v15, v4, v74, 1
	v_lshrrev_b32_e32 v4, 5, v85
	v_writelane_b32 v166, s18, 27
	v_or_b32_e32 v86, 0x300, v74
	v_and_b32_e32 v4, 62, v4
	v_writelane_b32 v166, s19, 28
	v_add_lshl_u32 v26, v4, v74, 1
	v_lshrrev_b32_e32 v4, 5, v86
	v_writelane_b32 v166, s0, 29
	s_add_i32 s0, s0, -1
	s_mul_i32 s6, s20, s2
	v_add_u32_e32 v87, 0x340, v74
	v_and_b32_e32 v4, 58, v4
	s_add_i32 s9, 0, 0x1080
	s_and_b32 s10, s18, 0x7ff
	v_writelane_b32 v166, s0, 30
	s_lshl_b64 s[0:1], s[6:7], 1
	v_add_lshl_u32 v27, v4, v74, 1
	v_lshrrev_b32_e32 v4, 5, v87
	s_add_u32 s3, s50, s0
	s_mul_i32 s6, s21, s8
	v_or_b32_e32 v88, 0x380, v74
	v_and_b32_e32 v4, 62, v4
	s_addc_u32 s11, s51, s1
	s_lshl_b64 s[0:1], s[6:7], 1
	v_add_lshl_u32 v28, v4, v74, 1
	v_lshrrev_b32_e32 v4, 5, v88
	s_add_u32 s12, s3, s0
	s_mul_i32 s6, s66, s2
	v_writelane_b32 v166, s60, 31
	v_and_b32_e32 v4, 62, v4
	s_addc_u32 s13, s11, s1
	s_lshl_b64 s[0:1], s[6:7], 1
	v_writelane_b32 v166, s61, 32
	v_add_lshl_u32 v29, v4, v74, 1
	v_and_b32_e32 v4, 64, v0
	s_add_u32 s3, s26, s0
	v_writelane_b32 v166, s62, 33
	s_mul_i32 s6, s67, s8
	v_add_u16_e32 v6, v18, v4
	s_addc_u32 s11, s27, s1
	v_writelane_b32 v166, s63, 34
	s_lshl_b64 s[0:1], s[6:7], 1
	v_lshrrev_b16_e32 v6, 1, v6
	v_writelane_b32 v166, s64, 35
	s_add_u32 s14, s3, s0
	s_mul_i32 s6, s22, s2
	v_add_lshl_u32 v5, v18, v4, 4
	v_and_b32_e32 v6, 0x7e, v6
	v_writelane_b32 v166, s65, 36
	s_addc_u32 s15, s11, s1
	s_lshl_b64 s[0:1], s[6:7], 1
	v_add_lshl_u32 v30, v6, v5, 1
	v_writelane_b32 v166, s66, 37
	s_add_u32 s2, s4, s0
	v_and_b32_e32 v5, 15, v18
	v_writelane_b32 v166, s67, 38
	s_addc_u32 s3, s5, s1
	v_cmp_lt_u32_e64 s[4:5], 1, v5
	s_mul_i32 s6, s23, s8
	s_lshl_b64 s[0:1], s[6:7], 1
	v_writelane_b32 v166, s4, 39
	s_add_u32 s2, s2, s0
	s_addc_u32 s3, s3, s1
	v_writelane_b32 v166, s5, 40
	v_cmp_lt_u32_e64 s[4:5], 3, v5
	v_cmp_eq_u32_e64 s[0:1], 0, v5
	v_or_b32_e32 v4, 63, v4
	v_writelane_b32 v166, s4, 41
	v_mov_b32_e32 v17, 0
	v_lshlrev_b32_e32 v16, 1, v18
	v_writelane_b32 v166, s5, 42
	v_cmp_lt_u32_e64 s[4:5], 7, v5
	v_and_b32_e32 v5, 16, v18
	v_lshlrev_b32_e32 v6, 1, v2
	v_writelane_b32 v166, s4, 43
	v_mov_b32_e32 v7, v17
	s_cmp_eq_u32 s10, 0
	v_writelane_b32 v166, s5, 44
	v_cmp_ne_u32_e64 s[4:5], 0, v5
	v_add_u32_e32 v89, 0x3c0, v74
	v_and_b32_e32 v1, 38, v1
	v_writelane_b32 v166, s4, 45
	v_add_lshl_u32 v1, v1, v74, 1
	v_add_u32_e32 v91, 0, v1
	v_writelane_b32 v166, s5, 46
	v_cmp_eq_u32_e64 s[4:5], v4, v0
	v_and_b32_e32 v4, 1, v18
	v_and_b32_e32 v3, 38, v3
	v_writelane_b32 v166, s4, 47
	v_add_u32_e32 v103, s9, v1
	v_lshrrev_b32_e32 v1, 3, v0
	v_writelane_b32 v166, s5, 48
	v_cmp_eq_u32_e64 s[4:5], 0, v4
	v_lshl_add_u64 v[4:5], s[12:13], 0, v[16:17]
	v_lshl_add_u64 v[20:21], v[4:5], 0, v[6:7]
	v_writelane_b32 v166, s4, 49
	v_lshl_add_u64 v[4:5], s[14:15], 0, v[16:17]
	v_lshl_add_u64 v[22:23], v[4:5], 0, v[6:7]
	v_writelane_b32 v166, s5, 50
	v_lshl_add_u64 v[4:5], s[2:3], 0, v[16:17]
	s_cselect_b64 s[2:3], -1, 0
	v_writelane_b32 v166, s2, 51
	v_lshl_add_u64 v[24:25], v[4:5], 0, v[6:7]
	v_add_u32_e32 v4, -1, v18
	v_writelane_b32 v166, s3, 52
	v_cmp_lt_u32_e64 s[2:3], 31, v18
	v_and_b32_e32 v5, 64, v18
	v_lshrrev_b32_e32 v6, 5, v89
	v_writelane_b32 v166, s2, 53
	v_and_b32_e32 v6, 0x7e, v6
	v_cmp_lt_i32_e32 vcc, v4, v5
	v_writelane_b32 v166, s3, 54
	v_cmp_gt_u32_e64 s[2:3], 2, v0
	v_add_lshl_u32 v3, v3, v74, 1
	v_add_lshl_u32 v6, v6, v74, 1
	v_writelane_b32 v166, s2, 55
	v_and_b32_e32 v1, 8, v1
	v_cmp_lt_u32_e64 s[20:21], 63, v0
	v_writelane_b32 v166, s3, 56
	v_cmp_gt_u32_e64 s[2:3], 64, v0
	v_cmp_eq_u32_e64 s[22:23], 0, v0
	v_lshl_add_u32 v124, v0, 3, 0
	v_writelane_b32 v166, s2, 57
	v_cndmask_b32_e32 v0, v4, v18, vcc
	v_add_u32_e32 v92, 0, v3
	v_writelane_b32 v166, s3, 58
	s_add_i32 s2, 0, 0x2110
	v_add_u32_e32 v93, 0, v8
	v_add_u32_e32 v94, 0, v9
	;; [unrolled: 1-line block ×30, first 2 shown]
	v_lshlrev_b32_e32 v125, 2, v0
	v_cmp_eq_u32_e64 s[24:25], 0, v18
	v_lshlrev_b32_e32 v26, 1, v2
	s_mov_b32 s6, 0x41a00000
	s_mov_b32 s8, 0x3fb8aa3b
	;; [unrolled: 1-line block ×8, first 2 shown]
	v_writelane_b32 v166, s2, 59
	s_mov_b32 s33, 0xc2fc0000
	s_mov_b32 s3, 0
	v_mov_b32_e32 v141, 0x3ecc95a3
	v_mov_b32_e32 v142, 0x7f800000
	;; [unrolled: 1-line block ×6, first 2 shown]
                                        ; implicit-def: $vgpr0
	s_branch .LBB29_13
.LBB29_12:                              ;   in Loop: Header=BB29_13 Depth=1
	s_or_b64 exec, exec, s[2:3]
	v_readlane_b32 s2, v166, 5
	v_readlane_b32 s3, v166, 6
	s_add_u32 s2, s2, 0x1000
	s_addc_u32 s3, s3, 0
	v_writelane_b32 v166, s2, 5
	s_nop 1
	v_writelane_b32 v166, s3, 6
	s_nop 0
	v_readlane_b32 s28, v166, 63
	v_readlane_b32 s29, v167, 0
	s_add_u32 s28, s28, 0x1000
	s_addc_u32 s29, s29, 0
	v_readlane_b32 s2, v166, 9
	v_readlane_b32 s3, v166, 10
	s_add_u32 s2, s2, 0x1000
	s_addc_u32 s3, s3, 0
	v_writelane_b32 v166, s2, 9
	s_nop 1
	v_writelane_b32 v166, s3, 10
	s_nop 0
	v_readlane_b32 s2, v166, 19
	v_readlane_b32 s3, v166, 20
	s_add_u32 s2, s2, 0x1000
	s_addc_u32 s3, s3, 0
	v_writelane_b32 v166, s2, 19
	s_nop 1
	v_writelane_b32 v166, s3, 20
	s_nop 0
	v_readlane_b32 s3, v166, 60
	s_add_i32 s3, s3, 1
	v_readlane_b32 s2, v166, 29
	s_cmp_lg_u32 s3, s2
	s_cbranch_scc0 .LBB29_302
.LBB29_13:                              ; =>This Loop Header: Depth=1
                                        ;     Child Loop BB29_110 Depth 2
	v_writelane_b32 v166, s3, 60
	s_lshl_b32 s16, s3, 11
	v_readlane_b32 s2, v166, 27
	s_mov_b32 s4, s16
	v_readlane_b32 s3, v166, 28
	v_writelane_b32 v166, s4, 61
	s_waitcnt lgkmcnt(14)
	v_lshlrev_b32_e32 v16, 1, v18
	s_sub_i32 s88, s2, s16
	v_writelane_b32 v166, s5, 62
                                        ; implicit-def: $vgpr167 : SGPR spill to VGPR lane
	v_writelane_b32 v166, s28, 63
	v_mov_b32_e32 v27, v17
	v_cmp_gt_u32_e64 s[26:27], s88, v74
	v_lshl_add_u64 v[0:1], s[28:29], 0, v[16:17]
	v_writelane_b32 v167, s29, 0
	v_lshl_add_u64 v[0:1], v[0:1], 0, v[26:27]
	s_waitcnt lgkmcnt(0)
	v_mov_b32_e32 v2, 0
	s_barrier
	s_and_saveexec_b64 s[2:3], s[26:27]
	s_cbranch_execz .LBB29_15
; %bb.14:                               ;   in Loop: Header=BB29_13 Depth=1
	global_load_ushort v2, v[0:1], off
.LBB29_15:                              ;   in Loop: Header=BB29_13 Depth=1
	s_or_b64 exec, exec, s[2:3]
	v_add_u32_e32 v3, 64, v74
	v_cmp_gt_u32_e64 s[28:29], s88, v3
	v_mov_b32_e32 v3, 0
	v_mov_b32_e32 v4, 0
	s_and_saveexec_b64 s[2:3], s[28:29]
	s_cbranch_execz .LBB29_17
; %bb.16:                               ;   in Loop: Header=BB29_13 Depth=1
	global_load_ushort v4, v[0:1], off offset:128
.LBB29_17:                              ;   in Loop: Header=BB29_13 Depth=1
	s_or_b64 exec, exec, s[2:3]
	v_or_b32_e32 v5, 0x80, v74
	v_cmp_gt_u32_e64 s[30:31], s88, v5
	s_and_saveexec_b64 s[2:3], s[30:31]
	s_cbranch_execz .LBB29_19
; %bb.18:                               ;   in Loop: Header=BB29_13 Depth=1
	global_load_ushort v3, v[0:1], off offset:256
.LBB29_19:                              ;   in Loop: Header=BB29_13 Depth=1
	s_or_b64 exec, exec, s[2:3]
	v_add_u32_e32 v5, 0xc0, v74
	v_cmp_gt_u32_e64 s[34:35], s88, v5
	v_mov_b32_e32 v5, 0
	v_mov_b32_e32 v6, 0
	s_and_saveexec_b64 s[2:3], s[34:35]
	s_cbranch_execz .LBB29_21
; %bb.20:                               ;   in Loop: Header=BB29_13 Depth=1
	global_load_ushort v6, v[0:1], off offset:384
.LBB29_21:                              ;   in Loop: Header=BB29_13 Depth=1
	s_or_b64 exec, exec, s[2:3]
	v_or_b32_e32 v7, 0x100, v74
	v_cmp_gt_u32_e64 s[36:37], s88, v7
	s_and_saveexec_b64 s[2:3], s[36:37]
	s_cbranch_execz .LBB29_23
; %bb.22:                               ;   in Loop: Header=BB29_13 Depth=1
	global_load_ushort v5, v[0:1], off offset:512
.LBB29_23:                              ;   in Loop: Header=BB29_13 Depth=1
	;; [unrolled: 18-line block ×3, first 2 shown]
	s_or_b64 exec, exec, s[2:3]
	v_add_u32_e32 v9, 0x1c0, v74
	v_cmp_gt_u32_e64 s[42:43], s88, v9
	v_mov_b32_e32 v9, 0
	v_mov_b32_e32 v11, 0
	s_and_saveexec_b64 s[2:3], s[42:43]
	s_cbranch_execz .LBB29_29
; %bb.28:                               ;   in Loop: Header=BB29_13 Depth=1
	global_load_ushort v11, v[0:1], off offset:896
.LBB29_29:                              ;   in Loop: Header=BB29_13 Depth=1
	s_or_b64 exec, exec, s[2:3]
	v_cmp_gt_u32_e64 s[44:45], s88, v82
	s_and_saveexec_b64 s[2:3], s[44:45]
	s_cbranch_execz .LBB29_31
; %bb.30:                               ;   in Loop: Header=BB29_13 Depth=1
	global_load_ushort v9, v[0:1], off offset:1024
.LBB29_31:                              ;   in Loop: Header=BB29_13 Depth=1
	s_or_b64 exec, exec, s[2:3]
	v_cmp_gt_u32_e64 s[46:47], s88, v83
	v_mov_b32_e32 v12, 0
	v_mov_b32_e32 v13, 0
	s_and_saveexec_b64 s[2:3], s[46:47]
	s_cbranch_execz .LBB29_33
; %bb.32:                               ;   in Loop: Header=BB29_13 Depth=1
	global_load_ushort v13, v[0:1], off offset:1152
.LBB29_33:                              ;   in Loop: Header=BB29_13 Depth=1
	s_or_b64 exec, exec, s[2:3]
	v_cmp_gt_u32_e64 s[48:49], s88, v84
	s_and_saveexec_b64 s[2:3], s[48:49]
	s_cbranch_execz .LBB29_35
; %bb.34:                               ;   in Loop: Header=BB29_13 Depth=1
	global_load_ushort v12, v[0:1], off offset:1280
.LBB29_35:                              ;   in Loop: Header=BB29_13 Depth=1
	s_or_b64 exec, exec, s[2:3]
	;; [unrolled: 16-line block ×4, first 2 shown]
	v_cmp_gt_u32_e64 s[58:59], s88, v89
	v_mov_b32_e32 v10, 0
	v_mov_b32_e32 v30, 0
	s_and_saveexec_b64 s[2:3], s[58:59]
	s_cbranch_execz .LBB29_45
; %bb.44:                               ;   in Loop: Header=BB29_13 Depth=1
	global_load_ushort v30, v[0:1], off offset:1920
.LBB29_45:                              ;   in Loop: Header=BB29_13 Depth=1
	s_or_b64 exec, exec, s[2:3]
	s_waitcnt vmcnt(0)
	ds_write_b16 v90, v2
	ds_write_b16 v91, v4 offset:128
	ds_write_b16 v92, v3 offset:256
	;; [unrolled: 1-line block ×15, first 2 shown]
	; wave barrier
	ds_read_b128 v[0:3], v121
	ds_read_b128 v[4:7], v121 offset:16
	v_readlane_b32 s2, v166, 5
	v_readlane_b32 s3, v166, 6
	v_mov_b32_e32 v27, v17
	s_waitcnt lgkmcnt(0)
	v_lshl_add_u64 v[8:9], s[2:3], 0, v[16:17]
	v_lshl_add_u64 v[8:9], v[8:9], 0, v[26:27]
	s_barrier
	s_and_saveexec_b64 s[2:3], s[26:27]
	s_cbranch_execz .LBB29_47
; %bb.46:                               ;   in Loop: Header=BB29_13 Depth=1
	global_load_ushort v10, v[8:9], off
.LBB29_47:                              ;   in Loop: Header=BB29_13 Depth=1
	s_or_b64 exec, exec, s[2:3]
	v_mov_b32_e32 v11, 0
	v_mov_b32_e32 v12, 0
	s_and_saveexec_b64 s[2:3], s[28:29]
	s_cbranch_execz .LBB29_49
; %bb.48:                               ;   in Loop: Header=BB29_13 Depth=1
	global_load_ushort v12, v[8:9], off offset:128
.LBB29_49:                              ;   in Loop: Header=BB29_13 Depth=1
	s_or_b64 exec, exec, s[2:3]
	s_and_saveexec_b64 s[2:3], s[30:31]
	s_cbranch_execz .LBB29_51
; %bb.50:                               ;   in Loop: Header=BB29_13 Depth=1
	global_load_ushort v11, v[8:9], off offset:256
.LBB29_51:                              ;   in Loop: Header=BB29_13 Depth=1
	s_or_b64 exec, exec, s[2:3]
	v_mov_b32_e32 v13, 0
	v_mov_b32_e32 v14, 0
	s_and_saveexec_b64 s[2:3], s[34:35]
	s_cbranch_execz .LBB29_53
; %bb.52:                               ;   in Loop: Header=BB29_13 Depth=1
	global_load_ushort v14, v[8:9], off offset:384
.LBB29_53:                              ;   in Loop: Header=BB29_13 Depth=1
	s_or_b64 exec, exec, s[2:3]
	s_and_saveexec_b64 s[2:3], s[36:37]
	s_cbranch_execz .LBB29_55
; %bb.54:                               ;   in Loop: Header=BB29_13 Depth=1
	global_load_ushort v13, v[8:9], off offset:512
.LBB29_55:                              ;   in Loop: Header=BB29_13 Depth=1
	;; [unrolled: 14-line block ×6, first 2 shown]
	s_or_b64 exec, exec, s[2:3]
	v_mov_b32_e32 v35, 0
	v_mov_b32_e32 v36, 0
	s_and_saveexec_b64 s[2:3], s[54:55]
	s_cbranch_execnz .LBB29_269
; %bb.72:                               ;   in Loop: Header=BB29_13 Depth=1
	s_or_b64 exec, exec, s[2:3]
	s_and_saveexec_b64 s[2:3], s[56:57]
	s_cbranch_execnz .LBB29_270
.LBB29_73:                              ;   in Loop: Header=BB29_13 Depth=1
	s_or_b64 exec, exec, s[2:3]
	v_mov_b32_e32 v37, 0
	s_and_saveexec_b64 s[2:3], s[58:59]
	s_cbranch_execz .LBB29_75
.LBB29_74:                              ;   in Loop: Header=BB29_13 Depth=1
	global_load_ushort v37, v[8:9], off offset:1920
.LBB29_75:                              ;   in Loop: Header=BB29_13 Depth=1
	s_or_b64 exec, exec, s[2:3]
	s_waitcnt vmcnt(0)
	ds_write_b16 v90, v10
	ds_write_b16 v91, v12 offset:128
	ds_write_b16 v92, v11 offset:256
	;; [unrolled: 1-line block ×15, first 2 shown]
	; wave barrier
	ds_read_b128 v[12:15], v121
	ds_read_b128 v[8:11], v121 offset:16
	v_readlane_b32 s2, v166, 2
	s_waitcnt lgkmcnt(1)
	v_lshlrev_b32_e32 v27, 16, v12
	v_add_f32_e32 v146, s2, v27
	v_readlane_b32 s2, v166, 23
	v_cmp_ge_f32_e32 vcc, s6, v146
	v_readlane_b32 s3, v166, 24
	s_and_b64 s[2:3], s[2:3], vcc
	s_and_saveexec_b64 s[4:5], s[2:3]
	s_cbranch_execz .LBB29_77
; %bb.76:                               ;   in Loop: Header=BB29_13 Depth=1
	v_mul_f32_e32 v27, 0x3fb8aa3b, v146
	v_rndne_f32_e32 v29, v27
	v_sub_f32_e32 v30, v27, v29
	v_fma_f32 v27, v146, s8, -v27
	v_fmac_f32_e32 v27, 0x32a5705f, v146
	v_add_f32_e32 v27, v30, v27
	v_cvt_i32_f32_e32 v29, v29
	v_exp_f32_e32 v27, v27
	v_cmp_ngt_f32_e32 vcc, s9, v146
	v_ldexp_f32 v27, v27, v29
	s_nop 0
	v_cndmask_b32_e32 v27, 0, v27, vcc
	v_cmp_nlt_f32_e32 vcc, s10, v146
	s_nop 1
	v_cndmask_b32_e32 v46, v142, v27, vcc
	v_add_f32_e32 v27, 1.0, v46
	v_add_f32_e32 v29, -1.0, v27
	v_sub_f32_e32 v30, v29, v27
	v_add_f32_e32 v30, 1.0, v30
	v_sub_f32_e32 v29, v46, v29
	v_add_f32_e32 v29, v29, v30
	v_frexp_mant_f32_e32 v32, v27
	v_cvt_f64_f32_e32 v[30:31], v27
	v_frexp_exp_i32_f64_e32 v30, v[30:31]
	v_cmp_gt_f32_e32 vcc, s12, v32
	v_cmp_gt_f32_e64 s[60:61], s14, v46
	s_nop 0
	v_subbrev_co_u32_e32 v38, vcc, 0, v30, vcc
	v_sub_u32_e32 v30, 0, v38
	v_ldexp_f32 v27, v27, v30
	v_ldexp_f32 v29, v29, v30
	v_add_f32_e32 v30, -1.0, v27
	v_add_f32_e32 v31, 1.0, v30
	v_sub_f32_e32 v31, v27, v31
	v_add_f32_e32 v32, v29, v31
	v_add_f32_e32 v31, 1.0, v27
	v_add_f32_e32 v33, -1.0, v31
	v_sub_f32_e32 v27, v27, v33
	v_add_f32_e32 v27, v29, v27
	v_add_f32_e32 v29, v31, v27
	v_rcp_f32_e32 v39, v29
	v_sub_f32_e32 v31, v31, v29
	v_add_f32_e32 v27, v27, v31
	v_add_f32_e32 v31, v30, v32
	v_sub_f32_e32 v30, v30, v31
	v_mul_f32_e32 v41, v31, v39
	v_add_f32_e32 v40, v32, v30
	v_mul_f32_e32 v32, v29, v41
	v_fma_f32 v34, v41, v29, -v32
	v_fmac_f32_e32 v34, v41, v27
	v_add_f32_e32 v30, v32, v34
	v_sub_f32_e32 v33, v31, v30
	v_pk_add_f32 v[36:37], v[30:31], v[32:33] neg_lo:[0,1] neg_hi:[0,1]
	v_mov_b32_e32 v35, v30
	v_pk_add_f32 v[30:31], v[36:37], v[34:35] neg_lo:[0,1] neg_hi:[0,1]
	v_cmp_eq_f32_e32 vcc, s11, v46
	v_add_f32_e32 v31, v40, v31
	v_add_f32_e32 v30, v30, v31
	;; [unrolled: 1-line block ×3, first 2 shown]
	v_mul_f32_e32 v40, v39, v31
	v_mul_f32_e32 v32, v29, v40
	v_fma_f32 v34, v40, v29, -v32
	v_fmac_f32_e32 v34, v40, v27
	v_sub_f32_e32 v27, v33, v31
	v_add_f32_e32 v27, v30, v27
	v_add_f32_e32 v30, v32, v34
	v_sub_f32_e32 v33, v31, v30
	v_pk_add_f32 v[36:37], v[30:31], v[32:33] neg_lo:[0,1] neg_hi:[0,1]
	v_mov_b32_e32 v35, v30
	v_pk_add_f32 v[30:31], v[36:37], v[34:35] neg_lo:[0,1] neg_hi:[0,1]
	s_or_b64 vcc, s[60:61], vcc
	v_add_f32_e32 v27, v27, v31
	v_add_f32_e32 v27, v30, v27
	;; [unrolled: 1-line block ×4, first 2 shown]
	v_sub_f32_e32 v29, v31, v41
	v_mul_f32_e32 v27, v39, v27
	v_sub_f32_e32 v29, v40, v29
	v_add_f32_e32 v27, v29, v27
	v_add_f32_e32 v32, v31, v27
	v_cvt_f32_i32_e32 v30, v38
	v_mul_f32_e32 v34, v32, v32
	v_fmamk_f32 v29, v34, 0x3e9b6dac, v141
	v_sub_f32_e32 v31, v32, v31
	v_fmaak_f32 v29, v34, v29, 0x3f2aaada
	v_sub_f32_e32 v27, v27, v31
	v_mul_f32_e32 v31, v32, v34
	v_pk_mul_f32 v[34:35], v[30:31], v[28:29]
	v_ldexp_f32 v33, v32, 1
	v_fma_f32 v32, v30, s13, -v34
	v_fmac_f32_e32 v32, 0xb102e308, v30
	v_pk_add_f32 v[30:31], v[34:35], v[32:33]
	v_ldexp_f32 v27, v27, 1
	v_sub_f32_e32 v29, v31, v33
	v_sub_f32_e32 v29, v35, v29
	v_add_f32_e32 v37, v27, v29
	v_mov_b32_e32 v36, v34
	v_pk_add_f32 v[34:35], v[30:31], v[34:35] neg_lo:[0,1] neg_hi:[0,1]
	v_pk_add_f32 v[38:39], v[30:31], v[36:37]
	v_mov_b32_e32 v33, v30
	v_mov_b32_e32 v35, v39
	v_pk_add_f32 v[40:41], v[32:33], v[34:35] neg_lo:[0,1] neg_hi:[0,1]
	v_pk_add_f32 v[32:33], v[32:33], v[34:35]
	v_mov_b32_e32 v36, v37
	v_mov_b32_e32 v34, v33
	v_pk_add_f32 v[42:43], v[34:35], v[30:31] neg_lo:[0,1] neg_hi:[0,1]
	v_mov_b32_e32 v32, v39
	v_mov_b32_e32 v27, v42
	v_pk_add_f32 v[44:45], v[38:39], v[26:27] neg_lo:[0,1] neg_hi:[0,1]
	v_mov_b32_e32 v38, v31
	v_mov_b32_e32 v39, v42
	;; [unrolled: 1-line block ×3, first 2 shown]
	v_pk_add_f32 v[32:33], v[32:33], v[38:39] neg_lo:[0,1] neg_hi:[0,1]
	v_mov_b32_e32 v37, v30
	v_pk_add_f32 v[30:31], v[36:37], v[32:33] neg_lo:[0,1] neg_hi:[0,1]
	v_mov_b32_e32 v44, v40
	v_pk_add_f32 v[32:33], v[44:45], v[30:31]
	s_nop 0
	v_mov_b32_e32 v36, v33
	v_pk_add_f32 v[36:37], v[32:33], v[36:37]
	s_nop 0
	v_pk_add_f32 v[34:35], v[34:35], v[36:37]
	v_mov_b32_e32 v31, v36
	v_mov_b32_e32 v33, v34
	v_pk_add_f32 v[38:39], v[32:33], v[40:41] neg_lo:[0,1] neg_hi:[0,1]
	s_nop 0
	v_sub_f32_e32 v27, v32, v38
	v_pk_add_f32 v[30:31], v[30:31], v[38:39] neg_lo:[0,1] neg_hi:[0,1]
	v_sub_f32_e32 v27, v40, v27
	v_add_f32_e32 v27, v30, v27
	v_add_f32_e32 v27, v27, v31
	;; [unrolled: 1-line block ×3, first 2 shown]
	v_cndmask_b32_e32 v146, v27, v46, vcc
.LBB29_77:                              ;   in Loop: Header=BB29_13 Depth=1
	s_or_b64 exec, exec, s[4:5]
	v_and_b32_e32 v12, 0xffff0000, v12
	v_readlane_b32 s2, v166, 2
	s_nop 1
	v_add_f32_e32 v147, s2, v12
	v_readlane_b32 s2, v166, 23
	v_cmp_ge_f32_e32 vcc, s6, v147
	v_readlane_b32 s3, v166, 24
	s_and_b64 s[2:3], s[2:3], vcc
	s_and_saveexec_b64 s[4:5], s[2:3]
	s_cbranch_execz .LBB29_79
; %bb.78:                               ;   in Loop: Header=BB29_13 Depth=1
	v_mul_f32_e32 v12, 0x3fb8aa3b, v147
	v_rndne_f32_e32 v27, v12
	v_sub_f32_e32 v29, v12, v27
	v_fma_f32 v12, v147, s8, -v12
	v_fmac_f32_e32 v12, 0x32a5705f, v147
	v_add_f32_e32 v12, v29, v12
	v_cvt_i32_f32_e32 v27, v27
	v_exp_f32_e32 v12, v12
	v_cmp_ngt_f32_e32 vcc, s9, v147
	v_ldexp_f32 v12, v12, v27
	s_nop 0
	v_cndmask_b32_e32 v12, 0, v12, vcc
	v_cmp_nlt_f32_e32 vcc, s10, v147
	s_nop 1
	v_cndmask_b32_e32 v44, v142, v12, vcc
	v_add_f32_e32 v12, 1.0, v44
	v_add_f32_e32 v27, -1.0, v12
	v_sub_f32_e32 v29, v27, v12
	v_add_f32_e32 v29, 1.0, v29
	v_sub_f32_e32 v27, v44, v27
	v_add_f32_e32 v27, v27, v29
	v_frexp_mant_f32_e32 v29, v12
	v_cvt_f64_f32_e32 v[30:31], v12
	v_frexp_exp_i32_f64_e32 v30, v[30:31]
	v_cmp_gt_f32_e32 vcc, s12, v29
	v_cmp_gt_f32_e64 s[60:61], s14, v44
	s_nop 0
	v_subbrev_co_u32_e32 v38, vcc, 0, v30, vcc
	v_sub_u32_e32 v29, 0, v38
	v_ldexp_f32 v12, v12, v29
	v_ldexp_f32 v27, v27, v29
	v_add_f32_e32 v29, -1.0, v12
	v_add_f32_e32 v31, 1.0, v12
	v_add_f32_e32 v30, 1.0, v29
	v_add_f32_e32 v32, -1.0, v31
	v_sub_f32_e32 v30, v12, v30
	v_sub_f32_e32 v12, v12, v32
	v_add_f32_e32 v12, v27, v12
	v_add_f32_e32 v30, v27, v30
	;; [unrolled: 1-line block ×3, first 2 shown]
	v_rcp_f32_e32 v39, v27
	v_sub_f32_e32 v31, v31, v27
	v_add_f32_e32 v12, v12, v31
	v_add_f32_e32 v31, v29, v30
	v_mul_f32_e32 v40, v31, v39
	v_mul_f32_e32 v32, v27, v40
	v_fma_f32 v34, v40, v27, -v32
	v_sub_f32_e32 v29, v29, v31
	v_fmac_f32_e32 v34, v40, v12
	v_add_f32_e32 v29, v30, v29
	v_add_f32_e32 v30, v32, v34
	v_sub_f32_e32 v33, v31, v30
	v_pk_add_f32 v[36:37], v[30:31], v[32:33] neg_lo:[0,1] neg_hi:[0,1]
	v_mov_b32_e32 v35, v30
	v_pk_add_f32 v[30:31], v[36:37], v[34:35] neg_lo:[0,1] neg_hi:[0,1]
	v_cmp_eq_f32_e32 vcc, s11, v44
	v_add_f32_e32 v29, v29, v31
	v_add_f32_e32 v29, v30, v29
	;; [unrolled: 1-line block ×3, first 2 shown]
	v_mul_f32_e32 v41, v39, v31
	v_mul_f32_e32 v32, v27, v41
	v_fma_f32 v34, v41, v27, -v32
	v_fmac_f32_e32 v34, v41, v12
	v_add_f32_e32 v30, v32, v34
	v_sub_f32_e32 v12, v33, v31
	v_sub_f32_e32 v33, v31, v30
	v_pk_add_f32 v[36:37], v[30:31], v[32:33] neg_lo:[0,1] neg_hi:[0,1]
	v_mov_b32_e32 v35, v30
	v_add_f32_e32 v12, v29, v12
	v_pk_add_f32 v[30:31], v[36:37], v[34:35] neg_lo:[0,1] neg_hi:[0,1]
	v_add_f32_e32 v27, v40, v41
	v_add_f32_e32 v12, v12, v31
	;; [unrolled: 1-line block ×4, first 2 shown]
	v_sub_f32_e32 v29, v27, v40
	v_mul_f32_e32 v12, v39, v12
	v_sub_f32_e32 v29, v41, v29
	v_add_f32_e32 v12, v29, v12
	v_add_f32_e32 v31, v27, v12
	v_cvt_f32_i32_e32 v30, v38
	v_mul_f32_e32 v32, v31, v31
	v_fmamk_f32 v29, v32, 0x3e9b6dac, v141
	v_fmaak_f32 v29, v32, v29, 0x3f2aaada
	v_sub_f32_e32 v27, v31, v27
	v_ldexp_f32 v33, v31, 1
	v_mul_f32_e32 v31, v31, v32
	v_pk_mul_f32 v[34:35], v[30:31], v[28:29]
	v_sub_f32_e32 v12, v12, v27
	v_fma_f32 v32, v30, s13, -v34
	v_fmac_f32_e32 v32, 0xb102e308, v30
	v_pk_add_f32 v[30:31], v[34:35], v[32:33]
	v_ldexp_f32 v12, v12, 1
	v_sub_f32_e32 v27, v31, v33
	v_sub_f32_e32 v27, v35, v27
	v_add_f32_e32 v37, v12, v27
	v_mov_b32_e32 v36, v34
	v_pk_add_f32 v[34:35], v[30:31], v[34:35] neg_lo:[0,1] neg_hi:[0,1]
	v_pk_add_f32 v[38:39], v[30:31], v[36:37]
	v_mov_b32_e32 v33, v30
	v_mov_b32_e32 v35, v39
	v_pk_add_f32 v[40:41], v[32:33], v[34:35] neg_lo:[0,1] neg_hi:[0,1]
	v_pk_add_f32 v[32:33], v[32:33], v[34:35]
	s_or_b64 vcc, s[60:61], vcc
	v_mov_b32_e32 v12, v33
	v_pk_add_f32 v[34:35], v[12:13], v[30:31] neg_lo:[0,1] neg_hi:[0,1]
	v_mov_b32_e32 v32, v39
	v_mov_b32_e32 v27, v34
	v_pk_add_f32 v[42:43], v[38:39], v[26:27] neg_lo:[0,1] neg_hi:[0,1]
	v_mov_b32_e32 v38, v31
	v_mov_b32_e32 v39, v34
	;; [unrolled: 1-line block ×3, first 2 shown]
	v_pk_add_f32 v[32:33], v[32:33], v[38:39] neg_lo:[0,1] neg_hi:[0,1]
	v_mov_b32_e32 v34, v37
	v_mov_b32_e32 v35, v30
	v_pk_add_f32 v[30:31], v[34:35], v[32:33] neg_lo:[0,1] neg_hi:[0,1]
	v_mov_b32_e32 v42, v40
	v_pk_add_f32 v[32:33], v[42:43], v[30:31]
	s_nop 0
	v_mov_b32_e32 v34, v33
	v_pk_add_f32 v[34:35], v[32:33], v[34:35]
	s_nop 0
	v_pk_add_f32 v[36:37], v[12:13], v[34:35]
	v_mov_b32_e32 v31, v34
	v_mov_b32_e32 v33, v36
	v_pk_add_f32 v[38:39], v[32:33], v[40:41] neg_lo:[0,1] neg_hi:[0,1]
	s_nop 0
	v_sub_f32_e32 v12, v32, v38
	v_pk_add_f32 v[30:31], v[30:31], v[38:39] neg_lo:[0,1] neg_hi:[0,1]
	v_sub_f32_e32 v12, v40, v12
	v_add_f32_e32 v12, v30, v12
	v_add_f32_e32 v12, v12, v31
	v_add_f32_e32 v12, v36, v12
	v_cndmask_b32_e32 v147, v12, v44, vcc
.LBB29_79:                              ;   in Loop: Header=BB29_13 Depth=1
	s_or_b64 exec, exec, s[4:5]
	v_lshlrev_b32_e32 v12, 16, v13
	v_readlane_b32 s2, v166, 2
	s_nop 1
	v_add_f32_e32 v148, s2, v12
	v_readlane_b32 s2, v166, 23
	v_cmp_ge_f32_e32 vcc, s6, v148
	v_readlane_b32 s3, v166, 24
	s_and_b64 s[2:3], s[2:3], vcc
	s_and_saveexec_b64 s[4:5], s[2:3]
	s_cbranch_execz .LBB29_81
; %bb.80:                               ;   in Loop: Header=BB29_13 Depth=1
	v_mul_f32_e32 v12, 0x3fb8aa3b, v148
	v_rndne_f32_e32 v27, v12
	v_sub_f32_e32 v29, v12, v27
	v_fma_f32 v12, v148, s8, -v12
	v_fmac_f32_e32 v12, 0x32a5705f, v148
	v_add_f32_e32 v12, v29, v12
	v_cvt_i32_f32_e32 v27, v27
	v_exp_f32_e32 v12, v12
	v_cmp_ngt_f32_e32 vcc, s9, v148
	v_ldexp_f32 v12, v12, v27
	s_nop 0
	v_cndmask_b32_e32 v12, 0, v12, vcc
	v_cmp_nlt_f32_e32 vcc, s10, v148
	s_nop 1
	v_cndmask_b32_e32 v44, v142, v12, vcc
	v_add_f32_e32 v12, 1.0, v44
	v_add_f32_e32 v27, -1.0, v12
	v_sub_f32_e32 v29, v27, v12
	v_add_f32_e32 v29, 1.0, v29
	v_sub_f32_e32 v27, v44, v27
	v_add_f32_e32 v27, v27, v29
	v_frexp_mant_f32_e32 v29, v12
	v_cvt_f64_f32_e32 v[30:31], v12
	v_frexp_exp_i32_f64_e32 v30, v[30:31]
	v_cmp_gt_f32_e32 vcc, s12, v29
	v_cmp_gt_f32_e64 s[60:61], s14, v44
	s_nop 0
	v_subbrev_co_u32_e32 v38, vcc, 0, v30, vcc
	v_sub_u32_e32 v29, 0, v38
	v_ldexp_f32 v12, v12, v29
	v_ldexp_f32 v27, v27, v29
	v_add_f32_e32 v29, -1.0, v12
	v_add_f32_e32 v31, 1.0, v12
	v_add_f32_e32 v30, 1.0, v29
	v_add_f32_e32 v32, -1.0, v31
	v_sub_f32_e32 v30, v12, v30
	v_sub_f32_e32 v12, v12, v32
	v_add_f32_e32 v12, v27, v12
	v_add_f32_e32 v30, v27, v30
	;; [unrolled: 1-line block ×3, first 2 shown]
	v_rcp_f32_e32 v39, v27
	v_sub_f32_e32 v31, v31, v27
	v_add_f32_e32 v12, v12, v31
	v_add_f32_e32 v31, v29, v30
	v_mul_f32_e32 v40, v31, v39
	v_mul_f32_e32 v32, v27, v40
	v_fma_f32 v34, v40, v27, -v32
	v_sub_f32_e32 v29, v29, v31
	v_fmac_f32_e32 v34, v40, v12
	v_add_f32_e32 v29, v30, v29
	v_add_f32_e32 v30, v32, v34
	v_sub_f32_e32 v33, v31, v30
	v_pk_add_f32 v[36:37], v[30:31], v[32:33] neg_lo:[0,1] neg_hi:[0,1]
	v_mov_b32_e32 v35, v30
	v_pk_add_f32 v[30:31], v[36:37], v[34:35] neg_lo:[0,1] neg_hi:[0,1]
	v_cmp_eq_f32_e32 vcc, s11, v44
	v_add_f32_e32 v29, v29, v31
	v_add_f32_e32 v29, v30, v29
	;; [unrolled: 1-line block ×3, first 2 shown]
	v_mul_f32_e32 v41, v39, v31
	v_mul_f32_e32 v32, v27, v41
	v_fma_f32 v34, v41, v27, -v32
	v_fmac_f32_e32 v34, v41, v12
	v_add_f32_e32 v30, v32, v34
	v_sub_f32_e32 v12, v33, v31
	v_sub_f32_e32 v33, v31, v30
	v_pk_add_f32 v[36:37], v[30:31], v[32:33] neg_lo:[0,1] neg_hi:[0,1]
	v_mov_b32_e32 v35, v30
	v_add_f32_e32 v12, v29, v12
	v_pk_add_f32 v[30:31], v[36:37], v[34:35] neg_lo:[0,1] neg_hi:[0,1]
	v_add_f32_e32 v27, v40, v41
	v_add_f32_e32 v12, v12, v31
	;; [unrolled: 1-line block ×4, first 2 shown]
	v_sub_f32_e32 v29, v27, v40
	v_mul_f32_e32 v12, v39, v12
	v_sub_f32_e32 v29, v41, v29
	v_add_f32_e32 v12, v29, v12
	v_add_f32_e32 v31, v27, v12
	v_cvt_f32_i32_e32 v30, v38
	v_mul_f32_e32 v32, v31, v31
	v_fmamk_f32 v29, v32, 0x3e9b6dac, v141
	v_fmaak_f32 v29, v32, v29, 0x3f2aaada
	v_sub_f32_e32 v27, v31, v27
	v_ldexp_f32 v33, v31, 1
	v_mul_f32_e32 v31, v31, v32
	v_pk_mul_f32 v[34:35], v[30:31], v[28:29]
	v_sub_f32_e32 v12, v12, v27
	v_fma_f32 v32, v30, s13, -v34
	v_fmac_f32_e32 v32, 0xb102e308, v30
	v_pk_add_f32 v[30:31], v[34:35], v[32:33]
	v_ldexp_f32 v12, v12, 1
	v_sub_f32_e32 v27, v31, v33
	v_sub_f32_e32 v27, v35, v27
	v_add_f32_e32 v37, v12, v27
	v_mov_b32_e32 v36, v34
	v_pk_add_f32 v[34:35], v[30:31], v[34:35] neg_lo:[0,1] neg_hi:[0,1]
	v_pk_add_f32 v[38:39], v[30:31], v[36:37]
	v_mov_b32_e32 v33, v30
	v_mov_b32_e32 v35, v39
	v_pk_add_f32 v[40:41], v[32:33], v[34:35] neg_lo:[0,1] neg_hi:[0,1]
	v_pk_add_f32 v[32:33], v[32:33], v[34:35]
	s_or_b64 vcc, s[60:61], vcc
	v_mov_b32_e32 v12, v33
	v_pk_add_f32 v[34:35], v[12:13], v[30:31] neg_lo:[0,1] neg_hi:[0,1]
	v_mov_b32_e32 v32, v39
	v_mov_b32_e32 v27, v34
	v_pk_add_f32 v[42:43], v[38:39], v[26:27] neg_lo:[0,1] neg_hi:[0,1]
	v_mov_b32_e32 v38, v31
	v_mov_b32_e32 v39, v34
	;; [unrolled: 1-line block ×3, first 2 shown]
	v_pk_add_f32 v[32:33], v[32:33], v[38:39] neg_lo:[0,1] neg_hi:[0,1]
	v_mov_b32_e32 v34, v37
	v_mov_b32_e32 v35, v30
	v_pk_add_f32 v[30:31], v[34:35], v[32:33] neg_lo:[0,1] neg_hi:[0,1]
	v_mov_b32_e32 v42, v40
	v_pk_add_f32 v[32:33], v[42:43], v[30:31]
	s_nop 0
	v_mov_b32_e32 v34, v33
	v_pk_add_f32 v[34:35], v[32:33], v[34:35]
	s_nop 0
	v_pk_add_f32 v[36:37], v[12:13], v[34:35]
	v_mov_b32_e32 v31, v34
	v_mov_b32_e32 v33, v36
	v_pk_add_f32 v[38:39], v[32:33], v[40:41] neg_lo:[0,1] neg_hi:[0,1]
	s_nop 0
	v_sub_f32_e32 v12, v32, v38
	v_pk_add_f32 v[30:31], v[30:31], v[38:39] neg_lo:[0,1] neg_hi:[0,1]
	v_sub_f32_e32 v12, v40, v12
	v_add_f32_e32 v12, v30, v12
	v_add_f32_e32 v12, v12, v31
	;; [unrolled: 1-line block ×3, first 2 shown]
	v_cndmask_b32_e32 v148, v12, v44, vcc
.LBB29_81:                              ;   in Loop: Header=BB29_13 Depth=1
	s_or_b64 exec, exec, s[4:5]
	v_and_b32_e32 v12, 0xffff0000, v13
	v_readlane_b32 s2, v166, 2
	s_nop 1
	v_add_f32_e32 v149, s2, v12
	v_readlane_b32 s2, v166, 23
	v_cmp_ge_f32_e32 vcc, s6, v149
	v_readlane_b32 s3, v166, 24
	s_and_b64 s[2:3], s[2:3], vcc
	s_and_saveexec_b64 s[4:5], s[2:3]
	s_cbranch_execz .LBB29_83
; %bb.82:                               ;   in Loop: Header=BB29_13 Depth=1
	v_mul_f32_e32 v12, 0x3fb8aa3b, v149
	v_rndne_f32_e32 v13, v12
	v_sub_f32_e32 v27, v12, v13
	v_fma_f32 v12, v149, s8, -v12
	v_fmac_f32_e32 v12, 0x32a5705f, v149
	v_add_f32_e32 v12, v27, v12
	v_cvt_i32_f32_e32 v13, v13
	v_exp_f32_e32 v12, v12
	v_cmp_ngt_f32_e32 vcc, s9, v149
	v_ldexp_f32 v12, v12, v13
	s_nop 0
	v_cndmask_b32_e32 v12, 0, v12, vcc
	v_cmp_nlt_f32_e32 vcc, s10, v149
	s_nop 1
	v_cndmask_b32_e32 v44, v142, v12, vcc
	v_add_f32_e32 v27, 1.0, v44
	v_add_f32_e32 v12, -1.0, v27
	v_sub_f32_e32 v13, v12, v27
	v_add_f32_e32 v13, 1.0, v13
	v_sub_f32_e32 v12, v44, v12
	v_add_f32_e32 v29, v12, v13
	v_frexp_mant_f32_e32 v30, v27
	v_cvt_f64_f32_e32 v[12:13], v27
	v_frexp_exp_i32_f64_e32 v12, v[12:13]
	v_cmp_gt_f32_e32 vcc, s12, v30
	v_cmp_gt_f32_e64 s[60:61], s14, v44
	s_nop 0
	v_subbrev_co_u32_e32 v36, vcc, 0, v12, vcc
	v_sub_u32_e32 v12, 0, v36
	v_ldexp_f32 v13, v27, v12
	v_add_f32_e32 v27, -1.0, v13
	v_add_f32_e32 v30, 1.0, v13
	v_ldexp_f32 v12, v29, v12
	v_add_f32_e32 v29, 1.0, v27
	v_add_f32_e32 v31, -1.0, v30
	v_sub_f32_e32 v29, v13, v29
	v_sub_f32_e32 v13, v13, v31
	v_add_f32_e32 v29, v12, v29
	v_add_f32_e32 v12, v12, v13
	;; [unrolled: 1-line block ×3, first 2 shown]
	v_rcp_f32_e32 v39, v37
	v_sub_f32_e32 v13, v30, v37
	v_add_f32_e32 v38, v12, v13
	v_add_f32_e32 v13, v27, v29
	v_sub_f32_e32 v12, v27, v13
	v_add_f32_e32 v27, v29, v12
	v_mul_f32_e32 v29, v13, v39
	v_mul_f32_e32 v30, v37, v29
	v_fma_f32 v32, v29, v37, -v30
	v_fmac_f32_e32 v32, v29, v38
	v_add_f32_e32 v12, v30, v32
	v_sub_f32_e32 v31, v13, v12
	v_pk_add_f32 v[34:35], v[12:13], v[30:31] neg_lo:[0,1] neg_hi:[0,1]
	v_mov_b32_e32 v33, v12
	v_pk_add_f32 v[12:13], v[34:35], v[32:33] neg_lo:[0,1] neg_hi:[0,1]
	v_cmp_eq_f32_e32 vcc, s11, v44
	v_add_f32_e32 v13, v27, v13
	v_add_f32_e32 v12, v12, v13
	v_add_f32_e32 v13, v31, v12
	v_mul_f32_e32 v27, v39, v13
	v_mul_f32_e32 v30, v37, v27
	v_fma_f32 v32, v27, v37, -v30
	v_fmac_f32_e32 v32, v27, v38
	v_sub_f32_e32 v31, v31, v13
	v_add_f32_e32 v37, v12, v31
	v_add_f32_e32 v12, v30, v32
	v_sub_f32_e32 v31, v13, v12
	v_pk_add_f32 v[34:35], v[12:13], v[30:31] neg_lo:[0,1] neg_hi:[0,1]
	v_mov_b32_e32 v33, v12
	v_pk_add_f32 v[12:13], v[34:35], v[32:33] neg_lo:[0,1] neg_hi:[0,1]
	s_or_b64 vcc, s[60:61], vcc
	v_add_f32_e32 v13, v37, v13
	v_add_f32_e32 v12, v12, v13
	;; [unrolled: 1-line block ×4, first 2 shown]
	v_sub_f32_e32 v29, v13, v29
	v_mul_f32_e32 v12, v39, v12
	v_sub_f32_e32 v27, v27, v29
	v_add_f32_e32 v27, v27, v12
	v_add_f32_e32 v30, v13, v27
	v_mul_f32_e32 v32, v30, v30
	v_fmamk_f32 v12, v32, 0x3e9b6dac, v141
	v_fmaak_f32 v29, v32, v12, 0x3f2aaada
	v_cvt_f32_i32_e32 v12, v36
	v_sub_f32_e32 v13, v30, v13
	v_sub_f32_e32 v13, v27, v13
	v_ldexp_f32 v27, v13, 1
	v_mul_f32_e32 v13, v30, v32
	v_pk_mul_f32 v[32:33], v[12:13], v[28:29]
	v_ldexp_f32 v31, v30, 1
	v_fma_f32 v30, v12, s13, -v32
	v_fmac_f32_e32 v30, 0xb102e308, v12
	v_pk_add_f32 v[12:13], v[32:33], v[30:31]
	v_mov_b32_e32 v34, v32
	v_sub_f32_e32 v29, v13, v31
	v_sub_f32_e32 v29, v33, v29
	v_add_f32_e32 v35, v27, v29
	v_pk_add_f32 v[32:33], v[12:13], v[32:33] neg_lo:[0,1] neg_hi:[0,1]
	v_pk_add_f32 v[36:37], v[12:13], v[34:35]
	v_mov_b32_e32 v31, v12
	v_mov_b32_e32 v33, v37
	v_pk_add_f32 v[38:39], v[30:31], v[32:33] neg_lo:[0,1] neg_hi:[0,1]
	v_pk_add_f32 v[30:31], v[30:31], v[32:33]
	v_mov_b32_e32 v34, v35
	v_mov_b32_e32 v32, v31
	v_pk_add_f32 v[40:41], v[32:33], v[12:13] neg_lo:[0,1] neg_hi:[0,1]
	v_mov_b32_e32 v30, v37
	v_mov_b32_e32 v27, v40
	v_pk_add_f32 v[42:43], v[36:37], v[26:27] neg_lo:[0,1] neg_hi:[0,1]
	v_mov_b32_e32 v36, v13
	v_mov_b32_e32 v37, v40
	v_mov_b32_e32 v39, v31
	v_pk_add_f32 v[30:31], v[30:31], v[36:37] neg_lo:[0,1] neg_hi:[0,1]
	v_mov_b32_e32 v35, v12
	v_pk_add_f32 v[12:13], v[34:35], v[30:31] neg_lo:[0,1] neg_hi:[0,1]
	v_mov_b32_e32 v42, v38
	v_pk_add_f32 v[30:31], v[42:43], v[12:13]
	s_nop 0
	v_mov_b32_e32 v34, v31
	v_pk_add_f32 v[34:35], v[30:31], v[34:35]
	s_nop 0
	v_pk_add_f32 v[32:33], v[32:33], v[34:35]
	v_mov_b32_e32 v13, v34
	v_mov_b32_e32 v31, v32
	v_pk_add_f32 v[36:37], v[30:31], v[38:39] neg_lo:[0,1] neg_hi:[0,1]
	s_nop 0
	v_sub_f32_e32 v27, v30, v36
	v_pk_add_f32 v[12:13], v[12:13], v[36:37] neg_lo:[0,1] neg_hi:[0,1]
	v_sub_f32_e32 v27, v38, v27
	v_add_f32_e32 v12, v12, v27
	v_add_f32_e32 v12, v12, v13
	;; [unrolled: 1-line block ×3, first 2 shown]
	v_cndmask_b32_e32 v149, v12, v44, vcc
.LBB29_83:                              ;   in Loop: Header=BB29_13 Depth=1
	s_or_b64 exec, exec, s[4:5]
	v_lshlrev_b32_e32 v12, 16, v14
	v_readlane_b32 s2, v166, 2
	s_nop 1
	v_add_f32_e32 v150, s2, v12
	v_readlane_b32 s2, v166, 23
	v_cmp_ge_f32_e32 vcc, s6, v150
	v_readlane_b32 s3, v166, 24
	s_and_b64 s[2:3], s[2:3], vcc
	s_and_saveexec_b64 s[4:5], s[2:3]
	s_cbranch_execz .LBB29_85
; %bb.84:                               ;   in Loop: Header=BB29_13 Depth=1
	v_mul_f32_e32 v12, 0x3fb8aa3b, v150
	v_rndne_f32_e32 v13, v12
	v_sub_f32_e32 v27, v12, v13
	v_fma_f32 v12, v150, s8, -v12
	v_fmac_f32_e32 v12, 0x32a5705f, v150
	v_add_f32_e32 v12, v27, v12
	v_cvt_i32_f32_e32 v13, v13
	v_exp_f32_e32 v12, v12
	v_cmp_ngt_f32_e32 vcc, s9, v150
	v_ldexp_f32 v12, v12, v13
	s_nop 0
	v_cndmask_b32_e32 v12, 0, v12, vcc
	v_cmp_nlt_f32_e32 vcc, s10, v150
	s_nop 1
	v_cndmask_b32_e32 v44, v142, v12, vcc
	v_add_f32_e32 v27, 1.0, v44
	v_add_f32_e32 v12, -1.0, v27
	v_sub_f32_e32 v13, v12, v27
	v_add_f32_e32 v13, 1.0, v13
	v_sub_f32_e32 v12, v44, v12
	v_add_f32_e32 v29, v12, v13
	v_frexp_mant_f32_e32 v30, v27
	v_cvt_f64_f32_e32 v[12:13], v27
	v_frexp_exp_i32_f64_e32 v12, v[12:13]
	v_cmp_gt_f32_e32 vcc, s12, v30
	v_cmp_gt_f32_e64 s[60:61], s14, v44
	s_nop 0
	v_subbrev_co_u32_e32 v36, vcc, 0, v12, vcc
	v_sub_u32_e32 v12, 0, v36
	v_ldexp_f32 v13, v27, v12
	v_add_f32_e32 v27, -1.0, v13
	v_add_f32_e32 v30, 1.0, v13
	v_ldexp_f32 v12, v29, v12
	v_add_f32_e32 v29, 1.0, v27
	v_add_f32_e32 v31, -1.0, v30
	v_sub_f32_e32 v29, v13, v29
	v_sub_f32_e32 v13, v13, v31
	v_add_f32_e32 v29, v12, v29
	v_add_f32_e32 v12, v12, v13
	v_add_f32_e32 v37, v30, v12
	v_rcp_f32_e32 v39, v37
	v_sub_f32_e32 v13, v30, v37
	v_add_f32_e32 v38, v12, v13
	v_add_f32_e32 v13, v27, v29
	v_sub_f32_e32 v12, v27, v13
	v_add_f32_e32 v27, v29, v12
	v_mul_f32_e32 v29, v13, v39
	v_mul_f32_e32 v30, v37, v29
	v_fma_f32 v32, v29, v37, -v30
	v_fmac_f32_e32 v32, v29, v38
	v_add_f32_e32 v12, v30, v32
	v_sub_f32_e32 v31, v13, v12
	v_pk_add_f32 v[34:35], v[12:13], v[30:31] neg_lo:[0,1] neg_hi:[0,1]
	v_mov_b32_e32 v33, v12
	v_pk_add_f32 v[12:13], v[34:35], v[32:33] neg_lo:[0,1] neg_hi:[0,1]
	v_cmp_eq_f32_e32 vcc, s11, v44
	v_add_f32_e32 v13, v27, v13
	v_add_f32_e32 v12, v12, v13
	;; [unrolled: 1-line block ×3, first 2 shown]
	v_mul_f32_e32 v27, v39, v13
	v_mul_f32_e32 v30, v37, v27
	v_fma_f32 v32, v27, v37, -v30
	v_fmac_f32_e32 v32, v27, v38
	v_sub_f32_e32 v31, v31, v13
	v_add_f32_e32 v37, v12, v31
	v_add_f32_e32 v12, v30, v32
	v_sub_f32_e32 v31, v13, v12
	v_pk_add_f32 v[34:35], v[12:13], v[30:31] neg_lo:[0,1] neg_hi:[0,1]
	v_mov_b32_e32 v33, v12
	v_pk_add_f32 v[12:13], v[34:35], v[32:33] neg_lo:[0,1] neg_hi:[0,1]
	s_or_b64 vcc, s[60:61], vcc
	v_add_f32_e32 v13, v37, v13
	v_add_f32_e32 v12, v12, v13
	;; [unrolled: 1-line block ×4, first 2 shown]
	v_sub_f32_e32 v29, v13, v29
	v_mul_f32_e32 v12, v39, v12
	v_sub_f32_e32 v27, v27, v29
	v_add_f32_e32 v27, v27, v12
	v_add_f32_e32 v30, v13, v27
	v_mul_f32_e32 v32, v30, v30
	v_fmamk_f32 v12, v32, 0x3e9b6dac, v141
	v_fmaak_f32 v29, v32, v12, 0x3f2aaada
	v_cvt_f32_i32_e32 v12, v36
	v_sub_f32_e32 v13, v30, v13
	v_sub_f32_e32 v13, v27, v13
	v_ldexp_f32 v27, v13, 1
	v_mul_f32_e32 v13, v30, v32
	v_pk_mul_f32 v[32:33], v[12:13], v[28:29]
	v_ldexp_f32 v31, v30, 1
	v_fma_f32 v30, v12, s13, -v32
	v_fmac_f32_e32 v30, 0xb102e308, v12
	v_pk_add_f32 v[12:13], v[32:33], v[30:31]
	v_mov_b32_e32 v34, v32
	v_sub_f32_e32 v29, v13, v31
	v_sub_f32_e32 v29, v33, v29
	v_add_f32_e32 v35, v27, v29
	v_pk_add_f32 v[32:33], v[12:13], v[32:33] neg_lo:[0,1] neg_hi:[0,1]
	v_pk_add_f32 v[36:37], v[12:13], v[34:35]
	v_mov_b32_e32 v31, v12
	v_mov_b32_e32 v33, v37
	v_pk_add_f32 v[38:39], v[30:31], v[32:33] neg_lo:[0,1] neg_hi:[0,1]
	v_pk_add_f32 v[30:31], v[30:31], v[32:33]
	v_mov_b32_e32 v34, v35
	v_mov_b32_e32 v32, v31
	v_pk_add_f32 v[40:41], v[32:33], v[12:13] neg_lo:[0,1] neg_hi:[0,1]
	v_mov_b32_e32 v30, v37
	v_mov_b32_e32 v27, v40
	v_pk_add_f32 v[42:43], v[36:37], v[26:27] neg_lo:[0,1] neg_hi:[0,1]
	v_mov_b32_e32 v36, v13
	v_mov_b32_e32 v37, v40
	;; [unrolled: 1-line block ×3, first 2 shown]
	v_pk_add_f32 v[30:31], v[30:31], v[36:37] neg_lo:[0,1] neg_hi:[0,1]
	v_mov_b32_e32 v35, v12
	v_pk_add_f32 v[12:13], v[34:35], v[30:31] neg_lo:[0,1] neg_hi:[0,1]
	v_mov_b32_e32 v42, v38
	v_pk_add_f32 v[30:31], v[42:43], v[12:13]
	s_nop 0
	v_mov_b32_e32 v34, v31
	v_pk_add_f32 v[34:35], v[30:31], v[34:35]
	s_nop 0
	v_pk_add_f32 v[32:33], v[32:33], v[34:35]
	v_mov_b32_e32 v13, v34
	v_mov_b32_e32 v31, v32
	v_pk_add_f32 v[36:37], v[30:31], v[38:39] neg_lo:[0,1] neg_hi:[0,1]
	s_nop 0
	v_sub_f32_e32 v27, v30, v36
	v_pk_add_f32 v[12:13], v[12:13], v[36:37] neg_lo:[0,1] neg_hi:[0,1]
	v_sub_f32_e32 v27, v38, v27
	v_add_f32_e32 v12, v12, v27
	v_add_f32_e32 v12, v12, v13
	;; [unrolled: 1-line block ×3, first 2 shown]
	v_cndmask_b32_e32 v150, v12, v44, vcc
.LBB29_85:                              ;   in Loop: Header=BB29_13 Depth=1
	s_or_b64 exec, exec, s[4:5]
	v_and_b32_e32 v12, 0xffff0000, v14
	v_readlane_b32 s2, v166, 2
	s_nop 1
	v_add_f32_e32 v151, s2, v12
	v_readlane_b32 s2, v166, 23
	v_cmp_ge_f32_e32 vcc, s6, v151
	v_readlane_b32 s3, v166, 24
	s_and_b64 s[2:3], s[2:3], vcc
	s_and_saveexec_b64 s[4:5], s[2:3]
	s_cbranch_execz .LBB29_87
; %bb.86:                               ;   in Loop: Header=BB29_13 Depth=1
	v_mul_f32_e32 v12, 0x3fb8aa3b, v151
	v_rndne_f32_e32 v13, v12
	v_sub_f32_e32 v14, v12, v13
	v_fma_f32 v12, v151, s8, -v12
	v_fmac_f32_e32 v12, 0x32a5705f, v151
	v_add_f32_e32 v12, v14, v12
	v_cvt_i32_f32_e32 v13, v13
	v_exp_f32_e32 v12, v12
	v_cmp_ngt_f32_e32 vcc, s9, v151
	v_ldexp_f32 v12, v12, v13
	s_nop 0
	v_cndmask_b32_e32 v12, 0, v12, vcc
	v_cmp_nlt_f32_e32 vcc, s10, v151
	s_nop 1
	v_cndmask_b32_e32 v42, v142, v12, vcc
	v_add_f32_e32 v14, 1.0, v42
	v_add_f32_e32 v12, -1.0, v14
	v_sub_f32_e32 v13, v12, v14
	v_add_f32_e32 v13, 1.0, v13
	v_sub_f32_e32 v12, v42, v12
	v_add_f32_e32 v27, v12, v13
	v_frexp_mant_f32_e32 v29, v14
	v_cvt_f64_f32_e32 v[12:13], v14
	v_frexp_exp_i32_f64_e32 v12, v[12:13]
	v_cmp_gt_f32_e32 vcc, s12, v29
	v_cmp_gt_f32_e64 s[60:61], s14, v42
	s_nop 0
	v_subbrev_co_u32_e32 v36, vcc, 0, v12, vcc
	v_sub_u32_e32 v12, 0, v36
	v_ldexp_f32 v13, v14, v12
	v_add_f32_e32 v14, -1.0, v13
	v_add_f32_e32 v29, 1.0, v13
	v_ldexp_f32 v12, v27, v12
	v_add_f32_e32 v27, 1.0, v14
	v_add_f32_e32 v30, -1.0, v29
	v_sub_f32_e32 v27, v13, v27
	v_sub_f32_e32 v13, v13, v30
	v_add_f32_e32 v27, v12, v27
	v_add_f32_e32 v12, v12, v13
	;; [unrolled: 1-line block ×3, first 2 shown]
	v_rcp_f32_e32 v38, v37
	v_sub_f32_e32 v13, v29, v37
	v_add_f32_e32 v29, v12, v13
	v_add_f32_e32 v13, v14, v27
	v_sub_f32_e32 v12, v14, v13
	v_add_f32_e32 v14, v27, v12
	v_mul_f32_e32 v27, v13, v38
	v_mul_f32_e32 v30, v37, v27
	v_fma_f32 v32, v27, v37, -v30
	v_fmac_f32_e32 v32, v27, v29
	v_add_f32_e32 v12, v30, v32
	v_sub_f32_e32 v31, v13, v12
	v_pk_add_f32 v[34:35], v[12:13], v[30:31] neg_lo:[0,1] neg_hi:[0,1]
	v_mov_b32_e32 v33, v12
	v_pk_add_f32 v[12:13], v[34:35], v[32:33] neg_lo:[0,1] neg_hi:[0,1]
	v_cmp_eq_f32_e32 vcc, s11, v42
	v_add_f32_e32 v13, v14, v13
	v_add_f32_e32 v12, v12, v13
	;; [unrolled: 1-line block ×3, first 2 shown]
	v_mul_f32_e32 v14, v38, v13
	v_mul_f32_e32 v30, v37, v14
	v_fma_f32 v32, v14, v37, -v30
	v_fmac_f32_e32 v32, v14, v29
	v_sub_f32_e32 v29, v31, v13
	v_add_f32_e32 v29, v12, v29
	v_add_f32_e32 v12, v30, v32
	v_sub_f32_e32 v31, v13, v12
	v_pk_add_f32 v[34:35], v[12:13], v[30:31] neg_lo:[0,1] neg_hi:[0,1]
	v_mov_b32_e32 v33, v12
	v_pk_add_f32 v[12:13], v[34:35], v[32:33] neg_lo:[0,1] neg_hi:[0,1]
	s_or_b64 vcc, s[60:61], vcc
	v_add_f32_e32 v13, v29, v13
	v_add_f32_e32 v12, v12, v13
	;; [unrolled: 1-line block ×4, first 2 shown]
	v_sub_f32_e32 v27, v13, v27
	v_mul_f32_e32 v12, v38, v12
	v_sub_f32_e32 v14, v14, v27
	v_add_f32_e32 v14, v14, v12
	v_add_f32_e32 v27, v13, v14
	v_mul_f32_e32 v30, v27, v27
	v_fmamk_f32 v12, v30, 0x3e9b6dac, v141
	v_fmaak_f32 v29, v30, v12, 0x3f2aaada
	v_cvt_f32_i32_e32 v12, v36
	v_sub_f32_e32 v13, v27, v13
	v_sub_f32_e32 v13, v14, v13
	v_ldexp_f32 v14, v13, 1
	v_mul_f32_e32 v13, v27, v30
	v_pk_mul_f32 v[32:33], v[12:13], v[28:29]
	v_ldexp_f32 v31, v27, 1
	v_fma_f32 v30, v12, s13, -v32
	v_fmac_f32_e32 v30, 0xb102e308, v12
	v_pk_add_f32 v[12:13], v[32:33], v[30:31]
	v_mov_b32_e32 v34, v32
	v_sub_f32_e32 v27, v13, v31
	v_sub_f32_e32 v27, v33, v27
	v_add_f32_e32 v35, v14, v27
	v_pk_add_f32 v[32:33], v[12:13], v[32:33] neg_lo:[0,1] neg_hi:[0,1]
	v_pk_add_f32 v[36:37], v[12:13], v[34:35]
	v_mov_b32_e32 v31, v12
	v_mov_b32_e32 v33, v37
	v_pk_add_f32 v[38:39], v[30:31], v[32:33] neg_lo:[0,1] neg_hi:[0,1]
	v_pk_add_f32 v[30:31], v[30:31], v[32:33]
	s_nop 0
	v_mov_b32_e32 v14, v31
	v_pk_add_f32 v[32:33], v[14:15], v[12:13] neg_lo:[0,1] neg_hi:[0,1]
	v_mov_b32_e32 v30, v37
	v_mov_b32_e32 v27, v32
	v_pk_add_f32 v[40:41], v[36:37], v[26:27] neg_lo:[0,1] neg_hi:[0,1]
	v_mov_b32_e32 v36, v13
	v_mov_b32_e32 v37, v32
	;; [unrolled: 1-line block ×3, first 2 shown]
	v_pk_add_f32 v[30:31], v[30:31], v[36:37] neg_lo:[0,1] neg_hi:[0,1]
	v_mov_b32_e32 v32, v35
	v_mov_b32_e32 v33, v12
	v_pk_add_f32 v[12:13], v[32:33], v[30:31] neg_lo:[0,1] neg_hi:[0,1]
	v_mov_b32_e32 v40, v38
	v_pk_add_f32 v[30:31], v[40:41], v[12:13]
	s_nop 0
	v_mov_b32_e32 v32, v31
	v_pk_add_f32 v[32:33], v[30:31], v[32:33]
	s_nop 0
	v_pk_add_f32 v[34:35], v[14:15], v[32:33]
	v_mov_b32_e32 v13, v32
	v_mov_b32_e32 v31, v34
	v_pk_add_f32 v[36:37], v[30:31], v[38:39] neg_lo:[0,1] neg_hi:[0,1]
	s_nop 0
	v_sub_f32_e32 v14, v30, v36
	v_pk_add_f32 v[12:13], v[12:13], v[36:37] neg_lo:[0,1] neg_hi:[0,1]
	v_sub_f32_e32 v14, v38, v14
	v_add_f32_e32 v12, v12, v14
	v_add_f32_e32 v12, v12, v13
	;; [unrolled: 1-line block ×3, first 2 shown]
	v_cndmask_b32_e32 v151, v12, v42, vcc
.LBB29_87:                              ;   in Loop: Header=BB29_13 Depth=1
	s_or_b64 exec, exec, s[4:5]
	v_lshlrev_b32_e32 v12, 16, v15
	v_readlane_b32 s2, v166, 2
	s_nop 1
	v_add_f32_e32 v152, s2, v12
	v_readlane_b32 s2, v166, 23
	v_cmp_ge_f32_e32 vcc, s6, v152
	v_readlane_b32 s3, v166, 24
	s_and_b64 s[2:3], s[2:3], vcc
	s_and_saveexec_b64 s[4:5], s[2:3]
	s_cbranch_execz .LBB29_89
; %bb.88:                               ;   in Loop: Header=BB29_13 Depth=1
	v_mul_f32_e32 v12, 0x3fb8aa3b, v152
	v_rndne_f32_e32 v13, v12
	v_sub_f32_e32 v14, v12, v13
	v_fma_f32 v12, v152, s8, -v12
	v_fmac_f32_e32 v12, 0x32a5705f, v152
	v_add_f32_e32 v12, v14, v12
	v_cvt_i32_f32_e32 v13, v13
	v_exp_f32_e32 v12, v12
	v_cmp_ngt_f32_e32 vcc, s9, v152
	v_ldexp_f32 v12, v12, v13
	s_nop 0
	v_cndmask_b32_e32 v12, 0, v12, vcc
	v_cmp_nlt_f32_e32 vcc, s10, v152
	s_nop 1
	v_cndmask_b32_e32 v42, v142, v12, vcc
	v_add_f32_e32 v14, 1.0, v42
	v_add_f32_e32 v12, -1.0, v14
	v_sub_f32_e32 v13, v12, v14
	v_add_f32_e32 v13, 1.0, v13
	v_sub_f32_e32 v12, v42, v12
	v_add_f32_e32 v27, v12, v13
	v_frexp_mant_f32_e32 v29, v14
	v_cvt_f64_f32_e32 v[12:13], v14
	v_frexp_exp_i32_f64_e32 v12, v[12:13]
	v_cmp_gt_f32_e32 vcc, s12, v29
	v_cmp_gt_f32_e64 s[60:61], s14, v42
	s_nop 0
	v_subbrev_co_u32_e32 v36, vcc, 0, v12, vcc
	v_sub_u32_e32 v12, 0, v36
	v_ldexp_f32 v13, v14, v12
	v_add_f32_e32 v14, -1.0, v13
	v_add_f32_e32 v29, 1.0, v13
	v_ldexp_f32 v12, v27, v12
	v_add_f32_e32 v27, 1.0, v14
	v_add_f32_e32 v30, -1.0, v29
	v_sub_f32_e32 v27, v13, v27
	v_sub_f32_e32 v13, v13, v30
	v_add_f32_e32 v27, v12, v27
	v_add_f32_e32 v12, v12, v13
	;; [unrolled: 1-line block ×3, first 2 shown]
	v_rcp_f32_e32 v38, v37
	v_sub_f32_e32 v13, v29, v37
	v_add_f32_e32 v29, v12, v13
	v_add_f32_e32 v13, v14, v27
	v_sub_f32_e32 v12, v14, v13
	v_add_f32_e32 v14, v27, v12
	v_mul_f32_e32 v27, v13, v38
	v_mul_f32_e32 v30, v37, v27
	v_fma_f32 v32, v27, v37, -v30
	v_fmac_f32_e32 v32, v27, v29
	v_add_f32_e32 v12, v30, v32
	v_sub_f32_e32 v31, v13, v12
	v_pk_add_f32 v[34:35], v[12:13], v[30:31] neg_lo:[0,1] neg_hi:[0,1]
	v_mov_b32_e32 v33, v12
	v_pk_add_f32 v[12:13], v[34:35], v[32:33] neg_lo:[0,1] neg_hi:[0,1]
	v_cmp_eq_f32_e32 vcc, s11, v42
	v_add_f32_e32 v13, v14, v13
	v_add_f32_e32 v12, v12, v13
	v_add_f32_e32 v13, v31, v12
	v_mul_f32_e32 v14, v38, v13
	v_mul_f32_e32 v30, v37, v14
	v_fma_f32 v32, v14, v37, -v30
	v_fmac_f32_e32 v32, v14, v29
	v_sub_f32_e32 v29, v31, v13
	v_add_f32_e32 v29, v12, v29
	v_add_f32_e32 v12, v30, v32
	v_sub_f32_e32 v31, v13, v12
	v_pk_add_f32 v[34:35], v[12:13], v[30:31] neg_lo:[0,1] neg_hi:[0,1]
	v_mov_b32_e32 v33, v12
	v_pk_add_f32 v[12:13], v[34:35], v[32:33] neg_lo:[0,1] neg_hi:[0,1]
	s_or_b64 vcc, s[60:61], vcc
	v_add_f32_e32 v13, v29, v13
	v_add_f32_e32 v12, v12, v13
	;; [unrolled: 1-line block ×4, first 2 shown]
	v_sub_f32_e32 v27, v13, v27
	v_mul_f32_e32 v12, v38, v12
	v_sub_f32_e32 v14, v14, v27
	v_add_f32_e32 v14, v14, v12
	v_add_f32_e32 v27, v13, v14
	v_mul_f32_e32 v30, v27, v27
	v_fmamk_f32 v12, v30, 0x3e9b6dac, v141
	v_fmaak_f32 v29, v30, v12, 0x3f2aaada
	v_cvt_f32_i32_e32 v12, v36
	v_sub_f32_e32 v13, v27, v13
	v_sub_f32_e32 v13, v14, v13
	v_ldexp_f32 v14, v13, 1
	v_mul_f32_e32 v13, v27, v30
	v_pk_mul_f32 v[32:33], v[12:13], v[28:29]
	v_ldexp_f32 v31, v27, 1
	v_fma_f32 v30, v12, s13, -v32
	v_fmac_f32_e32 v30, 0xb102e308, v12
	v_pk_add_f32 v[12:13], v[32:33], v[30:31]
	v_mov_b32_e32 v34, v32
	v_sub_f32_e32 v27, v13, v31
	v_sub_f32_e32 v27, v33, v27
	v_add_f32_e32 v35, v14, v27
	v_pk_add_f32 v[32:33], v[12:13], v[32:33] neg_lo:[0,1] neg_hi:[0,1]
	v_pk_add_f32 v[36:37], v[12:13], v[34:35]
	v_mov_b32_e32 v31, v12
	v_mov_b32_e32 v33, v37
	v_pk_add_f32 v[38:39], v[30:31], v[32:33] neg_lo:[0,1] neg_hi:[0,1]
	v_pk_add_f32 v[30:31], v[30:31], v[32:33]
	s_nop 0
	v_mov_b32_e32 v14, v31
	v_pk_add_f32 v[32:33], v[14:15], v[12:13] neg_lo:[0,1] neg_hi:[0,1]
	v_mov_b32_e32 v30, v37
	v_mov_b32_e32 v27, v32
	v_pk_add_f32 v[40:41], v[36:37], v[26:27] neg_lo:[0,1] neg_hi:[0,1]
	v_mov_b32_e32 v36, v13
	v_mov_b32_e32 v37, v32
	;; [unrolled: 1-line block ×3, first 2 shown]
	v_pk_add_f32 v[30:31], v[30:31], v[36:37] neg_lo:[0,1] neg_hi:[0,1]
	v_mov_b32_e32 v32, v35
	v_mov_b32_e32 v33, v12
	v_pk_add_f32 v[12:13], v[32:33], v[30:31] neg_lo:[0,1] neg_hi:[0,1]
	v_mov_b32_e32 v40, v38
	v_pk_add_f32 v[30:31], v[40:41], v[12:13]
	s_nop 0
	v_mov_b32_e32 v32, v31
	v_pk_add_f32 v[32:33], v[30:31], v[32:33]
	s_nop 0
	v_pk_add_f32 v[34:35], v[14:15], v[32:33]
	v_mov_b32_e32 v13, v32
	v_mov_b32_e32 v31, v34
	v_pk_add_f32 v[36:37], v[30:31], v[38:39] neg_lo:[0,1] neg_hi:[0,1]
	s_nop 0
	v_sub_f32_e32 v14, v30, v36
	v_pk_add_f32 v[12:13], v[12:13], v[36:37] neg_lo:[0,1] neg_hi:[0,1]
	v_sub_f32_e32 v14, v38, v14
	v_add_f32_e32 v12, v12, v14
	v_add_f32_e32 v12, v12, v13
	;; [unrolled: 1-line block ×3, first 2 shown]
	v_cndmask_b32_e32 v152, v12, v42, vcc
.LBB29_89:                              ;   in Loop: Header=BB29_13 Depth=1
	s_or_b64 exec, exec, s[4:5]
	v_and_b32_e32 v12, 0xffff0000, v15
	v_readlane_b32 s2, v166, 2
	s_nop 1
	v_add_f32_e32 v153, s2, v12
	v_readlane_b32 s2, v166, 23
	v_cmp_ge_f32_e32 vcc, s6, v153
	v_readlane_b32 s3, v166, 24
	s_and_b64 s[2:3], s[2:3], vcc
	s_and_saveexec_b64 s[4:5], s[2:3]
	s_cbranch_execz .LBB29_91
; %bb.90:                               ;   in Loop: Header=BB29_13 Depth=1
	v_mul_f32_e32 v12, 0x3fb8aa3b, v153
	v_rndne_f32_e32 v13, v12
	v_sub_f32_e32 v14, v12, v13
	v_fma_f32 v12, v153, s8, -v12
	v_fmac_f32_e32 v12, 0x32a5705f, v153
	v_add_f32_e32 v12, v14, v12
	v_cvt_i32_f32_e32 v13, v13
	v_exp_f32_e32 v12, v12
	v_cmp_ngt_f32_e32 vcc, s9, v153
	v_ldexp_f32 v12, v12, v13
	s_nop 0
	v_cndmask_b32_e32 v12, 0, v12, vcc
	v_cmp_nlt_f32_e32 vcc, s10, v153
	s_nop 1
	v_cndmask_b32_e32 v42, v142, v12, vcc
	v_add_f32_e32 v14, 1.0, v42
	v_add_f32_e32 v12, -1.0, v14
	v_sub_f32_e32 v13, v12, v14
	v_add_f32_e32 v13, 1.0, v13
	v_sub_f32_e32 v12, v42, v12
	v_add_f32_e32 v15, v12, v13
	v_frexp_mant_f32_e32 v27, v14
	v_cvt_f64_f32_e32 v[12:13], v14
	v_frexp_exp_i32_f64_e32 v12, v[12:13]
	v_cmp_gt_f32_e32 vcc, s12, v27
	v_cmp_gt_f32_e64 s[60:61], s14, v42
	s_nop 0
	v_subbrev_co_u32_e32 v27, vcc, 0, v12, vcc
	v_sub_u32_e32 v12, 0, v27
	v_ldexp_f32 v13, v14, v12
	v_add_f32_e32 v14, -1.0, v13
	v_add_f32_e32 v29, 1.0, v13
	v_ldexp_f32 v12, v15, v12
	v_add_f32_e32 v15, 1.0, v14
	v_add_f32_e32 v30, -1.0, v29
	v_sub_f32_e32 v15, v13, v15
	v_sub_f32_e32 v13, v13, v30
	v_add_f32_e32 v15, v12, v15
	v_add_f32_e32 v12, v12, v13
	;; [unrolled: 1-line block ×3, first 2 shown]
	v_rcp_f32_e32 v35, v34
	v_sub_f32_e32 v13, v29, v34
	v_add_f32_e32 v29, v12, v13
	v_add_f32_e32 v13, v14, v15
	v_mul_f32_e32 v37, v13, v35
	v_sub_f32_e32 v12, v14, v13
	v_mul_f32_e32 v14, v34, v37
	v_fma_f32 v30, v37, v34, -v14
	v_fmac_f32_e32 v30, v37, v29
	v_add_f32_e32 v36, v15, v12
	v_add_f32_e32 v12, v14, v30
	v_sub_f32_e32 v15, v13, v12
	v_pk_add_f32 v[32:33], v[12:13], v[14:15] neg_lo:[0,1] neg_hi:[0,1]
	v_mov_b32_e32 v31, v12
	v_pk_add_f32 v[12:13], v[32:33], v[30:31] neg_lo:[0,1] neg_hi:[0,1]
	v_cmp_eq_f32_e32 vcc, s11, v42
	v_add_f32_e32 v13, v36, v13
	v_add_f32_e32 v12, v12, v13
	;; [unrolled: 1-line block ×3, first 2 shown]
	v_mul_f32_e32 v36, v35, v13
	v_mul_f32_e32 v14, v34, v36
	v_fma_f32 v30, v36, v34, -v14
	v_fmac_f32_e32 v30, v36, v29
	v_sub_f32_e32 v15, v15, v13
	v_add_f32_e32 v29, v12, v15
	v_add_f32_e32 v12, v14, v30
	v_sub_f32_e32 v15, v13, v12
	v_pk_add_f32 v[32:33], v[12:13], v[14:15] neg_lo:[0,1] neg_hi:[0,1]
	v_mov_b32_e32 v31, v12
	v_pk_add_f32 v[12:13], v[32:33], v[30:31] neg_lo:[0,1] neg_hi:[0,1]
	s_or_b64 vcc, s[60:61], vcc
	v_add_f32_e32 v13, v29, v13
	v_add_f32_e32 v12, v12, v13
	v_add_f32_e32 v13, v37, v36
	v_add_f32_e32 v12, v15, v12
	v_sub_f32_e32 v14, v13, v37
	v_mul_f32_e32 v12, v35, v12
	v_sub_f32_e32 v14, v36, v14
	v_add_f32_e32 v14, v14, v12
	v_add_f32_e32 v30, v13, v14
	v_mul_f32_e32 v31, v30, v30
	v_fmamk_f32 v12, v31, 0x3e9b6dac, v141
	v_fmaak_f32 v29, v31, v12, 0x3f2aaada
	v_cvt_f32_i32_e32 v12, v27
	v_sub_f32_e32 v13, v30, v13
	v_sub_f32_e32 v13, v14, v13
	v_ldexp_f32 v27, v13, 1
	v_mul_f32_e32 v13, v30, v31
	v_ldexp_f32 v15, v30, 1
	v_pk_mul_f32 v[30:31], v[12:13], v[28:29]
	s_nop 0
	v_fma_f32 v14, v12, s13, -v30
	v_fmac_f32_e32 v14, 0xb102e308, v12
	v_pk_add_f32 v[12:13], v[30:31], v[14:15]
	v_mov_b32_e32 v32, v30
	v_sub_f32_e32 v15, v13, v15
	v_sub_f32_e32 v15, v31, v15
	v_add_f32_e32 v33, v27, v15
	v_pk_add_f32 v[30:31], v[12:13], v[30:31] neg_lo:[0,1] neg_hi:[0,1]
	v_pk_add_f32 v[34:35], v[12:13], v[32:33]
	v_mov_b32_e32 v15, v12
	v_mov_b32_e32 v31, v35
	v_pk_add_f32 v[36:37], v[14:15], v[30:31] neg_lo:[0,1] neg_hi:[0,1]
	v_pk_add_f32 v[14:15], v[14:15], v[30:31]
	v_mov_b32_e32 v32, v33
	v_mov_b32_e32 v30, v15
	v_pk_add_f32 v[38:39], v[30:31], v[12:13] neg_lo:[0,1] neg_hi:[0,1]
	v_mov_b32_e32 v14, v35
	v_mov_b32_e32 v27, v38
	v_pk_add_f32 v[40:41], v[34:35], v[26:27] neg_lo:[0,1] neg_hi:[0,1]
	v_mov_b32_e32 v34, v13
	v_mov_b32_e32 v35, v38
	;; [unrolled: 1-line block ×3, first 2 shown]
	v_pk_add_f32 v[14:15], v[14:15], v[34:35] neg_lo:[0,1] neg_hi:[0,1]
	v_mov_b32_e32 v33, v12
	v_pk_add_f32 v[12:13], v[32:33], v[14:15] neg_lo:[0,1] neg_hi:[0,1]
	v_mov_b32_e32 v40, v36
	v_pk_add_f32 v[14:15], v[40:41], v[12:13]
	s_nop 0
	v_mov_b32_e32 v32, v15
	v_pk_add_f32 v[32:33], v[14:15], v[32:33]
	s_nop 0
	v_pk_add_f32 v[30:31], v[30:31], v[32:33]
	v_mov_b32_e32 v13, v32
	v_mov_b32_e32 v15, v30
	v_pk_add_f32 v[34:35], v[14:15], v[36:37] neg_lo:[0,1] neg_hi:[0,1]
	s_nop 0
	v_sub_f32_e32 v14, v14, v34
	v_pk_add_f32 v[12:13], v[12:13], v[34:35] neg_lo:[0,1] neg_hi:[0,1]
	v_sub_f32_e32 v14, v36, v14
	v_add_f32_e32 v12, v12, v14
	v_add_f32_e32 v12, v12, v13
	;; [unrolled: 1-line block ×3, first 2 shown]
	v_cndmask_b32_e32 v153, v12, v42, vcc
.LBB29_91:                              ;   in Loop: Header=BB29_13 Depth=1
	s_or_b64 exec, exec, s[4:5]
	s_waitcnt lgkmcnt(0)
	v_lshlrev_b32_e32 v12, 16, v8
	v_readlane_b32 s2, v166, 2
	s_nop 1
	v_add_f32_e32 v154, s2, v12
	v_readlane_b32 s2, v166, 23
	v_cmp_ge_f32_e32 vcc, s6, v154
	v_readlane_b32 s3, v166, 24
	s_and_b64 s[2:3], s[2:3], vcc
	s_and_saveexec_b64 s[4:5], s[2:3]
	s_cbranch_execz .LBB29_93
; %bb.92:                               ;   in Loop: Header=BB29_13 Depth=1
	v_mul_f32_e32 v12, 0x3fb8aa3b, v154
	v_rndne_f32_e32 v13, v12
	v_sub_f32_e32 v14, v12, v13
	v_fma_f32 v12, v154, s8, -v12
	v_fmac_f32_e32 v12, 0x32a5705f, v154
	v_add_f32_e32 v12, v14, v12
	v_cvt_i32_f32_e32 v13, v13
	v_exp_f32_e32 v12, v12
	v_cmp_ngt_f32_e32 vcc, s9, v154
	v_ldexp_f32 v12, v12, v13
	s_nop 0
	v_cndmask_b32_e32 v12, 0, v12, vcc
	v_cmp_nlt_f32_e32 vcc, s10, v154
	s_nop 1
	v_cndmask_b32_e32 v42, v142, v12, vcc
	v_add_f32_e32 v14, 1.0, v42
	v_add_f32_e32 v12, -1.0, v14
	v_sub_f32_e32 v13, v12, v14
	v_add_f32_e32 v13, 1.0, v13
	v_sub_f32_e32 v12, v42, v12
	v_add_f32_e32 v15, v12, v13
	v_frexp_mant_f32_e32 v27, v14
	v_cvt_f64_f32_e32 v[12:13], v14
	v_frexp_exp_i32_f64_e32 v12, v[12:13]
	v_cmp_gt_f32_e32 vcc, s12, v27
	v_cmp_gt_f32_e64 s[60:61], s14, v42
	s_nop 0
	v_subbrev_co_u32_e32 v27, vcc, 0, v12, vcc
	v_sub_u32_e32 v12, 0, v27
	v_ldexp_f32 v13, v14, v12
	v_add_f32_e32 v14, -1.0, v13
	v_add_f32_e32 v29, 1.0, v13
	v_ldexp_f32 v12, v15, v12
	v_add_f32_e32 v15, 1.0, v14
	v_add_f32_e32 v30, -1.0, v29
	v_sub_f32_e32 v15, v13, v15
	v_sub_f32_e32 v13, v13, v30
	v_add_f32_e32 v15, v12, v15
	v_add_f32_e32 v12, v12, v13
	;; [unrolled: 1-line block ×3, first 2 shown]
	v_rcp_f32_e32 v35, v34
	v_sub_f32_e32 v13, v29, v34
	v_add_f32_e32 v29, v12, v13
	v_add_f32_e32 v13, v14, v15
	v_mul_f32_e32 v37, v13, v35
	v_sub_f32_e32 v12, v14, v13
	v_mul_f32_e32 v14, v34, v37
	v_fma_f32 v30, v37, v34, -v14
	v_fmac_f32_e32 v30, v37, v29
	v_add_f32_e32 v36, v15, v12
	v_add_f32_e32 v12, v14, v30
	v_sub_f32_e32 v15, v13, v12
	v_pk_add_f32 v[32:33], v[12:13], v[14:15] neg_lo:[0,1] neg_hi:[0,1]
	v_mov_b32_e32 v31, v12
	v_pk_add_f32 v[12:13], v[32:33], v[30:31] neg_lo:[0,1] neg_hi:[0,1]
	v_cmp_eq_f32_e32 vcc, s11, v42
	v_add_f32_e32 v13, v36, v13
	v_add_f32_e32 v12, v12, v13
	;; [unrolled: 1-line block ×3, first 2 shown]
	v_mul_f32_e32 v36, v35, v13
	v_mul_f32_e32 v14, v34, v36
	v_fma_f32 v30, v36, v34, -v14
	v_fmac_f32_e32 v30, v36, v29
	v_sub_f32_e32 v15, v15, v13
	v_add_f32_e32 v29, v12, v15
	v_add_f32_e32 v12, v14, v30
	v_sub_f32_e32 v15, v13, v12
	v_pk_add_f32 v[32:33], v[12:13], v[14:15] neg_lo:[0,1] neg_hi:[0,1]
	v_mov_b32_e32 v31, v12
	v_pk_add_f32 v[12:13], v[32:33], v[30:31] neg_lo:[0,1] neg_hi:[0,1]
	s_or_b64 vcc, s[60:61], vcc
	v_add_f32_e32 v13, v29, v13
	v_add_f32_e32 v12, v12, v13
	;; [unrolled: 1-line block ×4, first 2 shown]
	v_sub_f32_e32 v14, v13, v37
	v_mul_f32_e32 v12, v35, v12
	v_sub_f32_e32 v14, v36, v14
	v_add_f32_e32 v14, v14, v12
	v_add_f32_e32 v30, v13, v14
	v_mul_f32_e32 v31, v30, v30
	v_fmamk_f32 v12, v31, 0x3e9b6dac, v141
	v_fmaak_f32 v29, v31, v12, 0x3f2aaada
	v_cvt_f32_i32_e32 v12, v27
	v_sub_f32_e32 v13, v30, v13
	v_sub_f32_e32 v13, v14, v13
	v_ldexp_f32 v27, v13, 1
	v_mul_f32_e32 v13, v30, v31
	v_ldexp_f32 v15, v30, 1
	v_pk_mul_f32 v[30:31], v[12:13], v[28:29]
	s_nop 0
	v_fma_f32 v14, v12, s13, -v30
	v_fmac_f32_e32 v14, 0xb102e308, v12
	v_pk_add_f32 v[12:13], v[30:31], v[14:15]
	v_mov_b32_e32 v32, v30
	v_sub_f32_e32 v15, v13, v15
	v_sub_f32_e32 v15, v31, v15
	v_add_f32_e32 v33, v27, v15
	v_pk_add_f32 v[30:31], v[12:13], v[30:31] neg_lo:[0,1] neg_hi:[0,1]
	v_pk_add_f32 v[34:35], v[12:13], v[32:33]
	v_mov_b32_e32 v15, v12
	v_mov_b32_e32 v31, v35
	v_pk_add_f32 v[36:37], v[14:15], v[30:31] neg_lo:[0,1] neg_hi:[0,1]
	v_pk_add_f32 v[14:15], v[14:15], v[30:31]
	v_mov_b32_e32 v32, v33
	v_mov_b32_e32 v30, v15
	v_pk_add_f32 v[38:39], v[30:31], v[12:13] neg_lo:[0,1] neg_hi:[0,1]
	v_mov_b32_e32 v14, v35
	v_mov_b32_e32 v27, v38
	v_pk_add_f32 v[40:41], v[34:35], v[26:27] neg_lo:[0,1] neg_hi:[0,1]
	v_mov_b32_e32 v34, v13
	v_mov_b32_e32 v35, v38
	v_mov_b32_e32 v37, v15
	v_pk_add_f32 v[14:15], v[14:15], v[34:35] neg_lo:[0,1] neg_hi:[0,1]
	v_mov_b32_e32 v33, v12
	v_pk_add_f32 v[12:13], v[32:33], v[14:15] neg_lo:[0,1] neg_hi:[0,1]
	v_mov_b32_e32 v40, v36
	v_pk_add_f32 v[14:15], v[40:41], v[12:13]
	s_nop 0
	v_mov_b32_e32 v32, v15
	v_pk_add_f32 v[32:33], v[14:15], v[32:33]
	s_nop 0
	v_pk_add_f32 v[30:31], v[30:31], v[32:33]
	v_mov_b32_e32 v13, v32
	v_mov_b32_e32 v15, v30
	v_pk_add_f32 v[34:35], v[14:15], v[36:37] neg_lo:[0,1] neg_hi:[0,1]
	s_nop 0
	v_sub_f32_e32 v14, v14, v34
	v_pk_add_f32 v[12:13], v[12:13], v[34:35] neg_lo:[0,1] neg_hi:[0,1]
	v_sub_f32_e32 v14, v36, v14
	v_add_f32_e32 v12, v12, v14
	v_add_f32_e32 v12, v12, v13
	;; [unrolled: 1-line block ×3, first 2 shown]
	v_cndmask_b32_e32 v154, v12, v42, vcc
.LBB29_93:                              ;   in Loop: Header=BB29_13 Depth=1
	s_or_b64 exec, exec, s[4:5]
	v_and_b32_e32 v8, 0xffff0000, v8
	v_readlane_b32 s2, v166, 2
	s_nop 1
	v_add_f32_e32 v155, s2, v8
	v_readlane_b32 s2, v166, 23
	v_cmp_ge_f32_e32 vcc, s6, v155
	v_readlane_b32 s3, v166, 24
	s_and_b64 s[2:3], s[2:3], vcc
	s_and_saveexec_b64 s[4:5], s[2:3]
	s_cbranch_execz .LBB29_95
; %bb.94:                               ;   in Loop: Header=BB29_13 Depth=1
	v_mul_f32_e32 v8, 0x3fb8aa3b, v155
	v_rndne_f32_e32 v12, v8
	v_sub_f32_e32 v13, v8, v12
	v_fma_f32 v8, v155, s8, -v8
	v_fmac_f32_e32 v8, 0x32a5705f, v155
	v_add_f32_e32 v8, v13, v8
	v_cvt_i32_f32_e32 v12, v12
	v_exp_f32_e32 v8, v8
	v_cmp_ngt_f32_e32 vcc, s9, v155
	v_ldexp_f32 v8, v8, v12
	s_nop 0
	v_cndmask_b32_e32 v8, 0, v8, vcc
	v_cmp_nlt_f32_e32 vcc, s10, v155
	s_nop 1
	v_cndmask_b32_e32 v40, v142, v8, vcc
	v_add_f32_e32 v8, 1.0, v40
	v_add_f32_e32 v12, -1.0, v8
	v_sub_f32_e32 v13, v12, v8
	v_add_f32_e32 v13, 1.0, v13
	v_sub_f32_e32 v12, v40, v12
	v_add_f32_e32 v14, v12, v13
	v_frexp_mant_f32_e32 v15, v8
	v_cvt_f64_f32_e32 v[12:13], v8
	v_frexp_exp_i32_f64_e32 v12, v[12:13]
	v_cmp_gt_f32_e32 vcc, s12, v15
	v_cmp_gt_f32_e64 s[60:61], s14, v40
	s_nop 0
	v_subbrev_co_u32_e32 v27, vcc, 0, v12, vcc
	v_sub_u32_e32 v12, 0, v27
	v_ldexp_f32 v8, v8, v12
	v_ldexp_f32 v12, v14, v12
	v_add_f32_e32 v14, -1.0, v8
	v_add_f32_e32 v13, 1.0, v14
	v_sub_f32_e32 v13, v8, v13
	v_add_f32_e32 v15, v12, v13
	v_add_f32_e32 v13, 1.0, v8
	v_add_f32_e32 v29, -1.0, v13
	v_sub_f32_e32 v8, v8, v29
	v_add_f32_e32 v8, v12, v8
	v_add_f32_e32 v29, v13, v8
	v_rcp_f32_e32 v34, v29
	v_sub_f32_e32 v12, v13, v29
	v_add_f32_e32 v13, v14, v15
	v_add_f32_e32 v8, v8, v12
	v_mul_f32_e32 v36, v13, v34
	v_sub_f32_e32 v12, v14, v13
	v_mul_f32_e32 v14, v29, v36
	v_fma_f32 v30, v36, v29, -v14
	v_fmac_f32_e32 v30, v36, v8
	v_add_f32_e32 v35, v15, v12
	v_add_f32_e32 v12, v14, v30
	v_sub_f32_e32 v15, v13, v12
	v_pk_add_f32 v[32:33], v[12:13], v[14:15] neg_lo:[0,1] neg_hi:[0,1]
	v_mov_b32_e32 v31, v12
	v_pk_add_f32 v[12:13], v[32:33], v[30:31] neg_lo:[0,1] neg_hi:[0,1]
	v_cmp_eq_f32_e32 vcc, s11, v40
	v_add_f32_e32 v13, v35, v13
	v_add_f32_e32 v12, v12, v13
	;; [unrolled: 1-line block ×3, first 2 shown]
	v_mul_f32_e32 v35, v34, v13
	v_mul_f32_e32 v14, v29, v35
	v_fma_f32 v30, v35, v29, -v14
	v_fmac_f32_e32 v30, v35, v8
	v_sub_f32_e32 v8, v15, v13
	v_add_f32_e32 v8, v12, v8
	v_add_f32_e32 v12, v14, v30
	v_sub_f32_e32 v15, v13, v12
	v_pk_add_f32 v[32:33], v[12:13], v[14:15] neg_lo:[0,1] neg_hi:[0,1]
	v_mov_b32_e32 v31, v12
	v_pk_add_f32 v[12:13], v[32:33], v[30:31] neg_lo:[0,1] neg_hi:[0,1]
	s_or_b64 vcc, s[60:61], vcc
	v_add_f32_e32 v8, v8, v13
	v_add_f32_e32 v8, v12, v8
	;; [unrolled: 1-line block ×4, first 2 shown]
	v_sub_f32_e32 v12, v13, v36
	v_mul_f32_e32 v8, v34, v8
	v_sub_f32_e32 v12, v35, v12
	v_add_f32_e32 v8, v12, v8
	v_add_f32_e32 v14, v13, v8
	v_mul_f32_e32 v30, v14, v14
	v_fmamk_f32 v12, v30, 0x3e9b6dac, v141
	v_fmaak_f32 v29, v30, v12, 0x3f2aaada
	v_cvt_f32_i32_e32 v12, v27
	v_sub_f32_e32 v13, v14, v13
	v_sub_f32_e32 v8, v8, v13
	v_mul_f32_e32 v13, v14, v30
	v_pk_mul_f32 v[30:31], v[12:13], v[28:29]
	v_ldexp_f32 v15, v14, 1
	v_fma_f32 v14, v12, s13, -v30
	v_fmac_f32_e32 v14, 0xb102e308, v12
	v_pk_add_f32 v[12:13], v[30:31], v[14:15]
	v_ldexp_f32 v8, v8, 1
	v_sub_f32_e32 v15, v13, v15
	v_sub_f32_e32 v15, v31, v15
	v_add_f32_e32 v33, v8, v15
	v_mov_b32_e32 v32, v30
	v_pk_add_f32 v[30:31], v[12:13], v[30:31] neg_lo:[0,1] neg_hi:[0,1]
	v_pk_add_f32 v[34:35], v[12:13], v[32:33]
	v_mov_b32_e32 v15, v12
	v_mov_b32_e32 v31, v35
	v_pk_add_f32 v[36:37], v[14:15], v[30:31] neg_lo:[0,1] neg_hi:[0,1]
	v_pk_add_f32 v[14:15], v[14:15], v[30:31]
	s_nop 0
	v_mov_b32_e32 v8, v15
	v_pk_add_f32 v[30:31], v[8:9], v[12:13] neg_lo:[0,1] neg_hi:[0,1]
	v_mov_b32_e32 v14, v35
	v_mov_b32_e32 v27, v30
	v_pk_add_f32 v[38:39], v[34:35], v[26:27] neg_lo:[0,1] neg_hi:[0,1]
	v_mov_b32_e32 v34, v13
	v_mov_b32_e32 v35, v30
	;; [unrolled: 1-line block ×3, first 2 shown]
	v_pk_add_f32 v[14:15], v[14:15], v[34:35] neg_lo:[0,1] neg_hi:[0,1]
	v_mov_b32_e32 v30, v33
	v_mov_b32_e32 v31, v12
	v_pk_add_f32 v[12:13], v[30:31], v[14:15] neg_lo:[0,1] neg_hi:[0,1]
	v_mov_b32_e32 v38, v36
	v_pk_add_f32 v[14:15], v[38:39], v[12:13]
	s_nop 0
	v_mov_b32_e32 v30, v15
	v_pk_add_f32 v[30:31], v[14:15], v[30:31]
	s_nop 0
	v_pk_add_f32 v[32:33], v[8:9], v[30:31]
	v_mov_b32_e32 v13, v30
	v_mov_b32_e32 v15, v32
	v_pk_add_f32 v[34:35], v[14:15], v[36:37] neg_lo:[0,1] neg_hi:[0,1]
	s_nop 0
	v_sub_f32_e32 v8, v14, v34
	v_pk_add_f32 v[12:13], v[12:13], v[34:35] neg_lo:[0,1] neg_hi:[0,1]
	v_sub_f32_e32 v8, v36, v8
	v_add_f32_e32 v8, v12, v8
	v_add_f32_e32 v8, v8, v13
	;; [unrolled: 1-line block ×3, first 2 shown]
	v_cndmask_b32_e32 v155, v8, v40, vcc
.LBB29_95:                              ;   in Loop: Header=BB29_13 Depth=1
	s_or_b64 exec, exec, s[4:5]
	v_lshlrev_b32_e32 v8, 16, v9
	v_readlane_b32 s2, v166, 2
	s_nop 1
	v_add_f32_e32 v156, s2, v8
	v_readlane_b32 s2, v166, 23
	v_cmp_ge_f32_e32 vcc, s6, v156
	v_readlane_b32 s3, v166, 24
	s_and_b64 s[2:3], s[2:3], vcc
	s_and_saveexec_b64 s[4:5], s[2:3]
	s_cbranch_execz .LBB29_97
; %bb.96:                               ;   in Loop: Header=BB29_13 Depth=1
	v_mul_f32_e32 v8, 0x3fb8aa3b, v156
	v_rndne_f32_e32 v12, v8
	v_sub_f32_e32 v13, v8, v12
	v_fma_f32 v8, v156, s8, -v8
	v_fmac_f32_e32 v8, 0x32a5705f, v156
	v_add_f32_e32 v8, v13, v8
	v_cvt_i32_f32_e32 v12, v12
	v_exp_f32_e32 v8, v8
	v_cmp_ngt_f32_e32 vcc, s9, v156
	v_ldexp_f32 v8, v8, v12
	s_nop 0
	v_cndmask_b32_e32 v8, 0, v8, vcc
	v_cmp_nlt_f32_e32 vcc, s10, v156
	s_nop 1
	v_cndmask_b32_e32 v40, v142, v8, vcc
	v_add_f32_e32 v8, 1.0, v40
	v_add_f32_e32 v12, -1.0, v8
	v_sub_f32_e32 v13, v12, v8
	v_add_f32_e32 v13, 1.0, v13
	v_sub_f32_e32 v12, v40, v12
	v_add_f32_e32 v14, v12, v13
	v_frexp_mant_f32_e32 v15, v8
	v_cvt_f64_f32_e32 v[12:13], v8
	v_frexp_exp_i32_f64_e32 v12, v[12:13]
	v_cmp_gt_f32_e32 vcc, s12, v15
	v_cmp_gt_f32_e64 s[60:61], s14, v40
	s_nop 0
	v_subbrev_co_u32_e32 v27, vcc, 0, v12, vcc
	v_sub_u32_e32 v12, 0, v27
	v_ldexp_f32 v8, v8, v12
	v_ldexp_f32 v12, v14, v12
	v_add_f32_e32 v14, -1.0, v8
	v_add_f32_e32 v13, 1.0, v14
	v_sub_f32_e32 v13, v8, v13
	v_add_f32_e32 v15, v12, v13
	v_add_f32_e32 v13, 1.0, v8
	v_add_f32_e32 v29, -1.0, v13
	v_sub_f32_e32 v8, v8, v29
	v_add_f32_e32 v8, v12, v8
	v_add_f32_e32 v29, v13, v8
	v_rcp_f32_e32 v34, v29
	v_sub_f32_e32 v12, v13, v29
	v_add_f32_e32 v13, v14, v15
	v_add_f32_e32 v8, v8, v12
	v_mul_f32_e32 v36, v13, v34
	v_sub_f32_e32 v12, v14, v13
	v_mul_f32_e32 v14, v29, v36
	v_fma_f32 v30, v36, v29, -v14
	v_fmac_f32_e32 v30, v36, v8
	v_add_f32_e32 v35, v15, v12
	v_add_f32_e32 v12, v14, v30
	v_sub_f32_e32 v15, v13, v12
	v_pk_add_f32 v[32:33], v[12:13], v[14:15] neg_lo:[0,1] neg_hi:[0,1]
	v_mov_b32_e32 v31, v12
	v_pk_add_f32 v[12:13], v[32:33], v[30:31] neg_lo:[0,1] neg_hi:[0,1]
	v_cmp_eq_f32_e32 vcc, s11, v40
	v_add_f32_e32 v13, v35, v13
	v_add_f32_e32 v12, v12, v13
	;; [unrolled: 1-line block ×3, first 2 shown]
	v_mul_f32_e32 v35, v34, v13
	v_mul_f32_e32 v14, v29, v35
	v_fma_f32 v30, v35, v29, -v14
	v_fmac_f32_e32 v30, v35, v8
	v_sub_f32_e32 v8, v15, v13
	v_add_f32_e32 v8, v12, v8
	v_add_f32_e32 v12, v14, v30
	v_sub_f32_e32 v15, v13, v12
	v_pk_add_f32 v[32:33], v[12:13], v[14:15] neg_lo:[0,1] neg_hi:[0,1]
	v_mov_b32_e32 v31, v12
	v_pk_add_f32 v[12:13], v[32:33], v[30:31] neg_lo:[0,1] neg_hi:[0,1]
	s_or_b64 vcc, s[60:61], vcc
	v_add_f32_e32 v8, v8, v13
	v_add_f32_e32 v8, v12, v8
	;; [unrolled: 1-line block ×4, first 2 shown]
	v_sub_f32_e32 v12, v13, v36
	v_mul_f32_e32 v8, v34, v8
	v_sub_f32_e32 v12, v35, v12
	v_add_f32_e32 v8, v12, v8
	v_add_f32_e32 v14, v13, v8
	v_mul_f32_e32 v30, v14, v14
	v_fmamk_f32 v12, v30, 0x3e9b6dac, v141
	v_fmaak_f32 v29, v30, v12, 0x3f2aaada
	v_cvt_f32_i32_e32 v12, v27
	v_sub_f32_e32 v13, v14, v13
	v_sub_f32_e32 v8, v8, v13
	v_mul_f32_e32 v13, v14, v30
	v_pk_mul_f32 v[30:31], v[12:13], v[28:29]
	v_ldexp_f32 v15, v14, 1
	v_fma_f32 v14, v12, s13, -v30
	v_fmac_f32_e32 v14, 0xb102e308, v12
	v_pk_add_f32 v[12:13], v[30:31], v[14:15]
	v_ldexp_f32 v8, v8, 1
	v_sub_f32_e32 v15, v13, v15
	v_sub_f32_e32 v15, v31, v15
	v_add_f32_e32 v33, v8, v15
	v_mov_b32_e32 v32, v30
	v_pk_add_f32 v[30:31], v[12:13], v[30:31] neg_lo:[0,1] neg_hi:[0,1]
	v_pk_add_f32 v[34:35], v[12:13], v[32:33]
	v_mov_b32_e32 v15, v12
	v_mov_b32_e32 v31, v35
	v_pk_add_f32 v[36:37], v[14:15], v[30:31] neg_lo:[0,1] neg_hi:[0,1]
	v_pk_add_f32 v[14:15], v[14:15], v[30:31]
	s_nop 0
	v_mov_b32_e32 v8, v15
	v_pk_add_f32 v[30:31], v[8:9], v[12:13] neg_lo:[0,1] neg_hi:[0,1]
	v_mov_b32_e32 v14, v35
	v_mov_b32_e32 v27, v30
	v_pk_add_f32 v[38:39], v[34:35], v[26:27] neg_lo:[0,1] neg_hi:[0,1]
	v_mov_b32_e32 v34, v13
	v_mov_b32_e32 v35, v30
	;; [unrolled: 1-line block ×3, first 2 shown]
	v_pk_add_f32 v[14:15], v[14:15], v[34:35] neg_lo:[0,1] neg_hi:[0,1]
	v_mov_b32_e32 v30, v33
	v_mov_b32_e32 v31, v12
	v_pk_add_f32 v[12:13], v[30:31], v[14:15] neg_lo:[0,1] neg_hi:[0,1]
	v_mov_b32_e32 v38, v36
	v_pk_add_f32 v[14:15], v[38:39], v[12:13]
	s_nop 0
	v_mov_b32_e32 v30, v15
	v_pk_add_f32 v[30:31], v[14:15], v[30:31]
	s_nop 0
	v_pk_add_f32 v[32:33], v[8:9], v[30:31]
	v_mov_b32_e32 v13, v30
	v_mov_b32_e32 v15, v32
	v_pk_add_f32 v[34:35], v[14:15], v[36:37] neg_lo:[0,1] neg_hi:[0,1]
	s_nop 0
	v_sub_f32_e32 v8, v14, v34
	v_pk_add_f32 v[12:13], v[12:13], v[34:35] neg_lo:[0,1] neg_hi:[0,1]
	v_sub_f32_e32 v8, v36, v8
	v_add_f32_e32 v8, v12, v8
	v_add_f32_e32 v8, v8, v13
	;; [unrolled: 1-line block ×3, first 2 shown]
	v_cndmask_b32_e32 v156, v8, v40, vcc
.LBB29_97:                              ;   in Loop: Header=BB29_13 Depth=1
	s_or_b64 exec, exec, s[4:5]
	v_and_b32_e32 v8, 0xffff0000, v9
	v_readlane_b32 s2, v166, 2
	s_nop 1
	v_add_f32_e32 v157, s2, v8
	v_readlane_b32 s2, v166, 23
	v_cmp_ge_f32_e32 vcc, s6, v157
	v_readlane_b32 s3, v166, 24
	s_and_b64 s[2:3], s[2:3], vcc
	s_and_saveexec_b64 s[4:5], s[2:3]
	s_cbranch_execz .LBB29_99
; %bb.98:                               ;   in Loop: Header=BB29_13 Depth=1
	v_mul_f32_e32 v8, 0x3fb8aa3b, v157
	v_rndne_f32_e32 v9, v8
	v_sub_f32_e32 v12, v8, v9
	v_fma_f32 v8, v157, s8, -v8
	v_fmac_f32_e32 v8, 0x32a5705f, v157
	v_add_f32_e32 v8, v12, v8
	v_cvt_i32_f32_e32 v9, v9
	v_exp_f32_e32 v8, v8
	v_cmp_ngt_f32_e32 vcc, s9, v157
	v_ldexp_f32 v8, v8, v9
	s_nop 0
	v_cndmask_b32_e32 v8, 0, v8, vcc
	v_cmp_nlt_f32_e32 vcc, s10, v157
	s_nop 1
	v_cndmask_b32_e32 v27, v142, v8, vcc
	v_add_f32_e32 v12, 1.0, v27
	v_add_f32_e32 v8, -1.0, v12
	v_sub_f32_e32 v9, v8, v12
	v_add_f32_e32 v9, 1.0, v9
	v_sub_f32_e32 v8, v27, v8
	v_add_f32_e32 v13, v8, v9
	v_frexp_mant_f32_e32 v14, v12
	v_cvt_f64_f32_e32 v[8:9], v12
	v_frexp_exp_i32_f64_e32 v8, v[8:9]
	v_cmp_gt_f32_e32 vcc, s12, v14
	v_cmp_gt_f32_e64 s[60:61], s14, v27
	s_nop 0
	v_subbrev_co_u32_e32 v32, vcc, 0, v8, vcc
	v_sub_u32_e32 v8, 0, v32
	v_ldexp_f32 v9, v12, v8
	v_add_f32_e32 v12, -1.0, v9
	v_add_f32_e32 v14, 1.0, v9
	v_ldexp_f32 v8, v13, v8
	v_add_f32_e32 v13, 1.0, v12
	v_add_f32_e32 v15, -1.0, v14
	v_sub_f32_e32 v13, v9, v13
	v_sub_f32_e32 v9, v9, v15
	v_add_f32_e32 v13, v8, v13
	v_add_f32_e32 v8, v8, v9
	;; [unrolled: 1-line block ×3, first 2 shown]
	v_rcp_f32_e32 v34, v29
	v_sub_f32_e32 v9, v14, v29
	v_add_f32_e32 v33, v8, v9
	v_add_f32_e32 v9, v12, v13
	v_mul_f32_e32 v36, v9, v34
	v_sub_f32_e32 v8, v12, v9
	v_mul_f32_e32 v12, v29, v36
	v_fma_f32 v14, v36, v29, -v12
	v_fmac_f32_e32 v14, v36, v33
	v_add_f32_e32 v35, v13, v8
	v_add_f32_e32 v8, v12, v14
	v_sub_f32_e32 v13, v9, v8
	v_pk_add_f32 v[30:31], v[8:9], v[12:13] neg_lo:[0,1] neg_hi:[0,1]
	v_mov_b32_e32 v15, v8
	v_pk_add_f32 v[8:9], v[30:31], v[14:15] neg_lo:[0,1] neg_hi:[0,1]
	v_cmp_eq_f32_e32 vcc, s11, v27
	v_add_f32_e32 v9, v35, v9
	v_add_f32_e32 v8, v8, v9
	v_add_f32_e32 v9, v13, v8
	v_mul_f32_e32 v35, v34, v9
	v_mul_f32_e32 v12, v29, v35
	v_fma_f32 v14, v35, v29, -v12
	v_fmac_f32_e32 v14, v35, v33
	v_sub_f32_e32 v13, v13, v9
	v_add_f32_e32 v29, v8, v13
	v_add_f32_e32 v8, v12, v14
	v_sub_f32_e32 v13, v9, v8
	v_pk_add_f32 v[30:31], v[8:9], v[12:13] neg_lo:[0,1] neg_hi:[0,1]
	v_mov_b32_e32 v15, v8
	v_pk_add_f32 v[8:9], v[30:31], v[14:15] neg_lo:[0,1] neg_hi:[0,1]
	s_or_b64 vcc, s[60:61], vcc
	v_add_f32_e32 v9, v29, v9
	v_add_f32_e32 v8, v8, v9
	;; [unrolled: 1-line block ×4, first 2 shown]
	v_sub_f32_e32 v12, v9, v36
	v_mul_f32_e32 v8, v34, v8
	v_sub_f32_e32 v12, v35, v12
	v_add_f32_e32 v12, v12, v8
	v_add_f32_e32 v14, v9, v12
	v_mul_f32_e32 v15, v14, v14
	v_fmamk_f32 v8, v15, 0x3e9b6dac, v141
	v_fmaak_f32 v29, v15, v8, 0x3f2aaada
	v_cvt_f32_i32_e32 v8, v32
	v_sub_f32_e32 v9, v14, v9
	v_sub_f32_e32 v9, v12, v9
	v_ldexp_f32 v30, v9, 1
	v_mul_f32_e32 v9, v14, v15
	v_ldexp_f32 v13, v14, 1
	v_pk_mul_f32 v[14:15], v[8:9], v[28:29]
	s_nop 0
	v_fma_f32 v12, v8, s13, -v14
	v_fmac_f32_e32 v12, 0xb102e308, v8
	v_pk_add_f32 v[8:9], v[14:15], v[12:13]
	s_nop 0
	v_sub_f32_e32 v13, v9, v13
	v_sub_f32_e32 v13, v15, v13
	v_add_f32_e32 v31, v30, v13
	v_mov_b32_e32 v30, v14
	v_pk_add_f32 v[14:15], v[8:9], v[14:15] neg_lo:[0,1] neg_hi:[0,1]
	v_pk_add_f32 v[32:33], v[8:9], v[30:31]
	v_mov_b32_e32 v13, v8
	v_mov_b32_e32 v15, v33
	v_pk_add_f32 v[34:35], v[12:13], v[14:15] neg_lo:[0,1] neg_hi:[0,1]
	v_pk_add_f32 v[12:13], v[12:13], v[14:15]
	v_mov_b32_e32 v30, v31
	v_mov_b32_e32 v14, v13
	v_pk_add_f32 v[36:37], v[14:15], v[8:9] neg_lo:[0,1] neg_hi:[0,1]
	v_mov_b32_e32 v12, v33
	v_mov_b32_e32 v15, v36
	v_pk_add_f32 v[38:39], v[32:33], v[14:15] neg_lo:[0,1] neg_hi:[0,1]
	v_mov_b32_e32 v32, v9
	v_mov_b32_e32 v33, v36
	;; [unrolled: 1-line block ×3, first 2 shown]
	v_pk_add_f32 v[12:13], v[12:13], v[32:33] neg_lo:[0,1] neg_hi:[0,1]
	v_mov_b32_e32 v31, v8
	v_pk_add_f32 v[8:9], v[30:31], v[12:13] neg_lo:[0,1] neg_hi:[0,1]
	v_mov_b32_e32 v38, v34
	v_pk_add_f32 v[12:13], v[38:39], v[8:9]
	s_nop 0
	v_mov_b32_e32 v30, v13
	v_pk_add_f32 v[30:31], v[12:13], v[30:31]
	s_nop 0
	v_pk_add_f32 v[14:15], v[14:15], v[30:31]
	v_mov_b32_e32 v9, v30
	v_mov_b32_e32 v13, v14
	v_pk_add_f32 v[32:33], v[12:13], v[34:35] neg_lo:[0,1] neg_hi:[0,1]
	s_nop 0
	v_sub_f32_e32 v12, v12, v32
	v_pk_add_f32 v[8:9], v[8:9], v[32:33] neg_lo:[0,1] neg_hi:[0,1]
	v_sub_f32_e32 v12, v34, v12
	v_add_f32_e32 v8, v8, v12
	v_add_f32_e32 v8, v8, v9
	;; [unrolled: 1-line block ×3, first 2 shown]
	v_cndmask_b32_e32 v157, v8, v27, vcc
.LBB29_99:                              ;   in Loop: Header=BB29_13 Depth=1
	s_or_b64 exec, exec, s[4:5]
	v_lshlrev_b32_e32 v8, 16, v10
	v_readlane_b32 s2, v166, 2
	s_nop 1
	v_add_f32_e32 v158, s2, v8
	v_readlane_b32 s2, v166, 23
	v_cmp_ge_f32_e32 vcc, s6, v158
	v_readlane_b32 s3, v166, 24
	s_and_b64 s[2:3], s[2:3], vcc
	s_and_saveexec_b64 s[4:5], s[2:3]
	s_cbranch_execz .LBB29_101
; %bb.100:                              ;   in Loop: Header=BB29_13 Depth=1
	v_mul_f32_e32 v8, 0x3fb8aa3b, v158
	v_rndne_f32_e32 v9, v8
	v_sub_f32_e32 v12, v8, v9
	v_fma_f32 v8, v158, s8, -v8
	v_fmac_f32_e32 v8, 0x32a5705f, v158
	v_add_f32_e32 v8, v12, v8
	v_cvt_i32_f32_e32 v9, v9
	v_exp_f32_e32 v8, v8
	v_cmp_ngt_f32_e32 vcc, s9, v158
	v_ldexp_f32 v8, v8, v9
	s_nop 0
	v_cndmask_b32_e32 v8, 0, v8, vcc
	v_cmp_nlt_f32_e32 vcc, s10, v158
	s_nop 1
	v_cndmask_b32_e32 v27, v142, v8, vcc
	v_add_f32_e32 v12, 1.0, v27
	v_add_f32_e32 v8, -1.0, v12
	v_sub_f32_e32 v9, v8, v12
	v_add_f32_e32 v9, 1.0, v9
	v_sub_f32_e32 v8, v27, v8
	v_add_f32_e32 v13, v8, v9
	v_frexp_mant_f32_e32 v14, v12
	v_cvt_f64_f32_e32 v[8:9], v12
	v_frexp_exp_i32_f64_e32 v8, v[8:9]
	v_cmp_gt_f32_e32 vcc, s12, v14
	v_cmp_gt_f32_e64 s[60:61], s14, v27
	s_nop 0
	v_subbrev_co_u32_e32 v32, vcc, 0, v8, vcc
	v_sub_u32_e32 v8, 0, v32
	v_ldexp_f32 v9, v12, v8
	v_add_f32_e32 v12, -1.0, v9
	v_add_f32_e32 v14, 1.0, v9
	v_ldexp_f32 v8, v13, v8
	v_add_f32_e32 v13, 1.0, v12
	v_add_f32_e32 v15, -1.0, v14
	v_sub_f32_e32 v13, v9, v13
	v_sub_f32_e32 v9, v9, v15
	v_add_f32_e32 v13, v8, v13
	v_add_f32_e32 v8, v8, v9
	;; [unrolled: 1-line block ×3, first 2 shown]
	v_rcp_f32_e32 v34, v29
	v_sub_f32_e32 v9, v14, v29
	v_add_f32_e32 v33, v8, v9
	v_add_f32_e32 v9, v12, v13
	v_mul_f32_e32 v36, v9, v34
	v_sub_f32_e32 v8, v12, v9
	v_mul_f32_e32 v12, v29, v36
	v_fma_f32 v14, v36, v29, -v12
	v_fmac_f32_e32 v14, v36, v33
	v_add_f32_e32 v35, v13, v8
	v_add_f32_e32 v8, v12, v14
	v_sub_f32_e32 v13, v9, v8
	v_pk_add_f32 v[30:31], v[8:9], v[12:13] neg_lo:[0,1] neg_hi:[0,1]
	v_mov_b32_e32 v15, v8
	v_pk_add_f32 v[8:9], v[30:31], v[14:15] neg_lo:[0,1] neg_hi:[0,1]
	v_cmp_eq_f32_e32 vcc, s11, v27
	v_add_f32_e32 v9, v35, v9
	v_add_f32_e32 v8, v8, v9
	;; [unrolled: 1-line block ×3, first 2 shown]
	v_mul_f32_e32 v35, v34, v9
	v_mul_f32_e32 v12, v29, v35
	v_fma_f32 v14, v35, v29, -v12
	v_fmac_f32_e32 v14, v35, v33
	v_sub_f32_e32 v13, v13, v9
	v_add_f32_e32 v29, v8, v13
	v_add_f32_e32 v8, v12, v14
	v_sub_f32_e32 v13, v9, v8
	v_pk_add_f32 v[30:31], v[8:9], v[12:13] neg_lo:[0,1] neg_hi:[0,1]
	v_mov_b32_e32 v15, v8
	v_pk_add_f32 v[8:9], v[30:31], v[14:15] neg_lo:[0,1] neg_hi:[0,1]
	s_or_b64 vcc, s[60:61], vcc
	v_add_f32_e32 v9, v29, v9
	v_add_f32_e32 v8, v8, v9
	;; [unrolled: 1-line block ×4, first 2 shown]
	v_sub_f32_e32 v12, v9, v36
	v_mul_f32_e32 v8, v34, v8
	v_sub_f32_e32 v12, v35, v12
	v_add_f32_e32 v12, v12, v8
	v_add_f32_e32 v14, v9, v12
	v_mul_f32_e32 v15, v14, v14
	v_fmamk_f32 v8, v15, 0x3e9b6dac, v141
	v_fmaak_f32 v29, v15, v8, 0x3f2aaada
	v_cvt_f32_i32_e32 v8, v32
	v_sub_f32_e32 v9, v14, v9
	v_sub_f32_e32 v9, v12, v9
	v_ldexp_f32 v30, v9, 1
	v_mul_f32_e32 v9, v14, v15
	v_ldexp_f32 v13, v14, 1
	v_pk_mul_f32 v[14:15], v[8:9], v[28:29]
	s_nop 0
	v_fma_f32 v12, v8, s13, -v14
	v_fmac_f32_e32 v12, 0xb102e308, v8
	v_pk_add_f32 v[8:9], v[14:15], v[12:13]
	s_nop 0
	v_sub_f32_e32 v13, v9, v13
	v_sub_f32_e32 v13, v15, v13
	v_add_f32_e32 v31, v30, v13
	v_mov_b32_e32 v30, v14
	v_pk_add_f32 v[14:15], v[8:9], v[14:15] neg_lo:[0,1] neg_hi:[0,1]
	v_pk_add_f32 v[32:33], v[8:9], v[30:31]
	v_mov_b32_e32 v13, v8
	v_mov_b32_e32 v15, v33
	v_pk_add_f32 v[34:35], v[12:13], v[14:15] neg_lo:[0,1] neg_hi:[0,1]
	v_pk_add_f32 v[12:13], v[12:13], v[14:15]
	v_mov_b32_e32 v30, v31
	v_mov_b32_e32 v14, v13
	v_pk_add_f32 v[36:37], v[14:15], v[8:9] neg_lo:[0,1] neg_hi:[0,1]
	v_mov_b32_e32 v12, v33
	v_mov_b32_e32 v15, v36
	v_pk_add_f32 v[38:39], v[32:33], v[14:15] neg_lo:[0,1] neg_hi:[0,1]
	v_mov_b32_e32 v32, v9
	v_mov_b32_e32 v33, v36
	;; [unrolled: 1-line block ×3, first 2 shown]
	v_pk_add_f32 v[12:13], v[12:13], v[32:33] neg_lo:[0,1] neg_hi:[0,1]
	v_mov_b32_e32 v31, v8
	v_pk_add_f32 v[8:9], v[30:31], v[12:13] neg_lo:[0,1] neg_hi:[0,1]
	v_mov_b32_e32 v38, v34
	v_pk_add_f32 v[12:13], v[38:39], v[8:9]
	s_nop 0
	v_mov_b32_e32 v30, v13
	v_pk_add_f32 v[30:31], v[12:13], v[30:31]
	s_nop 0
	v_pk_add_f32 v[14:15], v[14:15], v[30:31]
	v_mov_b32_e32 v9, v30
	v_mov_b32_e32 v13, v14
	v_pk_add_f32 v[32:33], v[12:13], v[34:35] neg_lo:[0,1] neg_hi:[0,1]
	s_nop 0
	v_sub_f32_e32 v12, v12, v32
	v_pk_add_f32 v[8:9], v[8:9], v[32:33] neg_lo:[0,1] neg_hi:[0,1]
	v_sub_f32_e32 v12, v34, v12
	v_add_f32_e32 v8, v8, v12
	v_add_f32_e32 v8, v8, v9
	;; [unrolled: 1-line block ×3, first 2 shown]
	v_cndmask_b32_e32 v158, v8, v27, vcc
.LBB29_101:                             ;   in Loop: Header=BB29_13 Depth=1
	s_or_b64 exec, exec, s[4:5]
	v_and_b32_e32 v8, 0xffff0000, v10
	v_readlane_b32 s2, v166, 2
	s_nop 1
	v_add_f32_e32 v159, s2, v8
	v_readlane_b32 s2, v166, 23
	v_cmp_ge_f32_e32 vcc, s6, v159
	v_readlane_b32 s3, v166, 24
	s_and_b64 s[2:3], s[2:3], vcc
	s_and_saveexec_b64 s[4:5], s[2:3]
	s_cbranch_execz .LBB29_103
; %bb.102:                              ;   in Loop: Header=BB29_13 Depth=1
	v_mul_f32_e32 v8, 0x3fb8aa3b, v159
	v_rndne_f32_e32 v9, v8
	v_sub_f32_e32 v10, v8, v9
	v_fma_f32 v8, v159, s8, -v8
	v_fmac_f32_e32 v8, 0x32a5705f, v159
	v_add_f32_e32 v8, v10, v8
	v_cvt_i32_f32_e32 v9, v9
	v_exp_f32_e32 v8, v8
	v_cmp_ngt_f32_e32 vcc, s9, v159
	v_ldexp_f32 v8, v8, v9
	s_nop 0
	v_cndmask_b32_e32 v8, 0, v8, vcc
	v_cmp_nlt_f32_e32 vcc, s10, v159
	s_nop 1
	v_cndmask_b32_e32 v27, v142, v8, vcc
	v_add_f32_e32 v10, 1.0, v27
	v_add_f32_e32 v8, -1.0, v10
	v_sub_f32_e32 v9, v8, v10
	v_add_f32_e32 v9, 1.0, v9
	v_sub_f32_e32 v8, v27, v8
	v_add_f32_e32 v12, v8, v9
	v_frexp_mant_f32_e32 v13, v10
	v_cvt_f64_f32_e32 v[8:9], v10
	v_frexp_exp_i32_f64_e32 v8, v[8:9]
	v_cmp_gt_f32_e32 vcc, s12, v13
	v_cmp_gt_f32_e64 s[60:61], s14, v27
	s_nop 0
	v_subbrev_co_u32_e32 v32, vcc, 0, v8, vcc
	v_sub_u32_e32 v8, 0, v32
	v_ldexp_f32 v9, v10, v8
	v_add_f32_e32 v10, -1.0, v9
	v_add_f32_e32 v13, 1.0, v9
	v_ldexp_f32 v8, v12, v8
	v_add_f32_e32 v12, 1.0, v10
	v_add_f32_e32 v14, -1.0, v13
	v_sub_f32_e32 v12, v9, v12
	v_sub_f32_e32 v9, v9, v14
	v_add_f32_e32 v12, v8, v12
	v_add_f32_e32 v8, v8, v9
	;; [unrolled: 1-line block ×3, first 2 shown]
	v_rcp_f32_e32 v34, v29
	v_sub_f32_e32 v9, v13, v29
	v_add_f32_e32 v33, v8, v9
	v_add_f32_e32 v9, v10, v12
	v_sub_f32_e32 v8, v10, v9
	v_mul_f32_e32 v35, v9, v34
	v_add_f32_e32 v10, v12, v8
	v_mul_f32_e32 v12, v29, v35
	v_fma_f32 v14, v35, v29, -v12
	v_fmac_f32_e32 v14, v35, v33
	v_add_f32_e32 v8, v12, v14
	v_sub_f32_e32 v13, v9, v8
	v_pk_add_f32 v[30:31], v[8:9], v[12:13] neg_lo:[0,1] neg_hi:[0,1]
	v_mov_b32_e32 v15, v8
	v_pk_add_f32 v[8:9], v[30:31], v[14:15] neg_lo:[0,1] neg_hi:[0,1]
	v_cmp_eq_f32_e32 vcc, s11, v27
	v_add_f32_e32 v9, v10, v9
	v_add_f32_e32 v8, v8, v9
	;; [unrolled: 1-line block ×3, first 2 shown]
	v_mul_f32_e32 v10, v34, v9
	v_mul_f32_e32 v12, v29, v10
	v_fma_f32 v14, v10, v29, -v12
	v_fmac_f32_e32 v14, v10, v33
	v_sub_f32_e32 v13, v13, v9
	v_add_f32_e32 v29, v8, v13
	v_add_f32_e32 v8, v12, v14
	v_sub_f32_e32 v13, v9, v8
	v_pk_add_f32 v[30:31], v[8:9], v[12:13] neg_lo:[0,1] neg_hi:[0,1]
	v_mov_b32_e32 v15, v8
	v_pk_add_f32 v[8:9], v[30:31], v[14:15] neg_lo:[0,1] neg_hi:[0,1]
	s_or_b64 vcc, s[60:61], vcc
	v_add_f32_e32 v9, v29, v9
	v_add_f32_e32 v8, v8, v9
	;; [unrolled: 1-line block ×4, first 2 shown]
	v_sub_f32_e32 v12, v9, v35
	v_mul_f32_e32 v8, v34, v8
	v_sub_f32_e32 v10, v10, v12
	v_add_f32_e32 v10, v10, v8
	v_add_f32_e32 v12, v9, v10
	v_mul_f32_e32 v14, v12, v12
	v_fmamk_f32 v8, v14, 0x3e9b6dac, v141
	v_fmaak_f32 v29, v14, v8, 0x3f2aaada
	v_cvt_f32_i32_e32 v8, v32
	v_sub_f32_e32 v9, v12, v9
	v_sub_f32_e32 v9, v10, v9
	v_ldexp_f32 v10, v9, 1
	v_mul_f32_e32 v9, v12, v14
	v_pk_mul_f32 v[14:15], v[8:9], v[28:29]
	v_ldexp_f32 v13, v12, 1
	v_fma_f32 v12, v8, s13, -v14
	v_fmac_f32_e32 v12, 0xb102e308, v8
	v_pk_add_f32 v[8:9], v[14:15], v[12:13]
	v_mov_b32_e32 v30, v14
	v_sub_f32_e32 v13, v9, v13
	v_sub_f32_e32 v13, v15, v13
	v_add_f32_e32 v31, v10, v13
	v_pk_add_f32 v[14:15], v[8:9], v[14:15] neg_lo:[0,1] neg_hi:[0,1]
	v_pk_add_f32 v[32:33], v[8:9], v[30:31]
	v_mov_b32_e32 v13, v8
	v_mov_b32_e32 v15, v33
	v_pk_add_f32 v[34:35], v[12:13], v[14:15] neg_lo:[0,1] neg_hi:[0,1]
	v_pk_add_f32 v[12:13], v[12:13], v[14:15]
	s_nop 0
	v_mov_b32_e32 v10, v13
	v_pk_add_f32 v[14:15], v[10:11], v[8:9] neg_lo:[0,1] neg_hi:[0,1]
	v_mov_b32_e32 v12, v33
	v_mov_b32_e32 v15, v14
	v_pk_add_f32 v[36:37], v[32:33], v[14:15] neg_lo:[0,1] neg_hi:[0,1]
	v_mov_b32_e32 v32, v9
	v_mov_b32_e32 v33, v14
	;; [unrolled: 1-line block ×3, first 2 shown]
	v_pk_add_f32 v[12:13], v[12:13], v[32:33] neg_lo:[0,1] neg_hi:[0,1]
	v_mov_b32_e32 v14, v31
	v_mov_b32_e32 v15, v8
	v_pk_add_f32 v[8:9], v[14:15], v[12:13] neg_lo:[0,1] neg_hi:[0,1]
	v_mov_b32_e32 v36, v34
	v_pk_add_f32 v[12:13], v[36:37], v[8:9]
	s_nop 0
	v_mov_b32_e32 v14, v13
	v_pk_add_f32 v[14:15], v[12:13], v[14:15]
	s_nop 0
	v_pk_add_f32 v[30:31], v[10:11], v[14:15]
	v_mov_b32_e32 v9, v14
	v_mov_b32_e32 v13, v30
	v_pk_add_f32 v[32:33], v[12:13], v[34:35] neg_lo:[0,1] neg_hi:[0,1]
	s_nop 0
	v_sub_f32_e32 v10, v12, v32
	v_pk_add_f32 v[8:9], v[8:9], v[32:33] neg_lo:[0,1] neg_hi:[0,1]
	v_sub_f32_e32 v10, v34, v10
	v_add_f32_e32 v8, v8, v10
	v_add_f32_e32 v8, v8, v9
	;; [unrolled: 1-line block ×3, first 2 shown]
	v_cndmask_b32_e32 v159, v8, v27, vcc
.LBB29_103:                             ;   in Loop: Header=BB29_13 Depth=1
	s_or_b64 exec, exec, s[4:5]
	v_lshlrev_b32_e32 v8, 16, v11
	v_readlane_b32 s2, v166, 2
	s_nop 1
	v_add_f32_e32 v46, s2, v8
	v_readlane_b32 s2, v166, 23
	v_cmp_ge_f32_e32 vcc, s6, v46
	v_readlane_b32 s3, v166, 24
	s_and_b64 s[2:3], s[2:3], vcc
	s_and_saveexec_b64 s[4:5], s[2:3]
	s_cbranch_execz .LBB29_105
; %bb.104:                              ;   in Loop: Header=BB29_13 Depth=1
	v_mul_f32_e32 v8, 0x3fb8aa3b, v46
	v_rndne_f32_e32 v9, v8
	v_sub_f32_e32 v10, v8, v9
	v_fma_f32 v8, v46, s8, -v8
	v_fmac_f32_e32 v8, 0x32a5705f, v46
	v_add_f32_e32 v8, v10, v8
	v_cvt_i32_f32_e32 v9, v9
	v_exp_f32_e32 v8, v8
	v_cmp_ngt_f32_e32 vcc, s9, v46
	v_ldexp_f32 v8, v8, v9
	s_nop 0
	v_cndmask_b32_e32 v8, 0, v8, vcc
	v_cmp_nlt_f32_e32 vcc, s10, v46
	s_nop 1
	v_cndmask_b32_e32 v27, v142, v8, vcc
	v_add_f32_e32 v10, 1.0, v27
	v_add_f32_e32 v8, -1.0, v10
	v_sub_f32_e32 v9, v8, v10
	v_add_f32_e32 v9, 1.0, v9
	v_sub_f32_e32 v8, v27, v8
	v_add_f32_e32 v12, v8, v9
	v_frexp_mant_f32_e32 v13, v10
	v_cvt_f64_f32_e32 v[8:9], v10
	v_frexp_exp_i32_f64_e32 v8, v[8:9]
	v_cmp_gt_f32_e32 vcc, s12, v13
	v_cmp_gt_f32_e64 s[60:61], s14, v27
	s_nop 0
	v_subbrev_co_u32_e32 v32, vcc, 0, v8, vcc
	v_sub_u32_e32 v8, 0, v32
	v_ldexp_f32 v9, v10, v8
	v_add_f32_e32 v10, -1.0, v9
	v_add_f32_e32 v13, 1.0, v9
	v_ldexp_f32 v8, v12, v8
	v_add_f32_e32 v12, 1.0, v10
	v_add_f32_e32 v14, -1.0, v13
	v_sub_f32_e32 v12, v9, v12
	v_sub_f32_e32 v9, v9, v14
	v_add_f32_e32 v12, v8, v12
	v_add_f32_e32 v8, v8, v9
	;; [unrolled: 1-line block ×3, first 2 shown]
	v_rcp_f32_e32 v34, v29
	v_sub_f32_e32 v9, v13, v29
	v_add_f32_e32 v33, v8, v9
	v_add_f32_e32 v9, v10, v12
	v_sub_f32_e32 v8, v10, v9
	v_mul_f32_e32 v35, v9, v34
	v_add_f32_e32 v10, v12, v8
	v_mul_f32_e32 v12, v29, v35
	v_fma_f32 v14, v35, v29, -v12
	v_fmac_f32_e32 v14, v35, v33
	v_add_f32_e32 v8, v12, v14
	v_sub_f32_e32 v13, v9, v8
	v_pk_add_f32 v[30:31], v[8:9], v[12:13] neg_lo:[0,1] neg_hi:[0,1]
	v_mov_b32_e32 v15, v8
	v_pk_add_f32 v[8:9], v[30:31], v[14:15] neg_lo:[0,1] neg_hi:[0,1]
	v_cmp_eq_f32_e32 vcc, s11, v27
	v_add_f32_e32 v9, v10, v9
	v_add_f32_e32 v8, v8, v9
	;; [unrolled: 1-line block ×3, first 2 shown]
	v_mul_f32_e32 v10, v34, v9
	v_mul_f32_e32 v12, v29, v10
	v_fma_f32 v14, v10, v29, -v12
	v_fmac_f32_e32 v14, v10, v33
	v_sub_f32_e32 v13, v13, v9
	v_add_f32_e32 v29, v8, v13
	v_add_f32_e32 v8, v12, v14
	v_sub_f32_e32 v13, v9, v8
	v_pk_add_f32 v[30:31], v[8:9], v[12:13] neg_lo:[0,1] neg_hi:[0,1]
	v_mov_b32_e32 v15, v8
	v_pk_add_f32 v[8:9], v[30:31], v[14:15] neg_lo:[0,1] neg_hi:[0,1]
	s_or_b64 vcc, s[60:61], vcc
	v_add_f32_e32 v9, v29, v9
	v_add_f32_e32 v8, v8, v9
	;; [unrolled: 1-line block ×4, first 2 shown]
	v_sub_f32_e32 v12, v9, v35
	v_mul_f32_e32 v8, v34, v8
	v_sub_f32_e32 v10, v10, v12
	v_add_f32_e32 v10, v10, v8
	v_add_f32_e32 v12, v9, v10
	v_mul_f32_e32 v14, v12, v12
	v_fmamk_f32 v8, v14, 0x3e9b6dac, v141
	v_fmaak_f32 v29, v14, v8, 0x3f2aaada
	v_cvt_f32_i32_e32 v8, v32
	v_sub_f32_e32 v9, v12, v9
	v_sub_f32_e32 v9, v10, v9
	v_ldexp_f32 v10, v9, 1
	v_mul_f32_e32 v9, v12, v14
	v_pk_mul_f32 v[14:15], v[8:9], v[28:29]
	v_ldexp_f32 v13, v12, 1
	v_fma_f32 v12, v8, s13, -v14
	v_fmac_f32_e32 v12, 0xb102e308, v8
	v_pk_add_f32 v[8:9], v[14:15], v[12:13]
	v_mov_b32_e32 v30, v14
	v_sub_f32_e32 v13, v9, v13
	v_sub_f32_e32 v13, v15, v13
	v_add_f32_e32 v31, v10, v13
	v_pk_add_f32 v[14:15], v[8:9], v[14:15] neg_lo:[0,1] neg_hi:[0,1]
	v_pk_add_f32 v[32:33], v[8:9], v[30:31]
	v_mov_b32_e32 v13, v8
	v_mov_b32_e32 v15, v33
	v_pk_add_f32 v[34:35], v[12:13], v[14:15] neg_lo:[0,1] neg_hi:[0,1]
	v_pk_add_f32 v[12:13], v[12:13], v[14:15]
	s_nop 0
	v_mov_b32_e32 v10, v13
	v_pk_add_f32 v[14:15], v[10:11], v[8:9] neg_lo:[0,1] neg_hi:[0,1]
	v_mov_b32_e32 v12, v33
	v_mov_b32_e32 v15, v14
	v_pk_add_f32 v[36:37], v[32:33], v[14:15] neg_lo:[0,1] neg_hi:[0,1]
	v_mov_b32_e32 v32, v9
	v_mov_b32_e32 v33, v14
	;; [unrolled: 1-line block ×3, first 2 shown]
	v_pk_add_f32 v[12:13], v[12:13], v[32:33] neg_lo:[0,1] neg_hi:[0,1]
	v_mov_b32_e32 v14, v31
	v_mov_b32_e32 v15, v8
	v_pk_add_f32 v[8:9], v[14:15], v[12:13] neg_lo:[0,1] neg_hi:[0,1]
	v_mov_b32_e32 v36, v34
	v_pk_add_f32 v[12:13], v[36:37], v[8:9]
	s_nop 0
	v_mov_b32_e32 v14, v13
	v_pk_add_f32 v[14:15], v[12:13], v[14:15]
	s_nop 0
	v_pk_add_f32 v[30:31], v[10:11], v[14:15]
	v_mov_b32_e32 v9, v14
	v_mov_b32_e32 v13, v30
	v_pk_add_f32 v[32:33], v[12:13], v[34:35] neg_lo:[0,1] neg_hi:[0,1]
	s_nop 0
	v_sub_f32_e32 v10, v12, v32
	v_pk_add_f32 v[8:9], v[8:9], v[32:33] neg_lo:[0,1] neg_hi:[0,1]
	v_sub_f32_e32 v10, v34, v10
	v_add_f32_e32 v8, v8, v10
	v_add_f32_e32 v8, v8, v9
	;; [unrolled: 1-line block ×3, first 2 shown]
	v_cndmask_b32_e32 v46, v8, v27, vcc
.LBB29_105:                             ;   in Loop: Header=BB29_13 Depth=1
	s_or_b64 exec, exec, s[4:5]
	v_and_b32_e32 v8, 0xffff0000, v11
	v_readlane_b32 s2, v166, 2
	s_nop 1
	v_add_f32_e32 v47, s2, v8
	v_readlane_b32 s2, v166, 23
	v_cmp_ge_f32_e32 vcc, s6, v47
	v_readlane_b32 s3, v166, 24
	s_and_b64 s[2:3], s[2:3], vcc
	s_and_saveexec_b64 s[4:5], s[2:3]
	s_cbranch_execz .LBB29_107
; %bb.106:                              ;   in Loop: Header=BB29_13 Depth=1
	v_mul_f32_e32 v8, 0x3fb8aa3b, v47
	v_rndne_f32_e32 v9, v8
	v_sub_f32_e32 v10, v8, v9
	v_fma_f32 v8, v47, s8, -v8
	v_fmac_f32_e32 v8, 0x32a5705f, v47
	v_add_f32_e32 v8, v10, v8
	v_cvt_i32_f32_e32 v9, v9
	v_exp_f32_e32 v8, v8
	v_cmp_ngt_f32_e32 vcc, s9, v47
	v_ldexp_f32 v8, v8, v9
	s_nop 0
	v_cndmask_b32_e32 v8, 0, v8, vcc
	v_cmp_nlt_f32_e32 vcc, s10, v47
	s_nop 1
	v_cndmask_b32_e32 v27, v142, v8, vcc
	v_add_f32_e32 v10, 1.0, v27
	v_add_f32_e32 v8, -1.0, v10
	v_sub_f32_e32 v9, v8, v10
	v_add_f32_e32 v9, 1.0, v9
	v_sub_f32_e32 v8, v27, v8
	v_add_f32_e32 v11, v8, v9
	v_frexp_mant_f32_e32 v12, v10
	v_cvt_f64_f32_e32 v[8:9], v10
	v_frexp_exp_i32_f64_e32 v8, v[8:9]
	v_cmp_gt_f32_e32 vcc, s12, v12
	v_cmp_gt_f32_e64 s[60:61], s14, v27
	s_nop 0
	v_subbrev_co_u32_e32 v30, vcc, 0, v8, vcc
	v_sub_u32_e32 v8, 0, v30
	v_ldexp_f32 v9, v10, v8
	v_add_f32_e32 v10, -1.0, v9
	v_add_f32_e32 v12, 1.0, v9
	v_ldexp_f32 v8, v11, v8
	v_add_f32_e32 v11, 1.0, v10
	v_add_f32_e32 v13, -1.0, v12
	v_sub_f32_e32 v11, v9, v11
	v_sub_f32_e32 v9, v9, v13
	v_add_f32_e32 v11, v8, v11
	v_add_f32_e32 v8, v8, v9
	;; [unrolled: 1-line block ×3, first 2 shown]
	v_rcp_f32_e32 v32, v29
	v_sub_f32_e32 v9, v12, v29
	v_add_f32_e32 v31, v8, v9
	v_add_f32_e32 v9, v10, v11
	v_mul_f32_e32 v34, v9, v32
	v_sub_f32_e32 v8, v10, v9
	v_mul_f32_e32 v10, v29, v34
	v_fma_f32 v12, v34, v29, -v10
	v_fmac_f32_e32 v12, v34, v31
	v_add_f32_e32 v33, v11, v8
	v_add_f32_e32 v8, v10, v12
	v_sub_f32_e32 v11, v9, v8
	v_pk_add_f32 v[14:15], v[8:9], v[10:11] neg_lo:[0,1] neg_hi:[0,1]
	v_mov_b32_e32 v13, v8
	v_pk_add_f32 v[8:9], v[14:15], v[12:13] neg_lo:[0,1] neg_hi:[0,1]
	v_cmp_eq_f32_e32 vcc, s11, v27
	v_add_f32_e32 v9, v33, v9
	v_add_f32_e32 v8, v8, v9
	;; [unrolled: 1-line block ×3, first 2 shown]
	v_mul_f32_e32 v33, v32, v9
	v_mul_f32_e32 v10, v29, v33
	v_fma_f32 v12, v33, v29, -v10
	v_fmac_f32_e32 v12, v33, v31
	v_sub_f32_e32 v11, v11, v9
	v_add_f32_e32 v29, v8, v11
	v_add_f32_e32 v8, v10, v12
	v_sub_f32_e32 v11, v9, v8
	v_pk_add_f32 v[14:15], v[8:9], v[10:11] neg_lo:[0,1] neg_hi:[0,1]
	v_mov_b32_e32 v13, v8
	v_pk_add_f32 v[8:9], v[14:15], v[12:13] neg_lo:[0,1] neg_hi:[0,1]
	s_or_b64 vcc, s[60:61], vcc
	v_add_f32_e32 v9, v29, v9
	v_add_f32_e32 v8, v8, v9
	;; [unrolled: 1-line block ×4, first 2 shown]
	v_sub_f32_e32 v10, v9, v34
	v_mul_f32_e32 v8, v32, v8
	v_sub_f32_e32 v10, v33, v10
	v_add_f32_e32 v10, v10, v8
	v_add_f32_e32 v12, v9, v10
	v_mul_f32_e32 v13, v12, v12
	v_fmamk_f32 v8, v13, 0x3e9b6dac, v141
	v_fmaak_f32 v29, v13, v8, 0x3f2aaada
	v_cvt_f32_i32_e32 v8, v30
	v_sub_f32_e32 v9, v12, v9
	v_sub_f32_e32 v9, v10, v9
	v_ldexp_f32 v14, v9, 1
	v_mul_f32_e32 v9, v12, v13
	v_ldexp_f32 v11, v12, 1
	v_pk_mul_f32 v[12:13], v[8:9], v[28:29]
	s_nop 0
	v_fma_f32 v10, v8, s13, -v12
	v_fmac_f32_e32 v10, 0xb102e308, v8
	v_pk_add_f32 v[8:9], v[12:13], v[10:11]
	s_nop 0
	v_sub_f32_e32 v11, v9, v11
	v_sub_f32_e32 v11, v13, v11
	v_add_f32_e32 v15, v14, v11
	v_mov_b32_e32 v14, v12
	v_pk_add_f32 v[12:13], v[8:9], v[12:13] neg_lo:[0,1] neg_hi:[0,1]
	v_pk_add_f32 v[30:31], v[8:9], v[14:15]
	v_mov_b32_e32 v11, v8
	v_mov_b32_e32 v13, v31
	v_pk_add_f32 v[32:33], v[10:11], v[12:13] neg_lo:[0,1] neg_hi:[0,1]
	v_pk_add_f32 v[10:11], v[10:11], v[12:13]
	v_mov_b32_e32 v14, v15
	v_mov_b32_e32 v12, v11
	v_pk_add_f32 v[34:35], v[12:13], v[8:9] neg_lo:[0,1] neg_hi:[0,1]
	v_mov_b32_e32 v10, v31
	v_mov_b32_e32 v13, v34
	v_pk_add_f32 v[36:37], v[30:31], v[12:13] neg_lo:[0,1] neg_hi:[0,1]
	v_mov_b32_e32 v30, v9
	v_mov_b32_e32 v31, v34
	;; [unrolled: 1-line block ×3, first 2 shown]
	v_pk_add_f32 v[10:11], v[10:11], v[30:31] neg_lo:[0,1] neg_hi:[0,1]
	v_mov_b32_e32 v15, v8
	v_pk_add_f32 v[8:9], v[14:15], v[10:11] neg_lo:[0,1] neg_hi:[0,1]
	v_mov_b32_e32 v36, v32
	v_pk_add_f32 v[10:11], v[36:37], v[8:9]
	s_nop 0
	v_mov_b32_e32 v14, v11
	v_pk_add_f32 v[14:15], v[10:11], v[14:15]
	s_nop 0
	v_pk_add_f32 v[12:13], v[12:13], v[14:15]
	v_mov_b32_e32 v9, v14
	v_mov_b32_e32 v11, v12
	v_pk_add_f32 v[30:31], v[10:11], v[32:33] neg_lo:[0,1] neg_hi:[0,1]
	s_nop 0
	v_sub_f32_e32 v10, v10, v30
	v_pk_add_f32 v[8:9], v[8:9], v[30:31] neg_lo:[0,1] neg_hi:[0,1]
	v_sub_f32_e32 v10, v32, v10
	v_add_f32_e32 v8, v8, v10
	v_add_f32_e32 v8, v8, v9
	;; [unrolled: 1-line block ×3, first 2 shown]
	v_cndmask_b32_e32 v47, v8, v27, vcc
.LBB29_107:                             ;   in Loop: Header=BB29_13 Depth=1
	s_or_b64 exec, exec, s[4:5]
	v_lshlrev_b32_e32 v8, 16, v7
	v_readlane_b32 s2, v166, 3
	v_and_b32_e32 v15, 0xffff0000, v7
	v_and_b32_e32 v7, 0xffff0000, v6
	v_lshlrev_b32_e32 v6, 16, v6
	v_and_b32_e32 v9, 0xffff0000, v5
	v_lshlrev_b32_e32 v5, 16, v5
	;; [unrolled: 2-line block ×7, first 2 shown]
	v_mul_f32_e32 v30, s2, v8
	v_mul_f32_e32 v33, s2, v7
	v_mul_f32_e32 v32, s2, v6
	v_mul_f32_e32 v35, s2, v9
	v_mul_f32_e32 v34, s2, v5
	v_mul_f32_e32 v37, s2, v10
	v_mul_f32_e32 v36, s2, v4
	v_mul_f32_e32 v39, s2, v11
	v_mul_f32_e32 v38, s2, v3
	v_mul_f32_e32 v41, s2, v12
	v_mul_f32_e32 v40, s2, v2
	v_mul_f32_e32 v43, s2, v13
	v_mul_f32_e32 v42, s2, v1
	v_mul_f32_e32 v45, s2, v14
	v_mul_f32_e32 v44, s2, v0
	v_mul_f32_e32 v31, s2, v15
	v_readlane_b32 s2, v166, 25
	v_readlane_b32 s3, v166, 26
	s_and_b64 vcc, exec, s[2:3]
	s_barrier
	s_cbranch_vccz .LBB29_204
; %bb.108:                              ;   in Loop: Header=BB29_13 Depth=1
	v_readlane_b32 s2, v166, 9
	v_readlane_b32 s3, v166, 10
	v_mul_f32_e32 v132, v146, v0
	v_cmp_gt_u32_e32 vcc, s88, v19
	v_lshl_add_u64 v[48:49], s[2:3], 0, v[16:17]
	v_readlane_b32 s2, v166, 19
	v_readlane_b32 s3, v166, 20
	v_or_b32_e32 v0, 1, v19
	v_mov_b32_e32 v27, v17
	v_lshl_add_u64 v[50:51], s[2:3], 0, v[16:17]
	v_readlane_b32 s3, v166, 60
	s_cmp_lg_u32 s3, 0
	v_readlane_b32 s2, v166, 30
	s_cselect_b64 s[94:95], -1, 0
	s_cmp_eq_u32 s3, s2
	v_readlane_b32 s2, v166, 51
	v_readlane_b32 s3, v166, 52
	s_cselect_b64 s[96:97], -1, 0
	s_or_b64 s[60:61], s[2:3], vcc
	v_cmp_gt_u32_e32 vcc, s88, v0
	v_or_b32_e32 v0, 2, v19
	s_or_b64 s[62:63], s[2:3], vcc
	v_cmp_gt_u32_e32 vcc, s88, v0
	v_or_b32_e32 v0, 3, v19
	;; [unrolled: 3-line block ×14, first 2 shown]
	v_cmp_gt_u32_e64 s[88:89], s88, v0
	s_or_b64 s[88:89], s[2:3], s[88:89]
	s_or_b64 s[90:91], s[2:3], vcc
	v_readlane_b32 s2, v166, 27
	s_mov_b32 s6, 0
	v_readlane_b32 s3, v166, 28
	v_mul_f32_e32 v29, v47, v15
	v_lshl_add_u64 v[48:49], v[48:49], 0, v[26:27]
	v_lshl_add_u64 v[50:51], v[50:51], 0, v[26:27]
	v_mul_f32_e32 v16, v46, v8
	v_mul_f32_e32 v27, v159, v7
	;; [unrolled: 1-line block ×14, first 2 shown]
	s_mov_b32 s92, s6
	s_mov_b32 s98, s6
	;; [unrolled: 1-line block ×4, first 2 shown]
	v_readlane_b32 s9, v166, 59
	s_branch .LBB29_110
.LBB29_109:                             ;   in Loop: Header=BB29_110 Depth=2
	s_or_b64 exec, exec, s[2:3]
	v_cndmask_b32_e64 v8, v8, v73, s[24:25]
	v_cndmask_b32_e64 v53, v64, v72, s[24:25]
	v_mul_f32_e32 v53, v53, v134
	v_fma_f32 v8, v8, v134, v133
	v_cndmask_b32_e64 v8, v8, v133, s[22:23]
	v_cndmask_b32_e64 v53, v53, v134, s[22:23]
	s_waitcnt lgkmcnt(0)
	v_fmac_f32_e32 v8, v52, v53
	v_fmac_f32_e32 v9, v8, v135
	;; [unrolled: 1-line block ×12, first 2 shown]
	v_readlane_b32 s12, v166, 31
	v_fmac_f32_e32 v58, v61, v66
	v_readlane_b32 s13, v166, 32
	v_readlane_b32 s14, v166, 33
	v_readlane_b32 s15, v166, 34
	v_readlane_b32 s16, v166, 35
	v_readlane_b32 s17, v166, 36
	v_readlane_b32 s18, v166, 37
	v_readlane_b32 s19, v166, 38
	v_fmac_f32_e32 v59, v58, v62
	s_add_i32 s98, s98, s12
	v_readlane_b32 s12, v166, 11
	v_fmac_f32_e32 v63, v59, v68
	v_readlane_b32 s2, v166, 4
	v_readlane_b32 s13, v166, 12
	;; [unrolled: 1-line block ×3, first 2 shown]
	v_fmac_f32_e32 v65, v63, v69
	v_and_b32_e32 v53, 0xffff0000, v4
	v_and_b32_e32 v55, 0xffff0000, v5
	v_lshlrev_b32_e32 v52, 16, v4
	v_lshlrev_b32_e32 v54, 16, v5
	v_and_b32_e32 v5, 0xffff0000, v6
	v_and_b32_e32 v67, 0xffff0000, v7
	v_lshlrev_b32_e32 v4, 16, v6
	v_lshlrev_b32_e32 v66, 16, v7
	;; [unrolled: 4-line block ×4, first 2 shown]
	v_mov_b32_e32 v64, v63
	s_add_i32 s9, s9, 8
	s_add_i32 s8, s8, -1
	s_add_i32 s4, s4, s2
	s_add_i32 s92, s92, s16
	;; [unrolled: 1-line block ×3, first 2 shown]
	v_pk_fma_f32 v[42:43], v[10:11], v[54:55], v[42:43]
	v_pk_fma_f32 v[44:45], v[8:9], v[52:53], v[44:45]
	v_pk_fma_f32 v[38:39], v[14:15], v[66:67], v[38:39]
	v_pk_fma_f32 v[40:41], v[12:13], v[4:5], v[40:41]
	v_pk_fma_f32 v[34:35], v[60:61], v[68:69], v[34:35]
	v_pk_fma_f32 v[36:37], v[56:57], v[6:7], v[36:37]
	v_pk_fma_f32 v[30:31], v[64:65], v[70:71], v[30:31]
	s_cmp_eq_u32 s8, 0
	v_pk_fma_f32 v[32:33], v[58:59], v[0:1], v[32:33]
	v_readlane_b32 s14, v166, 13
	v_readlane_b32 s15, v166, 14
	;; [unrolled: 1-line block ×5, first 2 shown]
	s_cbranch_scc1 .LBB29_203
.LBB29_110:                             ;   Parent Loop BB29_13 Depth=1
                                        ; =>  This Inner Loop Header: Depth=2
	s_lshl_b64 s[2:3], s[6:7], 2
	v_readlane_b32 s5, v166, 7
	s_add_u32 s2, s5, s2
	v_readlane_b32 s5, v166, 8
	s_addc_u32 s3, s5, s3
	global_load_dword v52, v17, s[2:3]
	s_mov_b32 s93, s7
	v_lshl_add_u64 v[0:1], s[92:93], 1, v[48:49]
	v_mov_b32_e32 v2, 0
	v_mov_b32_e32 v3, 0
	s_and_saveexec_b64 s[2:3], s[26:27]
	s_cbranch_execz .LBB29_112
; %bb.111:                              ;   in Loop: Header=BB29_110 Depth=2
	global_load_ushort v3, v[0:1], off
.LBB29_112:                             ;   in Loop: Header=BB29_110 Depth=2
	s_or_b64 exec, exec, s[2:3]
	s_and_saveexec_b64 s[2:3], s[28:29]
	s_cbranch_execz .LBB29_114
; %bb.113:                              ;   in Loop: Header=BB29_110 Depth=2
	global_load_ushort v2, v[0:1], off offset:128
.LBB29_114:                             ;   in Loop: Header=BB29_110 Depth=2
	s_or_b64 exec, exec, s[2:3]
	v_mov_b32_e32 v4, 0
	v_mov_b32_e32 v5, 0
	s_and_saveexec_b64 s[2:3], s[30:31]
	s_cbranch_execz .LBB29_116
; %bb.115:                              ;   in Loop: Header=BB29_110 Depth=2
	global_load_ushort v5, v[0:1], off offset:256
.LBB29_116:                             ;   in Loop: Header=BB29_110 Depth=2
	s_or_b64 exec, exec, s[2:3]
	s_and_saveexec_b64 s[2:3], s[34:35]
	s_cbranch_execz .LBB29_118
; %bb.117:                              ;   in Loop: Header=BB29_110 Depth=2
	global_load_ushort v4, v[0:1], off offset:384
.LBB29_118:                             ;   in Loop: Header=BB29_110 Depth=2
	s_or_b64 exec, exec, s[2:3]
	v_mov_b32_e32 v6, 0
	v_mov_b32_e32 v7, 0
	s_and_saveexec_b64 s[2:3], s[36:37]
	s_cbranch_execz .LBB29_120
; %bb.119:                              ;   in Loop: Header=BB29_110 Depth=2
	global_load_ushort v7, v[0:1], off offset:512
.LBB29_120:                             ;   in Loop: Header=BB29_110 Depth=2
	;; [unrolled: 14-line block ×7, first 2 shown]
	s_or_b64 exec, exec, s[2:3]
	s_and_saveexec_b64 s[2:3], s[58:59]
	s_cbranch_execz .LBB29_142
; %bb.141:                              ;   in Loop: Header=BB29_110 Depth=2
	global_load_ushort v53, v[0:1], off offset:1920
.LBB29_142:                             ;   in Loop: Header=BB29_110 Depth=2
	s_or_b64 exec, exec, s[2:3]
	s_waitcnt vmcnt(0)
	ds_write_b16 v90, v3
	ds_write_b16 v91, v2 offset:128
	ds_write_b16 v92, v5 offset:256
	;; [unrolled: 1-line block ×15, first 2 shown]
	; wave barrier
	ds_read_b128 v[12:15], v121
	ds_read_b128 v[8:11], v121 offset:16
	s_mov_b32 s99, s7
	v_lshl_add_u64 v[0:1], s[98:99], 1, v[50:51]
	v_mov_b32_e32 v2, 0
	v_mov_b32_e32 v3, 0
	s_and_saveexec_b64 s[2:3], s[26:27]
	s_cbranch_execz .LBB29_144
; %bb.143:                              ;   in Loop: Header=BB29_110 Depth=2
	global_load_ushort v3, v[0:1], off
.LBB29_144:                             ;   in Loop: Header=BB29_110 Depth=2
	s_or_b64 exec, exec, s[2:3]
	s_and_saveexec_b64 s[2:3], s[28:29]
	s_cbranch_execz .LBB29_146
; %bb.145:                              ;   in Loop: Header=BB29_110 Depth=2
	global_load_ushort v2, v[0:1], off offset:128
.LBB29_146:                             ;   in Loop: Header=BB29_110 Depth=2
	s_or_b64 exec, exec, s[2:3]
	v_mov_b32_e32 v4, 0
	v_mov_b32_e32 v5, 0
	s_and_saveexec_b64 s[2:3], s[30:31]
	s_cbranch_execz .LBB29_148
; %bb.147:                              ;   in Loop: Header=BB29_110 Depth=2
	global_load_ushort v5, v[0:1], off offset:256
.LBB29_148:                             ;   in Loop: Header=BB29_110 Depth=2
	s_or_b64 exec, exec, s[2:3]
	s_and_saveexec_b64 s[2:3], s[34:35]
	s_cbranch_execz .LBB29_150
; %bb.149:                              ;   in Loop: Header=BB29_110 Depth=2
	global_load_ushort v4, v[0:1], off offset:384
.LBB29_150:                             ;   in Loop: Header=BB29_110 Depth=2
	s_or_b64 exec, exec, s[2:3]
	v_mov_b32_e32 v6, 0
	v_mov_b32_e32 v7, 0
	s_and_saveexec_b64 s[2:3], s[36:37]
	s_cbranch_execz .LBB29_152
; %bb.151:                              ;   in Loop: Header=BB29_110 Depth=2
	global_load_ushort v7, v[0:1], off offset:512
.LBB29_152:                             ;   in Loop: Header=BB29_110 Depth=2
	;; [unrolled: 14-line block ×7, first 2 shown]
	s_or_b64 exec, exec, s[2:3]
	s_and_saveexec_b64 s[2:3], s[58:59]
	s_cbranch_execz .LBB29_174
; %bb.173:                              ;   in Loop: Header=BB29_110 Depth=2
	global_load_ushort v61, v[0:1], off offset:1920
.LBB29_174:                             ;   in Loop: Header=BB29_110 Depth=2
	s_or_b64 exec, exec, s[2:3]
	s_waitcnt vmcnt(0)
	ds_write_b16 v90, v3 offset:4224
	ds_write_b16 v103, v2 offset:128
	;; [unrolled: 1-line block ×16, first 2 shown]
	; wave barrier
	ds_read_b128 v[4:7], v121 offset:4224
	ds_read_b128 v[0:3], v122 offset:16
	s_andn2_b64 vcc, exec, s[94:95]
	s_cbranch_vccnz .LBB29_176
; %bb.175:                              ;   in Loop: Header=BB29_110 Depth=2
	v_mov_b32_e32 v53, s9
	ds_read_b64 v[54:55], v53
	s_waitcnt lgkmcnt(0)
	v_mov_b32_e32 v53, v55
	s_cbranch_execz .LBB29_177
	s_branch .LBB29_180
.LBB29_176:                             ;   in Loop: Header=BB29_110 Depth=2
                                        ; implicit-def: $vgpr54
                                        ; implicit-def: $vgpr53
.LBB29_177:                             ;   in Loop: Header=BB29_110 Depth=2
	v_readlane_b32 s2, v166, 0
	v_readlane_b32 s3, v166, 1
	s_andn2_b64 vcc, exec, s[2:3]
	v_mov_b32_e32 v53, 0
	s_cbranch_vccnz .LBB29_179
; %bb.178:                              ;   in Loop: Header=BB29_110 Depth=2
	s_mov_b32 s5, s7
	s_lshl_b64 s[2:3], s[4:5], 1
	v_readlane_b32 s5, v166, 21
	s_add_u32 s2, s5, s2
	v_readlane_b32 s5, v166, 22
	s_addc_u32 s3, s5, s3
	global_load_ushort v53, v17, s[2:3]
	s_waitcnt vmcnt(0)
	v_lshlrev_b32_e32 v53, 16, v53
.LBB29_179:                             ;   in Loop: Header=BB29_110 Depth=2
	v_mov_b32_e32 v54, 1.0
.LBB29_180:                             ;   in Loop: Header=BB29_110 Depth=2
	s_waitcnt lgkmcnt(14)
	v_lshlrev_b32_e32 v60, 16, v8
	v_and_b32_e32 v61, 0xffff0000, v8
	v_mul_f32_e32 v8, 0x3fb8aa3b, v52
	v_lshlrev_b32_e32 v62, 16, v9
	v_and_b32_e32 v63, 0xffff0000, v9
	v_mul_f32_e32 v9, v8, v146
	v_cmp_gt_f32_e32 vcc, s33, v9
	v_lshlrev_b32_e32 v64, 16, v10
	v_and_b32_e32 v65, 0xffff0000, v10
	v_cndmask_b32_e32 v9, 0, v143, vcc
	v_fmac_f32_e32 v9, v8, v146
	v_exp_f32_e32 v9, v9
	v_cndmask_b32_e32 v10, 1.0, v144, vcc
	v_lshlrev_b32_e32 v56, 16, v12
	v_lshlrev_b32_e32 v67, 16, v11
	v_mul_f32_e32 v9, v9, v10
	v_cndmask_b32_e64 v134, 1.0, v9, s[60:61]
	v_mul_f32_e32 v9, v8, v147
	v_cmp_gt_f32_e32 vcc, s33, v9
	v_mul_f32_e32 v10, v132, v56
	v_cndmask_b32_e64 v133, 0, v10, s[60:61]
	v_cndmask_b32_e32 v9, 0, v143, vcc
	v_fmac_f32_e32 v9, v8, v147
	v_exp_f32_e32 v9, v9
	v_cndmask_b32_e32 v10, 1.0, v144, vcc
	v_and_b32_e32 v55, 0xffff0000, v11
	v_and_b32_e32 v12, 0xffff0000, v12
	v_mul_f32_e32 v10, v9, v10
	v_cndmask_b32_e64 v135, 1.0, v10, s[62:63]
	v_mul_f32_e32 v10, v8, v148
	v_cmp_gt_f32_e32 vcc, s33, v10
	v_mul_f32_e32 v9, v131, v12
	v_lshlrev_b32_e32 v57, 16, v13
	v_cndmask_b32_e32 v10, 0, v143, vcc
	v_fmac_f32_e32 v10, v8, v148
	v_exp_f32_e32 v10, v10
	v_cndmask_b32_e32 v11, 1.0, v144, vcc
	v_and_b32_e32 v13, 0xffff0000, v13
	v_lshlrev_b32_e32 v58, 16, v14
	v_mul_f32_e32 v11, v10, v11
	v_cndmask_b32_e64 v136, 1.0, v11, s[64:65]
	v_mul_f32_e32 v11, v8, v149
	v_cmp_gt_f32_e32 vcc, s33, v11
	v_and_b32_e32 v14, 0xffff0000, v14
	v_mul_f32_e32 v10, v130, v57
	v_cndmask_b32_e32 v11, 0, v143, vcc
	v_fmac_f32_e32 v11, v8, v149
	v_exp_f32_e32 v11, v11
	v_cndmask_b32_e32 v12, 1.0, v144, vcc
	v_lshlrev_b32_e32 v59, 16, v15
	v_cndmask_b32_e64 v9, 0, v9, s[62:63]
	v_mul_f32_e32 v12, v11, v12
	v_cndmask_b32_e64 v137, 1.0, v12, s[66:67]
	v_mul_f32_e32 v12, v8, v150
	v_cmp_gt_f32_e32 vcc, s33, v12
	v_mul_f32_e32 v11, v129, v13
	v_cndmask_b32_e64 v10, 0, v10, s[64:65]
	v_cndmask_b32_e32 v12, 0, v143, vcc
	v_fmac_f32_e32 v12, v8, v150
	v_exp_f32_e32 v12, v12
	v_cndmask_b32_e32 v13, 1.0, v144, vcc
	v_cndmask_b32_e64 v11, 0, v11, s[66:67]
	v_and_b32_e32 v15, 0xffff0000, v15
	v_mul_f32_e32 v13, v12, v13
	v_cndmask_b32_e64 v138, 1.0, v13, s[68:69]
	v_mul_f32_e32 v13, v8, v151
	v_cmp_gt_f32_e32 vcc, s33, v13
	v_mul_f32_e32 v12, v128, v58
	v_cndmask_b32_e64 v12, 0, v12, s[68:69]
	v_cndmask_b32_e32 v13, 0, v143, vcc
	v_fmac_f32_e32 v13, v8, v151
	v_exp_f32_e32 v13, v13
	v_cndmask_b32_e32 v52, 1.0, v144, vcc
	v_mul_f32_e32 v15, v165, v15
	v_cndmask_b32_e64 v15, 0, v15, s[74:75]
	v_mul_f32_e32 v52, v13, v52
	v_mul_f32_e32 v13, v127, v14
	;; [unrolled: 1-line block ×3, first 2 shown]
	v_cmp_gt_f32_e32 vcc, s33, v14
	v_cndmask_b32_e64 v139, 1.0, v52, s[70:71]
	v_cndmask_b32_e64 v13, 0, v13, s[70:71]
	v_cndmask_b32_e32 v14, 0, v143, vcc
	v_fmac_f32_e32 v14, v8, v152
	v_exp_f32_e32 v14, v14
	v_cndmask_b32_e32 v52, 1.0, v144, vcc
	v_mul_f32_e32 v55, v29, v55
	v_readlane_b32 s10, v166, 39
	v_mul_f32_e32 v52, v14, v52
	v_cndmask_b32_e64 v140, 1.0, v52, s[72:73]
	v_mul_f32_e32 v52, v8, v153
	v_cmp_gt_f32_e32 vcc, s33, v52
	v_mul_f32_e32 v14, v126, v59
	v_cndmask_b32_e64 v14, 0, v14, s[72:73]
	v_cndmask_b32_e32 v52, 0, v143, vcc
	v_fmac_f32_e32 v52, v8, v153
	v_exp_f32_e32 v52, v52
	v_cndmask_b32_e32 v56, 1.0, v144, vcc
	v_readlane_b32 s11, v166, 40
	v_mul_f32_e32 v52, v52, v56
	v_cndmask_b32_e64 v75, 1.0, v52, s[74:75]
	v_mul_f32_e32 v52, v8, v154
	v_cmp_gt_f32_e32 vcc, s33, v52
	s_nop 1
	v_cndmask_b32_e32 v52, 0, v143, vcc
	v_fmac_f32_e32 v52, v8, v154
	v_exp_f32_e32 v52, v52
	v_cndmask_b32_e32 v56, 1.0, v144, vcc
	v_mul_f32_e32 v52, v52, v56
	v_cndmask_b32_e64 v76, 1.0, v52, s[76:77]
	v_mul_f32_e32 v52, v8, v155
	v_cmp_gt_f32_e32 vcc, s33, v52
	v_mul_f32_e32 v56, v164, v60
	v_cndmask_b32_e64 v56, 0, v56, s[76:77]
	v_cndmask_b32_e32 v52, 0, v143, vcc
	v_fmac_f32_e32 v52, v8, v155
	v_exp_f32_e32 v52, v52
	v_cndmask_b32_e32 v57, 1.0, v144, vcc
	v_mul_f32_e32 v52, v52, v57
	v_cndmask_b32_e64 v77, 1.0, v52, s[78:79]
	v_mul_f32_e32 v52, v8, v156
	v_cmp_gt_f32_e32 vcc, s33, v52
	v_mul_f32_e32 v57, v163, v61
	v_cndmask_b32_e64 v57, 0, v57, s[78:79]
	;; [unrolled: 10-line block ×5, first 2 shown]
	v_cndmask_b32_e32 v52, 0, v143, vcc
	v_fmac_f32_e32 v52, v8, v159
	v_exp_f32_e32 v52, v52
	v_cndmask_b32_e32 v59, 1.0, v144, vcc
	v_mul_f32_e32 v52, v52, v59
	v_mul_f32_e32 v59, v27, v65
	v_pk_mul_f32 v[64:65], v[8:9], v[46:47] op_sel_hi:[0,1]
	v_mul_f32_e32 v8, v16, v67
	v_cmp_gt_f32_e32 vcc, s33, v64
	v_cndmask_b32_e64 v63, 0, v8, s[90:91]
	v_cndmask_b32_e64 v62, 1.0, v52, s[86:87]
	v_cndmask_b32_e32 v8, 0, v143, vcc
	v_add_f32_e32 v8, v64, v8
	v_exp_f32_e32 v8, v8
	v_cndmask_b32_e32 v52, 1.0, v144, vcc
	v_cmp_gt_f32_e32 vcc, s33, v65
	v_cndmask_b32_e64 v59, 0, v59, s[86:87]
	v_mul_f32_e32 v8, v8, v52
	v_cndmask_b32_e32 v52, 0, v143, vcc
	v_add_f32_e32 v52, v65, v52
	v_exp_f32_e32 v52, v52
	v_cndmask_b32_e32 v64, 1.0, v144, vcc
	v_cndmask_b32_e64 v68, 1.0, v8, s[90:91]
	v_mul_f32_e32 v8, v135, v134
	v_mul_f32_e32 v52, v52, v64
	v_cndmask_b32_e64 v69, 1.0, v52, s[88:89]
	v_fma_f32 v52, v135, v133, v9
	v_mul_f32_e32 v8, v8, v136
	v_fma_f32 v52, v52, v136, v10
	v_mul_f32_e32 v8, v8, v137
	;; [unrolled: 2-line block ×10, first 2 shown]
	v_fma_f32 v8, v52, v79, v61
	v_fma_f32 v8, v8, v66, v58
	;; [unrolled: 1-line block ×3, first 2 shown]
	v_mov_b32_e32 v67, v68
	v_pk_mul_f32 v[80:81], v[70:71], v[66:67]
	v_pk_fma_f32 v[70:71], v[70:71], v[66:67], v[62:63]
	v_pk_mul_f32 v[80:81], v[80:81], v[62:63]
	v_cndmask_b32_e64 v65, 0, v55, s[88:89]
	v_mov_b32_e32 v81, v71
	v_mov_b32_e32 v72, v69
	;; [unrolled: 1-line block ×3, first 2 shown]
	v_pk_mul_f32 v[70:71], v[80:81], v[68:69]
	v_mov_b32_e32 v64, v69
	v_pk_mul_f32 v[72:73], v[70:71], v[72:73]
	v_pk_fma_f32 v[70:71], v[80:81], v[68:69], v[64:65]
	s_nop 0
	v_mov_b32_dpp v8, v72 row_shr:1 row_mask:0xf bank_mask:0xf
	v_mov_b32_dpp v52, v71 row_shr:1 row_mask:0xf bank_mask:0xf
	v_mul_f32_e32 v55, v72, v8
	v_fma_f32 v52, v72, v52, v71
	v_cndmask_b32_e64 v70, v55, v72, s[0:1]
	v_cndmask_b32_e64 v73, v52, v71, s[0:1]
	;; [unrolled: 1-line block ×4, first 2 shown]
	v_mov_b32_dpp v55, v73 row_shr:2 row_mask:0xf bank_mask:0xf
	v_mov_b32_dpp v52, v72 row_shr:2 row_mask:0xf bank_mask:0xf
	s_and_saveexec_b64 s[2:3], s[10:11]
; %bb.181:                              ;   in Loop: Header=BB29_110 Depth=2
	v_fmac_f32_e32 v73, v72, v55
	v_mul_f32_e32 v72, v72, v52
	v_mov_b32_e32 v70, v72
	v_mov_b32_e32 v8, v73
; %bb.182:                              ;   in Loop: Header=BB29_110 Depth=2
	s_or_b64 exec, exec, s[2:3]
	v_readlane_b32 s10, v166, 41
	v_mov_b32_dpp v52, v72 row_shr:4 row_mask:0xf bank_mask:0xf
	v_mov_b32_dpp v55, v73 row_shr:4 row_mask:0xf bank_mask:0xf
	v_readlane_b32 s11, v166, 42
	s_and_saveexec_b64 s[2:3], s[10:11]
; %bb.183:                              ;   in Loop: Header=BB29_110 Depth=2
	v_fmac_f32_e32 v73, v72, v55
	v_mul_f32_e32 v72, v72, v52
	v_mov_b32_e32 v70, v72
	v_mov_b32_e32 v8, v73
; %bb.184:                              ;   in Loop: Header=BB29_110 Depth=2
	s_or_b64 exec, exec, s[2:3]
	v_readlane_b32 s10, v166, 43
	v_mov_b32_dpp v52, v72 row_shr:8 row_mask:0xf bank_mask:0xf
	v_mov_b32_dpp v55, v73 row_shr:8 row_mask:0xf bank_mask:0xf
	v_readlane_b32 s11, v166, 44
	s_and_saveexec_b64 s[2:3], s[10:11]
; %bb.185:                              ;   in Loop: Header=BB29_110 Depth=2
	v_fmac_f32_e32 v73, v72, v55
	v_mul_f32_e32 v72, v72, v52
	v_mov_b32_e32 v70, v72
	v_mov_b32_e32 v8, v73
; %bb.186:                              ;   in Loop: Header=BB29_110 Depth=2
	s_or_b64 exec, exec, s[2:3]
	v_readlane_b32 s10, v166, 45
	v_mov_b32_dpp v52, v72 row_bcast:15 row_mask:0xf bank_mask:0xf
	v_mov_b32_dpp v55, v73 row_bcast:15 row_mask:0xf bank_mask:0xf
	v_readlane_b32 s11, v166, 46
	s_and_saveexec_b64 s[2:3], s[10:11]
; %bb.187:                              ;   in Loop: Header=BB29_110 Depth=2
	v_fmac_f32_e32 v73, v72, v55
	v_mul_f32_e32 v72, v72, v52
	v_mov_b32_e32 v70, v72
	v_mov_b32_e32 v8, v73
; %bb.188:                              ;   in Loop: Header=BB29_110 Depth=2
	s_or_b64 exec, exec, s[2:3]
	v_readlane_b32 s10, v166, 53
	v_mov_b32_dpp v55, v72 row_bcast:31 row_mask:0xf bank_mask:0xf
	v_mov_b32_dpp v52, v73 row_bcast:31 row_mask:0xf bank_mask:0xf
	v_readlane_b32 s11, v166, 54
	s_and_saveexec_b64 s[2:3], s[10:11]
; %bb.189:                              ;   in Loop: Header=BB29_110 Depth=2
	v_fmac_f32_e32 v73, v72, v52
	v_mul_f32_e32 v70, v72, v55
	v_mov_b32_e32 v71, v73
	v_mov_b32_e32 v8, v73
	v_mov_b64_e32 v[72:73], v[70:71]
; %bb.190:                              ;   in Loop: Header=BB29_110 Depth=2
	s_or_b64 exec, exec, s[2:3]
	v_readlane_b32 s10, v166, 47
	v_readlane_b32 s11, v166, 48
	s_and_saveexec_b64 s[2:3], s[10:11]
	s_cbranch_execz .LBB29_192
; %bb.191:                              ;   in Loop: Header=BB29_110 Depth=2
	ds_write_b64 v123, v[72:73] offset:8448
.LBB29_192:                             ;   in Loop: Header=BB29_110 Depth=2
	s_or_b64 exec, exec, s[2:3]
	v_readlane_b32 s10, v166, 55
	v_readlane_b32 s11, v166, 56
	s_waitcnt lgkmcnt(0)
	s_barrier
	s_and_saveexec_b64 s[2:3], s[10:11]
	s_cbranch_execz .LBB29_194
; %bb.193:                              ;   in Loop: Header=BB29_110 Depth=2
	ds_read_b64 v[72:73], v124 offset:8448
	v_readlane_b32 s10, v166, 49
	v_readlane_b32 s11, v166, 50
	s_waitcnt lgkmcnt(0)
	v_mov_b32_dpp v52, v72 row_shr:1 row_mask:0xf bank_mask:0xf
	v_mov_b32_dpp v55, v73 row_shr:1 row_mask:0xf bank_mask:0xf
	v_fma_f32 v55, v72, v55, v73
	v_mul_f32_e32 v52, v72, v52
	v_cndmask_b32_e64 v72, v52, v72, s[10:11]
	v_cndmask_b32_e64 v73, v55, v73, s[10:11]
	ds_write_b64 v124, v[72:73] offset:8448
.LBB29_194:                             ;   in Loop: Header=BB29_110 Depth=2
	s_or_b64 exec, exec, s[2:3]
	s_waitcnt lgkmcnt(0)
	s_barrier
	s_waitcnt lgkmcnt(0)
                                        ; implicit-def: $vgpr72
	s_and_saveexec_b64 s[2:3], s[20:21]
	s_cbranch_execz .LBB29_196
; %bb.195:                              ;   in Loop: Header=BB29_110 Depth=2
	ds_read_b64 v[72:73], v123 offset:8440
	s_waitcnt lgkmcnt(0)
	v_mul_f32_e32 v52, v70, v72
	v_fmac_f32_e32 v8, v70, v73
	v_mov_b32_e32 v70, v52
.LBB29_196:                             ;   in Loop: Header=BB29_110 Depth=2
	s_or_b64 exec, exec, s[2:3]
	ds_bpermute_b32 v64, v125, v70
	ds_bpermute_b32 v8, v125, v8
	v_readlane_b32 s10, v166, 57
	v_readlane_b32 s11, v166, 58
	s_and_saveexec_b64 s[2:3], s[10:11]
	s_cbranch_execz .LBB29_200
; %bb.197:                              ;   in Loop: Header=BB29_110 Depth=2
	ds_read_b64 v[70:71], v17 offset:8456
	s_and_saveexec_b64 vcc, s[22:23]
	s_cbranch_execz .LBB29_199
; %bb.198:                              ;   in Loop: Header=BB29_110 Depth=2
	v_mov_b32_e32 v55, v53
	ds_write_b64 v17, v[54:55] offset:8456
.LBB29_199:                             ;   in Loop: Header=BB29_110 Depth=2
	s_or_b64 exec, exec, vcc
	s_waitcnt lgkmcnt(0)
	v_mul_f32_e32 v55, v70, v53
	v_pk_add_f32 v[52:53], v[54:55], v[70:71]
	v_mul_f32_e32 v54, v54, v70
.LBB29_200:                             ;   in Loop: Header=BB29_110 Depth=2
	s_or_b64 exec, exec, s[2:3]
	s_waitcnt lgkmcnt(0)
	s_barrier
	ds_read_b32 v52, v17 offset:8460
	s_and_saveexec_b64 s[2:3], s[22:23]
	s_cbranch_execz .LBB29_109
; %bb.201:                              ;   in Loop: Header=BB29_110 Depth=2
	v_mov_b32_e32 v55, v53
	v_mov_b32_e32 v67, s9
	s_andn2_b64 vcc, exec, s[96:97]
	ds_write_b64 v67, v[54:55]
	s_cbranch_vccnz .LBB29_109
; %bb.202:                              ;   in Loop: Header=BB29_110 Depth=2
	v_bfe_u32 v54, v53, 16, 1
	s_movk_i32 s5, 0x7fff
	v_add3_u32 v54, v53, v54, s5
	s_mov_b32 s5, s7
	s_lshl_b64 s[10:11], s[4:5], 1
	v_readlane_b32 s5, v166, 21
	v_lshrrev_b32_e32 v54, 16, v54
	v_cmp_o_f32_e32 vcc, v53, v53
	s_add_u32 s10, s5, s10
	v_readlane_b32 s5, v166, 22
	v_cndmask_b32_e32 v53, v145, v54, vcc
	s_addc_u32 s11, s5, s11
	global_store_short v17, v53, s[10:11]
	s_branch .LBB29_109
.LBB29_203:                             ;   in Loop: Header=BB29_13 Depth=1
	s_mov_b32 s6, 0x41a00000
	s_mov_b32 s8, 0x3fb8aa3b
	s_mov_b32 s9, 0xc2ce8ed0
	s_mov_b32 s10, 0x42b17218
	s_mov_b32 s11, 0x7f800000
	s_mov_b32 s12, 0x3f2aaaab
	s_mov_b32 s13, 0x3f317218
	s_mov_b32 s14, 0x33800000
.LBB29_204:                             ;   in Loop: Header=BB29_13 Depth=1
	v_bfe_u32 v0, v44, 16, 1
	s_movk_i32 s2, 0x7fff
	v_bfe_u32 v1, v45, 16, 1
	v_add3_u32 v0, v44, v0, s2
	v_bfe_u32 v2, v42, 16, 1
	v_add3_u32 v1, v45, v1, s2
	v_lshrrev_b32_e32 v0, 16, v0
	v_cmp_o_f32_e32 vcc, v44, v44
	v_bfe_u32 v3, v43, 16, 1
	v_add3_u32 v2, v42, v2, s2
	v_lshrrev_b32_e32 v1, 16, v1
	v_cndmask_b32_e32 v0, v145, v0, vcc
	v_cmp_o_f32_e32 vcc, v45, v45
	v_add3_u32 v3, v43, v3, s2
	v_lshrrev_b32_e32 v2, 16, v2
	v_cndmask_b32_e32 v4, v145, v1, vcc
	v_cmp_o_f32_e32 vcc, v42, v42
	v_lshrrev_b32_e32 v3, 16, v3
	v_bfe_u32 v6, v38, 16, 1
	v_cndmask_b32_e32 v1, v145, v2, vcc
	v_cmp_o_f32_e32 vcc, v43, v43
	v_bfe_u32 v2, v40, 16, 1
	v_add3_u32 v2, v40, v2, s2
	v_cndmask_b32_e32 v5, v145, v3, vcc
	v_bfe_u32 v3, v41, 16, 1
	v_add3_u32 v3, v41, v3, s2
	v_lshrrev_b32_e32 v2, 16, v2
	v_cmp_o_f32_e32 vcc, v40, v40
	v_bfe_u32 v7, v39, 16, 1
	v_add3_u32 v6, v38, v6, s2
	v_lshrrev_b32_e32 v3, 16, v3
	v_cndmask_b32_e32 v2, v145, v2, vcc
	v_cmp_o_f32_e32 vcc, v41, v41
	v_add3_u32 v7, v39, v7, s2
	v_lshrrev_b32_e32 v6, 16, v6
	v_cndmask_b32_e32 v8, v145, v3, vcc
	v_cmp_o_f32_e32 vcc, v38, v38
	v_lshrrev_b32_e32 v7, 16, v7
	s_mov_b32 s3, 0x5040100
	v_cndmask_b32_e32 v3, v145, v6, vcc
	v_cmp_o_f32_e32 vcc, v39, v39
	v_perm_b32 v2, v8, v2, s3
	v_perm_b32 v1, v5, v1, s3
	v_cndmask_b32_e32 v6, v145, v7, vcc
	v_perm_b32 v3, v6, v3, s3
	v_perm_b32 v0, v4, v0, s3
	s_barrier
	ds_write_b128 v121, v[0:3]
	v_bfe_u32 v0, v36, 16, 1
	v_bfe_u32 v1, v37, 16, 1
	v_add3_u32 v0, v36, v0, s2
	v_bfe_u32 v2, v34, 16, 1
	v_add3_u32 v1, v37, v1, s2
	v_lshrrev_b32_e32 v0, 16, v0
	v_cmp_o_f32_e32 vcc, v36, v36
	v_bfe_u32 v3, v35, 16, 1
	v_add3_u32 v2, v34, v2, s2
	v_lshrrev_b32_e32 v1, 16, v1
	v_cndmask_b32_e32 v0, v145, v0, vcc
	v_cmp_o_f32_e32 vcc, v37, v37
	v_add3_u32 v3, v35, v3, s2
	v_lshrrev_b32_e32 v2, 16, v2
	v_cndmask_b32_e32 v4, v145, v1, vcc
	v_cmp_o_f32_e32 vcc, v34, v34
	v_lshrrev_b32_e32 v3, 16, v3
	v_bfe_u32 v6, v30, 16, 1
	v_cndmask_b32_e32 v1, v145, v2, vcc
	v_cmp_o_f32_e32 vcc, v35, v35
	v_bfe_u32 v2, v32, 16, 1
	v_add3_u32 v2, v32, v2, s2
	v_cndmask_b32_e32 v5, v145, v3, vcc
	v_bfe_u32 v3, v33, 16, 1
	v_add3_u32 v3, v33, v3, s2
	v_lshrrev_b32_e32 v2, 16, v2
	v_cmp_o_f32_e32 vcc, v32, v32
	v_bfe_u32 v7, v31, 16, 1
	v_add3_u32 v6, v30, v6, s2
	v_lshrrev_b32_e32 v3, 16, v3
	v_cndmask_b32_e32 v2, v145, v2, vcc
	v_cmp_o_f32_e32 vcc, v33, v33
	v_add3_u32 v7, v31, v7, s2
	v_lshrrev_b32_e32 v6, 16, v6
	v_cndmask_b32_e32 v8, v145, v3, vcc
	v_cmp_o_f32_e32 vcc, v30, v30
	v_lshrrev_b32_e32 v7, 16, v7
	v_perm_b32 v2, v8, v2, s3
	v_cndmask_b32_e32 v3, v145, v6, vcc
	v_cmp_o_f32_e32 vcc, v31, v31
	v_perm_b32 v1, v5, v1, s3
	v_perm_b32 v0, v4, v0, s3
	v_cndmask_b32_e32 v6, v145, v7, vcc
	v_perm_b32 v3, v6, v3, s3
	ds_write_b128 v121, v[0:3] offset:16
	; wave barrier
	ds_read_u16 v16, v91 offset:128
	ds_read_u16 v15, v92 offset:256
	;; [unrolled: 1-line block ×15, first 2 shown]
	v_readlane_b32 s2, v166, 61
	v_readlane_b32 s3, v166, 62
	s_mov_b32 s3, s7
	s_mov_b64 s[18:19], s[2:3]
	v_lshl_add_u64 v[0:1], s[2:3], 1, v[20:21]
	s_and_saveexec_b64 s[2:3], s[26:27]
	s_cbranch_execnz .LBB29_271
; %bb.205:                              ;   in Loop: Header=BB29_13 Depth=1
	s_or_b64 exec, exec, s[2:3]
	s_and_saveexec_b64 s[2:3], s[28:29]
	s_cbranch_execnz .LBB29_272
.LBB29_206:                             ;   in Loop: Header=BB29_13 Depth=1
	s_or_b64 exec, exec, s[2:3]
	s_and_saveexec_b64 s[2:3], s[30:31]
	s_cbranch_execnz .LBB29_273
.LBB29_207:                             ;   in Loop: Header=BB29_13 Depth=1
	s_or_b64 exec, exec, s[2:3]
	s_and_saveexec_b64 s[2:3], s[34:35]
	s_cbranch_execnz .LBB29_274
.LBB29_208:                             ;   in Loop: Header=BB29_13 Depth=1
	s_or_b64 exec, exec, s[2:3]
	s_and_saveexec_b64 s[2:3], s[36:37]
	s_cbranch_execnz .LBB29_275
.LBB29_209:                             ;   in Loop: Header=BB29_13 Depth=1
	s_or_b64 exec, exec, s[2:3]
	s_and_saveexec_b64 s[2:3], s[38:39]
	s_cbranch_execnz .LBB29_276
.LBB29_210:                             ;   in Loop: Header=BB29_13 Depth=1
	s_or_b64 exec, exec, s[2:3]
	s_and_saveexec_b64 s[2:3], s[40:41]
	s_cbranch_execnz .LBB29_277
.LBB29_211:                             ;   in Loop: Header=BB29_13 Depth=1
	s_or_b64 exec, exec, s[2:3]
	s_and_saveexec_b64 s[2:3], s[42:43]
	s_cbranch_execnz .LBB29_278
.LBB29_212:                             ;   in Loop: Header=BB29_13 Depth=1
	s_or_b64 exec, exec, s[2:3]
	s_and_saveexec_b64 s[2:3], s[44:45]
	s_cbranch_execnz .LBB29_279
.LBB29_213:                             ;   in Loop: Header=BB29_13 Depth=1
	s_or_b64 exec, exec, s[2:3]
	s_and_saveexec_b64 s[2:3], s[46:47]
	s_cbranch_execnz .LBB29_280
.LBB29_214:                             ;   in Loop: Header=BB29_13 Depth=1
	s_or_b64 exec, exec, s[2:3]
	s_and_saveexec_b64 s[2:3], s[48:49]
	s_cbranch_execnz .LBB29_281
.LBB29_215:                             ;   in Loop: Header=BB29_13 Depth=1
	s_or_b64 exec, exec, s[2:3]
	s_and_saveexec_b64 s[2:3], s[50:51]
	s_cbranch_execnz .LBB29_282
.LBB29_216:                             ;   in Loop: Header=BB29_13 Depth=1
	s_or_b64 exec, exec, s[2:3]
	s_and_saveexec_b64 s[2:3], s[52:53]
	s_cbranch_execnz .LBB29_283
.LBB29_217:                             ;   in Loop: Header=BB29_13 Depth=1
	s_or_b64 exec, exec, s[2:3]
	s_and_saveexec_b64 s[2:3], s[54:55]
	s_cbranch_execnz .LBB29_284
.LBB29_218:                             ;   in Loop: Header=BB29_13 Depth=1
	s_or_b64 exec, exec, s[2:3]
	s_and_saveexec_b64 s[2:3], s[56:57]
	s_cbranch_execnz .LBB29_285
.LBB29_219:                             ;   in Loop: Header=BB29_13 Depth=1
	s_or_b64 exec, exec, s[2:3]
	s_and_saveexec_b64 s[2:3], s[58:59]
	s_cbranch_execz .LBB29_221
.LBB29_220:                             ;   in Loop: Header=BB29_13 Depth=1
	s_waitcnt lgkmcnt(0)
	global_store_short v[0:1], v2, off offset:1920
.LBB29_221:                             ;   in Loop: Header=BB29_13 Depth=1
	s_or_b64 exec, exec, s[2:3]
	v_lshl_add_u64 v[0:1], s[18:19], 1, v[22:23]
	s_waitcnt lgkmcnt(0)
	v_mov_b32_e32 v2, 0
	v_mov_b32_e32 v3, 0
	s_barrier
	s_and_saveexec_b64 s[2:3], s[26:27]
	s_cbranch_execz .LBB29_223
; %bb.222:                              ;   in Loop: Header=BB29_13 Depth=1
	global_load_ushort v3, v[0:1], off
.LBB29_223:                             ;   in Loop: Header=BB29_13 Depth=1
	s_or_b64 exec, exec, s[2:3]
	s_and_saveexec_b64 s[2:3], s[28:29]
	s_cbranch_execz .LBB29_225
; %bb.224:                              ;   in Loop: Header=BB29_13 Depth=1
	global_load_ushort v2, v[0:1], off offset:128
.LBB29_225:                             ;   in Loop: Header=BB29_13 Depth=1
	s_or_b64 exec, exec, s[2:3]
	v_mov_b32_e32 v4, 0
	v_mov_b32_e32 v5, 0
	s_and_saveexec_b64 s[2:3], s[30:31]
	s_cbranch_execz .LBB29_227
; %bb.226:                              ;   in Loop: Header=BB29_13 Depth=1
	global_load_ushort v5, v[0:1], off offset:256
.LBB29_227:                             ;   in Loop: Header=BB29_13 Depth=1
	s_or_b64 exec, exec, s[2:3]
	s_and_saveexec_b64 s[2:3], s[34:35]
	s_cbranch_execz .LBB29_229
; %bb.228:                              ;   in Loop: Header=BB29_13 Depth=1
	global_load_ushort v4, v[0:1], off offset:384
.LBB29_229:                             ;   in Loop: Header=BB29_13 Depth=1
	s_or_b64 exec, exec, s[2:3]
	v_mov_b32_e32 v6, 0
	v_mov_b32_e32 v7, 0
	s_and_saveexec_b64 s[2:3], s[36:37]
	s_cbranch_execz .LBB29_231
; %bb.230:                              ;   in Loop: Header=BB29_13 Depth=1
	global_load_ushort v7, v[0:1], off offset:512
.LBB29_231:                             ;   in Loop: Header=BB29_13 Depth=1
	;; [unrolled: 14-line block ×7, first 2 shown]
	s_or_b64 exec, exec, s[2:3]
	s_and_saveexec_b64 s[2:3], s[58:59]
	s_cbranch_execz .LBB29_253
; %bb.252:                              ;   in Loop: Header=BB29_13 Depth=1
	global_load_ushort v16, v[0:1], off offset:1920
.LBB29_253:                             ;   in Loop: Header=BB29_13 Depth=1
	s_or_b64 exec, exec, s[2:3]
	s_waitcnt vmcnt(0)
	ds_write_b16 v90, v3
	ds_write_b16 v91, v2 offset:128
	ds_write_b16 v92, v5 offset:256
	;; [unrolled: 1-line block ×15, first 2 shown]
	; wave barrier
	ds_read_b128 v[4:7], v121
	ds_read_b128 v[0:3], v121 offset:16
	s_mov_b32 s5, 0xbfb8aa3b
	s_mov_b32 s15, 0x42ce8ed0
	;; [unrolled: 1-line block ×3, first 2 shown]
	s_waitcnt lgkmcnt(1)
	v_and_b32_e32 v11, 0xffff0000, v5
	v_and_b32_e32 v10, 0xffff0000, v4
	v_lshlrev_b32_e32 v12, 16, v4
	v_mul_f32_e32 v4, 0xbfb8aa3b, v11
	v_lshlrev_b32_e32 v13, 16, v5
	v_fma_f32 v5, v11, s5, -v4
	v_rndne_f32_e32 v8, v4
	v_fmac_f32_e32 v5, 0xb2a5705f, v11
	v_sub_f32_e32 v4, v4, v8
	v_add_f32_e32 v4, v4, v5
	v_exp_f32_e32 v4, v4
	v_cvt_i32_f32_e32 v5, v8
	v_cmp_nlt_f32_e32 vcc, s15, v11
	s_movk_i32 s4, 0x7fff
	s_waitcnt lgkmcnt(0)
	v_ldexp_f32 v4, v4, v5
	v_cndmask_b32_e32 v4, 0, v4, vcc
	v_cmp_ngt_f32_e32 vcc, s16, v11
	s_barrier
	s_nop 0
	v_cndmask_b32_e32 v5, v142, v4, vcc
	v_mul_f32_e32 v4, 0xbfb8aa3b, v10
	v_fma_f32 v8, v10, s5, -v4
	v_rndne_f32_e32 v9, v4
	v_fmac_f32_e32 v8, 0xb2a5705f, v10
	v_sub_f32_e32 v4, v4, v9
	v_add_f32_e32 v4, v4, v8
	v_exp_f32_e32 v4, v4
	v_cvt_i32_f32_e32 v8, v9
	v_cmp_nlt_f32_e32 vcc, s15, v10
	v_ldexp_f32 v4, v4, v8
	s_nop 0
	v_cndmask_b32_e32 v4, 0, v4, vcc
	v_cmp_ngt_f32_e32 vcc, s16, v10
	s_nop 1
	v_cndmask_b32_e32 v9, v142, v4, vcc
	v_mul_f32_e32 v4, 0xbfb8aa3b, v13
	v_rndne_f32_e32 v8, v4
	v_sub_f32_e32 v14, v4, v8
	v_fma_f32 v4, v13, s5, -v4
	v_fmac_f32_e32 v4, 0xb2a5705f, v13
	v_add_f32_e32 v4, v14, v4
	v_exp_f32_e32 v4, v4
	v_cvt_i32_f32_e32 v8, v8
	v_cmp_nlt_f32_e32 vcc, s15, v13
	v_ldexp_f32 v4, v4, v8
	v_mul_f32_e32 v8, 0xbfb8aa3b, v12
	v_rndne_f32_e32 v14, v8
	v_sub_f32_e32 v15, v8, v14
	v_fma_f32 v8, v12, s5, -v8
	v_fmac_f32_e32 v8, 0xb2a5705f, v12
	v_add_f32_e32 v8, v15, v8
	v_exp_f32_e32 v8, v8
	v_cvt_i32_f32_e32 v14, v14
	v_cndmask_b32_e32 v4, 0, v4, vcc
	v_cmp_ngt_f32_e32 vcc, s16, v13
	v_ldexp_f32 v8, v8, v14
	s_nop 0
	v_cndmask_b32_e32 v4, v142, v4, vcc
	v_pk_add_f32 v[4:5], v[4:5], 1.0 op_sel_hi:[1,0]
	v_cmp_nlt_f32_e32 vcc, s15, v12
	v_div_scale_f32 v14, s[2:3], v5, v5, v11
	v_rcp_f32_e32 v15, v14
	v_cndmask_b32_e32 v8, 0, v8, vcc
	v_cmp_ngt_f32_e32 vcc, s16, v12
	v_fma_f32 v16, -v14, v15, 1.0
	s_nop 0
	v_cndmask_b32_e32 v8, v142, v8, vcc
	v_fmac_f32_e32 v15, v16, v15
	v_div_scale_f32 v16, vcc, v11, v5, v11
	v_mul_f32_e32 v27, v16, v15
	v_fma_f32 v29, -v14, v27, v16
	v_fmac_f32_e32 v27, v29, v15
	v_fma_f32 v14, -v14, v27, v16
	v_div_fmas_f32 v14, v14, v15, v27
	v_div_fixup_f32 v5, v14, v5, v11
	v_div_scale_f32 v11, s[2:3], v4, v4, v13
	v_rcp_f32_e32 v14, v11
	v_pk_add_f32 v[8:9], v[8:9], 1.0 op_sel_hi:[1,0]
	v_fma_f32 v15, -v11, v14, 1.0
	v_fmac_f32_e32 v14, v15, v14
	v_div_scale_f32 v15, vcc, v13, v4, v13
	v_mul_f32_e32 v16, v15, v14
	v_fma_f32 v27, -v11, v16, v15
	v_fmac_f32_e32 v16, v27, v14
	v_fma_f32 v11, -v11, v16, v15
	v_div_fmas_f32 v11, v11, v14, v16
	v_div_fixup_f32 v4, v11, v4, v13
	v_div_scale_f32 v11, s[2:3], v9, v9, v10
	v_rcp_f32_e32 v13, v11
	s_nop 0
	v_fma_f32 v14, -v11, v13, 1.0
	v_fmac_f32_e32 v13, v14, v13
	v_div_scale_f32 v14, vcc, v10, v9, v10
	v_mul_f32_e32 v15, v14, v13
	v_fma_f32 v16, -v11, v15, v14
	v_fmac_f32_e32 v15, v16, v13
	v_fma_f32 v11, -v11, v15, v14
	v_div_fmas_f32 v11, v11, v13, v15
	v_div_fixup_f32 v9, v11, v9, v10
	v_div_scale_f32 v10, s[2:3], v8, v8, v12
	v_rcp_f32_e32 v11, v10
	s_nop 0
	v_fma_f32 v13, -v10, v11, 1.0
	v_fmac_f32_e32 v11, v13, v11
	v_div_scale_f32 v13, vcc, v12, v8, v12
	v_mul_f32_e32 v14, v13, v11
	v_fma_f32 v15, -v10, v14, v13
	v_fmac_f32_e32 v14, v15, v11
	v_fma_f32 v10, -v10, v14, v13
	v_div_fmas_f32 v10, v10, v11, v14
	v_div_fixup_f32 v8, v10, v8, v12
	v_pk_mul_f32 v[8:9], v[44:45], v[8:9]
	v_pk_mul_f32 v[10:11], v[42:43], v[4:5]
	v_bfe_u32 v4, v8, 16, 1
	v_bfe_u32 v5, v9, 16, 1
	v_add3_u32 v4, v8, v4, s4
	v_bfe_u32 v12, v10, 16, 1
	v_add3_u32 v5, v9, v5, s4
	v_lshrrev_b32_e32 v4, 16, v4
	v_cmp_o_f32_e32 vcc, v8, v8
	v_bfe_u32 v13, v11, 16, 1
	v_add3_u32 v12, v10, v12, s4
	v_lshrrev_b32_e32 v5, 16, v5
	v_cndmask_b32_e32 v4, v145, v4, vcc
	v_cmp_o_f32_e32 vcc, v9, v9
	v_add3_u32 v13, v11, v13, s4
	v_lshrrev_b32_e32 v12, 16, v12
	v_cndmask_b32_e32 v5, v145, v5, vcc
	v_cmp_o_f32_e32 vcc, v10, v10
	v_lshrrev_b32_e32 v13, 16, v13
	v_lshlrev_b32_e32 v14, 16, v6
	v_cndmask_b32_e32 v8, v145, v12, vcc
	v_cmp_o_f32_e32 vcc, v11, v11
	v_and_b32_e32 v12, 0xffff0000, v6
	v_lshlrev_b32_e32 v15, 16, v7
	v_cndmask_b32_e32 v9, v145, v13, vcc
	v_and_b32_e32 v13, 0xffff0000, v7
	v_mul_f32_e32 v6, 0xbfb8aa3b, v13
	v_fma_f32 v7, v13, s5, -v6
	v_rndne_f32_e32 v10, v6
	v_fmac_f32_e32 v7, 0xb2a5705f, v13
	v_sub_f32_e32 v6, v6, v10
	v_add_f32_e32 v6, v6, v7
	v_exp_f32_e32 v6, v6
	v_cvt_i32_f32_e32 v7, v10
	v_cmp_nlt_f32_e32 vcc, s15, v13
	v_ldexp_f32 v6, v6, v7
	s_nop 0
	v_cndmask_b32_e32 v6, 0, v6, vcc
	v_cmp_ngt_f32_e32 vcc, s16, v13
	s_nop 1
	v_cndmask_b32_e32 v7, v142, v6, vcc
	v_mul_f32_e32 v6, 0xbfb8aa3b, v12
	v_fma_f32 v10, v12, s5, -v6
	v_rndne_f32_e32 v11, v6
	v_fmac_f32_e32 v10, 0xb2a5705f, v12
	v_sub_f32_e32 v6, v6, v11
	v_add_f32_e32 v6, v6, v10
	v_exp_f32_e32 v6, v6
	v_cvt_i32_f32_e32 v10, v11
	v_cmp_nlt_f32_e32 vcc, s15, v12
	v_ldexp_f32 v6, v6, v10
	s_nop 0
	v_cndmask_b32_e32 v6, 0, v6, vcc
	v_cmp_ngt_f32_e32 vcc, s16, v12
	s_nop 1
	v_cndmask_b32_e32 v11, v142, v6, vcc
	v_mul_f32_e32 v6, 0xbfb8aa3b, v15
	v_rndne_f32_e32 v10, v6
	v_sub_f32_e32 v16, v6, v10
	v_fma_f32 v6, v15, s5, -v6
	v_fmac_f32_e32 v6, 0xb2a5705f, v15
	v_add_f32_e32 v6, v16, v6
	v_exp_f32_e32 v6, v6
	v_cvt_i32_f32_e32 v10, v10
	v_cmp_nlt_f32_e32 vcc, s15, v15
	v_ldexp_f32 v6, v6, v10
	v_mul_f32_e32 v10, 0xbfb8aa3b, v14
	v_rndne_f32_e32 v16, v10
	v_sub_f32_e32 v27, v10, v16
	v_fma_f32 v10, v14, s5, -v10
	v_fmac_f32_e32 v10, 0xb2a5705f, v14
	v_add_f32_e32 v10, v27, v10
	v_exp_f32_e32 v10, v10
	v_cvt_i32_f32_e32 v16, v16
	v_cndmask_b32_e32 v6, 0, v6, vcc
	v_cmp_ngt_f32_e32 vcc, s16, v15
	v_ldexp_f32 v10, v10, v16
	s_nop 0
	v_cndmask_b32_e32 v6, v142, v6, vcc
	v_pk_add_f32 v[6:7], v[6:7], 1.0 op_sel_hi:[1,0]
	v_cmp_nlt_f32_e32 vcc, s15, v14
	v_div_scale_f32 v16, s[2:3], v7, v7, v13
	v_rcp_f32_e32 v27, v16
	v_cndmask_b32_e32 v10, 0, v10, vcc
	v_cmp_ngt_f32_e32 vcc, s16, v14
	v_fma_f32 v29, -v16, v27, 1.0
	s_nop 0
	v_cndmask_b32_e32 v10, v142, v10, vcc
	v_fmac_f32_e32 v27, v29, v27
	v_div_scale_f32 v29, vcc, v13, v7, v13
	v_mul_f32_e32 v42, v29, v27
	v_fma_f32 v43, -v16, v42, v29
	v_fmac_f32_e32 v42, v43, v27
	v_fma_f32 v16, -v16, v42, v29
	v_div_fmas_f32 v16, v16, v27, v42
	v_div_fixup_f32 v7, v16, v7, v13
	v_div_scale_f32 v13, s[2:3], v6, v6, v15
	v_rcp_f32_e32 v16, v13
	v_pk_add_f32 v[10:11], v[10:11], 1.0 op_sel_hi:[1,0]
	v_fma_f32 v27, -v13, v16, 1.0
	v_fmac_f32_e32 v16, v27, v16
	v_div_scale_f32 v27, vcc, v15, v6, v15
	v_mul_f32_e32 v29, v27, v16
	v_fma_f32 v42, -v13, v29, v27
	v_fmac_f32_e32 v29, v42, v16
	v_fma_f32 v13, -v13, v29, v27
	v_div_fmas_f32 v13, v13, v16, v29
	v_div_fixup_f32 v6, v13, v6, v15
	v_div_scale_f32 v13, s[2:3], v11, v11, v12
	v_rcp_f32_e32 v15, v13
	s_nop 0
	v_fma_f32 v16, -v13, v15, 1.0
	v_fmac_f32_e32 v15, v16, v15
	v_div_scale_f32 v16, vcc, v12, v11, v12
	v_mul_f32_e32 v27, v16, v15
	v_fma_f32 v29, -v13, v27, v16
	v_fmac_f32_e32 v27, v29, v15
	v_fma_f32 v13, -v13, v27, v16
	v_div_fmas_f32 v13, v13, v15, v27
	v_div_fixup_f32 v11, v13, v11, v12
	v_div_scale_f32 v12, s[2:3], v10, v10, v14
	v_rcp_f32_e32 v13, v12
	s_nop 0
	v_fma_f32 v15, -v12, v13, 1.0
	v_fmac_f32_e32 v13, v15, v13
	v_div_scale_f32 v15, vcc, v14, v10, v14
	v_mul_f32_e32 v16, v15, v13
	v_fma_f32 v27, -v12, v16, v15
	v_fmac_f32_e32 v16, v27, v13
	v_fma_f32 v12, -v12, v16, v15
	v_div_fmas_f32 v12, v12, v13, v16
	v_div_fixup_f32 v10, v12, v10, v14
	v_pk_mul_f32 v[10:11], v[40:41], v[10:11]
	v_pk_mul_f32 v[12:13], v[38:39], v[6:7]
	v_bfe_u32 v6, v10, 16, 1
	v_bfe_u32 v7, v11, 16, 1
	v_add3_u32 v6, v10, v6, s4
	v_bfe_u32 v14, v12, 16, 1
	v_add3_u32 v7, v11, v7, s4
	v_lshrrev_b32_e32 v6, 16, v6
	v_cmp_o_f32_e32 vcc, v10, v10
	v_bfe_u32 v15, v13, 16, 1
	v_add3_u32 v14, v12, v14, s4
	v_lshrrev_b32_e32 v7, 16, v7
	v_cndmask_b32_e32 v6, v145, v6, vcc
	v_cmp_o_f32_e32 vcc, v11, v11
	v_add3_u32 v15, v13, v15, s4
	v_lshrrev_b32_e32 v14, 16, v14
	v_cndmask_b32_e32 v7, v145, v7, vcc
	v_cmp_o_f32_e32 vcc, v12, v12
	v_lshrrev_b32_e32 v15, 16, v15
	v_lshlrev_b32_e32 v16, 16, v0
	v_cndmask_b32_e32 v10, v145, v14, vcc
	v_cmp_o_f32_e32 vcc, v13, v13
	v_and_b32_e32 v14, 0xffff0000, v0
	v_lshlrev_b32_e32 v27, 16, v1
	v_cndmask_b32_e32 v11, v145, v15, vcc
	v_and_b32_e32 v15, 0xffff0000, v1
	v_mul_f32_e32 v0, 0xbfb8aa3b, v15
	v_fma_f32 v1, v15, s5, -v0
	v_rndne_f32_e32 v12, v0
	v_fmac_f32_e32 v1, 0xb2a5705f, v15
	v_sub_f32_e32 v0, v0, v12
	v_add_f32_e32 v0, v0, v1
	v_exp_f32_e32 v0, v0
	v_cvt_i32_f32_e32 v1, v12
	v_cmp_nlt_f32_e32 vcc, s15, v15
	v_ldexp_f32 v0, v0, v1
	s_nop 0
	v_cndmask_b32_e32 v0, 0, v0, vcc
	v_cmp_ngt_f32_e32 vcc, s16, v15
	s_nop 1
	v_cndmask_b32_e32 v1, v142, v0, vcc
	v_mul_f32_e32 v0, 0xbfb8aa3b, v14
	v_fma_f32 v12, v14, s5, -v0
	v_rndne_f32_e32 v13, v0
	v_fmac_f32_e32 v12, 0xb2a5705f, v14
	v_sub_f32_e32 v0, v0, v13
	v_add_f32_e32 v0, v0, v12
	v_exp_f32_e32 v0, v0
	v_cvt_i32_f32_e32 v12, v13
	v_cmp_nlt_f32_e32 vcc, s15, v14
	v_ldexp_f32 v0, v0, v12
	s_nop 0
	v_cndmask_b32_e32 v0, 0, v0, vcc
	v_cmp_ngt_f32_e32 vcc, s16, v14
	s_nop 1
	v_cndmask_b32_e32 v13, v142, v0, vcc
	v_mul_f32_e32 v0, 0xbfb8aa3b, v27
	v_rndne_f32_e32 v12, v0
	v_sub_f32_e32 v29, v0, v12
	v_fma_f32 v0, v27, s5, -v0
	v_fmac_f32_e32 v0, 0xb2a5705f, v27
	v_add_f32_e32 v0, v29, v0
	v_exp_f32_e32 v0, v0
	v_cvt_i32_f32_e32 v12, v12
	v_cmp_nlt_f32_e32 vcc, s15, v27
	v_ldexp_f32 v0, v0, v12
	v_mul_f32_e32 v12, 0xbfb8aa3b, v16
	v_rndne_f32_e32 v29, v12
	v_sub_f32_e32 v38, v12, v29
	v_fma_f32 v12, v16, s5, -v12
	v_fmac_f32_e32 v12, 0xb2a5705f, v16
	v_add_f32_e32 v12, v38, v12
	v_exp_f32_e32 v12, v12
	v_cvt_i32_f32_e32 v29, v29
	v_cndmask_b32_e32 v0, 0, v0, vcc
	v_cmp_ngt_f32_e32 vcc, s16, v27
	v_ldexp_f32 v12, v12, v29
	s_nop 0
	v_cndmask_b32_e32 v0, v142, v0, vcc
	v_pk_add_f32 v[0:1], v[0:1], 1.0 op_sel_hi:[1,0]
	v_cmp_nlt_f32_e32 vcc, s15, v16
	v_div_scale_f32 v29, s[2:3], v1, v1, v15
	v_rcp_f32_e32 v38, v29
	v_cndmask_b32_e32 v12, 0, v12, vcc
	v_cmp_ngt_f32_e32 vcc, s16, v16
	v_fma_f32 v39, -v29, v38, 1.0
	s_nop 0
	v_cndmask_b32_e32 v12, v142, v12, vcc
	v_fmac_f32_e32 v38, v39, v38
	v_div_scale_f32 v39, vcc, v15, v1, v15
	v_mul_f32_e32 v40, v39, v38
	v_fma_f32 v41, -v29, v40, v39
	v_fmac_f32_e32 v40, v41, v38
	v_fma_f32 v29, -v29, v40, v39
	v_div_fmas_f32 v29, v29, v38, v40
	v_div_fixup_f32 v1, v29, v1, v15
	v_div_scale_f32 v15, s[2:3], v0, v0, v27
	v_rcp_f32_e32 v29, v15
	v_pk_add_f32 v[12:13], v[12:13], 1.0 op_sel_hi:[1,0]
	v_fma_f32 v38, -v15, v29, 1.0
	v_fmac_f32_e32 v29, v38, v29
	v_div_scale_f32 v38, vcc, v27, v0, v27
	v_mul_f32_e32 v39, v38, v29
	v_fma_f32 v40, -v15, v39, v38
	v_fmac_f32_e32 v39, v40, v29
	v_fma_f32 v15, -v15, v39, v38
	v_div_fmas_f32 v15, v15, v29, v39
	v_div_fixup_f32 v0, v15, v0, v27
	v_div_scale_f32 v15, s[2:3], v13, v13, v14
	v_rcp_f32_e32 v27, v15
	s_nop 0
	v_fma_f32 v29, -v15, v27, 1.0
	v_fmac_f32_e32 v27, v29, v27
	v_div_scale_f32 v29, vcc, v14, v13, v14
	v_mul_f32_e32 v38, v29, v27
	v_fma_f32 v39, -v15, v38, v29
	v_fmac_f32_e32 v38, v39, v27
	v_fma_f32 v15, -v15, v38, v29
	v_div_fmas_f32 v15, v15, v27, v38
	v_div_fixup_f32 v13, v15, v13, v14
	v_div_scale_f32 v14, s[2:3], v12, v12, v16
	v_rcp_f32_e32 v15, v14
	s_nop 0
	v_fma_f32 v27, -v14, v15, 1.0
	v_fmac_f32_e32 v15, v27, v15
	v_div_scale_f32 v27, vcc, v16, v12, v16
	v_mul_f32_e32 v29, v27, v15
	v_fma_f32 v38, -v14, v29, v27
	v_fmac_f32_e32 v29, v38, v15
	v_fma_f32 v14, -v14, v29, v27
	v_div_fmas_f32 v14, v14, v15, v29
	v_div_fixup_f32 v12, v14, v12, v16
	v_pk_mul_f32 v[12:13], v[36:37], v[12:13]
	v_pk_mul_f32 v[14:15], v[34:35], v[0:1]
	v_bfe_u32 v0, v12, 16, 1
	v_bfe_u32 v1, v13, 16, 1
	v_add3_u32 v0, v12, v0, s4
	v_bfe_u32 v16, v14, 16, 1
	v_add3_u32 v1, v13, v1, s4
	v_lshrrev_b32_e32 v0, 16, v0
	v_cmp_o_f32_e32 vcc, v12, v12
	v_bfe_u32 v27, v15, 16, 1
	v_add3_u32 v16, v14, v16, s4
	v_lshrrev_b32_e32 v1, 16, v1
	v_cndmask_b32_e32 v0, v145, v0, vcc
	v_cmp_o_f32_e32 vcc, v13, v13
	v_add3_u32 v27, v15, v27, s4
	v_lshrrev_b32_e32 v16, 16, v16
	v_cndmask_b32_e32 v1, v145, v1, vcc
	v_cmp_o_f32_e32 vcc, v14, v14
	v_lshrrev_b32_e32 v27, 16, v27
	v_lshlrev_b32_e32 v29, 16, v2
	v_cndmask_b32_e32 v14, v145, v16, vcc
	v_cmp_o_f32_e32 vcc, v15, v15
	v_and_b32_e32 v16, 0xffff0000, v2
	v_lshlrev_b32_e32 v34, 16, v3
	v_cndmask_b32_e32 v15, v145, v27, vcc
	v_and_b32_e32 v27, 0xffff0000, v3
	v_mul_f32_e32 v2, 0xbfb8aa3b, v27
	v_fma_f32 v3, v27, s5, -v2
	v_rndne_f32_e32 v12, v2
	v_fmac_f32_e32 v3, 0xb2a5705f, v27
	v_sub_f32_e32 v2, v2, v12
	v_add_f32_e32 v2, v2, v3
	v_exp_f32_e32 v2, v2
	v_cvt_i32_f32_e32 v3, v12
	v_cmp_nlt_f32_e32 vcc, s15, v27
	v_ldexp_f32 v2, v2, v3
	s_nop 0
	v_cndmask_b32_e32 v2, 0, v2, vcc
	v_cmp_ngt_f32_e32 vcc, s16, v27
	s_nop 1
	v_cndmask_b32_e32 v3, v142, v2, vcc
	v_mul_f32_e32 v2, 0xbfb8aa3b, v16
	v_fma_f32 v12, v16, s5, -v2
	v_rndne_f32_e32 v13, v2
	v_fmac_f32_e32 v12, 0xb2a5705f, v16
	v_sub_f32_e32 v2, v2, v13
	v_add_f32_e32 v2, v2, v12
	v_exp_f32_e32 v2, v2
	v_cvt_i32_f32_e32 v12, v13
	v_cmp_nlt_f32_e32 vcc, s15, v16
	v_ldexp_f32 v2, v2, v12
	s_nop 0
	v_cndmask_b32_e32 v2, 0, v2, vcc
	v_cmp_ngt_f32_e32 vcc, s16, v16
	s_nop 1
	v_cndmask_b32_e32 v13, v142, v2, vcc
	v_mul_f32_e32 v2, 0xbfb8aa3b, v34
	v_rndne_f32_e32 v12, v2
	v_sub_f32_e32 v35, v2, v12
	v_fma_f32 v2, v34, s5, -v2
	v_fmac_f32_e32 v2, 0xb2a5705f, v34
	v_add_f32_e32 v2, v35, v2
	v_exp_f32_e32 v2, v2
	v_cvt_i32_f32_e32 v12, v12
	v_cmp_nlt_f32_e32 vcc, s15, v34
	v_ldexp_f32 v2, v2, v12
	v_mul_f32_e32 v12, 0xbfb8aa3b, v29
	v_rndne_f32_e32 v35, v12
	v_sub_f32_e32 v36, v12, v35
	v_fma_f32 v12, v29, s5, -v12
	v_fmac_f32_e32 v12, 0xb2a5705f, v29
	v_add_f32_e32 v12, v36, v12
	v_exp_f32_e32 v12, v12
	v_cvt_i32_f32_e32 v35, v35
	v_cndmask_b32_e32 v2, 0, v2, vcc
	v_cmp_ngt_f32_e32 vcc, s16, v34
	v_ldexp_f32 v12, v12, v35
	s_nop 0
	v_cndmask_b32_e32 v2, v142, v2, vcc
	v_pk_add_f32 v[2:3], v[2:3], 1.0 op_sel_hi:[1,0]
	v_cmp_nlt_f32_e32 vcc, s15, v29
	v_div_scale_f32 v35, s[2:3], v3, v3, v27
	v_rcp_f32_e32 v36, v35
	v_cndmask_b32_e32 v12, 0, v12, vcc
	v_cmp_ngt_f32_e32 vcc, s16, v29
	v_fma_f32 v37, -v35, v36, 1.0
	s_nop 0
	v_cndmask_b32_e32 v12, v142, v12, vcc
	v_fmac_f32_e32 v36, v37, v36
	v_div_scale_f32 v37, vcc, v27, v3, v27
	v_mul_f32_e32 v38, v37, v36
	v_fma_f32 v39, -v35, v38, v37
	v_fmac_f32_e32 v38, v39, v36
	v_fma_f32 v35, -v35, v38, v37
	v_div_fmas_f32 v35, v35, v36, v38
	v_div_fixup_f32 v3, v35, v3, v27
	v_div_scale_f32 v27, s[2:3], v2, v2, v34
	v_rcp_f32_e32 v35, v27
	v_pk_add_f32 v[12:13], v[12:13], 1.0 op_sel_hi:[1,0]
	v_fma_f32 v36, -v27, v35, 1.0
	v_fmac_f32_e32 v35, v36, v35
	v_div_scale_f32 v36, vcc, v34, v2, v34
	v_mul_f32_e32 v37, v36, v35
	v_fma_f32 v38, -v27, v37, v36
	v_fmac_f32_e32 v37, v38, v35
	v_fma_f32 v27, -v27, v37, v36
	v_div_fmas_f32 v27, v27, v35, v37
	v_div_fixup_f32 v2, v27, v2, v34
	v_div_scale_f32 v27, s[2:3], v13, v13, v16
	v_rcp_f32_e32 v34, v27
	v_pk_mul_f32 v[2:3], v[30:31], v[2:3]
	v_fma_f32 v35, -v27, v34, 1.0
	v_fmac_f32_e32 v34, v35, v34
	v_div_scale_f32 v35, vcc, v16, v13, v16
	v_mul_f32_e32 v36, v35, v34
	v_fma_f32 v37, -v27, v36, v35
	v_fmac_f32_e32 v36, v37, v34
	v_fma_f32 v27, -v27, v36, v35
	v_div_fmas_f32 v27, v27, v34, v36
	v_div_fixup_f32 v13, v27, v13, v16
	v_div_scale_f32 v16, s[2:3], v12, v12, v29
	v_rcp_f32_e32 v27, v16
	v_bfe_u32 v30, v3, 16, 1
	v_add3_u32 v30, v3, v30, s4
	v_lshrrev_b32_e32 v30, 16, v30
	v_fma_f32 v34, -v16, v27, 1.0
	v_fmac_f32_e32 v27, v34, v27
	v_div_scale_f32 v34, vcc, v29, v12, v29
	v_mul_f32_e32 v35, v34, v27
	v_fma_f32 v36, -v16, v35, v34
	v_fmac_f32_e32 v35, v36, v27
	v_fma_f32 v16, -v16, v35, v34
	v_div_fmas_f32 v16, v16, v27, v35
	v_div_fixup_f32 v12, v16, v12, v29
	v_pk_mul_f32 v[12:13], v[32:33], v[12:13]
	v_bfe_u32 v29, v2, 16, 1
	v_bfe_u32 v16, v12, 16, 1
	;; [unrolled: 1-line block ×3, first 2 shown]
	v_add3_u32 v16, v12, v16, s4
	v_add3_u32 v27, v13, v27, s4
	v_lshrrev_b32_e32 v16, 16, v16
	v_cmp_o_f32_e32 vcc, v12, v12
	v_add3_u32 v29, v2, v29, s4
	v_lshrrev_b32_e32 v27, 16, v27
	v_cndmask_b32_e32 v12, v145, v16, vcc
	v_cmp_o_f32_e32 vcc, v13, v13
	v_lshrrev_b32_e32 v29, 16, v29
	s_mov_b32 s2, 0x5040100
	v_cndmask_b32_e32 v13, v145, v27, vcc
	v_cmp_o_f32_e32 vcc, v2, v2
	v_perm_b32 v11, v11, v10, s2
	v_perm_b32 v10, v7, v6, s2
	v_cndmask_b32_e32 v2, v145, v29, vcc
	v_cmp_o_f32_e32 vcc, v3, v3
	v_perm_b32 v9, v9, v8, s2
	v_perm_b32 v8, v5, v4, s2
	v_cndmask_b32_e32 v3, v145, v30, vcc
	v_perm_b32 v5, v3, v2, s2
	v_perm_b32 v4, v13, v12, s2
	;; [unrolled: 1-line block ×4, first 2 shown]
	ds_write_b128 v121, v[8:11]
	ds_write_b128 v121, v[2:5] offset:16
	; wave barrier
	ds_read_u16 v16, v91 offset:128
	ds_read_u16 v15, v92 offset:256
	;; [unrolled: 1-line block ×15, first 2 shown]
	v_lshl_add_u64 v[0:1], s[18:19], 1, v[24:25]
	s_and_saveexec_b64 s[2:3], s[26:27]
	s_cbranch_execnz .LBB29_286
; %bb.254:                              ;   in Loop: Header=BB29_13 Depth=1
	s_or_b64 exec, exec, s[2:3]
	s_and_saveexec_b64 s[2:3], s[28:29]
	s_cbranch_execnz .LBB29_287
.LBB29_255:                             ;   in Loop: Header=BB29_13 Depth=1
	s_or_b64 exec, exec, s[2:3]
	s_and_saveexec_b64 s[2:3], s[30:31]
	s_cbranch_execnz .LBB29_288
.LBB29_256:                             ;   in Loop: Header=BB29_13 Depth=1
	s_or_b64 exec, exec, s[2:3]
	s_and_saveexec_b64 s[2:3], s[34:35]
	s_cbranch_execnz .LBB29_289
.LBB29_257:                             ;   in Loop: Header=BB29_13 Depth=1
	s_or_b64 exec, exec, s[2:3]
	s_and_saveexec_b64 s[2:3], s[36:37]
	s_cbranch_execnz .LBB29_290
.LBB29_258:                             ;   in Loop: Header=BB29_13 Depth=1
	s_or_b64 exec, exec, s[2:3]
	s_and_saveexec_b64 s[2:3], s[38:39]
	s_cbranch_execnz .LBB29_291
.LBB29_259:                             ;   in Loop: Header=BB29_13 Depth=1
	s_or_b64 exec, exec, s[2:3]
	s_and_saveexec_b64 s[2:3], s[40:41]
	s_cbranch_execnz .LBB29_292
.LBB29_260:                             ;   in Loop: Header=BB29_13 Depth=1
	s_or_b64 exec, exec, s[2:3]
	s_and_saveexec_b64 s[2:3], s[42:43]
	s_cbranch_execnz .LBB29_293
.LBB29_261:                             ;   in Loop: Header=BB29_13 Depth=1
	s_or_b64 exec, exec, s[2:3]
	s_and_saveexec_b64 s[2:3], s[44:45]
	s_cbranch_execnz .LBB29_294
.LBB29_262:                             ;   in Loop: Header=BB29_13 Depth=1
	s_or_b64 exec, exec, s[2:3]
	s_and_saveexec_b64 s[2:3], s[46:47]
	s_cbranch_execnz .LBB29_295
.LBB29_263:                             ;   in Loop: Header=BB29_13 Depth=1
	s_or_b64 exec, exec, s[2:3]
	s_and_saveexec_b64 s[2:3], s[48:49]
	s_cbranch_execnz .LBB29_296
.LBB29_264:                             ;   in Loop: Header=BB29_13 Depth=1
	s_or_b64 exec, exec, s[2:3]
	s_and_saveexec_b64 s[2:3], s[50:51]
	s_cbranch_execnz .LBB29_297
.LBB29_265:                             ;   in Loop: Header=BB29_13 Depth=1
	s_or_b64 exec, exec, s[2:3]
	s_and_saveexec_b64 s[2:3], s[52:53]
	s_cbranch_execnz .LBB29_298
.LBB29_266:                             ;   in Loop: Header=BB29_13 Depth=1
	s_or_b64 exec, exec, s[2:3]
	s_and_saveexec_b64 s[2:3], s[54:55]
	s_cbranch_execnz .LBB29_299
.LBB29_267:                             ;   in Loop: Header=BB29_13 Depth=1
	s_or_b64 exec, exec, s[2:3]
	s_and_saveexec_b64 s[2:3], s[56:57]
	s_cbranch_execnz .LBB29_300
.LBB29_268:                             ;   in Loop: Header=BB29_13 Depth=1
	s_or_b64 exec, exec, s[2:3]
	s_and_saveexec_b64 s[2:3], s[58:59]
	s_cbranch_execz .LBB29_12
	s_branch .LBB29_301
.LBB29_269:                             ;   in Loop: Header=BB29_13 Depth=1
	global_load_ushort v36, v[8:9], off offset:1664
	s_or_b64 exec, exec, s[2:3]
	s_and_saveexec_b64 s[2:3], s[56:57]
	s_cbranch_execz .LBB29_73
.LBB29_270:                             ;   in Loop: Header=BB29_13 Depth=1
	global_load_ushort v35, v[8:9], off offset:1792
	s_or_b64 exec, exec, s[2:3]
	v_mov_b32_e32 v37, 0
	s_and_saveexec_b64 s[2:3], s[58:59]
	s_cbranch_execnz .LBB29_74
	s_branch .LBB29_75
.LBB29_271:                             ;   in Loop: Header=BB29_13 Depth=1
	ds_read_u16 v27, v90
	s_waitcnt lgkmcnt(0)
	global_store_short v[0:1], v27, off
	s_or_b64 exec, exec, s[2:3]
	s_and_saveexec_b64 s[2:3], s[28:29]
	s_cbranch_execz .LBB29_206
.LBB29_272:                             ;   in Loop: Header=BB29_13 Depth=1
	s_waitcnt lgkmcnt(14)
	global_store_short v[0:1], v16, off offset:128
	s_or_b64 exec, exec, s[2:3]
	s_and_saveexec_b64 s[2:3], s[30:31]
	s_cbranch_execz .LBB29_207
.LBB29_273:                             ;   in Loop: Header=BB29_13 Depth=1
	s_waitcnt lgkmcnt(13)
	global_store_short v[0:1], v15, off offset:256
	s_or_b64 exec, exec, s[2:3]
	s_and_saveexec_b64 s[2:3], s[34:35]
	s_cbranch_execz .LBB29_208
.LBB29_274:                             ;   in Loop: Header=BB29_13 Depth=1
	s_waitcnt lgkmcnt(12)
	global_store_short v[0:1], v14, off offset:384
	s_or_b64 exec, exec, s[2:3]
	s_and_saveexec_b64 s[2:3], s[36:37]
	s_cbranch_execz .LBB29_209
.LBB29_275:                             ;   in Loop: Header=BB29_13 Depth=1
	s_waitcnt lgkmcnt(11)
	global_store_short v[0:1], v13, off offset:512
	s_or_b64 exec, exec, s[2:3]
	s_and_saveexec_b64 s[2:3], s[38:39]
	s_cbranch_execz .LBB29_210
.LBB29_276:                             ;   in Loop: Header=BB29_13 Depth=1
	s_waitcnt lgkmcnt(10)
	global_store_short v[0:1], v12, off offset:640
	s_or_b64 exec, exec, s[2:3]
	s_and_saveexec_b64 s[2:3], s[40:41]
	s_cbranch_execz .LBB29_211
.LBB29_277:                             ;   in Loop: Header=BB29_13 Depth=1
	s_waitcnt lgkmcnt(9)
	global_store_short v[0:1], v11, off offset:768
	s_or_b64 exec, exec, s[2:3]
	s_and_saveexec_b64 s[2:3], s[42:43]
	s_cbranch_execz .LBB29_212
.LBB29_278:                             ;   in Loop: Header=BB29_13 Depth=1
	s_waitcnt lgkmcnt(8)
	global_store_short v[0:1], v10, off offset:896
	s_or_b64 exec, exec, s[2:3]
	s_and_saveexec_b64 s[2:3], s[44:45]
	s_cbranch_execz .LBB29_213
.LBB29_279:                             ;   in Loop: Header=BB29_13 Depth=1
	s_waitcnt lgkmcnt(7)
	global_store_short v[0:1], v9, off offset:1024
	s_or_b64 exec, exec, s[2:3]
	s_and_saveexec_b64 s[2:3], s[46:47]
	s_cbranch_execz .LBB29_214
.LBB29_280:                             ;   in Loop: Header=BB29_13 Depth=1
	s_waitcnt lgkmcnt(6)
	global_store_short v[0:1], v8, off offset:1152
	s_or_b64 exec, exec, s[2:3]
	s_and_saveexec_b64 s[2:3], s[48:49]
	s_cbranch_execz .LBB29_215
.LBB29_281:                             ;   in Loop: Header=BB29_13 Depth=1
	s_waitcnt lgkmcnt(5)
	global_store_short v[0:1], v7, off offset:1280
	s_or_b64 exec, exec, s[2:3]
	s_and_saveexec_b64 s[2:3], s[50:51]
	s_cbranch_execz .LBB29_216
.LBB29_282:                             ;   in Loop: Header=BB29_13 Depth=1
	s_waitcnt lgkmcnt(4)
	global_store_short v[0:1], v6, off offset:1408
	s_or_b64 exec, exec, s[2:3]
	s_and_saveexec_b64 s[2:3], s[52:53]
	s_cbranch_execz .LBB29_217
.LBB29_283:                             ;   in Loop: Header=BB29_13 Depth=1
	s_waitcnt lgkmcnt(3)
	global_store_short v[0:1], v5, off offset:1536
	s_or_b64 exec, exec, s[2:3]
	s_and_saveexec_b64 s[2:3], s[54:55]
	s_cbranch_execz .LBB29_218
.LBB29_284:                             ;   in Loop: Header=BB29_13 Depth=1
	s_waitcnt lgkmcnt(2)
	global_store_short v[0:1], v4, off offset:1664
	s_or_b64 exec, exec, s[2:3]
	s_and_saveexec_b64 s[2:3], s[56:57]
	s_cbranch_execz .LBB29_219
.LBB29_285:                             ;   in Loop: Header=BB29_13 Depth=1
	s_waitcnt lgkmcnt(1)
	global_store_short v[0:1], v3, off offset:1792
	s_or_b64 exec, exec, s[2:3]
	s_and_saveexec_b64 s[2:3], s[58:59]
	s_cbranch_execnz .LBB29_220
	s_branch .LBB29_221
.LBB29_286:                             ;   in Loop: Header=BB29_13 Depth=1
	ds_read_u16 v27, v90
	s_waitcnt lgkmcnt(0)
	global_store_short v[0:1], v27, off
	s_or_b64 exec, exec, s[2:3]
	s_and_saveexec_b64 s[2:3], s[28:29]
	s_cbranch_execz .LBB29_255
.LBB29_287:                             ;   in Loop: Header=BB29_13 Depth=1
	s_waitcnt lgkmcnt(14)
	global_store_short v[0:1], v16, off offset:128
	s_or_b64 exec, exec, s[2:3]
	s_and_saveexec_b64 s[2:3], s[30:31]
	s_cbranch_execz .LBB29_256
.LBB29_288:                             ;   in Loop: Header=BB29_13 Depth=1
	s_waitcnt lgkmcnt(13)
	global_store_short v[0:1], v15, off offset:256
	s_or_b64 exec, exec, s[2:3]
	s_and_saveexec_b64 s[2:3], s[34:35]
	s_cbranch_execz .LBB29_257
.LBB29_289:                             ;   in Loop: Header=BB29_13 Depth=1
	s_waitcnt lgkmcnt(12)
	global_store_short v[0:1], v14, off offset:384
	s_or_b64 exec, exec, s[2:3]
	s_and_saveexec_b64 s[2:3], s[36:37]
	s_cbranch_execz .LBB29_258
.LBB29_290:                             ;   in Loop: Header=BB29_13 Depth=1
	s_waitcnt lgkmcnt(11)
	global_store_short v[0:1], v13, off offset:512
	s_or_b64 exec, exec, s[2:3]
	s_and_saveexec_b64 s[2:3], s[38:39]
	s_cbranch_execz .LBB29_259
.LBB29_291:                             ;   in Loop: Header=BB29_13 Depth=1
	s_waitcnt lgkmcnt(10)
	global_store_short v[0:1], v12, off offset:640
	s_or_b64 exec, exec, s[2:3]
	s_and_saveexec_b64 s[2:3], s[40:41]
	s_cbranch_execz .LBB29_260
.LBB29_292:                             ;   in Loop: Header=BB29_13 Depth=1
	s_waitcnt lgkmcnt(9)
	global_store_short v[0:1], v11, off offset:768
	s_or_b64 exec, exec, s[2:3]
	s_and_saveexec_b64 s[2:3], s[42:43]
	s_cbranch_execz .LBB29_261
.LBB29_293:                             ;   in Loop: Header=BB29_13 Depth=1
	s_waitcnt lgkmcnt(8)
	global_store_short v[0:1], v10, off offset:896
	s_or_b64 exec, exec, s[2:3]
	s_and_saveexec_b64 s[2:3], s[44:45]
	s_cbranch_execz .LBB29_262
.LBB29_294:                             ;   in Loop: Header=BB29_13 Depth=1
	s_waitcnt lgkmcnt(7)
	global_store_short v[0:1], v9, off offset:1024
	s_or_b64 exec, exec, s[2:3]
	s_and_saveexec_b64 s[2:3], s[46:47]
	s_cbranch_execz .LBB29_263
.LBB29_295:                             ;   in Loop: Header=BB29_13 Depth=1
	s_waitcnt lgkmcnt(6)
	global_store_short v[0:1], v8, off offset:1152
	s_or_b64 exec, exec, s[2:3]
	s_and_saveexec_b64 s[2:3], s[48:49]
	s_cbranch_execz .LBB29_264
.LBB29_296:                             ;   in Loop: Header=BB29_13 Depth=1
	s_waitcnt lgkmcnt(5)
	global_store_short v[0:1], v7, off offset:1280
	s_or_b64 exec, exec, s[2:3]
	s_and_saveexec_b64 s[2:3], s[50:51]
	s_cbranch_execz .LBB29_265
.LBB29_297:                             ;   in Loop: Header=BB29_13 Depth=1
	s_waitcnt lgkmcnt(4)
	global_store_short v[0:1], v6, off offset:1408
	s_or_b64 exec, exec, s[2:3]
	s_and_saveexec_b64 s[2:3], s[52:53]
	s_cbranch_execz .LBB29_266
.LBB29_298:                             ;   in Loop: Header=BB29_13 Depth=1
	s_waitcnt lgkmcnt(3)
	global_store_short v[0:1], v5, off offset:1536
	s_or_b64 exec, exec, s[2:3]
	s_and_saveexec_b64 s[2:3], s[54:55]
	s_cbranch_execz .LBB29_267
.LBB29_299:                             ;   in Loop: Header=BB29_13 Depth=1
	s_waitcnt lgkmcnt(2)
	global_store_short v[0:1], v4, off offset:1664
	s_or_b64 exec, exec, s[2:3]
	s_and_saveexec_b64 s[2:3], s[56:57]
	s_cbranch_execz .LBB29_268
.LBB29_300:                             ;   in Loop: Header=BB29_13 Depth=1
	s_waitcnt lgkmcnt(1)
	global_store_short v[0:1], v3, off offset:1792
	s_or_b64 exec, exec, s[2:3]
	s_and_saveexec_b64 s[2:3], s[58:59]
	s_cbranch_execz .LBB29_12
.LBB29_301:                             ;   in Loop: Header=BB29_13 Depth=1
	s_waitcnt lgkmcnt(0)
	global_store_short v[0:1], v2, off offset:1920
	s_branch .LBB29_12
.LBB29_302:
	s_endpgm
	.section	.rodata,"a",@progbits
	.p2align	6, 0x0
	.amdhsa_kernel _Z25selective_scan_fwd_kernelI32Selective_Scan_fwd_kernel_traitsILi128ELi16ELi1ELb0ELb1ELb1ELb1ELb0EN3c108BFloat16EfS2_EEv13SSMParamsBase
		.amdhsa_group_segment_fixed_size 0
		.amdhsa_private_segment_fixed_size 0
		.amdhsa_kernarg_size 248
		.amdhsa_user_sgpr_count 2
		.amdhsa_user_sgpr_dispatch_ptr 0
		.amdhsa_user_sgpr_queue_ptr 0
		.amdhsa_user_sgpr_kernarg_segment_ptr 1
		.amdhsa_user_sgpr_dispatch_id 0
		.amdhsa_user_sgpr_kernarg_preload_length 0
		.amdhsa_user_sgpr_kernarg_preload_offset 0
		.amdhsa_user_sgpr_private_segment_size 0
		.amdhsa_uses_dynamic_stack 0
		.amdhsa_enable_private_segment 0
		.amdhsa_system_sgpr_workgroup_id_x 1
		.amdhsa_system_sgpr_workgroup_id_y 1
		.amdhsa_system_sgpr_workgroup_id_z 0
		.amdhsa_system_sgpr_workgroup_info 0
		.amdhsa_system_vgpr_workitem_id 0
		.amdhsa_next_free_vgpr 168
		.amdhsa_next_free_sgpr 100
		.amdhsa_accum_offset 168
		.amdhsa_reserve_vcc 1
		.amdhsa_float_round_mode_32 0
		.amdhsa_float_round_mode_16_64 0
		.amdhsa_float_denorm_mode_32 3
		.amdhsa_float_denorm_mode_16_64 3
		.amdhsa_dx10_clamp 1
		.amdhsa_ieee_mode 1
		.amdhsa_fp16_overflow 0
		.amdhsa_tg_split 0
		.amdhsa_exception_fp_ieee_invalid_op 0
		.amdhsa_exception_fp_denorm_src 0
		.amdhsa_exception_fp_ieee_div_zero 0
		.amdhsa_exception_fp_ieee_overflow 0
		.amdhsa_exception_fp_ieee_underflow 0
		.amdhsa_exception_fp_ieee_inexact 0
		.amdhsa_exception_int_div_zero 0
	.end_amdhsa_kernel
	.section	.text._Z25selective_scan_fwd_kernelI32Selective_Scan_fwd_kernel_traitsILi128ELi16ELi1ELb0ELb1ELb1ELb1ELb0EN3c108BFloat16EfS2_EEv13SSMParamsBase,"axG",@progbits,_Z25selective_scan_fwd_kernelI32Selective_Scan_fwd_kernel_traitsILi128ELi16ELi1ELb0ELb1ELb1ELb1ELb0EN3c108BFloat16EfS2_EEv13SSMParamsBase,comdat
.Lfunc_end29:
	.size	_Z25selective_scan_fwd_kernelI32Selective_Scan_fwd_kernel_traitsILi128ELi16ELi1ELb0ELb1ELb1ELb1ELb0EN3c108BFloat16EfS2_EEv13SSMParamsBase, .Lfunc_end29-_Z25selective_scan_fwd_kernelI32Selective_Scan_fwd_kernel_traitsILi128ELi16ELi1ELb0ELb1ELb1ELb1ELb0EN3c108BFloat16EfS2_EEv13SSMParamsBase
                                        ; -- End function
	.section	.AMDGPU.csdata,"",@progbits
; Kernel info:
; codeLenInByte = 25460
; NumSgprs: 106
; NumVgprs: 168
; NumAgprs: 0
; TotalNumVgprs: 168
; ScratchSize: 0
; MemoryBound: 0
; FloatMode: 240
; IeeeMode: 1
; LDSByteSize: 0 bytes/workgroup (compile time only)
; SGPRBlocks: 13
; VGPRBlocks: 20
; NumSGPRsForWavesPerEU: 106
; NumVGPRsForWavesPerEU: 168
; AccumOffset: 168
; Occupancy: 3
; WaveLimiterHint : 0
; COMPUTE_PGM_RSRC2:SCRATCH_EN: 0
; COMPUTE_PGM_RSRC2:USER_SGPR: 2
; COMPUTE_PGM_RSRC2:TRAP_HANDLER: 0
; COMPUTE_PGM_RSRC2:TGID_X_EN: 1
; COMPUTE_PGM_RSRC2:TGID_Y_EN: 1
; COMPUTE_PGM_RSRC2:TGID_Z_EN: 0
; COMPUTE_PGM_RSRC2:TIDIG_COMP_CNT: 0
; COMPUTE_PGM_RSRC3_GFX90A:ACCUM_OFFSET: 41
; COMPUTE_PGM_RSRC3_GFX90A:TG_SPLIT: 0
	.section	.text._Z25selective_scan_fwd_kernelI32Selective_Scan_fwd_kernel_traitsILi128ELi16ELi1ELb0ELb1ELb1ELb0ELb1EN3c108BFloat16EfS2_EEv13SSMParamsBase,"axG",@progbits,_Z25selective_scan_fwd_kernelI32Selective_Scan_fwd_kernel_traitsILi128ELi16ELi1ELb0ELb1ELb1ELb0ELb1EN3c108BFloat16EfS2_EEv13SSMParamsBase,comdat
	.protected	_Z25selective_scan_fwd_kernelI32Selective_Scan_fwd_kernel_traitsILi128ELi16ELi1ELb0ELb1ELb1ELb0ELb1EN3c108BFloat16EfS2_EEv13SSMParamsBase ; -- Begin function _Z25selective_scan_fwd_kernelI32Selective_Scan_fwd_kernel_traitsILi128ELi16ELi1ELb0ELb1ELb1ELb0ELb1EN3c108BFloat16EfS2_EEv13SSMParamsBase
	.globl	_Z25selective_scan_fwd_kernelI32Selective_Scan_fwd_kernel_traitsILi128ELi16ELi1ELb0ELb1ELb1ELb0ELb1EN3c108BFloat16EfS2_EEv13SSMParamsBase
	.p2align	8
	.type	_Z25selective_scan_fwd_kernelI32Selective_Scan_fwd_kernel_traitsILi128ELi16ELi1ELb0ELb1ELb1ELb0ELb1EN3c108BFloat16EfS2_EEv13SSMParamsBase,@function
_Z25selective_scan_fwd_kernelI32Selective_Scan_fwd_kernel_traitsILi128ELi16ELi1ELb0ELb1ELb1ELb0ELb1EN3c108BFloat16EfS2_EEv13SSMParamsBase: ; @_Z25selective_scan_fwd_kernelI32Selective_Scan_fwd_kernel_traitsILi128ELi16ELi1ELb0ELb1ELb1ELb0ELb1EN3c108BFloat16EfS2_EEv13SSMParamsBase
; %bb.0:
	s_load_dword s29, s[0:1], 0x18
	s_load_dwordx4 s[4:7], s[0:1], 0xe0
	s_load_dwordx2 s[10:11], s[0:1], 0xf0
	s_mov_b32 s24, s3
	s_ashr_i32 s3, s2, 31
	s_waitcnt lgkmcnt(0)
	s_abs_i32 s28, s29
	v_cvt_f32_u32_e32 v1, s28
	s_lshl_b64 s[8:9], s[2:3], 2
	s_add_u32 s26, s4, s8
	s_addc_u32 s27, s5, s9
	v_rcp_iflag_f32_e32 v1, v1
	s_cmp_eq_u64 s[10:11], 0
                                        ; implicit-def: $vgpr167 : SGPR spill to VGPR lane
	v_mul_f32_e32 v1, 0x4f7ffffe, v1
	v_cvt_u32_f32_e32 v1, v1
	s_nop 0
	v_readfirstlane_b32 s30, v1
	s_cbranch_scc1 .LBB30_2
; %bb.1:
	s_add_u32 s4, s10, s2
	s_addc_u32 s5, s11, s3
	v_mov_b32_e32 v1, 0
	global_load_ubyte v1, v1, s[4:5]
	s_waitcnt vmcnt(0)
	v_and_b32_e32 v1, 1, v1
	v_cmp_eq_u32_e64 s[4:5], 1, v1
	s_branch .LBB30_3
.LBB30_2:
	s_mov_b64 s[4:5], 0
.LBB30_3:
	s_nop 0
	v_writelane_b32 v167, s4, 0
	s_cmp_eq_u64 s[6:7], 0
	s_nop 0
	v_writelane_b32 v167, s5, 1
	s_load_dwordx2 s[4:5], s[0:1], 0x20
	s_cbranch_scc1 .LBB30_5
; %bb.4:
	s_add_u32 s2, s6, s8
	s_addc_u32 s3, s7, s9
	s_load_dword s2, s[2:3], 0x0
	s_waitcnt lgkmcnt(0)
	s_ashr_i32 s3, s2, 31
.LBB30_5:
	s_waitcnt lgkmcnt(0)
	s_cmp_eq_u64 s[4:5], s[2:3]
	s_cbranch_scc1 .LBB30_238
; %bb.6:
	s_load_dwordx16 s[36:51], s[0:1], 0x88
	s_load_dwordx2 s[4:5], s[26:27], 0x0
	s_mov_b32 s3, 0
	v_writelane_b32 v167, s3, 2
	v_writelane_b32 v167, s3, 3
	s_waitcnt lgkmcnt(0)
	s_cmp_eq_u64 s[42:43], 0
	s_cbranch_scc1 .LBB30_8
; %bb.7:
	s_ashr_i32 s25, s24, 31
	s_lshl_b64 s[6:7], s[24:25], 2
	s_add_u32 s6, s42, s6
	s_addc_u32 s7, s43, s7
	s_load_dword s3, s[6:7], 0x0
	s_waitcnt lgkmcnt(0)
	v_writelane_b32 v167, s3, 3
.LBB30_8:
	s_cmp_eq_u64 s[48:49], 0
	s_cbranch_scc1 .LBB30_10
; %bb.9:
	s_ashr_i32 s25, s24, 31
	s_lshl_b64 s[6:7], s[24:25], 2
	s_add_u32 s6, s48, s6
	s_addc_u32 s7, s49, s7
	s_load_dword s3, s[6:7], 0x0
	s_waitcnt lgkmcnt(0)
	v_writelane_b32 v167, s3, 2
.LBB30_10:
	s_sub_i32 s31, s5, s4
	s_cmp_lt_i32 s31, 1
	s_cbranch_scc1 .LBB30_238
; %bb.11:
	s_sub_i32 s3, 0, s28
	s_mul_i32 s3, s3, s30
	s_mul_hi_u32 s3, s30, s3
	s_load_dwordx8 s[8:15], s[0:1], 0x2c
	s_load_dwordx2 s[20:21], s[0:1], 0x5c
	s_load_dwordx4 s[52:55], s[0:1], 0x4c
	s_abs_i32 s5, s24
	s_add_i32 s30, s30, s3
	s_load_dwordx4 s[56:59], s[0:1], 0x7c
	s_load_dwordx2 s[18:19], s[0:1], 0x6c
	s_load_dwordx2 s[26:27], s[0:1], 0xc8
	s_mul_hi_u32 s3, s5, s30
	s_waitcnt lgkmcnt(0)
	s_load_dword s11, s[0:1], 0xc
	s_load_dword s25, s[0:1], 0x28
	s_ashr_i32 s0, s24, 31
	s_ashr_i32 s1, s29, 31
	s_xor_b32 s0, s0, s1
	s_mul_i32 s1, s3, s28
	s_sub_i32 s1, s5, s1
	s_add_i32 s5, s3, 1
	s_sub_i32 s6, s1, s28
	s_cmp_ge_u32 s1, s28
	s_cselect_b32 s3, s5, s3
	s_cselect_b32 s1, s6, s1
	s_add_i32 s5, s3, 1
	s_cmp_ge_u32 s1, s28
	s_cselect_b32 s1, s5, s3
	s_xor_b32 s1, s1, s0
	s_mul_i32 s6, s4, s54
	s_mov_b32 s7, 0
	s_sub_i32 s3, s1, s0
	s_lshl_b64 s[0:1], s[6:7], 1
	s_add_u32 s5, s44, s0
	s_mul_i32 s6, s55, s24
	s_addc_u32 s16, s45, s1
	s_lshl_b64 s[0:1], s[6:7], 1
	s_add_u32 s22, s5, s0
	s_mul_i32 s6, s4, s20
	s_addc_u32 s23, s16, s1
	s_lshl_b64 s[0:1], s[6:7], 1
	s_add_u32 s5, s46, s0
	s_mul_i32 s6, s21, s24
	s_addc_u32 s16, s47, s1
	s_lshl_b64 s[0:1], s[6:7], 1
	s_add_u32 s0, s5, s0
	s_addc_u32 s1, s16, s1
	v_writelane_b32 v167, s0, 4
	s_mul_i32 s6, s8, s24
	v_mbcnt_lo_u32_b32 v1, -1, 0
	v_writelane_b32 v167, s1, 5
	s_lshl_b64 s[0:1], s[6:7], 2
	s_add_u32 s0, s36, s0
	v_writelane_b32 v167, s0, 6
	s_addc_u32 s0, s37, s1
	s_mul_i32 s6, s4, s10
	v_writelane_b32 v167, s0, 7
	s_lshl_b64 s[0:1], s[6:7], 1
	s_add_u32 s5, s38, s0
	s_mul_i32 s6, s3, s13
	s_addc_u32 s8, s39, s1
	s_lshl_b64 s[0:1], s[6:7], 1
	s_add_u32 s0, s5, s0
	s_addc_u32 s1, s8, s1
	v_writelane_b32 v167, s0, 8
	v_lshlrev_b32_e32 v19, 4, v0
	v_mbcnt_hi_u32_b32 v18, -1, v1
	v_writelane_b32 v167, s1, 9
	s_waitcnt lgkmcnt(0)
	v_writelane_b32 v167, s8, 10
	s_mul_i32 s6, s4, s14
	s_lshl_b64 s[0:1], s[6:7], 1
	v_writelane_b32 v167, s9, 11
	v_writelane_b32 v167, s10, 12
	;; [unrolled: 1-line block ×7, first 2 shown]
	s_add_u32 s5, s40, s0
	v_writelane_b32 v167, s52, 18
	s_mul_i32 s6, s3, s53
	s_addc_u32 s8, s41, s1
	v_writelane_b32 v167, s53, 19
	s_lshl_b64 s[0:1], s[6:7], 1
	v_writelane_b32 v167, s54, 20
	s_add_u32 s0, s5, s0
	v_writelane_b32 v167, s55, 21
	s_addc_u32 s1, s8, s1
	v_writelane_b32 v167, s0, 22
	s_mul_i32 s6, s2, s56
	v_and_b32_e32 v2, 0x400, v19
	v_writelane_b32 v167, s1, 23
	s_lshl_b64 s[0:1], s[6:7], 1
	v_writelane_b32 v167, s56, 24
	s_add_u32 s2, s26, s0
	s_mul_i32 s6, s57, s24
	v_writelane_b32 v167, s57, 25
	s_addc_u32 s3, s27, s1
	v_writelane_b32 v167, s58, 26
	s_lshl_b64 s[0:1], s[6:7], 1
	v_writelane_b32 v167, s59, 27
	s_add_u32 s0, s2, s0
	v_writelane_b32 v167, s0, 28
	s_addc_u32 s0, s3, s1
	v_writelane_b32 v167, s0, 29
	s_add_i32 s0, s31, 0x7ff
	s_lshr_b32 s1, s0, 11
	s_bitcmp1_b32 s25, 0
	v_or_b32_e32 v70, v18, v2
	s_cselect_b64 s[2:3], -1, 0
	v_lshrrev_b32_e32 v1, 5, v70
	v_writelane_b32 v167, s2, 30
	v_and_b32_e32 v1, 34, v1
	v_and_b32_e32 v20, 64, v0
	v_writelane_b32 v167, s3, 31
	s_cmp_gt_i32 s11, 0
	v_add_u32_e32 v3, 64, v70
	v_or_b32_e32 v71, 0x80, v70
	v_add_u32_e32 v4, 0xc0, v70
	v_or_b32_e32 v74, 0x100, v70
	;; [unrolled: 2-line block ×7, first 2 shown]
	v_add_u32_e32 v85, 0x3c0, v70
	v_add_u32_e32 v1, v1, v70
	v_add_u16_e32 v22, v18, v20
	v_writelane_b32 v167, s11, 32
	s_cselect_b64 s[2:3], -1, 0
	v_lshl_add_u32 v86, v1, 1, 0
	v_lshrrev_b32_e32 v1, 5, v3
	v_lshrrev_b32_e32 v3, 5, v71
	;; [unrolled: 1-line block ×15, first 2 shown]
	v_lshrrev_b16_e32 v22, 1, v22
	v_writelane_b32 v167, s2, 33
	v_and_b32_e32 v1, 38, v1
	v_and_b32_e32 v3, 38, v3
	;; [unrolled: 1-line block ×15, first 2 shown]
	v_add_lshl_u32 v21, v18, v20, 4
	v_and_b32_e32 v22, 0x7e, v22
	v_writelane_b32 v167, s3, 34
	v_add_lshl_u32 v1, v1, v70, 1
	v_add_lshl_u32 v3, v3, v70, 1
	;; [unrolled: 1-line block ×16, first 2 shown]
	s_add_i32 s0, 0, 0x1080
	v_writelane_b32 v167, s31, 35
	v_add_u32_e32 v103, s0, v1
	v_add_u32_e32 v104, s0, v3
	;; [unrolled: 1-line block ×16, first 2 shown]
	v_writelane_b32 v167, s1, 36
	s_add_i32 s0, s1, -1
	s_mul_i32 s6, s4, s18
	s_and_b32 s5, s31, 0x7ff
	v_writelane_b32 v167, s0, 37
	s_lshl_b64 s[0:1], s[6:7], 1
	s_add_u32 s2, s50, s0
	s_mul_i32 s6, s19, s24
	s_addc_u32 s3, s51, s1
	s_lshl_b64 s[0:1], s[6:7], 1
	s_add_u32 s2, s2, s0
	s_addc_u32 s3, s3, s1
	s_cmp_eq_u32 s5, 0
	s_cselect_b64 s[0:1], -1, 0
	v_add_u32_e32 v87, 0, v1
	v_writelane_b32 v167, s0, 38
	v_and_b32_e32 v1, 15, v18
	v_cmp_lt_u32_e64 s[4:5], 1, v1
	v_writelane_b32 v167, s1, 39
	v_cmp_eq_u32_e64 s[0:1], 0, v1
	v_writelane_b32 v167, s4, 40
	v_add_u32_e32 v88, 0, v3
	v_and_b32_e32 v3, 64, v18
	v_writelane_b32 v167, s5, 41
	v_cmp_lt_u32_e64 s[4:5], 3, v1
	v_mov_b32_e32 v17, 0
	v_add_u32_e32 v101, 0, v16
	v_writelane_b32 v167, s4, 42
	v_lshlrev_b32_e32 v16, 1, v18
	s_mov_b64 s[8:9], s[22:23]
	v_writelane_b32 v167, s5, 43
	v_cmp_lt_u32_e64 s[4:5], 7, v1
	v_and_b32_e32 v1, 16, v18
	v_lshl_add_u32 v120, v0, 3, 0
	v_writelane_b32 v167, s4, 44
	v_cmp_lt_u32_e64 s[20:21], 63, v0
	v_cmp_eq_u32_e64 s[22:23], 0, v0
	v_writelane_b32 v167, s5, 45
	v_cmp_ne_u32_e64 s[4:5], 0, v1
	v_or_b32_e32 v1, 63, v20
	v_add_u32_e32 v89, 0, v4
	v_writelane_b32 v167, s4, 46
	v_add_u32_e32 v90, 0, v5
	v_add_u32_e32 v91, 0, v6
	v_writelane_b32 v167, s5, 47
	v_cmp_lt_u32_e64 s[4:5], 31, v18
	v_add_u32_e32 v92, 0, v7
	v_add_u32_e32 v93, 0, v8
	v_writelane_b32 v167, s4, 48
	v_add_u32_e32 v94, 0, v9
	v_add_u32_e32 v95, 0, v10
	v_writelane_b32 v167, s5, 49
	v_cmp_eq_u32_e64 s[4:5], v1, v0
	v_lshrrev_b32_e32 v1, 3, v0
	v_and_b32_e32 v1, 8, v1
	v_writelane_b32 v167, s4, 50
	v_add_u32_e32 v119, 0, v1
	v_and_b32_e32 v1, 1, v18
	v_writelane_b32 v167, s5, 51
	v_cmp_gt_u32_e64 s[4:5], 2, v0
	v_add_u32_e32 v96, 0, v11
	v_add_u32_e32 v97, 0, v12
	v_writelane_b32 v167, s4, 52
	v_add_u32_e32 v98, 0, v13
	v_add_u32_e32 v99, 0, v14
	v_writelane_b32 v167, s5, 53
	v_cmp_eq_u32_e64 s[4:5], 0, v1
	v_add_u32_e32 v1, -1, v18
	v_cmp_lt_i32_e32 vcc, v1, v3
	v_writelane_b32 v167, s4, 54
	v_add_u32_e32 v100, 0, v15
	v_cndmask_b32_e32 v1, v1, v18, vcc
	v_writelane_b32 v167, s5, 55
	v_cmp_gt_u32_e64 s[4:5], 64, v0
	v_lshlrev_b32_e32 v121, 2, v1
	v_lshl_add_u64 v[0:1], s[2:3], 0, v[16:17]
	v_writelane_b32 v167, s4, 56
	v_lshlrev_b32_e32 v16, 1, v2
	s_add_i32 s2, 0, 0x2110
	v_writelane_b32 v167, s5, 57
	v_add_u32_e32 v102, 0, v21
	v_cmp_eq_u32_e64 s[24:25], 0, v18
	v_lshl_add_u64 v[20:21], v[0:1], 0, v[16:17]
	v_lshlrev_b32_e32 v22, 1, v2
	s_mov_b32 s6, 0x41a00000
	s_mov_b32 s10, 0x3fb8aa3b
	;; [unrolled: 1-line block ×8, first 2 shown]
	v_writelane_b32 v167, s2, 58
	s_mov_b32 s33, 0xc2fc0000
	s_mov_b32 s3, 0
	v_mov_b32_e32 v137, 0x3ecc95a3
	v_mov_b32_e32 v138, 0x7f800000
	;; [unrolled: 1-line block ×6, first 2 shown]
                                        ; implicit-def: $vgpr0
	s_branch .LBB30_13
.LBB30_12:                              ;   in Loop: Header=BB30_13 Depth=1
	s_or_b64 exec, exec, s[2:3]
	v_readlane_b32 s2, v167, 4
	v_readlane_b32 s3, v167, 5
	s_add_u32 s2, s2, 0x1000
	s_addc_u32 s3, s3, 0
	v_writelane_b32 v167, s2, 4
	s_add_u32 s8, s8, 0x1000
	s_addc_u32 s9, s9, 0
	v_writelane_b32 v167, s3, 5
	s_nop 0
	v_readlane_b32 s2, v167, 8
	v_readlane_b32 s3, v167, 9
	s_add_u32 s2, s2, 0x1000
	s_addc_u32 s3, s3, 0
	v_writelane_b32 v167, s2, 8
	s_nop 1
	v_writelane_b32 v167, s3, 9
	s_nop 0
	v_readlane_b32 s2, v167, 22
	v_readlane_b32 s3, v167, 23
	s_add_u32 s2, s2, 0x1000
	s_addc_u32 s3, s3, 0
	v_writelane_b32 v167, s2, 22
	s_nop 1
	v_writelane_b32 v167, s3, 23
	s_nop 0
	v_readlane_b32 s3, v167, 59
	s_add_i32 s3, s3, 1
	v_readlane_b32 s2, v167, 36
	s_cmp_eq_u32 s3, s2
	s_cbranch_scc1 .LBB30_238
.LBB30_13:                              ; =>This Loop Header: Depth=1
                                        ;     Child Loop BB30_110 Depth 2
	s_lshl_b32 s18, s3, 11
	v_writelane_b32 v167, s3, 59
	s_mov_b32 s4, s18
	v_readlane_b32 s2, v167, 35
	v_writelane_b32 v167, s4, 60
	s_waitcnt lgkmcnt(14)
	v_lshlrev_b32_e32 v16, 1, v18
	s_sub_i32 s88, s2, s18
	v_writelane_b32 v167, s5, 61
	v_writelane_b32 v167, s8, 62
	v_mov_b32_e32 v23, v17
	v_cmp_gt_u32_e64 s[26:27], s88, v70
	v_lshl_add_u64 v[0:1], s[8:9], 0, v[16:17]
	v_writelane_b32 v167, s9, 63
	v_lshl_add_u64 v[0:1], v[0:1], 0, v[22:23]
	s_waitcnt lgkmcnt(0)
	v_mov_b32_e32 v2, 0
	s_barrier
	s_and_saveexec_b64 s[2:3], s[26:27]
	s_cbranch_execz .LBB30_15
; %bb.14:                               ;   in Loop: Header=BB30_13 Depth=1
	global_load_ushort v2, v[0:1], off
.LBB30_15:                              ;   in Loop: Header=BB30_13 Depth=1
	s_or_b64 exec, exec, s[2:3]
	v_add_u32_e32 v3, 64, v70
	v_cmp_gt_u32_e64 s[28:29], s88, v3
	v_mov_b32_e32 v3, 0
	v_mov_b32_e32 v4, 0
	s_and_saveexec_b64 s[2:3], s[28:29]
	s_cbranch_execz .LBB30_17
; %bb.16:                               ;   in Loop: Header=BB30_13 Depth=1
	global_load_ushort v4, v[0:1], off offset:128
.LBB30_17:                              ;   in Loop: Header=BB30_13 Depth=1
	s_or_b64 exec, exec, s[2:3]
	v_cmp_gt_u32_e64 s[30:31], s88, v71
	s_and_saveexec_b64 s[2:3], s[30:31]
	s_cbranch_execz .LBB30_19
; %bb.18:                               ;   in Loop: Header=BB30_13 Depth=1
	global_load_ushort v3, v[0:1], off offset:256
.LBB30_19:                              ;   in Loop: Header=BB30_13 Depth=1
	s_or_b64 exec, exec, s[2:3]
	v_add_u32_e32 v5, 0xc0, v70
	v_cmp_gt_u32_e64 s[34:35], s88, v5
	v_mov_b32_e32 v5, 0
	v_mov_b32_e32 v6, 0
	s_and_saveexec_b64 s[2:3], s[34:35]
	s_cbranch_execz .LBB30_21
; %bb.20:                               ;   in Loop: Header=BB30_13 Depth=1
	global_load_ushort v6, v[0:1], off offset:384
.LBB30_21:                              ;   in Loop: Header=BB30_13 Depth=1
	s_or_b64 exec, exec, s[2:3]
	v_cmp_gt_u32_e64 s[36:37], s88, v74
	s_and_saveexec_b64 s[2:3], s[36:37]
	s_cbranch_execz .LBB30_23
; %bb.22:                               ;   in Loop: Header=BB30_13 Depth=1
	global_load_ushort v5, v[0:1], off offset:512
.LBB30_23:                              ;   in Loop: Header=BB30_13 Depth=1
	s_or_b64 exec, exec, s[2:3]
	v_cmp_gt_u32_e64 s[38:39], s88, v75
	v_mov_b32_e32 v7, 0
	v_mov_b32_e32 v8, 0
	s_and_saveexec_b64 s[2:3], s[38:39]
	s_cbranch_execz .LBB30_25
; %bb.24:                               ;   in Loop: Header=BB30_13 Depth=1
	global_load_ushort v8, v[0:1], off offset:640
.LBB30_25:                              ;   in Loop: Header=BB30_13 Depth=1
	s_or_b64 exec, exec, s[2:3]
	v_cmp_gt_u32_e64 s[40:41], s88, v76
	s_and_saveexec_b64 s[2:3], s[40:41]
	s_cbranch_execz .LBB30_27
; %bb.26:                               ;   in Loop: Header=BB30_13 Depth=1
	global_load_ushort v7, v[0:1], off offset:768
.LBB30_27:                              ;   in Loop: Header=BB30_13 Depth=1
	s_or_b64 exec, exec, s[2:3]
	;; [unrolled: 16-line block ×6, first 2 shown]
	v_cmp_gt_u32_e64 s[58:59], s88, v85
	v_mov_b32_e32 v10, 0
	v_mov_b32_e32 v26, 0
	s_and_saveexec_b64 s[2:3], s[58:59]
	s_cbranch_execz .LBB30_45
; %bb.44:                               ;   in Loop: Header=BB30_13 Depth=1
	global_load_ushort v26, v[0:1], off offset:1920
.LBB30_45:                              ;   in Loop: Header=BB30_13 Depth=1
	s_or_b64 exec, exec, s[2:3]
	s_waitcnt vmcnt(0)
	ds_write_b16 v86, v2
	ds_write_b16 v87, v4 offset:128
	ds_write_b16 v88, v3 offset:256
	;; [unrolled: 1-line block ×15, first 2 shown]
	; wave barrier
	ds_read_b128 v[0:3], v102
	ds_read_b128 v[4:7], v102 offset:16
	v_readlane_b32 s2, v167, 4
	v_readlane_b32 s3, v167, 5
	v_mov_b32_e32 v23, v17
	s_waitcnt lgkmcnt(0)
	v_lshl_add_u64 v[8:9], s[2:3], 0, v[16:17]
	v_lshl_add_u64 v[8:9], v[8:9], 0, v[22:23]
	s_barrier
	s_and_saveexec_b64 s[2:3], s[26:27]
	s_cbranch_execz .LBB30_47
; %bb.46:                               ;   in Loop: Header=BB30_13 Depth=1
	global_load_ushort v10, v[8:9], off
.LBB30_47:                              ;   in Loop: Header=BB30_13 Depth=1
	s_or_b64 exec, exec, s[2:3]
	v_mov_b32_e32 v11, 0
	v_mov_b32_e32 v12, 0
	s_and_saveexec_b64 s[2:3], s[28:29]
	s_cbranch_execz .LBB30_49
; %bb.48:                               ;   in Loop: Header=BB30_13 Depth=1
	global_load_ushort v12, v[8:9], off offset:128
.LBB30_49:                              ;   in Loop: Header=BB30_13 Depth=1
	s_or_b64 exec, exec, s[2:3]
	s_and_saveexec_b64 s[2:3], s[30:31]
	s_cbranch_execz .LBB30_51
; %bb.50:                               ;   in Loop: Header=BB30_13 Depth=1
	global_load_ushort v11, v[8:9], off offset:256
.LBB30_51:                              ;   in Loop: Header=BB30_13 Depth=1
	s_or_b64 exec, exec, s[2:3]
	v_mov_b32_e32 v13, 0
	v_mov_b32_e32 v14, 0
	s_and_saveexec_b64 s[2:3], s[34:35]
	s_cbranch_execz .LBB30_53
; %bb.52:                               ;   in Loop: Header=BB30_13 Depth=1
	global_load_ushort v14, v[8:9], off offset:384
.LBB30_53:                              ;   in Loop: Header=BB30_13 Depth=1
	s_or_b64 exec, exec, s[2:3]
	s_and_saveexec_b64 s[2:3], s[36:37]
	s_cbranch_execz .LBB30_55
; %bb.54:                               ;   in Loop: Header=BB30_13 Depth=1
	global_load_ushort v13, v[8:9], off offset:512
.LBB30_55:                              ;   in Loop: Header=BB30_13 Depth=1
	;; [unrolled: 14-line block ×6, first 2 shown]
	s_or_b64 exec, exec, s[2:3]
	v_mov_b32_e32 v31, 0
	v_mov_b32_e32 v32, 0
	s_and_saveexec_b64 s[2:3], s[54:55]
	s_cbranch_execnz .LBB30_221
; %bb.72:                               ;   in Loop: Header=BB30_13 Depth=1
	s_or_b64 exec, exec, s[2:3]
	s_and_saveexec_b64 s[2:3], s[56:57]
	s_cbranch_execnz .LBB30_222
.LBB30_73:                              ;   in Loop: Header=BB30_13 Depth=1
	s_or_b64 exec, exec, s[2:3]
	v_mov_b32_e32 v33, 0
	s_and_saveexec_b64 s[2:3], s[58:59]
	s_cbranch_execz .LBB30_75
.LBB30_74:                              ;   in Loop: Header=BB30_13 Depth=1
	global_load_ushort v33, v[8:9], off offset:1920
.LBB30_75:                              ;   in Loop: Header=BB30_13 Depth=1
	s_or_b64 exec, exec, s[2:3]
	s_waitcnt vmcnt(0)
	ds_write_b16 v86, v10
	ds_write_b16 v87, v12 offset:128
	ds_write_b16 v88, v11 offset:256
	;; [unrolled: 1-line block ×15, first 2 shown]
	; wave barrier
	ds_read_b128 v[12:15], v102
	ds_read_b128 v[8:11], v102 offset:16
	v_readlane_b32 s2, v167, 2
	s_waitcnt lgkmcnt(1)
	v_lshlrev_b32_e32 v23, 16, v12
	v_add_f32_e32 v142, s2, v23
	v_readlane_b32 s2, v167, 30
	v_cmp_ge_f32_e32 vcc, s6, v142
	v_readlane_b32 s3, v167, 31
	s_and_b64 s[2:3], s[2:3], vcc
	s_and_saveexec_b64 s[4:5], s[2:3]
	s_cbranch_execz .LBB30_77
; %bb.76:                               ;   in Loop: Header=BB30_13 Depth=1
	v_mul_f32_e32 v23, 0x3fb8aa3b, v142
	v_rndne_f32_e32 v25, v23
	v_sub_f32_e32 v26, v23, v25
	v_fma_f32 v23, v142, s10, -v23
	v_fmac_f32_e32 v23, 0x32a5705f, v142
	v_add_f32_e32 v23, v26, v23
	v_cvt_i32_f32_e32 v25, v25
	v_exp_f32_e32 v23, v23
	v_cmp_ngt_f32_e32 vcc, s11, v142
	v_ldexp_f32 v23, v23, v25
	s_nop 0
	v_cndmask_b32_e32 v23, 0, v23, vcc
	v_cmp_nlt_f32_e32 vcc, s12, v142
	s_nop 1
	v_cndmask_b32_e32 v42, v138, v23, vcc
	v_add_f32_e32 v23, 1.0, v42
	v_add_f32_e32 v25, -1.0, v23
	v_sub_f32_e32 v26, v25, v23
	v_add_f32_e32 v26, 1.0, v26
	v_sub_f32_e32 v25, v42, v25
	v_add_f32_e32 v25, v25, v26
	v_frexp_mant_f32_e32 v28, v23
	v_cvt_f64_f32_e32 v[26:27], v23
	v_frexp_exp_i32_f64_e32 v26, v[26:27]
	v_cmp_gt_f32_e32 vcc, s14, v28
	v_cmp_gt_f32_e64 s[60:61], s16, v42
	s_nop 0
	v_subbrev_co_u32_e32 v34, vcc, 0, v26, vcc
	v_sub_u32_e32 v26, 0, v34
	v_ldexp_f32 v23, v23, v26
	v_ldexp_f32 v25, v25, v26
	v_add_f32_e32 v26, -1.0, v23
	v_add_f32_e32 v27, 1.0, v26
	v_sub_f32_e32 v27, v23, v27
	v_add_f32_e32 v28, v25, v27
	v_add_f32_e32 v27, 1.0, v23
	v_add_f32_e32 v29, -1.0, v27
	v_sub_f32_e32 v23, v23, v29
	v_add_f32_e32 v23, v25, v23
	v_add_f32_e32 v25, v27, v23
	v_rcp_f32_e32 v35, v25
	v_sub_f32_e32 v27, v27, v25
	v_add_f32_e32 v23, v23, v27
	v_add_f32_e32 v27, v26, v28
	v_sub_f32_e32 v26, v26, v27
	v_mul_f32_e32 v37, v27, v35
	v_add_f32_e32 v36, v28, v26
	v_mul_f32_e32 v28, v25, v37
	v_fma_f32 v30, v37, v25, -v28
	v_fmac_f32_e32 v30, v37, v23
	v_add_f32_e32 v26, v28, v30
	v_sub_f32_e32 v29, v27, v26
	v_pk_add_f32 v[32:33], v[26:27], v[28:29] neg_lo:[0,1] neg_hi:[0,1]
	v_mov_b32_e32 v31, v26
	v_pk_add_f32 v[26:27], v[32:33], v[30:31] neg_lo:[0,1] neg_hi:[0,1]
	v_cmp_eq_f32_e32 vcc, s13, v42
	v_add_f32_e32 v27, v36, v27
	v_add_f32_e32 v26, v26, v27
	;; [unrolled: 1-line block ×3, first 2 shown]
	v_mul_f32_e32 v36, v35, v27
	v_mul_f32_e32 v28, v25, v36
	v_fma_f32 v30, v36, v25, -v28
	v_fmac_f32_e32 v30, v36, v23
	v_sub_f32_e32 v23, v29, v27
	v_add_f32_e32 v23, v26, v23
	v_add_f32_e32 v26, v28, v30
	v_sub_f32_e32 v29, v27, v26
	v_pk_add_f32 v[32:33], v[26:27], v[28:29] neg_lo:[0,1] neg_hi:[0,1]
	v_mov_b32_e32 v31, v26
	v_pk_add_f32 v[26:27], v[32:33], v[30:31] neg_lo:[0,1] neg_hi:[0,1]
	s_or_b64 vcc, s[60:61], vcc
	v_add_f32_e32 v23, v23, v27
	v_add_f32_e32 v23, v26, v23
	;; [unrolled: 1-line block ×4, first 2 shown]
	v_sub_f32_e32 v25, v27, v37
	v_mul_f32_e32 v23, v35, v23
	v_sub_f32_e32 v25, v36, v25
	v_add_f32_e32 v23, v25, v23
	v_add_f32_e32 v28, v27, v23
	v_cvt_f32_i32_e32 v26, v34
	v_mul_f32_e32 v30, v28, v28
	v_fmamk_f32 v25, v30, 0x3e9b6dac, v137
	v_sub_f32_e32 v27, v28, v27
	v_fmaak_f32 v25, v30, v25, 0x3f2aaada
	v_sub_f32_e32 v23, v23, v27
	v_mul_f32_e32 v27, v28, v30
	v_pk_mul_f32 v[30:31], v[26:27], v[24:25]
	v_ldexp_f32 v29, v28, 1
	v_fma_f32 v28, v26, s15, -v30
	v_fmac_f32_e32 v28, 0xb102e308, v26
	v_pk_add_f32 v[26:27], v[30:31], v[28:29]
	v_ldexp_f32 v23, v23, 1
	v_sub_f32_e32 v25, v27, v29
	v_sub_f32_e32 v25, v31, v25
	v_add_f32_e32 v33, v23, v25
	v_mov_b32_e32 v32, v30
	v_pk_add_f32 v[30:31], v[26:27], v[30:31] neg_lo:[0,1] neg_hi:[0,1]
	v_pk_add_f32 v[34:35], v[26:27], v[32:33]
	v_mov_b32_e32 v29, v26
	v_mov_b32_e32 v31, v35
	v_pk_add_f32 v[36:37], v[28:29], v[30:31] neg_lo:[0,1] neg_hi:[0,1]
	v_pk_add_f32 v[28:29], v[28:29], v[30:31]
	v_mov_b32_e32 v32, v33
	v_mov_b32_e32 v30, v29
	v_pk_add_f32 v[38:39], v[30:31], v[26:27] neg_lo:[0,1] neg_hi:[0,1]
	v_mov_b32_e32 v28, v35
	v_mov_b32_e32 v23, v38
	v_pk_add_f32 v[40:41], v[34:35], v[22:23] neg_lo:[0,1] neg_hi:[0,1]
	v_mov_b32_e32 v34, v27
	v_mov_b32_e32 v35, v38
	;; [unrolled: 1-line block ×3, first 2 shown]
	v_pk_add_f32 v[28:29], v[28:29], v[34:35] neg_lo:[0,1] neg_hi:[0,1]
	v_mov_b32_e32 v33, v26
	v_pk_add_f32 v[26:27], v[32:33], v[28:29] neg_lo:[0,1] neg_hi:[0,1]
	v_mov_b32_e32 v40, v36
	v_pk_add_f32 v[28:29], v[40:41], v[26:27]
	s_nop 0
	v_mov_b32_e32 v32, v29
	v_pk_add_f32 v[32:33], v[28:29], v[32:33]
	s_nop 0
	v_pk_add_f32 v[30:31], v[30:31], v[32:33]
	v_mov_b32_e32 v27, v32
	v_mov_b32_e32 v29, v30
	v_pk_add_f32 v[34:35], v[28:29], v[36:37] neg_lo:[0,1] neg_hi:[0,1]
	s_nop 0
	v_sub_f32_e32 v23, v28, v34
	v_pk_add_f32 v[26:27], v[26:27], v[34:35] neg_lo:[0,1] neg_hi:[0,1]
	v_sub_f32_e32 v23, v36, v23
	v_add_f32_e32 v23, v26, v23
	v_add_f32_e32 v23, v23, v27
	;; [unrolled: 1-line block ×3, first 2 shown]
	v_cndmask_b32_e32 v142, v23, v42, vcc
.LBB30_77:                              ;   in Loop: Header=BB30_13 Depth=1
	s_or_b64 exec, exec, s[4:5]
	v_and_b32_e32 v12, 0xffff0000, v12
	v_readlane_b32 s2, v167, 2
	s_nop 1
	v_add_f32_e32 v143, s2, v12
	v_readlane_b32 s2, v167, 30
	v_cmp_ge_f32_e32 vcc, s6, v143
	v_readlane_b32 s3, v167, 31
	s_and_b64 s[2:3], s[2:3], vcc
	s_and_saveexec_b64 s[4:5], s[2:3]
	s_cbranch_execz .LBB30_79
; %bb.78:                               ;   in Loop: Header=BB30_13 Depth=1
	v_mul_f32_e32 v12, 0x3fb8aa3b, v143
	v_rndne_f32_e32 v23, v12
	v_sub_f32_e32 v25, v12, v23
	v_fma_f32 v12, v143, s10, -v12
	v_fmac_f32_e32 v12, 0x32a5705f, v143
	v_add_f32_e32 v12, v25, v12
	v_cvt_i32_f32_e32 v23, v23
	v_exp_f32_e32 v12, v12
	v_cmp_ngt_f32_e32 vcc, s11, v143
	v_ldexp_f32 v12, v12, v23
	s_nop 0
	v_cndmask_b32_e32 v12, 0, v12, vcc
	v_cmp_nlt_f32_e32 vcc, s12, v143
	s_nop 1
	v_cndmask_b32_e32 v40, v138, v12, vcc
	v_add_f32_e32 v12, 1.0, v40
	v_add_f32_e32 v23, -1.0, v12
	v_sub_f32_e32 v25, v23, v12
	v_add_f32_e32 v25, 1.0, v25
	v_sub_f32_e32 v23, v40, v23
	v_add_f32_e32 v23, v23, v25
	v_frexp_mant_f32_e32 v25, v12
	v_cvt_f64_f32_e32 v[26:27], v12
	v_frexp_exp_i32_f64_e32 v26, v[26:27]
	v_cmp_gt_f32_e32 vcc, s14, v25
	v_cmp_gt_f32_e64 s[60:61], s16, v40
	s_nop 0
	v_subbrev_co_u32_e32 v34, vcc, 0, v26, vcc
	v_sub_u32_e32 v25, 0, v34
	v_ldexp_f32 v12, v12, v25
	v_ldexp_f32 v23, v23, v25
	v_add_f32_e32 v25, -1.0, v12
	v_add_f32_e32 v27, 1.0, v12
	v_add_f32_e32 v26, 1.0, v25
	v_add_f32_e32 v28, -1.0, v27
	v_sub_f32_e32 v26, v12, v26
	v_sub_f32_e32 v12, v12, v28
	v_add_f32_e32 v12, v23, v12
	v_add_f32_e32 v26, v23, v26
	;; [unrolled: 1-line block ×3, first 2 shown]
	v_rcp_f32_e32 v35, v23
	v_sub_f32_e32 v27, v27, v23
	v_add_f32_e32 v12, v12, v27
	v_add_f32_e32 v27, v25, v26
	v_mul_f32_e32 v36, v27, v35
	v_mul_f32_e32 v28, v23, v36
	v_fma_f32 v30, v36, v23, -v28
	v_sub_f32_e32 v25, v25, v27
	v_fmac_f32_e32 v30, v36, v12
	v_add_f32_e32 v25, v26, v25
	v_add_f32_e32 v26, v28, v30
	v_sub_f32_e32 v29, v27, v26
	v_pk_add_f32 v[32:33], v[26:27], v[28:29] neg_lo:[0,1] neg_hi:[0,1]
	v_mov_b32_e32 v31, v26
	v_pk_add_f32 v[26:27], v[32:33], v[30:31] neg_lo:[0,1] neg_hi:[0,1]
	v_cmp_eq_f32_e32 vcc, s13, v40
	v_add_f32_e32 v25, v25, v27
	v_add_f32_e32 v25, v26, v25
	;; [unrolled: 1-line block ×3, first 2 shown]
	v_mul_f32_e32 v37, v35, v27
	v_mul_f32_e32 v28, v23, v37
	v_fma_f32 v30, v37, v23, -v28
	v_fmac_f32_e32 v30, v37, v12
	v_add_f32_e32 v26, v28, v30
	v_sub_f32_e32 v12, v29, v27
	v_sub_f32_e32 v29, v27, v26
	v_pk_add_f32 v[32:33], v[26:27], v[28:29] neg_lo:[0,1] neg_hi:[0,1]
	v_mov_b32_e32 v31, v26
	v_add_f32_e32 v12, v25, v12
	v_pk_add_f32 v[26:27], v[32:33], v[30:31] neg_lo:[0,1] neg_hi:[0,1]
	v_add_f32_e32 v23, v36, v37
	v_add_f32_e32 v12, v12, v27
	;; [unrolled: 1-line block ×4, first 2 shown]
	v_sub_f32_e32 v25, v23, v36
	v_mul_f32_e32 v12, v35, v12
	v_sub_f32_e32 v25, v37, v25
	v_add_f32_e32 v12, v25, v12
	v_add_f32_e32 v27, v23, v12
	v_cvt_f32_i32_e32 v26, v34
	v_mul_f32_e32 v28, v27, v27
	v_fmamk_f32 v25, v28, 0x3e9b6dac, v137
	v_fmaak_f32 v25, v28, v25, 0x3f2aaada
	v_sub_f32_e32 v23, v27, v23
	v_ldexp_f32 v29, v27, 1
	v_mul_f32_e32 v27, v27, v28
	v_pk_mul_f32 v[30:31], v[26:27], v[24:25]
	v_sub_f32_e32 v12, v12, v23
	v_fma_f32 v28, v26, s15, -v30
	v_fmac_f32_e32 v28, 0xb102e308, v26
	v_pk_add_f32 v[26:27], v[30:31], v[28:29]
	v_ldexp_f32 v12, v12, 1
	v_sub_f32_e32 v23, v27, v29
	v_sub_f32_e32 v23, v31, v23
	v_add_f32_e32 v33, v12, v23
	v_mov_b32_e32 v32, v30
	v_pk_add_f32 v[30:31], v[26:27], v[30:31] neg_lo:[0,1] neg_hi:[0,1]
	v_pk_add_f32 v[34:35], v[26:27], v[32:33]
	v_mov_b32_e32 v29, v26
	v_mov_b32_e32 v31, v35
	v_pk_add_f32 v[36:37], v[28:29], v[30:31] neg_lo:[0,1] neg_hi:[0,1]
	v_pk_add_f32 v[28:29], v[28:29], v[30:31]
	s_or_b64 vcc, s[60:61], vcc
	v_mov_b32_e32 v12, v29
	v_pk_add_f32 v[30:31], v[12:13], v[26:27] neg_lo:[0,1] neg_hi:[0,1]
	v_mov_b32_e32 v28, v35
	v_mov_b32_e32 v23, v30
	v_pk_add_f32 v[38:39], v[34:35], v[22:23] neg_lo:[0,1] neg_hi:[0,1]
	v_mov_b32_e32 v34, v27
	v_mov_b32_e32 v35, v30
	;; [unrolled: 1-line block ×3, first 2 shown]
	v_pk_add_f32 v[28:29], v[28:29], v[34:35] neg_lo:[0,1] neg_hi:[0,1]
	v_mov_b32_e32 v30, v33
	v_mov_b32_e32 v31, v26
	v_pk_add_f32 v[26:27], v[30:31], v[28:29] neg_lo:[0,1] neg_hi:[0,1]
	v_mov_b32_e32 v38, v36
	v_pk_add_f32 v[28:29], v[38:39], v[26:27]
	s_nop 0
	v_mov_b32_e32 v30, v29
	v_pk_add_f32 v[30:31], v[28:29], v[30:31]
	s_nop 0
	v_pk_add_f32 v[32:33], v[12:13], v[30:31]
	v_mov_b32_e32 v27, v30
	v_mov_b32_e32 v29, v32
	v_pk_add_f32 v[34:35], v[28:29], v[36:37] neg_lo:[0,1] neg_hi:[0,1]
	s_nop 0
	v_sub_f32_e32 v12, v28, v34
	v_pk_add_f32 v[26:27], v[26:27], v[34:35] neg_lo:[0,1] neg_hi:[0,1]
	v_sub_f32_e32 v12, v36, v12
	v_add_f32_e32 v12, v26, v12
	v_add_f32_e32 v12, v12, v27
	;; [unrolled: 1-line block ×3, first 2 shown]
	v_cndmask_b32_e32 v143, v12, v40, vcc
.LBB30_79:                              ;   in Loop: Header=BB30_13 Depth=1
	s_or_b64 exec, exec, s[4:5]
	v_lshlrev_b32_e32 v12, 16, v13
	v_readlane_b32 s2, v167, 2
	s_nop 1
	v_add_f32_e32 v144, s2, v12
	v_readlane_b32 s2, v167, 30
	v_cmp_ge_f32_e32 vcc, s6, v144
	v_readlane_b32 s3, v167, 31
	s_and_b64 s[2:3], s[2:3], vcc
	s_and_saveexec_b64 s[4:5], s[2:3]
	s_cbranch_execz .LBB30_81
; %bb.80:                               ;   in Loop: Header=BB30_13 Depth=1
	v_mul_f32_e32 v12, 0x3fb8aa3b, v144
	v_rndne_f32_e32 v23, v12
	v_sub_f32_e32 v25, v12, v23
	v_fma_f32 v12, v144, s10, -v12
	v_fmac_f32_e32 v12, 0x32a5705f, v144
	v_add_f32_e32 v12, v25, v12
	v_cvt_i32_f32_e32 v23, v23
	v_exp_f32_e32 v12, v12
	v_cmp_ngt_f32_e32 vcc, s11, v144
	v_ldexp_f32 v12, v12, v23
	s_nop 0
	v_cndmask_b32_e32 v12, 0, v12, vcc
	v_cmp_nlt_f32_e32 vcc, s12, v144
	s_nop 1
	v_cndmask_b32_e32 v40, v138, v12, vcc
	v_add_f32_e32 v12, 1.0, v40
	v_add_f32_e32 v23, -1.0, v12
	v_sub_f32_e32 v25, v23, v12
	v_add_f32_e32 v25, 1.0, v25
	v_sub_f32_e32 v23, v40, v23
	v_add_f32_e32 v23, v23, v25
	v_frexp_mant_f32_e32 v25, v12
	v_cvt_f64_f32_e32 v[26:27], v12
	v_frexp_exp_i32_f64_e32 v26, v[26:27]
	v_cmp_gt_f32_e32 vcc, s14, v25
	v_cmp_gt_f32_e64 s[60:61], s16, v40
	s_nop 0
	v_subbrev_co_u32_e32 v34, vcc, 0, v26, vcc
	v_sub_u32_e32 v25, 0, v34
	v_ldexp_f32 v12, v12, v25
	v_ldexp_f32 v23, v23, v25
	v_add_f32_e32 v25, -1.0, v12
	v_add_f32_e32 v27, 1.0, v12
	v_add_f32_e32 v26, 1.0, v25
	v_add_f32_e32 v28, -1.0, v27
	v_sub_f32_e32 v26, v12, v26
	v_sub_f32_e32 v12, v12, v28
	v_add_f32_e32 v12, v23, v12
	v_add_f32_e32 v26, v23, v26
	v_add_f32_e32 v23, v27, v12
	v_rcp_f32_e32 v35, v23
	v_sub_f32_e32 v27, v27, v23
	v_add_f32_e32 v12, v12, v27
	v_add_f32_e32 v27, v25, v26
	v_mul_f32_e32 v36, v27, v35
	v_mul_f32_e32 v28, v23, v36
	v_fma_f32 v30, v36, v23, -v28
	v_sub_f32_e32 v25, v25, v27
	v_fmac_f32_e32 v30, v36, v12
	v_add_f32_e32 v25, v26, v25
	v_add_f32_e32 v26, v28, v30
	v_sub_f32_e32 v29, v27, v26
	v_pk_add_f32 v[32:33], v[26:27], v[28:29] neg_lo:[0,1] neg_hi:[0,1]
	v_mov_b32_e32 v31, v26
	v_pk_add_f32 v[26:27], v[32:33], v[30:31] neg_lo:[0,1] neg_hi:[0,1]
	v_cmp_eq_f32_e32 vcc, s13, v40
	v_add_f32_e32 v25, v25, v27
	v_add_f32_e32 v25, v26, v25
	;; [unrolled: 1-line block ×3, first 2 shown]
	v_mul_f32_e32 v37, v35, v27
	v_mul_f32_e32 v28, v23, v37
	v_fma_f32 v30, v37, v23, -v28
	v_fmac_f32_e32 v30, v37, v12
	v_add_f32_e32 v26, v28, v30
	v_sub_f32_e32 v12, v29, v27
	v_sub_f32_e32 v29, v27, v26
	v_pk_add_f32 v[32:33], v[26:27], v[28:29] neg_lo:[0,1] neg_hi:[0,1]
	v_mov_b32_e32 v31, v26
	v_add_f32_e32 v12, v25, v12
	v_pk_add_f32 v[26:27], v[32:33], v[30:31] neg_lo:[0,1] neg_hi:[0,1]
	v_add_f32_e32 v23, v36, v37
	v_add_f32_e32 v12, v12, v27
	;; [unrolled: 1-line block ×4, first 2 shown]
	v_sub_f32_e32 v25, v23, v36
	v_mul_f32_e32 v12, v35, v12
	v_sub_f32_e32 v25, v37, v25
	v_add_f32_e32 v12, v25, v12
	v_add_f32_e32 v27, v23, v12
	v_cvt_f32_i32_e32 v26, v34
	v_mul_f32_e32 v28, v27, v27
	v_fmamk_f32 v25, v28, 0x3e9b6dac, v137
	v_fmaak_f32 v25, v28, v25, 0x3f2aaada
	v_sub_f32_e32 v23, v27, v23
	v_ldexp_f32 v29, v27, 1
	v_mul_f32_e32 v27, v27, v28
	v_pk_mul_f32 v[30:31], v[26:27], v[24:25]
	v_sub_f32_e32 v12, v12, v23
	v_fma_f32 v28, v26, s15, -v30
	v_fmac_f32_e32 v28, 0xb102e308, v26
	v_pk_add_f32 v[26:27], v[30:31], v[28:29]
	v_ldexp_f32 v12, v12, 1
	v_sub_f32_e32 v23, v27, v29
	v_sub_f32_e32 v23, v31, v23
	v_add_f32_e32 v33, v12, v23
	v_mov_b32_e32 v32, v30
	v_pk_add_f32 v[30:31], v[26:27], v[30:31] neg_lo:[0,1] neg_hi:[0,1]
	v_pk_add_f32 v[34:35], v[26:27], v[32:33]
	v_mov_b32_e32 v29, v26
	v_mov_b32_e32 v31, v35
	v_pk_add_f32 v[36:37], v[28:29], v[30:31] neg_lo:[0,1] neg_hi:[0,1]
	v_pk_add_f32 v[28:29], v[28:29], v[30:31]
	s_or_b64 vcc, s[60:61], vcc
	v_mov_b32_e32 v12, v29
	v_pk_add_f32 v[30:31], v[12:13], v[26:27] neg_lo:[0,1] neg_hi:[0,1]
	v_mov_b32_e32 v28, v35
	v_mov_b32_e32 v23, v30
	v_pk_add_f32 v[38:39], v[34:35], v[22:23] neg_lo:[0,1] neg_hi:[0,1]
	v_mov_b32_e32 v34, v27
	v_mov_b32_e32 v35, v30
	;; [unrolled: 1-line block ×3, first 2 shown]
	v_pk_add_f32 v[28:29], v[28:29], v[34:35] neg_lo:[0,1] neg_hi:[0,1]
	v_mov_b32_e32 v30, v33
	v_mov_b32_e32 v31, v26
	v_pk_add_f32 v[26:27], v[30:31], v[28:29] neg_lo:[0,1] neg_hi:[0,1]
	v_mov_b32_e32 v38, v36
	v_pk_add_f32 v[28:29], v[38:39], v[26:27]
	s_nop 0
	v_mov_b32_e32 v30, v29
	v_pk_add_f32 v[30:31], v[28:29], v[30:31]
	s_nop 0
	v_pk_add_f32 v[32:33], v[12:13], v[30:31]
	v_mov_b32_e32 v27, v30
	v_mov_b32_e32 v29, v32
	v_pk_add_f32 v[34:35], v[28:29], v[36:37] neg_lo:[0,1] neg_hi:[0,1]
	s_nop 0
	v_sub_f32_e32 v12, v28, v34
	v_pk_add_f32 v[26:27], v[26:27], v[34:35] neg_lo:[0,1] neg_hi:[0,1]
	v_sub_f32_e32 v12, v36, v12
	v_add_f32_e32 v12, v26, v12
	v_add_f32_e32 v12, v12, v27
	;; [unrolled: 1-line block ×3, first 2 shown]
	v_cndmask_b32_e32 v144, v12, v40, vcc
.LBB30_81:                              ;   in Loop: Header=BB30_13 Depth=1
	s_or_b64 exec, exec, s[4:5]
	v_and_b32_e32 v12, 0xffff0000, v13
	v_readlane_b32 s2, v167, 2
	s_nop 1
	v_add_f32_e32 v145, s2, v12
	v_readlane_b32 s2, v167, 30
	v_cmp_ge_f32_e32 vcc, s6, v145
	v_readlane_b32 s3, v167, 31
	s_and_b64 s[2:3], s[2:3], vcc
	s_and_saveexec_b64 s[4:5], s[2:3]
	s_cbranch_execz .LBB30_83
; %bb.82:                               ;   in Loop: Header=BB30_13 Depth=1
	v_mul_f32_e32 v12, 0x3fb8aa3b, v145
	v_rndne_f32_e32 v13, v12
	v_sub_f32_e32 v23, v12, v13
	v_fma_f32 v12, v145, s10, -v12
	v_fmac_f32_e32 v12, 0x32a5705f, v145
	v_add_f32_e32 v12, v23, v12
	v_cvt_i32_f32_e32 v13, v13
	v_exp_f32_e32 v12, v12
	v_cmp_ngt_f32_e32 vcc, s11, v145
	v_ldexp_f32 v12, v12, v13
	s_nop 0
	v_cndmask_b32_e32 v12, 0, v12, vcc
	v_cmp_nlt_f32_e32 vcc, s12, v145
	s_nop 1
	v_cndmask_b32_e32 v40, v138, v12, vcc
	v_add_f32_e32 v23, 1.0, v40
	v_add_f32_e32 v12, -1.0, v23
	v_sub_f32_e32 v13, v12, v23
	v_add_f32_e32 v13, 1.0, v13
	v_sub_f32_e32 v12, v40, v12
	v_add_f32_e32 v25, v12, v13
	v_frexp_mant_f32_e32 v26, v23
	v_cvt_f64_f32_e32 v[12:13], v23
	v_frexp_exp_i32_f64_e32 v12, v[12:13]
	v_cmp_gt_f32_e32 vcc, s14, v26
	v_cmp_gt_f32_e64 s[60:61], s16, v40
	s_nop 0
	v_subbrev_co_u32_e32 v32, vcc, 0, v12, vcc
	v_sub_u32_e32 v12, 0, v32
	v_ldexp_f32 v13, v23, v12
	v_add_f32_e32 v23, -1.0, v13
	v_add_f32_e32 v26, 1.0, v13
	v_ldexp_f32 v12, v25, v12
	v_add_f32_e32 v25, 1.0, v23
	v_add_f32_e32 v27, -1.0, v26
	v_sub_f32_e32 v25, v13, v25
	v_sub_f32_e32 v13, v13, v27
	v_add_f32_e32 v25, v12, v25
	v_add_f32_e32 v12, v12, v13
	;; [unrolled: 1-line block ×3, first 2 shown]
	v_rcp_f32_e32 v35, v33
	v_sub_f32_e32 v13, v26, v33
	v_add_f32_e32 v34, v12, v13
	v_add_f32_e32 v13, v23, v25
	v_sub_f32_e32 v12, v23, v13
	v_add_f32_e32 v23, v25, v12
	v_mul_f32_e32 v25, v13, v35
	v_mul_f32_e32 v26, v33, v25
	v_fma_f32 v28, v25, v33, -v26
	v_fmac_f32_e32 v28, v25, v34
	v_add_f32_e32 v12, v26, v28
	v_sub_f32_e32 v27, v13, v12
	v_pk_add_f32 v[30:31], v[12:13], v[26:27] neg_lo:[0,1] neg_hi:[0,1]
	v_mov_b32_e32 v29, v12
	v_pk_add_f32 v[12:13], v[30:31], v[28:29] neg_lo:[0,1] neg_hi:[0,1]
	v_cmp_eq_f32_e32 vcc, s13, v40
	v_add_f32_e32 v13, v23, v13
	v_add_f32_e32 v12, v12, v13
	;; [unrolled: 1-line block ×3, first 2 shown]
	v_mul_f32_e32 v23, v35, v13
	v_mul_f32_e32 v26, v33, v23
	v_fma_f32 v28, v23, v33, -v26
	v_fmac_f32_e32 v28, v23, v34
	v_sub_f32_e32 v27, v27, v13
	v_add_f32_e32 v33, v12, v27
	v_add_f32_e32 v12, v26, v28
	v_sub_f32_e32 v27, v13, v12
	v_pk_add_f32 v[30:31], v[12:13], v[26:27] neg_lo:[0,1] neg_hi:[0,1]
	v_mov_b32_e32 v29, v12
	v_pk_add_f32 v[12:13], v[30:31], v[28:29] neg_lo:[0,1] neg_hi:[0,1]
	s_or_b64 vcc, s[60:61], vcc
	v_add_f32_e32 v13, v33, v13
	v_add_f32_e32 v12, v12, v13
	;; [unrolled: 1-line block ×4, first 2 shown]
	v_sub_f32_e32 v25, v13, v25
	v_mul_f32_e32 v12, v35, v12
	v_sub_f32_e32 v23, v23, v25
	v_add_f32_e32 v23, v23, v12
	v_add_f32_e32 v26, v13, v23
	v_mul_f32_e32 v28, v26, v26
	v_fmamk_f32 v12, v28, 0x3e9b6dac, v137
	v_fmaak_f32 v25, v28, v12, 0x3f2aaada
	v_cvt_f32_i32_e32 v12, v32
	v_sub_f32_e32 v13, v26, v13
	v_sub_f32_e32 v13, v23, v13
	v_ldexp_f32 v23, v13, 1
	v_mul_f32_e32 v13, v26, v28
	v_pk_mul_f32 v[28:29], v[12:13], v[24:25]
	v_ldexp_f32 v27, v26, 1
	v_fma_f32 v26, v12, s15, -v28
	v_fmac_f32_e32 v26, 0xb102e308, v12
	v_pk_add_f32 v[12:13], v[28:29], v[26:27]
	v_mov_b32_e32 v30, v28
	v_sub_f32_e32 v25, v13, v27
	v_sub_f32_e32 v25, v29, v25
	v_add_f32_e32 v31, v23, v25
	v_pk_add_f32 v[28:29], v[12:13], v[28:29] neg_lo:[0,1] neg_hi:[0,1]
	v_pk_add_f32 v[32:33], v[12:13], v[30:31]
	v_mov_b32_e32 v27, v12
	v_mov_b32_e32 v29, v33
	v_pk_add_f32 v[34:35], v[26:27], v[28:29] neg_lo:[0,1] neg_hi:[0,1]
	v_pk_add_f32 v[26:27], v[26:27], v[28:29]
	v_mov_b32_e32 v30, v31
	v_mov_b32_e32 v28, v27
	v_pk_add_f32 v[36:37], v[28:29], v[12:13] neg_lo:[0,1] neg_hi:[0,1]
	v_mov_b32_e32 v26, v33
	v_mov_b32_e32 v23, v36
	v_pk_add_f32 v[38:39], v[32:33], v[22:23] neg_lo:[0,1] neg_hi:[0,1]
	v_mov_b32_e32 v32, v13
	v_mov_b32_e32 v33, v36
	;; [unrolled: 1-line block ×3, first 2 shown]
	v_pk_add_f32 v[26:27], v[26:27], v[32:33] neg_lo:[0,1] neg_hi:[0,1]
	v_mov_b32_e32 v31, v12
	v_pk_add_f32 v[12:13], v[30:31], v[26:27] neg_lo:[0,1] neg_hi:[0,1]
	v_mov_b32_e32 v38, v34
	v_pk_add_f32 v[26:27], v[38:39], v[12:13]
	s_nop 0
	v_mov_b32_e32 v30, v27
	v_pk_add_f32 v[30:31], v[26:27], v[30:31]
	s_nop 0
	v_pk_add_f32 v[28:29], v[28:29], v[30:31]
	v_mov_b32_e32 v13, v30
	v_mov_b32_e32 v27, v28
	v_pk_add_f32 v[32:33], v[26:27], v[34:35] neg_lo:[0,1] neg_hi:[0,1]
	s_nop 0
	v_sub_f32_e32 v23, v26, v32
	v_pk_add_f32 v[12:13], v[12:13], v[32:33] neg_lo:[0,1] neg_hi:[0,1]
	v_sub_f32_e32 v23, v34, v23
	v_add_f32_e32 v12, v12, v23
	v_add_f32_e32 v12, v12, v13
	;; [unrolled: 1-line block ×3, first 2 shown]
	v_cndmask_b32_e32 v145, v12, v40, vcc
.LBB30_83:                              ;   in Loop: Header=BB30_13 Depth=1
	s_or_b64 exec, exec, s[4:5]
	v_lshlrev_b32_e32 v12, 16, v14
	v_readlane_b32 s2, v167, 2
	s_nop 1
	v_add_f32_e32 v146, s2, v12
	v_readlane_b32 s2, v167, 30
	v_cmp_ge_f32_e32 vcc, s6, v146
	v_readlane_b32 s3, v167, 31
	s_and_b64 s[2:3], s[2:3], vcc
	s_and_saveexec_b64 s[4:5], s[2:3]
	s_cbranch_execz .LBB30_85
; %bb.84:                               ;   in Loop: Header=BB30_13 Depth=1
	v_mul_f32_e32 v12, 0x3fb8aa3b, v146
	v_rndne_f32_e32 v13, v12
	v_sub_f32_e32 v23, v12, v13
	v_fma_f32 v12, v146, s10, -v12
	v_fmac_f32_e32 v12, 0x32a5705f, v146
	v_add_f32_e32 v12, v23, v12
	v_cvt_i32_f32_e32 v13, v13
	v_exp_f32_e32 v12, v12
	v_cmp_ngt_f32_e32 vcc, s11, v146
	v_ldexp_f32 v12, v12, v13
	s_nop 0
	v_cndmask_b32_e32 v12, 0, v12, vcc
	v_cmp_nlt_f32_e32 vcc, s12, v146
	s_nop 1
	v_cndmask_b32_e32 v40, v138, v12, vcc
	v_add_f32_e32 v23, 1.0, v40
	v_add_f32_e32 v12, -1.0, v23
	v_sub_f32_e32 v13, v12, v23
	v_add_f32_e32 v13, 1.0, v13
	v_sub_f32_e32 v12, v40, v12
	v_add_f32_e32 v25, v12, v13
	v_frexp_mant_f32_e32 v26, v23
	v_cvt_f64_f32_e32 v[12:13], v23
	v_frexp_exp_i32_f64_e32 v12, v[12:13]
	v_cmp_gt_f32_e32 vcc, s14, v26
	v_cmp_gt_f32_e64 s[60:61], s16, v40
	s_nop 0
	v_subbrev_co_u32_e32 v32, vcc, 0, v12, vcc
	v_sub_u32_e32 v12, 0, v32
	v_ldexp_f32 v13, v23, v12
	v_add_f32_e32 v23, -1.0, v13
	v_add_f32_e32 v26, 1.0, v13
	v_ldexp_f32 v12, v25, v12
	v_add_f32_e32 v25, 1.0, v23
	v_add_f32_e32 v27, -1.0, v26
	v_sub_f32_e32 v25, v13, v25
	v_sub_f32_e32 v13, v13, v27
	v_add_f32_e32 v25, v12, v25
	v_add_f32_e32 v12, v12, v13
	v_add_f32_e32 v33, v26, v12
	v_rcp_f32_e32 v35, v33
	v_sub_f32_e32 v13, v26, v33
	v_add_f32_e32 v34, v12, v13
	v_add_f32_e32 v13, v23, v25
	v_sub_f32_e32 v12, v23, v13
	v_add_f32_e32 v23, v25, v12
	v_mul_f32_e32 v25, v13, v35
	v_mul_f32_e32 v26, v33, v25
	v_fma_f32 v28, v25, v33, -v26
	v_fmac_f32_e32 v28, v25, v34
	v_add_f32_e32 v12, v26, v28
	v_sub_f32_e32 v27, v13, v12
	v_pk_add_f32 v[30:31], v[12:13], v[26:27] neg_lo:[0,1] neg_hi:[0,1]
	v_mov_b32_e32 v29, v12
	v_pk_add_f32 v[12:13], v[30:31], v[28:29] neg_lo:[0,1] neg_hi:[0,1]
	v_cmp_eq_f32_e32 vcc, s13, v40
	v_add_f32_e32 v13, v23, v13
	v_add_f32_e32 v12, v12, v13
	;; [unrolled: 1-line block ×3, first 2 shown]
	v_mul_f32_e32 v23, v35, v13
	v_mul_f32_e32 v26, v33, v23
	v_fma_f32 v28, v23, v33, -v26
	v_fmac_f32_e32 v28, v23, v34
	v_sub_f32_e32 v27, v27, v13
	v_add_f32_e32 v33, v12, v27
	v_add_f32_e32 v12, v26, v28
	v_sub_f32_e32 v27, v13, v12
	v_pk_add_f32 v[30:31], v[12:13], v[26:27] neg_lo:[0,1] neg_hi:[0,1]
	v_mov_b32_e32 v29, v12
	v_pk_add_f32 v[12:13], v[30:31], v[28:29] neg_lo:[0,1] neg_hi:[0,1]
	s_or_b64 vcc, s[60:61], vcc
	v_add_f32_e32 v13, v33, v13
	v_add_f32_e32 v12, v12, v13
	;; [unrolled: 1-line block ×4, first 2 shown]
	v_sub_f32_e32 v25, v13, v25
	v_mul_f32_e32 v12, v35, v12
	v_sub_f32_e32 v23, v23, v25
	v_add_f32_e32 v23, v23, v12
	v_add_f32_e32 v26, v13, v23
	v_mul_f32_e32 v28, v26, v26
	v_fmamk_f32 v12, v28, 0x3e9b6dac, v137
	v_fmaak_f32 v25, v28, v12, 0x3f2aaada
	v_cvt_f32_i32_e32 v12, v32
	v_sub_f32_e32 v13, v26, v13
	v_sub_f32_e32 v13, v23, v13
	v_ldexp_f32 v23, v13, 1
	v_mul_f32_e32 v13, v26, v28
	v_pk_mul_f32 v[28:29], v[12:13], v[24:25]
	v_ldexp_f32 v27, v26, 1
	v_fma_f32 v26, v12, s15, -v28
	v_fmac_f32_e32 v26, 0xb102e308, v12
	v_pk_add_f32 v[12:13], v[28:29], v[26:27]
	v_mov_b32_e32 v30, v28
	v_sub_f32_e32 v25, v13, v27
	v_sub_f32_e32 v25, v29, v25
	v_add_f32_e32 v31, v23, v25
	v_pk_add_f32 v[28:29], v[12:13], v[28:29] neg_lo:[0,1] neg_hi:[0,1]
	v_pk_add_f32 v[32:33], v[12:13], v[30:31]
	v_mov_b32_e32 v27, v12
	v_mov_b32_e32 v29, v33
	v_pk_add_f32 v[34:35], v[26:27], v[28:29] neg_lo:[0,1] neg_hi:[0,1]
	v_pk_add_f32 v[26:27], v[26:27], v[28:29]
	v_mov_b32_e32 v30, v31
	v_mov_b32_e32 v28, v27
	v_pk_add_f32 v[36:37], v[28:29], v[12:13] neg_lo:[0,1] neg_hi:[0,1]
	v_mov_b32_e32 v26, v33
	v_mov_b32_e32 v23, v36
	v_pk_add_f32 v[38:39], v[32:33], v[22:23] neg_lo:[0,1] neg_hi:[0,1]
	v_mov_b32_e32 v32, v13
	v_mov_b32_e32 v33, v36
	;; [unrolled: 1-line block ×3, first 2 shown]
	v_pk_add_f32 v[26:27], v[26:27], v[32:33] neg_lo:[0,1] neg_hi:[0,1]
	v_mov_b32_e32 v31, v12
	v_pk_add_f32 v[12:13], v[30:31], v[26:27] neg_lo:[0,1] neg_hi:[0,1]
	v_mov_b32_e32 v38, v34
	v_pk_add_f32 v[26:27], v[38:39], v[12:13]
	s_nop 0
	v_mov_b32_e32 v30, v27
	v_pk_add_f32 v[30:31], v[26:27], v[30:31]
	s_nop 0
	v_pk_add_f32 v[28:29], v[28:29], v[30:31]
	v_mov_b32_e32 v13, v30
	v_mov_b32_e32 v27, v28
	v_pk_add_f32 v[32:33], v[26:27], v[34:35] neg_lo:[0,1] neg_hi:[0,1]
	s_nop 0
	v_sub_f32_e32 v23, v26, v32
	v_pk_add_f32 v[12:13], v[12:13], v[32:33] neg_lo:[0,1] neg_hi:[0,1]
	v_sub_f32_e32 v23, v34, v23
	v_add_f32_e32 v12, v12, v23
	v_add_f32_e32 v12, v12, v13
	;; [unrolled: 1-line block ×3, first 2 shown]
	v_cndmask_b32_e32 v146, v12, v40, vcc
.LBB30_85:                              ;   in Loop: Header=BB30_13 Depth=1
	s_or_b64 exec, exec, s[4:5]
	v_and_b32_e32 v12, 0xffff0000, v14
	v_readlane_b32 s2, v167, 2
	s_nop 1
	v_add_f32_e32 v147, s2, v12
	v_readlane_b32 s2, v167, 30
	v_cmp_ge_f32_e32 vcc, s6, v147
	v_readlane_b32 s3, v167, 31
	s_and_b64 s[2:3], s[2:3], vcc
	s_and_saveexec_b64 s[4:5], s[2:3]
	s_cbranch_execz .LBB30_87
; %bb.86:                               ;   in Loop: Header=BB30_13 Depth=1
	v_mul_f32_e32 v12, 0x3fb8aa3b, v147
	v_rndne_f32_e32 v13, v12
	v_sub_f32_e32 v14, v12, v13
	v_fma_f32 v12, v147, s10, -v12
	v_fmac_f32_e32 v12, 0x32a5705f, v147
	v_add_f32_e32 v12, v14, v12
	v_cvt_i32_f32_e32 v13, v13
	v_exp_f32_e32 v12, v12
	v_cmp_ngt_f32_e32 vcc, s11, v147
	v_ldexp_f32 v12, v12, v13
	s_nop 0
	v_cndmask_b32_e32 v12, 0, v12, vcc
	v_cmp_nlt_f32_e32 vcc, s12, v147
	s_nop 1
	v_cndmask_b32_e32 v38, v138, v12, vcc
	v_add_f32_e32 v14, 1.0, v38
	v_add_f32_e32 v12, -1.0, v14
	v_sub_f32_e32 v13, v12, v14
	v_add_f32_e32 v13, 1.0, v13
	v_sub_f32_e32 v12, v38, v12
	v_add_f32_e32 v23, v12, v13
	v_frexp_mant_f32_e32 v25, v14
	v_cvt_f64_f32_e32 v[12:13], v14
	v_frexp_exp_i32_f64_e32 v12, v[12:13]
	v_cmp_gt_f32_e32 vcc, s14, v25
	v_cmp_gt_f32_e64 s[60:61], s16, v38
	s_nop 0
	v_subbrev_co_u32_e32 v32, vcc, 0, v12, vcc
	v_sub_u32_e32 v12, 0, v32
	v_ldexp_f32 v13, v14, v12
	v_add_f32_e32 v14, -1.0, v13
	v_add_f32_e32 v25, 1.0, v13
	v_ldexp_f32 v12, v23, v12
	v_add_f32_e32 v23, 1.0, v14
	v_add_f32_e32 v26, -1.0, v25
	v_sub_f32_e32 v23, v13, v23
	v_sub_f32_e32 v13, v13, v26
	v_add_f32_e32 v23, v12, v23
	v_add_f32_e32 v12, v12, v13
	;; [unrolled: 1-line block ×3, first 2 shown]
	v_rcp_f32_e32 v34, v33
	v_sub_f32_e32 v13, v25, v33
	v_add_f32_e32 v25, v12, v13
	v_add_f32_e32 v13, v14, v23
	v_sub_f32_e32 v12, v14, v13
	v_add_f32_e32 v14, v23, v12
	v_mul_f32_e32 v23, v13, v34
	v_mul_f32_e32 v26, v33, v23
	v_fma_f32 v28, v23, v33, -v26
	v_fmac_f32_e32 v28, v23, v25
	v_add_f32_e32 v12, v26, v28
	v_sub_f32_e32 v27, v13, v12
	v_pk_add_f32 v[30:31], v[12:13], v[26:27] neg_lo:[0,1] neg_hi:[0,1]
	v_mov_b32_e32 v29, v12
	v_pk_add_f32 v[12:13], v[30:31], v[28:29] neg_lo:[0,1] neg_hi:[0,1]
	v_cmp_eq_f32_e32 vcc, s13, v38
	v_add_f32_e32 v13, v14, v13
	v_add_f32_e32 v12, v12, v13
	;; [unrolled: 1-line block ×3, first 2 shown]
	v_mul_f32_e32 v14, v34, v13
	v_mul_f32_e32 v26, v33, v14
	v_fma_f32 v28, v14, v33, -v26
	v_fmac_f32_e32 v28, v14, v25
	v_sub_f32_e32 v25, v27, v13
	v_add_f32_e32 v25, v12, v25
	v_add_f32_e32 v12, v26, v28
	v_sub_f32_e32 v27, v13, v12
	v_pk_add_f32 v[30:31], v[12:13], v[26:27] neg_lo:[0,1] neg_hi:[0,1]
	v_mov_b32_e32 v29, v12
	v_pk_add_f32 v[12:13], v[30:31], v[28:29] neg_lo:[0,1] neg_hi:[0,1]
	s_or_b64 vcc, s[60:61], vcc
	v_add_f32_e32 v13, v25, v13
	v_add_f32_e32 v12, v12, v13
	;; [unrolled: 1-line block ×4, first 2 shown]
	v_sub_f32_e32 v23, v13, v23
	v_mul_f32_e32 v12, v34, v12
	v_sub_f32_e32 v14, v14, v23
	v_add_f32_e32 v14, v14, v12
	v_add_f32_e32 v23, v13, v14
	v_mul_f32_e32 v26, v23, v23
	v_fmamk_f32 v12, v26, 0x3e9b6dac, v137
	v_fmaak_f32 v25, v26, v12, 0x3f2aaada
	v_cvt_f32_i32_e32 v12, v32
	v_sub_f32_e32 v13, v23, v13
	v_sub_f32_e32 v13, v14, v13
	v_ldexp_f32 v14, v13, 1
	v_mul_f32_e32 v13, v23, v26
	v_pk_mul_f32 v[28:29], v[12:13], v[24:25]
	v_ldexp_f32 v27, v23, 1
	v_fma_f32 v26, v12, s15, -v28
	v_fmac_f32_e32 v26, 0xb102e308, v12
	v_pk_add_f32 v[12:13], v[28:29], v[26:27]
	v_mov_b32_e32 v30, v28
	v_sub_f32_e32 v23, v13, v27
	v_sub_f32_e32 v23, v29, v23
	v_add_f32_e32 v31, v14, v23
	v_pk_add_f32 v[28:29], v[12:13], v[28:29] neg_lo:[0,1] neg_hi:[0,1]
	v_pk_add_f32 v[32:33], v[12:13], v[30:31]
	v_mov_b32_e32 v27, v12
	v_mov_b32_e32 v29, v33
	v_pk_add_f32 v[34:35], v[26:27], v[28:29] neg_lo:[0,1] neg_hi:[0,1]
	v_pk_add_f32 v[26:27], v[26:27], v[28:29]
	s_nop 0
	v_mov_b32_e32 v14, v27
	v_pk_add_f32 v[28:29], v[14:15], v[12:13] neg_lo:[0,1] neg_hi:[0,1]
	v_mov_b32_e32 v26, v33
	v_mov_b32_e32 v23, v28
	v_pk_add_f32 v[36:37], v[32:33], v[22:23] neg_lo:[0,1] neg_hi:[0,1]
	v_mov_b32_e32 v32, v13
	v_mov_b32_e32 v33, v28
	;; [unrolled: 1-line block ×3, first 2 shown]
	v_pk_add_f32 v[26:27], v[26:27], v[32:33] neg_lo:[0,1] neg_hi:[0,1]
	v_mov_b32_e32 v28, v31
	v_mov_b32_e32 v29, v12
	v_pk_add_f32 v[12:13], v[28:29], v[26:27] neg_lo:[0,1] neg_hi:[0,1]
	v_mov_b32_e32 v36, v34
	v_pk_add_f32 v[26:27], v[36:37], v[12:13]
	s_nop 0
	v_mov_b32_e32 v28, v27
	v_pk_add_f32 v[28:29], v[26:27], v[28:29]
	s_nop 0
	v_pk_add_f32 v[30:31], v[14:15], v[28:29]
	v_mov_b32_e32 v13, v28
	v_mov_b32_e32 v27, v30
	v_pk_add_f32 v[32:33], v[26:27], v[34:35] neg_lo:[0,1] neg_hi:[0,1]
	s_nop 0
	v_sub_f32_e32 v14, v26, v32
	v_pk_add_f32 v[12:13], v[12:13], v[32:33] neg_lo:[0,1] neg_hi:[0,1]
	v_sub_f32_e32 v14, v34, v14
	v_add_f32_e32 v12, v12, v14
	v_add_f32_e32 v12, v12, v13
	;; [unrolled: 1-line block ×3, first 2 shown]
	v_cndmask_b32_e32 v147, v12, v38, vcc
.LBB30_87:                              ;   in Loop: Header=BB30_13 Depth=1
	s_or_b64 exec, exec, s[4:5]
	v_lshlrev_b32_e32 v12, 16, v15
	v_readlane_b32 s2, v167, 2
	s_nop 1
	v_add_f32_e32 v148, s2, v12
	v_readlane_b32 s2, v167, 30
	v_cmp_ge_f32_e32 vcc, s6, v148
	v_readlane_b32 s3, v167, 31
	s_and_b64 s[2:3], s[2:3], vcc
	s_and_saveexec_b64 s[4:5], s[2:3]
	s_cbranch_execz .LBB30_89
; %bb.88:                               ;   in Loop: Header=BB30_13 Depth=1
	v_mul_f32_e32 v12, 0x3fb8aa3b, v148
	v_rndne_f32_e32 v13, v12
	v_sub_f32_e32 v14, v12, v13
	v_fma_f32 v12, v148, s10, -v12
	v_fmac_f32_e32 v12, 0x32a5705f, v148
	v_add_f32_e32 v12, v14, v12
	v_cvt_i32_f32_e32 v13, v13
	v_exp_f32_e32 v12, v12
	v_cmp_ngt_f32_e32 vcc, s11, v148
	v_ldexp_f32 v12, v12, v13
	s_nop 0
	v_cndmask_b32_e32 v12, 0, v12, vcc
	v_cmp_nlt_f32_e32 vcc, s12, v148
	s_nop 1
	v_cndmask_b32_e32 v38, v138, v12, vcc
	v_add_f32_e32 v14, 1.0, v38
	v_add_f32_e32 v12, -1.0, v14
	v_sub_f32_e32 v13, v12, v14
	v_add_f32_e32 v13, 1.0, v13
	v_sub_f32_e32 v12, v38, v12
	v_add_f32_e32 v23, v12, v13
	v_frexp_mant_f32_e32 v25, v14
	v_cvt_f64_f32_e32 v[12:13], v14
	v_frexp_exp_i32_f64_e32 v12, v[12:13]
	v_cmp_gt_f32_e32 vcc, s14, v25
	v_cmp_gt_f32_e64 s[60:61], s16, v38
	s_nop 0
	v_subbrev_co_u32_e32 v32, vcc, 0, v12, vcc
	v_sub_u32_e32 v12, 0, v32
	v_ldexp_f32 v13, v14, v12
	v_add_f32_e32 v14, -1.0, v13
	v_add_f32_e32 v25, 1.0, v13
	v_ldexp_f32 v12, v23, v12
	v_add_f32_e32 v23, 1.0, v14
	v_add_f32_e32 v26, -1.0, v25
	v_sub_f32_e32 v23, v13, v23
	v_sub_f32_e32 v13, v13, v26
	v_add_f32_e32 v23, v12, v23
	v_add_f32_e32 v12, v12, v13
	v_add_f32_e32 v33, v25, v12
	v_rcp_f32_e32 v34, v33
	v_sub_f32_e32 v13, v25, v33
	v_add_f32_e32 v25, v12, v13
	v_add_f32_e32 v13, v14, v23
	v_sub_f32_e32 v12, v14, v13
	v_add_f32_e32 v14, v23, v12
	v_mul_f32_e32 v23, v13, v34
	v_mul_f32_e32 v26, v33, v23
	v_fma_f32 v28, v23, v33, -v26
	v_fmac_f32_e32 v28, v23, v25
	v_add_f32_e32 v12, v26, v28
	v_sub_f32_e32 v27, v13, v12
	v_pk_add_f32 v[30:31], v[12:13], v[26:27] neg_lo:[0,1] neg_hi:[0,1]
	v_mov_b32_e32 v29, v12
	v_pk_add_f32 v[12:13], v[30:31], v[28:29] neg_lo:[0,1] neg_hi:[0,1]
	v_cmp_eq_f32_e32 vcc, s13, v38
	v_add_f32_e32 v13, v14, v13
	v_add_f32_e32 v12, v12, v13
	;; [unrolled: 1-line block ×3, first 2 shown]
	v_mul_f32_e32 v14, v34, v13
	v_mul_f32_e32 v26, v33, v14
	v_fma_f32 v28, v14, v33, -v26
	v_fmac_f32_e32 v28, v14, v25
	v_sub_f32_e32 v25, v27, v13
	v_add_f32_e32 v25, v12, v25
	v_add_f32_e32 v12, v26, v28
	v_sub_f32_e32 v27, v13, v12
	v_pk_add_f32 v[30:31], v[12:13], v[26:27] neg_lo:[0,1] neg_hi:[0,1]
	v_mov_b32_e32 v29, v12
	v_pk_add_f32 v[12:13], v[30:31], v[28:29] neg_lo:[0,1] neg_hi:[0,1]
	s_or_b64 vcc, s[60:61], vcc
	v_add_f32_e32 v13, v25, v13
	v_add_f32_e32 v12, v12, v13
	;; [unrolled: 1-line block ×4, first 2 shown]
	v_sub_f32_e32 v23, v13, v23
	v_mul_f32_e32 v12, v34, v12
	v_sub_f32_e32 v14, v14, v23
	v_add_f32_e32 v14, v14, v12
	v_add_f32_e32 v23, v13, v14
	v_mul_f32_e32 v26, v23, v23
	v_fmamk_f32 v12, v26, 0x3e9b6dac, v137
	v_fmaak_f32 v25, v26, v12, 0x3f2aaada
	v_cvt_f32_i32_e32 v12, v32
	v_sub_f32_e32 v13, v23, v13
	v_sub_f32_e32 v13, v14, v13
	v_ldexp_f32 v14, v13, 1
	v_mul_f32_e32 v13, v23, v26
	v_pk_mul_f32 v[28:29], v[12:13], v[24:25]
	v_ldexp_f32 v27, v23, 1
	v_fma_f32 v26, v12, s15, -v28
	v_fmac_f32_e32 v26, 0xb102e308, v12
	v_pk_add_f32 v[12:13], v[28:29], v[26:27]
	v_mov_b32_e32 v30, v28
	v_sub_f32_e32 v23, v13, v27
	v_sub_f32_e32 v23, v29, v23
	v_add_f32_e32 v31, v14, v23
	v_pk_add_f32 v[28:29], v[12:13], v[28:29] neg_lo:[0,1] neg_hi:[0,1]
	v_pk_add_f32 v[32:33], v[12:13], v[30:31]
	v_mov_b32_e32 v27, v12
	v_mov_b32_e32 v29, v33
	v_pk_add_f32 v[34:35], v[26:27], v[28:29] neg_lo:[0,1] neg_hi:[0,1]
	v_pk_add_f32 v[26:27], v[26:27], v[28:29]
	s_nop 0
	v_mov_b32_e32 v14, v27
	v_pk_add_f32 v[28:29], v[14:15], v[12:13] neg_lo:[0,1] neg_hi:[0,1]
	v_mov_b32_e32 v26, v33
	v_mov_b32_e32 v23, v28
	v_pk_add_f32 v[36:37], v[32:33], v[22:23] neg_lo:[0,1] neg_hi:[0,1]
	v_mov_b32_e32 v32, v13
	v_mov_b32_e32 v33, v28
	;; [unrolled: 1-line block ×3, first 2 shown]
	v_pk_add_f32 v[26:27], v[26:27], v[32:33] neg_lo:[0,1] neg_hi:[0,1]
	v_mov_b32_e32 v28, v31
	v_mov_b32_e32 v29, v12
	v_pk_add_f32 v[12:13], v[28:29], v[26:27] neg_lo:[0,1] neg_hi:[0,1]
	v_mov_b32_e32 v36, v34
	v_pk_add_f32 v[26:27], v[36:37], v[12:13]
	s_nop 0
	v_mov_b32_e32 v28, v27
	v_pk_add_f32 v[28:29], v[26:27], v[28:29]
	s_nop 0
	v_pk_add_f32 v[30:31], v[14:15], v[28:29]
	v_mov_b32_e32 v13, v28
	v_mov_b32_e32 v27, v30
	v_pk_add_f32 v[32:33], v[26:27], v[34:35] neg_lo:[0,1] neg_hi:[0,1]
	s_nop 0
	v_sub_f32_e32 v14, v26, v32
	v_pk_add_f32 v[12:13], v[12:13], v[32:33] neg_lo:[0,1] neg_hi:[0,1]
	v_sub_f32_e32 v14, v34, v14
	v_add_f32_e32 v12, v12, v14
	v_add_f32_e32 v12, v12, v13
	;; [unrolled: 1-line block ×3, first 2 shown]
	v_cndmask_b32_e32 v148, v12, v38, vcc
.LBB30_89:                              ;   in Loop: Header=BB30_13 Depth=1
	s_or_b64 exec, exec, s[4:5]
	v_and_b32_e32 v12, 0xffff0000, v15
	v_readlane_b32 s2, v167, 2
	s_nop 1
	v_add_f32_e32 v149, s2, v12
	v_readlane_b32 s2, v167, 30
	v_cmp_ge_f32_e32 vcc, s6, v149
	v_readlane_b32 s3, v167, 31
	s_and_b64 s[2:3], s[2:3], vcc
	s_and_saveexec_b64 s[4:5], s[2:3]
	s_cbranch_execz .LBB30_91
; %bb.90:                               ;   in Loop: Header=BB30_13 Depth=1
	v_mul_f32_e32 v12, 0x3fb8aa3b, v149
	v_rndne_f32_e32 v13, v12
	v_sub_f32_e32 v14, v12, v13
	v_fma_f32 v12, v149, s10, -v12
	v_fmac_f32_e32 v12, 0x32a5705f, v149
	v_add_f32_e32 v12, v14, v12
	v_cvt_i32_f32_e32 v13, v13
	v_exp_f32_e32 v12, v12
	v_cmp_ngt_f32_e32 vcc, s11, v149
	v_ldexp_f32 v12, v12, v13
	s_nop 0
	v_cndmask_b32_e32 v12, 0, v12, vcc
	v_cmp_nlt_f32_e32 vcc, s12, v149
	s_nop 1
	v_cndmask_b32_e32 v38, v138, v12, vcc
	v_add_f32_e32 v14, 1.0, v38
	v_add_f32_e32 v12, -1.0, v14
	v_sub_f32_e32 v13, v12, v14
	v_add_f32_e32 v13, 1.0, v13
	v_sub_f32_e32 v12, v38, v12
	v_add_f32_e32 v15, v12, v13
	v_frexp_mant_f32_e32 v23, v14
	v_cvt_f64_f32_e32 v[12:13], v14
	v_frexp_exp_i32_f64_e32 v12, v[12:13]
	v_cmp_gt_f32_e32 vcc, s14, v23
	v_cmp_gt_f32_e64 s[60:61], s16, v38
	s_nop 0
	v_subbrev_co_u32_e32 v23, vcc, 0, v12, vcc
	v_sub_u32_e32 v12, 0, v23
	v_ldexp_f32 v13, v14, v12
	v_add_f32_e32 v14, -1.0, v13
	v_add_f32_e32 v25, 1.0, v13
	v_ldexp_f32 v12, v15, v12
	v_add_f32_e32 v15, 1.0, v14
	v_add_f32_e32 v26, -1.0, v25
	v_sub_f32_e32 v15, v13, v15
	v_sub_f32_e32 v13, v13, v26
	v_add_f32_e32 v15, v12, v15
	v_add_f32_e32 v12, v12, v13
	;; [unrolled: 1-line block ×3, first 2 shown]
	v_rcp_f32_e32 v31, v30
	v_sub_f32_e32 v13, v25, v30
	v_add_f32_e32 v25, v12, v13
	v_add_f32_e32 v13, v14, v15
	v_mul_f32_e32 v33, v13, v31
	v_sub_f32_e32 v12, v14, v13
	v_mul_f32_e32 v14, v30, v33
	v_fma_f32 v26, v33, v30, -v14
	v_fmac_f32_e32 v26, v33, v25
	v_add_f32_e32 v32, v15, v12
	v_add_f32_e32 v12, v14, v26
	v_sub_f32_e32 v15, v13, v12
	v_pk_add_f32 v[28:29], v[12:13], v[14:15] neg_lo:[0,1] neg_hi:[0,1]
	v_mov_b32_e32 v27, v12
	v_pk_add_f32 v[12:13], v[28:29], v[26:27] neg_lo:[0,1] neg_hi:[0,1]
	v_cmp_eq_f32_e32 vcc, s13, v38
	v_add_f32_e32 v13, v32, v13
	v_add_f32_e32 v12, v12, v13
	;; [unrolled: 1-line block ×3, first 2 shown]
	v_mul_f32_e32 v32, v31, v13
	v_mul_f32_e32 v14, v30, v32
	v_fma_f32 v26, v32, v30, -v14
	v_fmac_f32_e32 v26, v32, v25
	v_sub_f32_e32 v15, v15, v13
	v_add_f32_e32 v25, v12, v15
	v_add_f32_e32 v12, v14, v26
	v_sub_f32_e32 v15, v13, v12
	v_pk_add_f32 v[28:29], v[12:13], v[14:15] neg_lo:[0,1] neg_hi:[0,1]
	v_mov_b32_e32 v27, v12
	v_pk_add_f32 v[12:13], v[28:29], v[26:27] neg_lo:[0,1] neg_hi:[0,1]
	s_or_b64 vcc, s[60:61], vcc
	v_add_f32_e32 v13, v25, v13
	v_add_f32_e32 v12, v12, v13
	;; [unrolled: 1-line block ×4, first 2 shown]
	v_sub_f32_e32 v14, v13, v33
	v_mul_f32_e32 v12, v31, v12
	v_sub_f32_e32 v14, v32, v14
	v_add_f32_e32 v14, v14, v12
	v_add_f32_e32 v26, v13, v14
	v_mul_f32_e32 v27, v26, v26
	v_fmamk_f32 v12, v27, 0x3e9b6dac, v137
	v_fmaak_f32 v25, v27, v12, 0x3f2aaada
	v_cvt_f32_i32_e32 v12, v23
	v_sub_f32_e32 v13, v26, v13
	v_sub_f32_e32 v13, v14, v13
	v_ldexp_f32 v23, v13, 1
	v_mul_f32_e32 v13, v26, v27
	v_ldexp_f32 v15, v26, 1
	v_pk_mul_f32 v[26:27], v[12:13], v[24:25]
	s_nop 0
	v_fma_f32 v14, v12, s15, -v26
	v_fmac_f32_e32 v14, 0xb102e308, v12
	v_pk_add_f32 v[12:13], v[26:27], v[14:15]
	v_mov_b32_e32 v28, v26
	v_sub_f32_e32 v15, v13, v15
	v_sub_f32_e32 v15, v27, v15
	v_add_f32_e32 v29, v23, v15
	v_pk_add_f32 v[26:27], v[12:13], v[26:27] neg_lo:[0,1] neg_hi:[0,1]
	v_pk_add_f32 v[30:31], v[12:13], v[28:29]
	v_mov_b32_e32 v15, v12
	v_mov_b32_e32 v27, v31
	v_pk_add_f32 v[32:33], v[14:15], v[26:27] neg_lo:[0,1] neg_hi:[0,1]
	v_pk_add_f32 v[14:15], v[14:15], v[26:27]
	v_mov_b32_e32 v28, v29
	v_mov_b32_e32 v26, v15
	v_pk_add_f32 v[34:35], v[26:27], v[12:13] neg_lo:[0,1] neg_hi:[0,1]
	v_mov_b32_e32 v14, v31
	v_mov_b32_e32 v23, v34
	v_pk_add_f32 v[36:37], v[30:31], v[22:23] neg_lo:[0,1] neg_hi:[0,1]
	v_mov_b32_e32 v30, v13
	v_mov_b32_e32 v31, v34
	;; [unrolled: 1-line block ×3, first 2 shown]
	v_pk_add_f32 v[14:15], v[14:15], v[30:31] neg_lo:[0,1] neg_hi:[0,1]
	v_mov_b32_e32 v29, v12
	v_pk_add_f32 v[12:13], v[28:29], v[14:15] neg_lo:[0,1] neg_hi:[0,1]
	v_mov_b32_e32 v36, v32
	v_pk_add_f32 v[14:15], v[36:37], v[12:13]
	s_nop 0
	v_mov_b32_e32 v28, v15
	v_pk_add_f32 v[28:29], v[14:15], v[28:29]
	s_nop 0
	v_pk_add_f32 v[26:27], v[26:27], v[28:29]
	v_mov_b32_e32 v13, v28
	v_mov_b32_e32 v15, v26
	v_pk_add_f32 v[30:31], v[14:15], v[32:33] neg_lo:[0,1] neg_hi:[0,1]
	s_nop 0
	v_sub_f32_e32 v14, v14, v30
	v_pk_add_f32 v[12:13], v[12:13], v[30:31] neg_lo:[0,1] neg_hi:[0,1]
	v_sub_f32_e32 v14, v32, v14
	v_add_f32_e32 v12, v12, v14
	v_add_f32_e32 v12, v12, v13
	;; [unrolled: 1-line block ×3, first 2 shown]
	v_cndmask_b32_e32 v149, v12, v38, vcc
.LBB30_91:                              ;   in Loop: Header=BB30_13 Depth=1
	s_or_b64 exec, exec, s[4:5]
	s_waitcnt lgkmcnt(0)
	v_lshlrev_b32_e32 v12, 16, v8
	v_readlane_b32 s2, v167, 2
	s_nop 1
	v_add_f32_e32 v150, s2, v12
	v_readlane_b32 s2, v167, 30
	v_cmp_ge_f32_e32 vcc, s6, v150
	v_readlane_b32 s3, v167, 31
	s_and_b64 s[2:3], s[2:3], vcc
	s_and_saveexec_b64 s[4:5], s[2:3]
	s_cbranch_execz .LBB30_93
; %bb.92:                               ;   in Loop: Header=BB30_13 Depth=1
	v_mul_f32_e32 v12, 0x3fb8aa3b, v150
	v_rndne_f32_e32 v13, v12
	v_sub_f32_e32 v14, v12, v13
	v_fma_f32 v12, v150, s10, -v12
	v_fmac_f32_e32 v12, 0x32a5705f, v150
	v_add_f32_e32 v12, v14, v12
	v_cvt_i32_f32_e32 v13, v13
	v_exp_f32_e32 v12, v12
	v_cmp_ngt_f32_e32 vcc, s11, v150
	v_ldexp_f32 v12, v12, v13
	s_nop 0
	v_cndmask_b32_e32 v12, 0, v12, vcc
	v_cmp_nlt_f32_e32 vcc, s12, v150
	s_nop 1
	v_cndmask_b32_e32 v38, v138, v12, vcc
	v_add_f32_e32 v14, 1.0, v38
	v_add_f32_e32 v12, -1.0, v14
	v_sub_f32_e32 v13, v12, v14
	v_add_f32_e32 v13, 1.0, v13
	v_sub_f32_e32 v12, v38, v12
	v_add_f32_e32 v15, v12, v13
	v_frexp_mant_f32_e32 v23, v14
	v_cvt_f64_f32_e32 v[12:13], v14
	v_frexp_exp_i32_f64_e32 v12, v[12:13]
	v_cmp_gt_f32_e32 vcc, s14, v23
	v_cmp_gt_f32_e64 s[60:61], s16, v38
	s_nop 0
	v_subbrev_co_u32_e32 v23, vcc, 0, v12, vcc
	v_sub_u32_e32 v12, 0, v23
	v_ldexp_f32 v13, v14, v12
	v_add_f32_e32 v14, -1.0, v13
	v_add_f32_e32 v25, 1.0, v13
	v_ldexp_f32 v12, v15, v12
	v_add_f32_e32 v15, 1.0, v14
	v_add_f32_e32 v26, -1.0, v25
	v_sub_f32_e32 v15, v13, v15
	v_sub_f32_e32 v13, v13, v26
	v_add_f32_e32 v15, v12, v15
	v_add_f32_e32 v12, v12, v13
	;; [unrolled: 1-line block ×3, first 2 shown]
	v_rcp_f32_e32 v31, v30
	v_sub_f32_e32 v13, v25, v30
	v_add_f32_e32 v25, v12, v13
	v_add_f32_e32 v13, v14, v15
	v_mul_f32_e32 v33, v13, v31
	v_sub_f32_e32 v12, v14, v13
	v_mul_f32_e32 v14, v30, v33
	v_fma_f32 v26, v33, v30, -v14
	v_fmac_f32_e32 v26, v33, v25
	v_add_f32_e32 v32, v15, v12
	v_add_f32_e32 v12, v14, v26
	v_sub_f32_e32 v15, v13, v12
	v_pk_add_f32 v[28:29], v[12:13], v[14:15] neg_lo:[0,1] neg_hi:[0,1]
	v_mov_b32_e32 v27, v12
	v_pk_add_f32 v[12:13], v[28:29], v[26:27] neg_lo:[0,1] neg_hi:[0,1]
	v_cmp_eq_f32_e32 vcc, s13, v38
	v_add_f32_e32 v13, v32, v13
	v_add_f32_e32 v12, v12, v13
	;; [unrolled: 1-line block ×3, first 2 shown]
	v_mul_f32_e32 v32, v31, v13
	v_mul_f32_e32 v14, v30, v32
	v_fma_f32 v26, v32, v30, -v14
	v_fmac_f32_e32 v26, v32, v25
	v_sub_f32_e32 v15, v15, v13
	v_add_f32_e32 v25, v12, v15
	v_add_f32_e32 v12, v14, v26
	v_sub_f32_e32 v15, v13, v12
	v_pk_add_f32 v[28:29], v[12:13], v[14:15] neg_lo:[0,1] neg_hi:[0,1]
	v_mov_b32_e32 v27, v12
	v_pk_add_f32 v[12:13], v[28:29], v[26:27] neg_lo:[0,1] neg_hi:[0,1]
	s_or_b64 vcc, s[60:61], vcc
	v_add_f32_e32 v13, v25, v13
	v_add_f32_e32 v12, v12, v13
	;; [unrolled: 1-line block ×4, first 2 shown]
	v_sub_f32_e32 v14, v13, v33
	v_mul_f32_e32 v12, v31, v12
	v_sub_f32_e32 v14, v32, v14
	v_add_f32_e32 v14, v14, v12
	v_add_f32_e32 v26, v13, v14
	v_mul_f32_e32 v27, v26, v26
	v_fmamk_f32 v12, v27, 0x3e9b6dac, v137
	v_fmaak_f32 v25, v27, v12, 0x3f2aaada
	v_cvt_f32_i32_e32 v12, v23
	v_sub_f32_e32 v13, v26, v13
	v_sub_f32_e32 v13, v14, v13
	v_ldexp_f32 v23, v13, 1
	v_mul_f32_e32 v13, v26, v27
	v_ldexp_f32 v15, v26, 1
	v_pk_mul_f32 v[26:27], v[12:13], v[24:25]
	s_nop 0
	v_fma_f32 v14, v12, s15, -v26
	v_fmac_f32_e32 v14, 0xb102e308, v12
	v_pk_add_f32 v[12:13], v[26:27], v[14:15]
	v_mov_b32_e32 v28, v26
	v_sub_f32_e32 v15, v13, v15
	v_sub_f32_e32 v15, v27, v15
	v_add_f32_e32 v29, v23, v15
	v_pk_add_f32 v[26:27], v[12:13], v[26:27] neg_lo:[0,1] neg_hi:[0,1]
	v_pk_add_f32 v[30:31], v[12:13], v[28:29]
	v_mov_b32_e32 v15, v12
	v_mov_b32_e32 v27, v31
	v_pk_add_f32 v[32:33], v[14:15], v[26:27] neg_lo:[0,1] neg_hi:[0,1]
	v_pk_add_f32 v[14:15], v[14:15], v[26:27]
	v_mov_b32_e32 v28, v29
	v_mov_b32_e32 v26, v15
	v_pk_add_f32 v[34:35], v[26:27], v[12:13] neg_lo:[0,1] neg_hi:[0,1]
	v_mov_b32_e32 v14, v31
	v_mov_b32_e32 v23, v34
	v_pk_add_f32 v[36:37], v[30:31], v[22:23] neg_lo:[0,1] neg_hi:[0,1]
	v_mov_b32_e32 v30, v13
	v_mov_b32_e32 v31, v34
	;; [unrolled: 1-line block ×3, first 2 shown]
	v_pk_add_f32 v[14:15], v[14:15], v[30:31] neg_lo:[0,1] neg_hi:[0,1]
	v_mov_b32_e32 v29, v12
	v_pk_add_f32 v[12:13], v[28:29], v[14:15] neg_lo:[0,1] neg_hi:[0,1]
	v_mov_b32_e32 v36, v32
	v_pk_add_f32 v[14:15], v[36:37], v[12:13]
	s_nop 0
	v_mov_b32_e32 v28, v15
	v_pk_add_f32 v[28:29], v[14:15], v[28:29]
	s_nop 0
	v_pk_add_f32 v[26:27], v[26:27], v[28:29]
	v_mov_b32_e32 v13, v28
	v_mov_b32_e32 v15, v26
	v_pk_add_f32 v[30:31], v[14:15], v[32:33] neg_lo:[0,1] neg_hi:[0,1]
	s_nop 0
	v_sub_f32_e32 v14, v14, v30
	v_pk_add_f32 v[12:13], v[12:13], v[30:31] neg_lo:[0,1] neg_hi:[0,1]
	v_sub_f32_e32 v14, v32, v14
	v_add_f32_e32 v12, v12, v14
	v_add_f32_e32 v12, v12, v13
	;; [unrolled: 1-line block ×3, first 2 shown]
	v_cndmask_b32_e32 v150, v12, v38, vcc
.LBB30_93:                              ;   in Loop: Header=BB30_13 Depth=1
	s_or_b64 exec, exec, s[4:5]
	v_and_b32_e32 v8, 0xffff0000, v8
	v_readlane_b32 s2, v167, 2
	s_nop 1
	v_add_f32_e32 v151, s2, v8
	v_readlane_b32 s2, v167, 30
	v_cmp_ge_f32_e32 vcc, s6, v151
	v_readlane_b32 s3, v167, 31
	s_and_b64 s[2:3], s[2:3], vcc
	s_and_saveexec_b64 s[4:5], s[2:3]
	s_cbranch_execz .LBB30_95
; %bb.94:                               ;   in Loop: Header=BB30_13 Depth=1
	v_mul_f32_e32 v8, 0x3fb8aa3b, v151
	v_rndne_f32_e32 v12, v8
	v_sub_f32_e32 v13, v8, v12
	v_fma_f32 v8, v151, s10, -v8
	v_fmac_f32_e32 v8, 0x32a5705f, v151
	v_add_f32_e32 v8, v13, v8
	v_cvt_i32_f32_e32 v12, v12
	v_exp_f32_e32 v8, v8
	v_cmp_ngt_f32_e32 vcc, s11, v151
	v_ldexp_f32 v8, v8, v12
	s_nop 0
	v_cndmask_b32_e32 v8, 0, v8, vcc
	v_cmp_nlt_f32_e32 vcc, s12, v151
	s_nop 1
	v_cndmask_b32_e32 v36, v138, v8, vcc
	v_add_f32_e32 v8, 1.0, v36
	v_add_f32_e32 v12, -1.0, v8
	v_sub_f32_e32 v13, v12, v8
	v_add_f32_e32 v13, 1.0, v13
	v_sub_f32_e32 v12, v36, v12
	v_add_f32_e32 v14, v12, v13
	v_frexp_mant_f32_e32 v15, v8
	v_cvt_f64_f32_e32 v[12:13], v8
	v_frexp_exp_i32_f64_e32 v12, v[12:13]
	v_cmp_gt_f32_e32 vcc, s14, v15
	v_cmp_gt_f32_e64 s[60:61], s16, v36
	s_nop 0
	v_subbrev_co_u32_e32 v23, vcc, 0, v12, vcc
	v_sub_u32_e32 v12, 0, v23
	v_ldexp_f32 v8, v8, v12
	v_ldexp_f32 v12, v14, v12
	v_add_f32_e32 v14, -1.0, v8
	v_add_f32_e32 v13, 1.0, v14
	v_sub_f32_e32 v13, v8, v13
	v_add_f32_e32 v15, v12, v13
	v_add_f32_e32 v13, 1.0, v8
	v_add_f32_e32 v25, -1.0, v13
	v_sub_f32_e32 v8, v8, v25
	v_add_f32_e32 v8, v12, v8
	v_add_f32_e32 v25, v13, v8
	v_rcp_f32_e32 v30, v25
	v_sub_f32_e32 v12, v13, v25
	v_add_f32_e32 v13, v14, v15
	v_add_f32_e32 v8, v8, v12
	v_mul_f32_e32 v32, v13, v30
	v_sub_f32_e32 v12, v14, v13
	v_mul_f32_e32 v14, v25, v32
	v_fma_f32 v26, v32, v25, -v14
	v_fmac_f32_e32 v26, v32, v8
	v_add_f32_e32 v31, v15, v12
	v_add_f32_e32 v12, v14, v26
	v_sub_f32_e32 v15, v13, v12
	v_pk_add_f32 v[28:29], v[12:13], v[14:15] neg_lo:[0,1] neg_hi:[0,1]
	v_mov_b32_e32 v27, v12
	v_pk_add_f32 v[12:13], v[28:29], v[26:27] neg_lo:[0,1] neg_hi:[0,1]
	v_cmp_eq_f32_e32 vcc, s13, v36
	v_add_f32_e32 v13, v31, v13
	v_add_f32_e32 v12, v12, v13
	;; [unrolled: 1-line block ×3, first 2 shown]
	v_mul_f32_e32 v31, v30, v13
	v_mul_f32_e32 v14, v25, v31
	v_fma_f32 v26, v31, v25, -v14
	v_fmac_f32_e32 v26, v31, v8
	v_sub_f32_e32 v8, v15, v13
	v_add_f32_e32 v8, v12, v8
	v_add_f32_e32 v12, v14, v26
	v_sub_f32_e32 v15, v13, v12
	v_pk_add_f32 v[28:29], v[12:13], v[14:15] neg_lo:[0,1] neg_hi:[0,1]
	v_mov_b32_e32 v27, v12
	v_pk_add_f32 v[12:13], v[28:29], v[26:27] neg_lo:[0,1] neg_hi:[0,1]
	s_or_b64 vcc, s[60:61], vcc
	v_add_f32_e32 v8, v8, v13
	v_add_f32_e32 v8, v12, v8
	;; [unrolled: 1-line block ×4, first 2 shown]
	v_sub_f32_e32 v12, v13, v32
	v_mul_f32_e32 v8, v30, v8
	v_sub_f32_e32 v12, v31, v12
	v_add_f32_e32 v8, v12, v8
	v_add_f32_e32 v14, v13, v8
	v_mul_f32_e32 v26, v14, v14
	v_fmamk_f32 v12, v26, 0x3e9b6dac, v137
	v_fmaak_f32 v25, v26, v12, 0x3f2aaada
	v_cvt_f32_i32_e32 v12, v23
	v_sub_f32_e32 v13, v14, v13
	v_sub_f32_e32 v8, v8, v13
	v_mul_f32_e32 v13, v14, v26
	v_pk_mul_f32 v[26:27], v[12:13], v[24:25]
	v_ldexp_f32 v15, v14, 1
	v_fma_f32 v14, v12, s15, -v26
	v_fmac_f32_e32 v14, 0xb102e308, v12
	v_pk_add_f32 v[12:13], v[26:27], v[14:15]
	v_ldexp_f32 v8, v8, 1
	v_sub_f32_e32 v15, v13, v15
	v_sub_f32_e32 v15, v27, v15
	v_add_f32_e32 v29, v8, v15
	v_mov_b32_e32 v28, v26
	v_pk_add_f32 v[26:27], v[12:13], v[26:27] neg_lo:[0,1] neg_hi:[0,1]
	v_pk_add_f32 v[30:31], v[12:13], v[28:29]
	v_mov_b32_e32 v15, v12
	v_mov_b32_e32 v27, v31
	v_pk_add_f32 v[32:33], v[14:15], v[26:27] neg_lo:[0,1] neg_hi:[0,1]
	v_pk_add_f32 v[14:15], v[14:15], v[26:27]
	s_nop 0
	v_mov_b32_e32 v8, v15
	v_pk_add_f32 v[26:27], v[8:9], v[12:13] neg_lo:[0,1] neg_hi:[0,1]
	v_mov_b32_e32 v14, v31
	v_mov_b32_e32 v23, v26
	v_pk_add_f32 v[34:35], v[30:31], v[22:23] neg_lo:[0,1] neg_hi:[0,1]
	v_mov_b32_e32 v30, v13
	v_mov_b32_e32 v31, v26
	;; [unrolled: 1-line block ×3, first 2 shown]
	v_pk_add_f32 v[14:15], v[14:15], v[30:31] neg_lo:[0,1] neg_hi:[0,1]
	v_mov_b32_e32 v26, v29
	v_mov_b32_e32 v27, v12
	v_pk_add_f32 v[12:13], v[26:27], v[14:15] neg_lo:[0,1] neg_hi:[0,1]
	v_mov_b32_e32 v34, v32
	v_pk_add_f32 v[14:15], v[34:35], v[12:13]
	s_nop 0
	v_mov_b32_e32 v26, v15
	v_pk_add_f32 v[26:27], v[14:15], v[26:27]
	s_nop 0
	v_pk_add_f32 v[28:29], v[8:9], v[26:27]
	v_mov_b32_e32 v13, v26
	v_mov_b32_e32 v15, v28
	v_pk_add_f32 v[30:31], v[14:15], v[32:33] neg_lo:[0,1] neg_hi:[0,1]
	s_nop 0
	v_sub_f32_e32 v8, v14, v30
	v_pk_add_f32 v[12:13], v[12:13], v[30:31] neg_lo:[0,1] neg_hi:[0,1]
	v_sub_f32_e32 v8, v32, v8
	v_add_f32_e32 v8, v12, v8
	v_add_f32_e32 v8, v8, v13
	;; [unrolled: 1-line block ×3, first 2 shown]
	v_cndmask_b32_e32 v151, v8, v36, vcc
.LBB30_95:                              ;   in Loop: Header=BB30_13 Depth=1
	s_or_b64 exec, exec, s[4:5]
	v_lshlrev_b32_e32 v8, 16, v9
	v_readlane_b32 s2, v167, 2
	s_nop 1
	v_add_f32_e32 v152, s2, v8
	v_readlane_b32 s2, v167, 30
	v_cmp_ge_f32_e32 vcc, s6, v152
	v_readlane_b32 s3, v167, 31
	s_and_b64 s[2:3], s[2:3], vcc
	s_and_saveexec_b64 s[4:5], s[2:3]
	s_cbranch_execz .LBB30_97
; %bb.96:                               ;   in Loop: Header=BB30_13 Depth=1
	v_mul_f32_e32 v8, 0x3fb8aa3b, v152
	v_rndne_f32_e32 v12, v8
	v_sub_f32_e32 v13, v8, v12
	v_fma_f32 v8, v152, s10, -v8
	v_fmac_f32_e32 v8, 0x32a5705f, v152
	v_add_f32_e32 v8, v13, v8
	v_cvt_i32_f32_e32 v12, v12
	v_exp_f32_e32 v8, v8
	v_cmp_ngt_f32_e32 vcc, s11, v152
	v_ldexp_f32 v8, v8, v12
	s_nop 0
	v_cndmask_b32_e32 v8, 0, v8, vcc
	v_cmp_nlt_f32_e32 vcc, s12, v152
	s_nop 1
	v_cndmask_b32_e32 v36, v138, v8, vcc
	v_add_f32_e32 v8, 1.0, v36
	v_add_f32_e32 v12, -1.0, v8
	v_sub_f32_e32 v13, v12, v8
	v_add_f32_e32 v13, 1.0, v13
	v_sub_f32_e32 v12, v36, v12
	v_add_f32_e32 v14, v12, v13
	v_frexp_mant_f32_e32 v15, v8
	v_cvt_f64_f32_e32 v[12:13], v8
	v_frexp_exp_i32_f64_e32 v12, v[12:13]
	v_cmp_gt_f32_e32 vcc, s14, v15
	v_cmp_gt_f32_e64 s[60:61], s16, v36
	s_nop 0
	v_subbrev_co_u32_e32 v23, vcc, 0, v12, vcc
	v_sub_u32_e32 v12, 0, v23
	v_ldexp_f32 v8, v8, v12
	v_ldexp_f32 v12, v14, v12
	v_add_f32_e32 v14, -1.0, v8
	v_add_f32_e32 v13, 1.0, v14
	v_sub_f32_e32 v13, v8, v13
	v_add_f32_e32 v15, v12, v13
	v_add_f32_e32 v13, 1.0, v8
	v_add_f32_e32 v25, -1.0, v13
	v_sub_f32_e32 v8, v8, v25
	v_add_f32_e32 v8, v12, v8
	v_add_f32_e32 v25, v13, v8
	v_rcp_f32_e32 v30, v25
	v_sub_f32_e32 v12, v13, v25
	v_add_f32_e32 v13, v14, v15
	v_add_f32_e32 v8, v8, v12
	v_mul_f32_e32 v32, v13, v30
	v_sub_f32_e32 v12, v14, v13
	v_mul_f32_e32 v14, v25, v32
	v_fma_f32 v26, v32, v25, -v14
	v_fmac_f32_e32 v26, v32, v8
	v_add_f32_e32 v31, v15, v12
	v_add_f32_e32 v12, v14, v26
	v_sub_f32_e32 v15, v13, v12
	v_pk_add_f32 v[28:29], v[12:13], v[14:15] neg_lo:[0,1] neg_hi:[0,1]
	v_mov_b32_e32 v27, v12
	v_pk_add_f32 v[12:13], v[28:29], v[26:27] neg_lo:[0,1] neg_hi:[0,1]
	v_cmp_eq_f32_e32 vcc, s13, v36
	v_add_f32_e32 v13, v31, v13
	v_add_f32_e32 v12, v12, v13
	;; [unrolled: 1-line block ×3, first 2 shown]
	v_mul_f32_e32 v31, v30, v13
	v_mul_f32_e32 v14, v25, v31
	v_fma_f32 v26, v31, v25, -v14
	v_fmac_f32_e32 v26, v31, v8
	v_sub_f32_e32 v8, v15, v13
	v_add_f32_e32 v8, v12, v8
	v_add_f32_e32 v12, v14, v26
	v_sub_f32_e32 v15, v13, v12
	v_pk_add_f32 v[28:29], v[12:13], v[14:15] neg_lo:[0,1] neg_hi:[0,1]
	v_mov_b32_e32 v27, v12
	v_pk_add_f32 v[12:13], v[28:29], v[26:27] neg_lo:[0,1] neg_hi:[0,1]
	s_or_b64 vcc, s[60:61], vcc
	v_add_f32_e32 v8, v8, v13
	v_add_f32_e32 v8, v12, v8
	;; [unrolled: 1-line block ×4, first 2 shown]
	v_sub_f32_e32 v12, v13, v32
	v_mul_f32_e32 v8, v30, v8
	v_sub_f32_e32 v12, v31, v12
	v_add_f32_e32 v8, v12, v8
	v_add_f32_e32 v14, v13, v8
	v_mul_f32_e32 v26, v14, v14
	v_fmamk_f32 v12, v26, 0x3e9b6dac, v137
	v_fmaak_f32 v25, v26, v12, 0x3f2aaada
	v_cvt_f32_i32_e32 v12, v23
	v_sub_f32_e32 v13, v14, v13
	v_sub_f32_e32 v8, v8, v13
	v_mul_f32_e32 v13, v14, v26
	v_pk_mul_f32 v[26:27], v[12:13], v[24:25]
	v_ldexp_f32 v15, v14, 1
	v_fma_f32 v14, v12, s15, -v26
	v_fmac_f32_e32 v14, 0xb102e308, v12
	v_pk_add_f32 v[12:13], v[26:27], v[14:15]
	v_ldexp_f32 v8, v8, 1
	v_sub_f32_e32 v15, v13, v15
	v_sub_f32_e32 v15, v27, v15
	v_add_f32_e32 v29, v8, v15
	v_mov_b32_e32 v28, v26
	v_pk_add_f32 v[26:27], v[12:13], v[26:27] neg_lo:[0,1] neg_hi:[0,1]
	v_pk_add_f32 v[30:31], v[12:13], v[28:29]
	v_mov_b32_e32 v15, v12
	v_mov_b32_e32 v27, v31
	v_pk_add_f32 v[32:33], v[14:15], v[26:27] neg_lo:[0,1] neg_hi:[0,1]
	v_pk_add_f32 v[14:15], v[14:15], v[26:27]
	s_nop 0
	v_mov_b32_e32 v8, v15
	v_pk_add_f32 v[26:27], v[8:9], v[12:13] neg_lo:[0,1] neg_hi:[0,1]
	v_mov_b32_e32 v14, v31
	v_mov_b32_e32 v23, v26
	v_pk_add_f32 v[34:35], v[30:31], v[22:23] neg_lo:[0,1] neg_hi:[0,1]
	v_mov_b32_e32 v30, v13
	v_mov_b32_e32 v31, v26
	;; [unrolled: 1-line block ×3, first 2 shown]
	v_pk_add_f32 v[14:15], v[14:15], v[30:31] neg_lo:[0,1] neg_hi:[0,1]
	v_mov_b32_e32 v26, v29
	v_mov_b32_e32 v27, v12
	v_pk_add_f32 v[12:13], v[26:27], v[14:15] neg_lo:[0,1] neg_hi:[0,1]
	v_mov_b32_e32 v34, v32
	v_pk_add_f32 v[14:15], v[34:35], v[12:13]
	s_nop 0
	v_mov_b32_e32 v26, v15
	v_pk_add_f32 v[26:27], v[14:15], v[26:27]
	s_nop 0
	v_pk_add_f32 v[28:29], v[8:9], v[26:27]
	v_mov_b32_e32 v13, v26
	v_mov_b32_e32 v15, v28
	v_pk_add_f32 v[30:31], v[14:15], v[32:33] neg_lo:[0,1] neg_hi:[0,1]
	s_nop 0
	v_sub_f32_e32 v8, v14, v30
	v_pk_add_f32 v[12:13], v[12:13], v[30:31] neg_lo:[0,1] neg_hi:[0,1]
	v_sub_f32_e32 v8, v32, v8
	v_add_f32_e32 v8, v12, v8
	v_add_f32_e32 v8, v8, v13
	;; [unrolled: 1-line block ×3, first 2 shown]
	v_cndmask_b32_e32 v152, v8, v36, vcc
.LBB30_97:                              ;   in Loop: Header=BB30_13 Depth=1
	s_or_b64 exec, exec, s[4:5]
	v_and_b32_e32 v8, 0xffff0000, v9
	v_readlane_b32 s2, v167, 2
	s_nop 1
	v_add_f32_e32 v153, s2, v8
	v_readlane_b32 s2, v167, 30
	v_cmp_ge_f32_e32 vcc, s6, v153
	v_readlane_b32 s3, v167, 31
	s_and_b64 s[2:3], s[2:3], vcc
	s_and_saveexec_b64 s[4:5], s[2:3]
	s_cbranch_execz .LBB30_99
; %bb.98:                               ;   in Loop: Header=BB30_13 Depth=1
	v_mul_f32_e32 v8, 0x3fb8aa3b, v153
	v_rndne_f32_e32 v9, v8
	v_sub_f32_e32 v12, v8, v9
	v_fma_f32 v8, v153, s10, -v8
	v_fmac_f32_e32 v8, 0x32a5705f, v153
	v_add_f32_e32 v8, v12, v8
	v_cvt_i32_f32_e32 v9, v9
	v_exp_f32_e32 v8, v8
	v_cmp_ngt_f32_e32 vcc, s11, v153
	v_ldexp_f32 v8, v8, v9
	s_nop 0
	v_cndmask_b32_e32 v8, 0, v8, vcc
	v_cmp_nlt_f32_e32 vcc, s12, v153
	s_nop 1
	v_cndmask_b32_e32 v23, v138, v8, vcc
	v_add_f32_e32 v12, 1.0, v23
	v_add_f32_e32 v8, -1.0, v12
	v_sub_f32_e32 v9, v8, v12
	v_add_f32_e32 v9, 1.0, v9
	v_sub_f32_e32 v8, v23, v8
	v_add_f32_e32 v13, v8, v9
	v_frexp_mant_f32_e32 v14, v12
	v_cvt_f64_f32_e32 v[8:9], v12
	v_frexp_exp_i32_f64_e32 v8, v[8:9]
	v_cmp_gt_f32_e32 vcc, s14, v14
	v_cmp_gt_f32_e64 s[60:61], s16, v23
	s_nop 0
	v_subbrev_co_u32_e32 v28, vcc, 0, v8, vcc
	v_sub_u32_e32 v8, 0, v28
	v_ldexp_f32 v9, v12, v8
	v_add_f32_e32 v12, -1.0, v9
	v_add_f32_e32 v14, 1.0, v9
	v_ldexp_f32 v8, v13, v8
	v_add_f32_e32 v13, 1.0, v12
	v_add_f32_e32 v15, -1.0, v14
	v_sub_f32_e32 v13, v9, v13
	v_sub_f32_e32 v9, v9, v15
	v_add_f32_e32 v13, v8, v13
	v_add_f32_e32 v8, v8, v9
	;; [unrolled: 1-line block ×3, first 2 shown]
	v_rcp_f32_e32 v30, v25
	v_sub_f32_e32 v9, v14, v25
	v_add_f32_e32 v29, v8, v9
	v_add_f32_e32 v9, v12, v13
	v_mul_f32_e32 v32, v9, v30
	v_sub_f32_e32 v8, v12, v9
	v_mul_f32_e32 v12, v25, v32
	v_fma_f32 v14, v32, v25, -v12
	v_fmac_f32_e32 v14, v32, v29
	v_add_f32_e32 v31, v13, v8
	v_add_f32_e32 v8, v12, v14
	v_sub_f32_e32 v13, v9, v8
	v_pk_add_f32 v[26:27], v[8:9], v[12:13] neg_lo:[0,1] neg_hi:[0,1]
	v_mov_b32_e32 v15, v8
	v_pk_add_f32 v[8:9], v[26:27], v[14:15] neg_lo:[0,1] neg_hi:[0,1]
	v_cmp_eq_f32_e32 vcc, s13, v23
	v_add_f32_e32 v9, v31, v9
	v_add_f32_e32 v8, v8, v9
	;; [unrolled: 1-line block ×3, first 2 shown]
	v_mul_f32_e32 v31, v30, v9
	v_mul_f32_e32 v12, v25, v31
	v_fma_f32 v14, v31, v25, -v12
	v_fmac_f32_e32 v14, v31, v29
	v_sub_f32_e32 v13, v13, v9
	v_add_f32_e32 v25, v8, v13
	v_add_f32_e32 v8, v12, v14
	v_sub_f32_e32 v13, v9, v8
	v_pk_add_f32 v[26:27], v[8:9], v[12:13] neg_lo:[0,1] neg_hi:[0,1]
	v_mov_b32_e32 v15, v8
	v_pk_add_f32 v[8:9], v[26:27], v[14:15] neg_lo:[0,1] neg_hi:[0,1]
	s_or_b64 vcc, s[60:61], vcc
	v_add_f32_e32 v9, v25, v9
	v_add_f32_e32 v8, v8, v9
	;; [unrolled: 1-line block ×4, first 2 shown]
	v_sub_f32_e32 v12, v9, v32
	v_mul_f32_e32 v8, v30, v8
	v_sub_f32_e32 v12, v31, v12
	v_add_f32_e32 v12, v12, v8
	v_add_f32_e32 v14, v9, v12
	v_mul_f32_e32 v15, v14, v14
	v_fmamk_f32 v8, v15, 0x3e9b6dac, v137
	v_fmaak_f32 v25, v15, v8, 0x3f2aaada
	v_cvt_f32_i32_e32 v8, v28
	v_sub_f32_e32 v9, v14, v9
	v_sub_f32_e32 v9, v12, v9
	v_ldexp_f32 v26, v9, 1
	v_mul_f32_e32 v9, v14, v15
	v_ldexp_f32 v13, v14, 1
	v_pk_mul_f32 v[14:15], v[8:9], v[24:25]
	s_nop 0
	v_fma_f32 v12, v8, s15, -v14
	v_fmac_f32_e32 v12, 0xb102e308, v8
	v_pk_add_f32 v[8:9], v[14:15], v[12:13]
	s_nop 0
	v_sub_f32_e32 v13, v9, v13
	v_sub_f32_e32 v13, v15, v13
	v_add_f32_e32 v27, v26, v13
	v_mov_b32_e32 v26, v14
	v_pk_add_f32 v[14:15], v[8:9], v[14:15] neg_lo:[0,1] neg_hi:[0,1]
	v_pk_add_f32 v[28:29], v[8:9], v[26:27]
	v_mov_b32_e32 v13, v8
	v_mov_b32_e32 v15, v29
	v_pk_add_f32 v[30:31], v[12:13], v[14:15] neg_lo:[0,1] neg_hi:[0,1]
	v_pk_add_f32 v[12:13], v[12:13], v[14:15]
	v_mov_b32_e32 v26, v27
	v_mov_b32_e32 v14, v13
	v_pk_add_f32 v[32:33], v[14:15], v[8:9] neg_lo:[0,1] neg_hi:[0,1]
	v_mov_b32_e32 v12, v29
	v_mov_b32_e32 v15, v32
	v_pk_add_f32 v[34:35], v[28:29], v[14:15] neg_lo:[0,1] neg_hi:[0,1]
	v_mov_b32_e32 v28, v9
	v_mov_b32_e32 v29, v32
	v_mov_b32_e32 v31, v13
	v_pk_add_f32 v[12:13], v[12:13], v[28:29] neg_lo:[0,1] neg_hi:[0,1]
	v_mov_b32_e32 v27, v8
	v_pk_add_f32 v[8:9], v[26:27], v[12:13] neg_lo:[0,1] neg_hi:[0,1]
	v_mov_b32_e32 v34, v30
	v_pk_add_f32 v[12:13], v[34:35], v[8:9]
	s_nop 0
	v_mov_b32_e32 v26, v13
	v_pk_add_f32 v[26:27], v[12:13], v[26:27]
	s_nop 0
	v_pk_add_f32 v[14:15], v[14:15], v[26:27]
	v_mov_b32_e32 v9, v26
	v_mov_b32_e32 v13, v14
	v_pk_add_f32 v[28:29], v[12:13], v[30:31] neg_lo:[0,1] neg_hi:[0,1]
	s_nop 0
	v_sub_f32_e32 v12, v12, v28
	v_pk_add_f32 v[8:9], v[8:9], v[28:29] neg_lo:[0,1] neg_hi:[0,1]
	v_sub_f32_e32 v12, v30, v12
	v_add_f32_e32 v8, v8, v12
	v_add_f32_e32 v8, v8, v9
	;; [unrolled: 1-line block ×3, first 2 shown]
	v_cndmask_b32_e32 v153, v8, v23, vcc
.LBB30_99:                              ;   in Loop: Header=BB30_13 Depth=1
	s_or_b64 exec, exec, s[4:5]
	v_lshlrev_b32_e32 v8, 16, v10
	v_readlane_b32 s2, v167, 2
	s_nop 1
	v_add_f32_e32 v154, s2, v8
	v_readlane_b32 s2, v167, 30
	v_cmp_ge_f32_e32 vcc, s6, v154
	v_readlane_b32 s3, v167, 31
	s_and_b64 s[2:3], s[2:3], vcc
	s_and_saveexec_b64 s[4:5], s[2:3]
	s_cbranch_execz .LBB30_101
; %bb.100:                              ;   in Loop: Header=BB30_13 Depth=1
	v_mul_f32_e32 v8, 0x3fb8aa3b, v154
	v_rndne_f32_e32 v9, v8
	v_sub_f32_e32 v12, v8, v9
	v_fma_f32 v8, v154, s10, -v8
	v_fmac_f32_e32 v8, 0x32a5705f, v154
	v_add_f32_e32 v8, v12, v8
	v_cvt_i32_f32_e32 v9, v9
	v_exp_f32_e32 v8, v8
	v_cmp_ngt_f32_e32 vcc, s11, v154
	v_ldexp_f32 v8, v8, v9
	s_nop 0
	v_cndmask_b32_e32 v8, 0, v8, vcc
	v_cmp_nlt_f32_e32 vcc, s12, v154
	s_nop 1
	v_cndmask_b32_e32 v23, v138, v8, vcc
	v_add_f32_e32 v12, 1.0, v23
	v_add_f32_e32 v8, -1.0, v12
	v_sub_f32_e32 v9, v8, v12
	v_add_f32_e32 v9, 1.0, v9
	v_sub_f32_e32 v8, v23, v8
	v_add_f32_e32 v13, v8, v9
	v_frexp_mant_f32_e32 v14, v12
	v_cvt_f64_f32_e32 v[8:9], v12
	v_frexp_exp_i32_f64_e32 v8, v[8:9]
	v_cmp_gt_f32_e32 vcc, s14, v14
	v_cmp_gt_f32_e64 s[60:61], s16, v23
	s_nop 0
	v_subbrev_co_u32_e32 v28, vcc, 0, v8, vcc
	v_sub_u32_e32 v8, 0, v28
	v_ldexp_f32 v9, v12, v8
	v_add_f32_e32 v12, -1.0, v9
	v_add_f32_e32 v14, 1.0, v9
	v_ldexp_f32 v8, v13, v8
	v_add_f32_e32 v13, 1.0, v12
	v_add_f32_e32 v15, -1.0, v14
	v_sub_f32_e32 v13, v9, v13
	v_sub_f32_e32 v9, v9, v15
	v_add_f32_e32 v13, v8, v13
	v_add_f32_e32 v8, v8, v9
	;; [unrolled: 1-line block ×3, first 2 shown]
	v_rcp_f32_e32 v30, v25
	v_sub_f32_e32 v9, v14, v25
	v_add_f32_e32 v29, v8, v9
	v_add_f32_e32 v9, v12, v13
	v_mul_f32_e32 v32, v9, v30
	v_sub_f32_e32 v8, v12, v9
	v_mul_f32_e32 v12, v25, v32
	v_fma_f32 v14, v32, v25, -v12
	v_fmac_f32_e32 v14, v32, v29
	v_add_f32_e32 v31, v13, v8
	v_add_f32_e32 v8, v12, v14
	v_sub_f32_e32 v13, v9, v8
	v_pk_add_f32 v[26:27], v[8:9], v[12:13] neg_lo:[0,1] neg_hi:[0,1]
	v_mov_b32_e32 v15, v8
	v_pk_add_f32 v[8:9], v[26:27], v[14:15] neg_lo:[0,1] neg_hi:[0,1]
	v_cmp_eq_f32_e32 vcc, s13, v23
	v_add_f32_e32 v9, v31, v9
	v_add_f32_e32 v8, v8, v9
	;; [unrolled: 1-line block ×3, first 2 shown]
	v_mul_f32_e32 v31, v30, v9
	v_mul_f32_e32 v12, v25, v31
	v_fma_f32 v14, v31, v25, -v12
	v_fmac_f32_e32 v14, v31, v29
	v_sub_f32_e32 v13, v13, v9
	v_add_f32_e32 v25, v8, v13
	v_add_f32_e32 v8, v12, v14
	v_sub_f32_e32 v13, v9, v8
	v_pk_add_f32 v[26:27], v[8:9], v[12:13] neg_lo:[0,1] neg_hi:[0,1]
	v_mov_b32_e32 v15, v8
	v_pk_add_f32 v[8:9], v[26:27], v[14:15] neg_lo:[0,1] neg_hi:[0,1]
	s_or_b64 vcc, s[60:61], vcc
	v_add_f32_e32 v9, v25, v9
	v_add_f32_e32 v8, v8, v9
	;; [unrolled: 1-line block ×4, first 2 shown]
	v_sub_f32_e32 v12, v9, v32
	v_mul_f32_e32 v8, v30, v8
	v_sub_f32_e32 v12, v31, v12
	v_add_f32_e32 v12, v12, v8
	v_add_f32_e32 v14, v9, v12
	v_mul_f32_e32 v15, v14, v14
	v_fmamk_f32 v8, v15, 0x3e9b6dac, v137
	v_fmaak_f32 v25, v15, v8, 0x3f2aaada
	v_cvt_f32_i32_e32 v8, v28
	v_sub_f32_e32 v9, v14, v9
	v_sub_f32_e32 v9, v12, v9
	v_ldexp_f32 v26, v9, 1
	v_mul_f32_e32 v9, v14, v15
	v_ldexp_f32 v13, v14, 1
	v_pk_mul_f32 v[14:15], v[8:9], v[24:25]
	s_nop 0
	v_fma_f32 v12, v8, s15, -v14
	v_fmac_f32_e32 v12, 0xb102e308, v8
	v_pk_add_f32 v[8:9], v[14:15], v[12:13]
	s_nop 0
	v_sub_f32_e32 v13, v9, v13
	v_sub_f32_e32 v13, v15, v13
	v_add_f32_e32 v27, v26, v13
	v_mov_b32_e32 v26, v14
	v_pk_add_f32 v[14:15], v[8:9], v[14:15] neg_lo:[0,1] neg_hi:[0,1]
	v_pk_add_f32 v[28:29], v[8:9], v[26:27]
	v_mov_b32_e32 v13, v8
	v_mov_b32_e32 v15, v29
	v_pk_add_f32 v[30:31], v[12:13], v[14:15] neg_lo:[0,1] neg_hi:[0,1]
	v_pk_add_f32 v[12:13], v[12:13], v[14:15]
	v_mov_b32_e32 v26, v27
	v_mov_b32_e32 v14, v13
	v_pk_add_f32 v[32:33], v[14:15], v[8:9] neg_lo:[0,1] neg_hi:[0,1]
	v_mov_b32_e32 v12, v29
	v_mov_b32_e32 v15, v32
	v_pk_add_f32 v[34:35], v[28:29], v[14:15] neg_lo:[0,1] neg_hi:[0,1]
	v_mov_b32_e32 v28, v9
	v_mov_b32_e32 v29, v32
	;; [unrolled: 1-line block ×3, first 2 shown]
	v_pk_add_f32 v[12:13], v[12:13], v[28:29] neg_lo:[0,1] neg_hi:[0,1]
	v_mov_b32_e32 v27, v8
	v_pk_add_f32 v[8:9], v[26:27], v[12:13] neg_lo:[0,1] neg_hi:[0,1]
	v_mov_b32_e32 v34, v30
	v_pk_add_f32 v[12:13], v[34:35], v[8:9]
	s_nop 0
	v_mov_b32_e32 v26, v13
	v_pk_add_f32 v[26:27], v[12:13], v[26:27]
	s_nop 0
	v_pk_add_f32 v[14:15], v[14:15], v[26:27]
	v_mov_b32_e32 v9, v26
	v_mov_b32_e32 v13, v14
	v_pk_add_f32 v[28:29], v[12:13], v[30:31] neg_lo:[0,1] neg_hi:[0,1]
	s_nop 0
	v_sub_f32_e32 v12, v12, v28
	v_pk_add_f32 v[8:9], v[8:9], v[28:29] neg_lo:[0,1] neg_hi:[0,1]
	v_sub_f32_e32 v12, v30, v12
	v_add_f32_e32 v8, v8, v12
	v_add_f32_e32 v8, v8, v9
	;; [unrolled: 1-line block ×3, first 2 shown]
	v_cndmask_b32_e32 v154, v8, v23, vcc
.LBB30_101:                             ;   in Loop: Header=BB30_13 Depth=1
	s_or_b64 exec, exec, s[4:5]
	v_and_b32_e32 v8, 0xffff0000, v10
	v_readlane_b32 s2, v167, 2
	s_nop 1
	v_add_f32_e32 v155, s2, v8
	v_readlane_b32 s2, v167, 30
	v_cmp_ge_f32_e32 vcc, s6, v155
	v_readlane_b32 s3, v167, 31
	s_and_b64 s[2:3], s[2:3], vcc
	s_and_saveexec_b64 s[4:5], s[2:3]
	s_cbranch_execz .LBB30_103
; %bb.102:                              ;   in Loop: Header=BB30_13 Depth=1
	v_mul_f32_e32 v8, 0x3fb8aa3b, v155
	v_rndne_f32_e32 v9, v8
	v_sub_f32_e32 v10, v8, v9
	v_fma_f32 v8, v155, s10, -v8
	v_fmac_f32_e32 v8, 0x32a5705f, v155
	v_add_f32_e32 v8, v10, v8
	v_cvt_i32_f32_e32 v9, v9
	v_exp_f32_e32 v8, v8
	v_cmp_ngt_f32_e32 vcc, s11, v155
	v_ldexp_f32 v8, v8, v9
	s_nop 0
	v_cndmask_b32_e32 v8, 0, v8, vcc
	v_cmp_nlt_f32_e32 vcc, s12, v155
	s_nop 1
	v_cndmask_b32_e32 v23, v138, v8, vcc
	v_add_f32_e32 v10, 1.0, v23
	v_add_f32_e32 v8, -1.0, v10
	v_sub_f32_e32 v9, v8, v10
	v_add_f32_e32 v9, 1.0, v9
	v_sub_f32_e32 v8, v23, v8
	v_add_f32_e32 v12, v8, v9
	v_frexp_mant_f32_e32 v13, v10
	v_cvt_f64_f32_e32 v[8:9], v10
	v_frexp_exp_i32_f64_e32 v8, v[8:9]
	v_cmp_gt_f32_e32 vcc, s14, v13
	v_cmp_gt_f32_e64 s[60:61], s16, v23
	s_nop 0
	v_subbrev_co_u32_e32 v28, vcc, 0, v8, vcc
	v_sub_u32_e32 v8, 0, v28
	v_ldexp_f32 v9, v10, v8
	v_add_f32_e32 v10, -1.0, v9
	v_add_f32_e32 v13, 1.0, v9
	v_ldexp_f32 v8, v12, v8
	v_add_f32_e32 v12, 1.0, v10
	v_add_f32_e32 v14, -1.0, v13
	v_sub_f32_e32 v12, v9, v12
	v_sub_f32_e32 v9, v9, v14
	v_add_f32_e32 v12, v8, v12
	v_add_f32_e32 v8, v8, v9
	;; [unrolled: 1-line block ×3, first 2 shown]
	v_rcp_f32_e32 v30, v25
	v_sub_f32_e32 v9, v13, v25
	v_add_f32_e32 v29, v8, v9
	v_add_f32_e32 v9, v10, v12
	v_sub_f32_e32 v8, v10, v9
	v_mul_f32_e32 v31, v9, v30
	v_add_f32_e32 v10, v12, v8
	v_mul_f32_e32 v12, v25, v31
	v_fma_f32 v14, v31, v25, -v12
	v_fmac_f32_e32 v14, v31, v29
	v_add_f32_e32 v8, v12, v14
	v_sub_f32_e32 v13, v9, v8
	v_pk_add_f32 v[26:27], v[8:9], v[12:13] neg_lo:[0,1] neg_hi:[0,1]
	v_mov_b32_e32 v15, v8
	v_pk_add_f32 v[8:9], v[26:27], v[14:15] neg_lo:[0,1] neg_hi:[0,1]
	v_cmp_eq_f32_e32 vcc, s13, v23
	v_add_f32_e32 v9, v10, v9
	v_add_f32_e32 v8, v8, v9
	;; [unrolled: 1-line block ×3, first 2 shown]
	v_mul_f32_e32 v10, v30, v9
	v_mul_f32_e32 v12, v25, v10
	v_fma_f32 v14, v10, v25, -v12
	v_fmac_f32_e32 v14, v10, v29
	v_sub_f32_e32 v13, v13, v9
	v_add_f32_e32 v25, v8, v13
	v_add_f32_e32 v8, v12, v14
	v_sub_f32_e32 v13, v9, v8
	v_pk_add_f32 v[26:27], v[8:9], v[12:13] neg_lo:[0,1] neg_hi:[0,1]
	v_mov_b32_e32 v15, v8
	v_pk_add_f32 v[8:9], v[26:27], v[14:15] neg_lo:[0,1] neg_hi:[0,1]
	s_or_b64 vcc, s[60:61], vcc
	v_add_f32_e32 v9, v25, v9
	v_add_f32_e32 v8, v8, v9
	v_add_f32_e32 v9, v31, v10
	v_add_f32_e32 v8, v13, v8
	v_sub_f32_e32 v12, v9, v31
	v_mul_f32_e32 v8, v30, v8
	v_sub_f32_e32 v10, v10, v12
	v_add_f32_e32 v10, v10, v8
	v_add_f32_e32 v12, v9, v10
	v_mul_f32_e32 v14, v12, v12
	v_fmamk_f32 v8, v14, 0x3e9b6dac, v137
	v_fmaak_f32 v25, v14, v8, 0x3f2aaada
	v_cvt_f32_i32_e32 v8, v28
	v_sub_f32_e32 v9, v12, v9
	v_sub_f32_e32 v9, v10, v9
	v_ldexp_f32 v10, v9, 1
	v_mul_f32_e32 v9, v12, v14
	v_pk_mul_f32 v[14:15], v[8:9], v[24:25]
	v_ldexp_f32 v13, v12, 1
	v_fma_f32 v12, v8, s15, -v14
	v_fmac_f32_e32 v12, 0xb102e308, v8
	v_pk_add_f32 v[8:9], v[14:15], v[12:13]
	v_mov_b32_e32 v26, v14
	v_sub_f32_e32 v13, v9, v13
	v_sub_f32_e32 v13, v15, v13
	v_add_f32_e32 v27, v10, v13
	v_pk_add_f32 v[14:15], v[8:9], v[14:15] neg_lo:[0,1] neg_hi:[0,1]
	v_pk_add_f32 v[28:29], v[8:9], v[26:27]
	v_mov_b32_e32 v13, v8
	v_mov_b32_e32 v15, v29
	v_pk_add_f32 v[30:31], v[12:13], v[14:15] neg_lo:[0,1] neg_hi:[0,1]
	v_pk_add_f32 v[12:13], v[12:13], v[14:15]
	s_nop 0
	v_mov_b32_e32 v10, v13
	v_pk_add_f32 v[14:15], v[10:11], v[8:9] neg_lo:[0,1] neg_hi:[0,1]
	v_mov_b32_e32 v12, v29
	v_mov_b32_e32 v15, v14
	v_pk_add_f32 v[32:33], v[28:29], v[14:15] neg_lo:[0,1] neg_hi:[0,1]
	v_mov_b32_e32 v28, v9
	v_mov_b32_e32 v29, v14
	;; [unrolled: 1-line block ×3, first 2 shown]
	v_pk_add_f32 v[12:13], v[12:13], v[28:29] neg_lo:[0,1] neg_hi:[0,1]
	v_mov_b32_e32 v14, v27
	v_mov_b32_e32 v15, v8
	v_pk_add_f32 v[8:9], v[14:15], v[12:13] neg_lo:[0,1] neg_hi:[0,1]
	v_mov_b32_e32 v32, v30
	v_pk_add_f32 v[12:13], v[32:33], v[8:9]
	s_nop 0
	v_mov_b32_e32 v14, v13
	v_pk_add_f32 v[14:15], v[12:13], v[14:15]
	s_nop 0
	v_pk_add_f32 v[26:27], v[10:11], v[14:15]
	v_mov_b32_e32 v9, v14
	v_mov_b32_e32 v13, v26
	v_pk_add_f32 v[28:29], v[12:13], v[30:31] neg_lo:[0,1] neg_hi:[0,1]
	s_nop 0
	v_sub_f32_e32 v10, v12, v28
	v_pk_add_f32 v[8:9], v[8:9], v[28:29] neg_lo:[0,1] neg_hi:[0,1]
	v_sub_f32_e32 v10, v30, v10
	v_add_f32_e32 v8, v8, v10
	v_add_f32_e32 v8, v8, v9
	v_add_f32_e32 v8, v26, v8
	v_cndmask_b32_e32 v155, v8, v23, vcc
.LBB30_103:                             ;   in Loop: Header=BB30_13 Depth=1
	s_or_b64 exec, exec, s[4:5]
	v_lshlrev_b32_e32 v8, 16, v11
	v_readlane_b32 s2, v167, 2
	s_nop 1
	v_add_f32_e32 v26, s2, v8
	v_readlane_b32 s2, v167, 30
	v_cmp_ge_f32_e32 vcc, s6, v26
	v_readlane_b32 s3, v167, 31
	s_and_b64 s[2:3], s[2:3], vcc
	s_and_saveexec_b64 s[4:5], s[2:3]
	s_cbranch_execz .LBB30_105
; %bb.104:                              ;   in Loop: Header=BB30_13 Depth=1
	v_mul_f32_e32 v8, 0x3fb8aa3b, v26
	v_rndne_f32_e32 v9, v8
	v_sub_f32_e32 v10, v8, v9
	v_fma_f32 v8, v26, s10, -v8
	v_fmac_f32_e32 v8, 0x32a5705f, v26
	v_add_f32_e32 v8, v10, v8
	v_cvt_i32_f32_e32 v9, v9
	v_exp_f32_e32 v8, v8
	v_cmp_ngt_f32_e32 vcc, s11, v26
	v_ldexp_f32 v8, v8, v9
	s_nop 0
	v_cndmask_b32_e32 v8, 0, v8, vcc
	v_cmp_nlt_f32_e32 vcc, s12, v26
	s_nop 1
	v_cndmask_b32_e32 v23, v138, v8, vcc
	v_add_f32_e32 v10, 1.0, v23
	v_add_f32_e32 v8, -1.0, v10
	v_sub_f32_e32 v9, v8, v10
	v_add_f32_e32 v9, 1.0, v9
	v_sub_f32_e32 v8, v23, v8
	v_add_f32_e32 v12, v8, v9
	v_frexp_mant_f32_e32 v13, v10
	v_cvt_f64_f32_e32 v[8:9], v10
	v_frexp_exp_i32_f64_e32 v8, v[8:9]
	v_cmp_gt_f32_e32 vcc, s14, v13
	v_cmp_gt_f32_e64 s[60:61], s16, v23
	s_nop 0
	v_subbrev_co_u32_e32 v28, vcc, 0, v8, vcc
	v_sub_u32_e32 v8, 0, v28
	v_ldexp_f32 v9, v10, v8
	v_add_f32_e32 v10, -1.0, v9
	v_add_f32_e32 v13, 1.0, v9
	v_ldexp_f32 v8, v12, v8
	v_add_f32_e32 v12, 1.0, v10
	v_add_f32_e32 v14, -1.0, v13
	v_sub_f32_e32 v12, v9, v12
	v_sub_f32_e32 v9, v9, v14
	v_add_f32_e32 v12, v8, v12
	v_add_f32_e32 v8, v8, v9
	;; [unrolled: 1-line block ×3, first 2 shown]
	v_rcp_f32_e32 v30, v25
	v_sub_f32_e32 v9, v13, v25
	v_add_f32_e32 v29, v8, v9
	v_add_f32_e32 v9, v10, v12
	v_sub_f32_e32 v8, v10, v9
	v_mul_f32_e32 v31, v9, v30
	v_add_f32_e32 v10, v12, v8
	v_mul_f32_e32 v12, v25, v31
	v_fma_f32 v14, v31, v25, -v12
	v_fmac_f32_e32 v14, v31, v29
	v_add_f32_e32 v8, v12, v14
	v_sub_f32_e32 v13, v9, v8
	v_pk_add_f32 v[26:27], v[8:9], v[12:13] neg_lo:[0,1] neg_hi:[0,1]
	v_mov_b32_e32 v15, v8
	v_pk_add_f32 v[8:9], v[26:27], v[14:15] neg_lo:[0,1] neg_hi:[0,1]
	v_cmp_eq_f32_e32 vcc, s13, v23
	v_add_f32_e32 v9, v10, v9
	v_add_f32_e32 v8, v8, v9
	;; [unrolled: 1-line block ×3, first 2 shown]
	v_mul_f32_e32 v10, v30, v9
	v_mul_f32_e32 v12, v25, v10
	v_fma_f32 v14, v10, v25, -v12
	v_fmac_f32_e32 v14, v10, v29
	v_sub_f32_e32 v13, v13, v9
	v_add_f32_e32 v25, v8, v13
	v_add_f32_e32 v8, v12, v14
	v_sub_f32_e32 v13, v9, v8
	v_pk_add_f32 v[26:27], v[8:9], v[12:13] neg_lo:[0,1] neg_hi:[0,1]
	v_mov_b32_e32 v15, v8
	v_pk_add_f32 v[8:9], v[26:27], v[14:15] neg_lo:[0,1] neg_hi:[0,1]
	s_or_b64 vcc, s[60:61], vcc
	v_add_f32_e32 v9, v25, v9
	v_add_f32_e32 v8, v8, v9
	;; [unrolled: 1-line block ×4, first 2 shown]
	v_sub_f32_e32 v12, v9, v31
	v_mul_f32_e32 v8, v30, v8
	v_sub_f32_e32 v10, v10, v12
	v_add_f32_e32 v10, v10, v8
	v_add_f32_e32 v12, v9, v10
	v_mul_f32_e32 v14, v12, v12
	v_fmamk_f32 v8, v14, 0x3e9b6dac, v137
	v_fmaak_f32 v25, v14, v8, 0x3f2aaada
	v_cvt_f32_i32_e32 v8, v28
	v_sub_f32_e32 v9, v12, v9
	v_sub_f32_e32 v9, v10, v9
	v_ldexp_f32 v10, v9, 1
	v_mul_f32_e32 v9, v12, v14
	v_pk_mul_f32 v[14:15], v[8:9], v[24:25]
	v_ldexp_f32 v13, v12, 1
	v_fma_f32 v12, v8, s15, -v14
	v_fmac_f32_e32 v12, 0xb102e308, v8
	v_pk_add_f32 v[8:9], v[14:15], v[12:13]
	v_mov_b32_e32 v26, v14
	v_sub_f32_e32 v13, v9, v13
	v_sub_f32_e32 v13, v15, v13
	v_add_f32_e32 v27, v10, v13
	v_pk_add_f32 v[14:15], v[8:9], v[14:15] neg_lo:[0,1] neg_hi:[0,1]
	v_pk_add_f32 v[28:29], v[8:9], v[26:27]
	v_mov_b32_e32 v13, v8
	v_mov_b32_e32 v15, v29
	v_pk_add_f32 v[30:31], v[12:13], v[14:15] neg_lo:[0,1] neg_hi:[0,1]
	v_pk_add_f32 v[12:13], v[12:13], v[14:15]
	s_nop 0
	v_mov_b32_e32 v10, v13
	v_pk_add_f32 v[14:15], v[10:11], v[8:9] neg_lo:[0,1] neg_hi:[0,1]
	v_mov_b32_e32 v12, v29
	v_mov_b32_e32 v15, v14
	v_pk_add_f32 v[32:33], v[28:29], v[14:15] neg_lo:[0,1] neg_hi:[0,1]
	v_mov_b32_e32 v28, v9
	v_mov_b32_e32 v29, v14
	;; [unrolled: 1-line block ×3, first 2 shown]
	v_pk_add_f32 v[12:13], v[12:13], v[28:29] neg_lo:[0,1] neg_hi:[0,1]
	v_mov_b32_e32 v14, v27
	v_mov_b32_e32 v15, v8
	v_pk_add_f32 v[8:9], v[14:15], v[12:13] neg_lo:[0,1] neg_hi:[0,1]
	v_mov_b32_e32 v32, v30
	v_pk_add_f32 v[12:13], v[32:33], v[8:9]
	s_nop 0
	v_mov_b32_e32 v14, v13
	v_pk_add_f32 v[14:15], v[12:13], v[14:15]
	s_nop 0
	v_pk_add_f32 v[26:27], v[10:11], v[14:15]
	v_mov_b32_e32 v9, v14
	v_mov_b32_e32 v13, v26
	v_pk_add_f32 v[28:29], v[12:13], v[30:31] neg_lo:[0,1] neg_hi:[0,1]
	s_nop 0
	v_sub_f32_e32 v10, v12, v28
	v_pk_add_f32 v[8:9], v[8:9], v[28:29] neg_lo:[0,1] neg_hi:[0,1]
	v_sub_f32_e32 v10, v30, v10
	v_add_f32_e32 v8, v8, v10
	v_add_f32_e32 v8, v8, v9
	;; [unrolled: 1-line block ×3, first 2 shown]
	v_cndmask_b32_e32 v26, v8, v23, vcc
.LBB30_105:                             ;   in Loop: Header=BB30_13 Depth=1
	s_or_b64 exec, exec, s[4:5]
	v_and_b32_e32 v8, 0xffff0000, v11
	v_readlane_b32 s2, v167, 2
	s_nop 1
	v_add_f32_e32 v27, s2, v8
	v_readlane_b32 s2, v167, 30
	v_cmp_ge_f32_e32 vcc, s6, v27
	v_readlane_b32 s3, v167, 31
	s_and_b64 s[2:3], s[2:3], vcc
	s_and_saveexec_b64 s[4:5], s[2:3]
	s_cbranch_execz .LBB30_107
; %bb.106:                              ;   in Loop: Header=BB30_13 Depth=1
	v_mul_f32_e32 v8, 0x3fb8aa3b, v27
	v_rndne_f32_e32 v9, v8
	v_sub_f32_e32 v10, v8, v9
	v_fma_f32 v8, v27, s10, -v8
	v_fmac_f32_e32 v8, 0x32a5705f, v27
	v_add_f32_e32 v8, v10, v8
	v_cvt_i32_f32_e32 v9, v9
	v_exp_f32_e32 v8, v8
	v_cmp_ngt_f32_e32 vcc, s11, v27
	v_ldexp_f32 v8, v8, v9
	s_nop 0
	v_cndmask_b32_e32 v8, 0, v8, vcc
	v_cmp_nlt_f32_e32 vcc, s12, v27
	s_nop 1
	v_cndmask_b32_e32 v23, v138, v8, vcc
	v_add_f32_e32 v10, 1.0, v23
	v_add_f32_e32 v8, -1.0, v10
	v_sub_f32_e32 v9, v8, v10
	v_add_f32_e32 v9, 1.0, v9
	v_sub_f32_e32 v8, v23, v8
	v_add_f32_e32 v11, v8, v9
	v_frexp_mant_f32_e32 v12, v10
	v_cvt_f64_f32_e32 v[8:9], v10
	v_frexp_exp_i32_f64_e32 v8, v[8:9]
	v_cmp_gt_f32_e32 vcc, s14, v12
	v_cmp_gt_f32_e64 s[60:61], s16, v23
	s_nop 0
	v_subbrev_co_u32_e32 v27, vcc, 0, v8, vcc
	v_sub_u32_e32 v8, 0, v27
	v_ldexp_f32 v9, v10, v8
	v_add_f32_e32 v10, -1.0, v9
	v_add_f32_e32 v12, 1.0, v9
	v_ldexp_f32 v8, v11, v8
	v_add_f32_e32 v11, 1.0, v10
	v_add_f32_e32 v13, -1.0, v12
	v_sub_f32_e32 v11, v9, v11
	v_sub_f32_e32 v9, v9, v13
	v_add_f32_e32 v11, v8, v11
	v_add_f32_e32 v8, v8, v9
	v_add_f32_e32 v25, v12, v8
	v_rcp_f32_e32 v29, v25
	v_sub_f32_e32 v9, v12, v25
	v_add_f32_e32 v28, v8, v9
	v_add_f32_e32 v9, v10, v11
	v_mul_f32_e32 v31, v9, v29
	v_sub_f32_e32 v8, v10, v9
	v_mul_f32_e32 v10, v25, v31
	v_fma_f32 v12, v31, v25, -v10
	v_fmac_f32_e32 v12, v31, v28
	v_add_f32_e32 v30, v11, v8
	v_add_f32_e32 v8, v10, v12
	v_sub_f32_e32 v11, v9, v8
	v_pk_add_f32 v[14:15], v[8:9], v[10:11] neg_lo:[0,1] neg_hi:[0,1]
	v_mov_b32_e32 v13, v8
	v_pk_add_f32 v[8:9], v[14:15], v[12:13] neg_lo:[0,1] neg_hi:[0,1]
	v_cmp_eq_f32_e32 vcc, s13, v23
	v_add_f32_e32 v9, v30, v9
	v_add_f32_e32 v8, v8, v9
	;; [unrolled: 1-line block ×3, first 2 shown]
	v_mul_f32_e32 v30, v29, v9
	v_mul_f32_e32 v10, v25, v30
	v_fma_f32 v12, v30, v25, -v10
	v_fmac_f32_e32 v12, v30, v28
	v_sub_f32_e32 v11, v11, v9
	v_add_f32_e32 v25, v8, v11
	v_add_f32_e32 v8, v10, v12
	v_sub_f32_e32 v11, v9, v8
	v_pk_add_f32 v[14:15], v[8:9], v[10:11] neg_lo:[0,1] neg_hi:[0,1]
	v_mov_b32_e32 v13, v8
	v_pk_add_f32 v[8:9], v[14:15], v[12:13] neg_lo:[0,1] neg_hi:[0,1]
	s_or_b64 vcc, s[60:61], vcc
	v_add_f32_e32 v9, v25, v9
	v_add_f32_e32 v8, v8, v9
	v_add_f32_e32 v9, v31, v30
	v_add_f32_e32 v8, v11, v8
	v_sub_f32_e32 v10, v9, v31
	v_mul_f32_e32 v8, v29, v8
	v_sub_f32_e32 v10, v30, v10
	v_add_f32_e32 v10, v10, v8
	v_add_f32_e32 v12, v9, v10
	v_mul_f32_e32 v13, v12, v12
	v_fmamk_f32 v8, v13, 0x3e9b6dac, v137
	v_fmaak_f32 v25, v13, v8, 0x3f2aaada
	v_cvt_f32_i32_e32 v8, v27
	v_sub_f32_e32 v9, v12, v9
	v_sub_f32_e32 v9, v10, v9
	v_ldexp_f32 v14, v9, 1
	v_mul_f32_e32 v9, v12, v13
	v_ldexp_f32 v11, v12, 1
	v_pk_mul_f32 v[12:13], v[8:9], v[24:25]
	s_nop 0
	v_fma_f32 v10, v8, s15, -v12
	v_fmac_f32_e32 v10, 0xb102e308, v8
	v_pk_add_f32 v[8:9], v[12:13], v[10:11]
	s_nop 0
	v_sub_f32_e32 v11, v9, v11
	v_sub_f32_e32 v11, v13, v11
	v_add_f32_e32 v15, v14, v11
	v_mov_b32_e32 v14, v12
	v_pk_add_f32 v[12:13], v[8:9], v[12:13] neg_lo:[0,1] neg_hi:[0,1]
	v_pk_add_f32 v[28:29], v[8:9], v[14:15]
	v_mov_b32_e32 v11, v8
	v_mov_b32_e32 v13, v29
	v_pk_add_f32 v[30:31], v[10:11], v[12:13] neg_lo:[0,1] neg_hi:[0,1]
	v_pk_add_f32 v[10:11], v[10:11], v[12:13]
	v_mov_b32_e32 v14, v15
	v_mov_b32_e32 v12, v11
	v_pk_add_f32 v[32:33], v[12:13], v[8:9] neg_lo:[0,1] neg_hi:[0,1]
	v_mov_b32_e32 v10, v29
	v_mov_b32_e32 v13, v32
	v_pk_add_f32 v[34:35], v[28:29], v[12:13] neg_lo:[0,1] neg_hi:[0,1]
	v_mov_b32_e32 v28, v9
	v_mov_b32_e32 v29, v32
	;; [unrolled: 1-line block ×3, first 2 shown]
	v_pk_add_f32 v[10:11], v[10:11], v[28:29] neg_lo:[0,1] neg_hi:[0,1]
	v_mov_b32_e32 v15, v8
	v_pk_add_f32 v[8:9], v[14:15], v[10:11] neg_lo:[0,1] neg_hi:[0,1]
	v_mov_b32_e32 v34, v30
	v_pk_add_f32 v[10:11], v[34:35], v[8:9]
	s_nop 0
	v_mov_b32_e32 v14, v11
	v_pk_add_f32 v[14:15], v[10:11], v[14:15]
	s_nop 0
	v_pk_add_f32 v[12:13], v[12:13], v[14:15]
	v_mov_b32_e32 v9, v14
	v_mov_b32_e32 v11, v12
	v_pk_add_f32 v[28:29], v[10:11], v[30:31] neg_lo:[0,1] neg_hi:[0,1]
	s_nop 0
	v_sub_f32_e32 v10, v10, v28
	v_pk_add_f32 v[8:9], v[8:9], v[28:29] neg_lo:[0,1] neg_hi:[0,1]
	v_sub_f32_e32 v10, v30, v10
	v_add_f32_e32 v8, v8, v10
	v_add_f32_e32 v8, v8, v9
	;; [unrolled: 1-line block ×3, first 2 shown]
	v_cndmask_b32_e32 v27, v8, v23, vcc
.LBB30_107:                             ;   in Loop: Header=BB30_13 Depth=1
	s_or_b64 exec, exec, s[4:5]
	v_lshlrev_b32_e32 v8, 16, v7
	v_readlane_b32 s2, v167, 3
	v_and_b32_e32 v15, 0xffff0000, v7
	v_and_b32_e32 v7, 0xffff0000, v6
	v_lshlrev_b32_e32 v6, 16, v6
	v_and_b32_e32 v9, 0xffff0000, v5
	v_lshlrev_b32_e32 v5, 16, v5
	;; [unrolled: 2-line block ×7, first 2 shown]
	v_mul_f32_e32 v28, s2, v8
	v_mul_f32_e32 v31, s2, v7
	;; [unrolled: 1-line block ×16, first 2 shown]
	v_readlane_b32 s2, v167, 33
	v_readlane_b32 s3, v167, 34
	s_and_b64 vcc, exec, s[2:3]
	s_barrier
	s_cbranch_vccz .LBB30_204
; %bb.108:                              ;   in Loop: Header=BB30_13 Depth=1
	v_readlane_b32 s2, v167, 8
	v_readlane_b32 s3, v167, 9
	v_mul_f32_e32 v123, v142, v0
	v_cmp_gt_u32_e32 vcc, s88, v19
	v_lshl_add_u64 v[44:45], s[2:3], 0, v[16:17]
	v_readlane_b32 s2, v167, 22
	v_readlane_b32 s3, v167, 23
	v_or_b32_e32 v0, 1, v19
	v_mov_b32_e32 v23, v17
	v_lshl_add_u64 v[46:47], s[2:3], 0, v[16:17]
	v_readlane_b32 s3, v167, 59
	s_cmp_lg_u32 s3, 0
	v_readlane_b32 s2, v167, 37
	s_cselect_b64 s[94:95], -1, 0
	s_cmp_eq_u32 s3, s2
	v_readlane_b32 s2, v167, 38
	v_readlane_b32 s3, v167, 39
	s_cselect_b64 s[96:97], -1, 0
	s_or_b64 s[60:61], s[2:3], vcc
	v_cmp_gt_u32_e32 vcc, s88, v0
	v_or_b32_e32 v0, 2, v19
	s_or_b64 s[62:63], s[2:3], vcc
	v_cmp_gt_u32_e32 vcc, s88, v0
	v_or_b32_e32 v0, 3, v19
	s_or_b64 s[64:65], s[2:3], vcc
	v_cmp_gt_u32_e32 vcc, s88, v0
	v_or_b32_e32 v0, 4, v19
	s_or_b64 s[66:67], s[2:3], vcc
	v_cmp_gt_u32_e32 vcc, s88, v0
	v_or_b32_e32 v0, 5, v19
	s_or_b64 s[68:69], s[2:3], vcc
	v_cmp_gt_u32_e32 vcc, s88, v0
	v_or_b32_e32 v0, 6, v19
	s_or_b64 s[70:71], s[2:3], vcc
	v_cmp_gt_u32_e32 vcc, s88, v0
	v_or_b32_e32 v0, 7, v19
	s_or_b64 s[72:73], s[2:3], vcc
	v_cmp_gt_u32_e32 vcc, s88, v0
	v_or_b32_e32 v0, 8, v19
	s_or_b64 s[74:75], s[2:3], vcc
	v_cmp_gt_u32_e32 vcc, s88, v0
	v_or_b32_e32 v0, 9, v19
	s_or_b64 s[76:77], s[2:3], vcc
	v_cmp_gt_u32_e32 vcc, s88, v0
	v_or_b32_e32 v0, 10, v19
	s_or_b64 s[78:79], s[2:3], vcc
	v_cmp_gt_u32_e32 vcc, s88, v0
	v_or_b32_e32 v0, 11, v19
	s_or_b64 s[80:81], s[2:3], vcc
	v_cmp_gt_u32_e32 vcc, s88, v0
	v_or_b32_e32 v0, 12, v19
	s_or_b64 s[82:83], s[2:3], vcc
	v_cmp_gt_u32_e32 vcc, s88, v0
	v_or_b32_e32 v0, 13, v19
	s_or_b64 s[84:85], s[2:3], vcc
	v_cmp_gt_u32_e32 vcc, s88, v0
	v_or_b32_e32 v0, 14, v19
	s_or_b64 s[86:87], s[2:3], vcc
	v_cmp_gt_u32_e32 vcc, s88, v0
	v_or_b32_e32 v0, 15, v19
	s_mov_b32 s6, 0
	v_cmp_gt_u32_e64 s[88:89], s88, v0
	v_mul_f32_e32 v25, v27, v15
	v_lshl_add_u64 v[44:45], v[44:45], 0, v[22:23]
	v_lshl_add_u64 v[46:47], v[46:47], 0, v[22:23]
	v_mul_f32_e32 v16, v26, v8
	v_mul_f32_e32 v23, v155, v7
	;; [unrolled: 1-line block ×14, first 2 shown]
	s_or_b64 s[88:89], s[2:3], s[88:89]
	s_or_b64 s[90:91], s[2:3], vcc
	s_mov_b32 s92, s6
	s_mov_b32 s98, s6
	;; [unrolled: 1-line block ×3, first 2 shown]
	v_readlane_b32 s8, v167, 32
	v_readlane_b32 s9, v167, 58
	s_branch .LBB30_110
.LBB30_109:                             ;   in Loop: Header=BB30_110 Depth=2
	s_or_b64 exec, exec, s[2:3]
	v_cndmask_b32_e64 v8, v8, v69, s[24:25]
	v_cndmask_b32_e64 v49, v60, v68, s[24:25]
	v_mul_f32_e32 v49, v49, v125
	v_fma_f32 v8, v8, v125, v124
	v_cndmask_b32_e64 v8, v8, v124, s[22:23]
	v_cndmask_b32_e64 v49, v49, v125, s[22:23]
	s_waitcnt lgkmcnt(0)
	v_fmac_f32_e32 v8, v48, v49
	v_fmac_f32_e32 v9, v8, v126
	;; [unrolled: 1-line block ×10, first 2 shown]
	v_readlane_b32 s12, v167, 24
	v_fmac_f32_e32 v56, v53, v135
	v_readlane_b32 s13, v167, 25
	v_readlane_b32 s14, v167, 26
	;; [unrolled: 1-line block ×3, first 2 shown]
	v_fmac_f32_e32 v57, v56, v136
	s_add_i32 s4, s4, s14
	v_readlane_b32 s12, v167, 18
	v_fmac_f32_e32 v54, v57, v62
	v_readlane_b32 s13, v167, 19
	v_readlane_b32 s14, v167, 20
	v_readlane_b32 s15, v167, 21
	v_fmac_f32_e32 v55, v54, v58
	s_add_i32 s98, s98, s12
	v_readlane_b32 s12, v167, 10
	v_fmac_f32_e32 v59, v55, v64
	v_readlane_b32 s13, v167, 11
	v_readlane_b32 s16, v167, 14
	v_fmac_f32_e32 v61, v59, v65
	v_and_b32_e32 v49, 0xffff0000, v4
	v_and_b32_e32 v51, 0xffff0000, v5
	v_lshlrev_b32_e32 v48, 16, v4
	v_lshlrev_b32_e32 v50, 16, v5
	v_and_b32_e32 v5, 0xffff0000, v6
	v_and_b32_e32 v63, 0xffff0000, v7
	v_lshlrev_b32_e32 v4, 16, v6
	v_lshlrev_b32_e32 v62, 16, v7
	v_and_b32_e32 v7, 0xffff0000, v0
	v_and_b32_e32 v65, 0xffff0000, v1
	v_lshlrev_b32_e32 v6, 16, v0
	v_lshlrev_b32_e32 v64, 16, v1
	v_and_b32_e32 v1, 0xffff0000, v2
	v_and_b32_e32 v67, 0xffff0000, v3
	v_lshlrev_b32_e32 v0, 16, v2
	v_lshlrev_b32_e32 v66, 16, v3
	v_mov_b32_e32 v60, v59
	s_add_i32 s9, s9, 8
	s_add_i32 s8, s8, -1
	s_add_i32 s92, s92, s16
	s_add_i32 s6, s6, s13
	v_pk_fma_f32 v[40:41], v[10:11], v[50:51], v[40:41]
	v_pk_fma_f32 v[42:43], v[8:9], v[48:49], v[42:43]
	;; [unrolled: 1-line block ×7, first 2 shown]
	s_cmp_eq_u32 s8, 0
	v_pk_fma_f32 v[30:31], v[54:55], v[0:1], v[30:31]
	v_readlane_b32 s14, v167, 12
	v_readlane_b32 s15, v167, 13
	;; [unrolled: 1-line block ×5, first 2 shown]
	s_cbranch_scc1 .LBB30_203
.LBB30_110:                             ;   Parent Loop BB30_13 Depth=1
                                        ; =>  This Inner Loop Header: Depth=2
	s_lshl_b64 s[2:3], s[6:7], 2
	v_readlane_b32 s5, v167, 6
	s_add_u32 s2, s5, s2
	v_readlane_b32 s5, v167, 7
	s_addc_u32 s3, s5, s3
	global_load_dword v48, v17, s[2:3]
	s_mov_b32 s93, s7
	v_lshl_add_u64 v[0:1], s[92:93], 1, v[44:45]
	v_mov_b32_e32 v2, 0
	v_mov_b32_e32 v3, 0
	s_and_saveexec_b64 s[2:3], s[26:27]
	s_cbranch_execz .LBB30_112
; %bb.111:                              ;   in Loop: Header=BB30_110 Depth=2
	global_load_ushort v3, v[0:1], off
.LBB30_112:                             ;   in Loop: Header=BB30_110 Depth=2
	s_or_b64 exec, exec, s[2:3]
	s_and_saveexec_b64 s[2:3], s[28:29]
	s_cbranch_execz .LBB30_114
; %bb.113:                              ;   in Loop: Header=BB30_110 Depth=2
	global_load_ushort v2, v[0:1], off offset:128
.LBB30_114:                             ;   in Loop: Header=BB30_110 Depth=2
	s_or_b64 exec, exec, s[2:3]
	v_mov_b32_e32 v4, 0
	v_mov_b32_e32 v5, 0
	s_and_saveexec_b64 s[2:3], s[30:31]
	s_cbranch_execz .LBB30_116
; %bb.115:                              ;   in Loop: Header=BB30_110 Depth=2
	global_load_ushort v5, v[0:1], off offset:256
.LBB30_116:                             ;   in Loop: Header=BB30_110 Depth=2
	s_or_b64 exec, exec, s[2:3]
	s_and_saveexec_b64 s[2:3], s[34:35]
	s_cbranch_execz .LBB30_118
; %bb.117:                              ;   in Loop: Header=BB30_110 Depth=2
	global_load_ushort v4, v[0:1], off offset:384
.LBB30_118:                             ;   in Loop: Header=BB30_110 Depth=2
	s_or_b64 exec, exec, s[2:3]
	v_mov_b32_e32 v6, 0
	v_mov_b32_e32 v7, 0
	s_and_saveexec_b64 s[2:3], s[36:37]
	s_cbranch_execz .LBB30_120
; %bb.119:                              ;   in Loop: Header=BB30_110 Depth=2
	global_load_ushort v7, v[0:1], off offset:512
.LBB30_120:                             ;   in Loop: Header=BB30_110 Depth=2
	;; [unrolled: 14-line block ×7, first 2 shown]
	s_or_b64 exec, exec, s[2:3]
	s_and_saveexec_b64 s[2:3], s[58:59]
	s_cbranch_execz .LBB30_142
; %bb.141:                              ;   in Loop: Header=BB30_110 Depth=2
	global_load_ushort v49, v[0:1], off offset:1920
.LBB30_142:                             ;   in Loop: Header=BB30_110 Depth=2
	s_or_b64 exec, exec, s[2:3]
	s_waitcnt vmcnt(0)
	ds_write_b16 v86, v3
	ds_write_b16 v87, v2 offset:128
	ds_write_b16 v88, v5 offset:256
	;; [unrolled: 1-line block ×15, first 2 shown]
	; wave barrier
	ds_read_b128 v[12:15], v102
	ds_read_b128 v[8:11], v102 offset:16
	s_mov_b32 s99, s7
	v_lshl_add_u64 v[0:1], s[98:99], 1, v[46:47]
	v_mov_b32_e32 v2, 0
	v_mov_b32_e32 v3, 0
	s_and_saveexec_b64 s[2:3], s[26:27]
	s_cbranch_execz .LBB30_144
; %bb.143:                              ;   in Loop: Header=BB30_110 Depth=2
	global_load_ushort v3, v[0:1], off
.LBB30_144:                             ;   in Loop: Header=BB30_110 Depth=2
	s_or_b64 exec, exec, s[2:3]
	s_and_saveexec_b64 s[2:3], s[28:29]
	s_cbranch_execz .LBB30_146
; %bb.145:                              ;   in Loop: Header=BB30_110 Depth=2
	global_load_ushort v2, v[0:1], off offset:128
.LBB30_146:                             ;   in Loop: Header=BB30_110 Depth=2
	s_or_b64 exec, exec, s[2:3]
	v_mov_b32_e32 v4, 0
	v_mov_b32_e32 v5, 0
	s_and_saveexec_b64 s[2:3], s[30:31]
	s_cbranch_execz .LBB30_148
; %bb.147:                              ;   in Loop: Header=BB30_110 Depth=2
	global_load_ushort v5, v[0:1], off offset:256
.LBB30_148:                             ;   in Loop: Header=BB30_110 Depth=2
	s_or_b64 exec, exec, s[2:3]
	s_and_saveexec_b64 s[2:3], s[34:35]
	s_cbranch_execz .LBB30_150
; %bb.149:                              ;   in Loop: Header=BB30_110 Depth=2
	global_load_ushort v4, v[0:1], off offset:384
.LBB30_150:                             ;   in Loop: Header=BB30_110 Depth=2
	s_or_b64 exec, exec, s[2:3]
	v_mov_b32_e32 v6, 0
	v_mov_b32_e32 v7, 0
	s_and_saveexec_b64 s[2:3], s[36:37]
	s_cbranch_execz .LBB30_152
; %bb.151:                              ;   in Loop: Header=BB30_110 Depth=2
	global_load_ushort v7, v[0:1], off offset:512
.LBB30_152:                             ;   in Loop: Header=BB30_110 Depth=2
	;; [unrolled: 14-line block ×7, first 2 shown]
	s_or_b64 exec, exec, s[2:3]
	s_and_saveexec_b64 s[2:3], s[58:59]
	s_cbranch_execz .LBB30_174
; %bb.173:                              ;   in Loop: Header=BB30_110 Depth=2
	global_load_ushort v57, v[0:1], off offset:1920
.LBB30_174:                             ;   in Loop: Header=BB30_110 Depth=2
	s_or_b64 exec, exec, s[2:3]
	s_waitcnt vmcnt(0)
	ds_write_b16 v86, v3 offset:4224
	ds_write_b16 v103, v2 offset:128
	;; [unrolled: 1-line block ×16, first 2 shown]
	; wave barrier
	ds_read_b128 v[4:7], v102 offset:4224
	ds_read_b128 v[0:3], v118 offset:16
	s_andn2_b64 vcc, exec, s[94:95]
	s_cbranch_vccnz .LBB30_176
; %bb.175:                              ;   in Loop: Header=BB30_110 Depth=2
	v_mov_b32_e32 v49, s9
	ds_read_b64 v[50:51], v49
	s_waitcnt lgkmcnt(0)
	v_mov_b32_e32 v49, v51
	s_cbranch_execz .LBB30_177
	s_branch .LBB30_180
.LBB30_176:                             ;   in Loop: Header=BB30_110 Depth=2
                                        ; implicit-def: $vgpr50
                                        ; implicit-def: $vgpr49
.LBB30_177:                             ;   in Loop: Header=BB30_110 Depth=2
	v_readlane_b32 s2, v167, 0
	v_readlane_b32 s3, v167, 1
	s_andn2_b64 vcc, exec, s[2:3]
	v_mov_b32_e32 v49, 0
	s_cbranch_vccnz .LBB30_179
; %bb.178:                              ;   in Loop: Header=BB30_110 Depth=2
	s_mov_b32 s5, s7
	s_lshl_b64 s[2:3], s[4:5], 1
	v_readlane_b32 s5, v167, 28
	s_add_u32 s2, s5, s2
	v_readlane_b32 s5, v167, 29
	s_addc_u32 s3, s5, s3
	global_load_ushort v49, v17, s[2:3]
	s_waitcnt vmcnt(0)
	v_lshlrev_b32_e32 v49, 16, v49
.LBB30_179:                             ;   in Loop: Header=BB30_110 Depth=2
	v_mov_b32_e32 v50, 1.0
.LBB30_180:                             ;   in Loop: Header=BB30_110 Depth=2
	s_waitcnt lgkmcnt(14)
	v_lshlrev_b32_e32 v56, 16, v8
	v_and_b32_e32 v57, 0xffff0000, v8
	v_mul_f32_e32 v8, 0x3fb8aa3b, v48
	v_lshlrev_b32_e32 v58, 16, v9
	v_and_b32_e32 v59, 0xffff0000, v9
	v_mul_f32_e32 v9, v8, v142
	v_cmp_gt_f32_e32 vcc, s33, v9
	v_lshlrev_b32_e32 v60, 16, v10
	v_and_b32_e32 v61, 0xffff0000, v10
	v_cndmask_b32_e32 v9, 0, v139, vcc
	v_fmac_f32_e32 v9, v8, v142
	v_exp_f32_e32 v9, v9
	v_cndmask_b32_e32 v10, 1.0, v140, vcc
	v_lshlrev_b32_e32 v52, 16, v12
	v_lshlrev_b32_e32 v63, 16, v11
	v_mul_f32_e32 v9, v9, v10
	v_cndmask_b32_e64 v125, 1.0, v9, s[60:61]
	v_mul_f32_e32 v9, v8, v143
	v_cmp_gt_f32_e32 vcc, s33, v9
	v_mul_f32_e32 v10, v123, v52
	v_cndmask_b32_e64 v124, 0, v10, s[60:61]
	v_cndmask_b32_e32 v9, 0, v139, vcc
	v_fmac_f32_e32 v9, v8, v143
	v_exp_f32_e32 v9, v9
	v_cndmask_b32_e32 v10, 1.0, v140, vcc
	v_and_b32_e32 v51, 0xffff0000, v11
	v_and_b32_e32 v12, 0xffff0000, v12
	v_mul_f32_e32 v10, v9, v10
	v_cndmask_b32_e64 v126, 1.0, v10, s[62:63]
	v_mul_f32_e32 v10, v8, v144
	v_cmp_gt_f32_e32 vcc, s33, v10
	v_mul_f32_e32 v9, v122, v12
	v_lshlrev_b32_e32 v53, 16, v13
	v_cndmask_b32_e32 v10, 0, v139, vcc
	v_fmac_f32_e32 v10, v8, v144
	v_exp_f32_e32 v10, v10
	v_cndmask_b32_e32 v11, 1.0, v140, vcc
	v_and_b32_e32 v13, 0xffff0000, v13
	v_lshlrev_b32_e32 v54, 16, v14
	v_mul_f32_e32 v11, v10, v11
	v_cndmask_b32_e64 v127, 1.0, v11, s[64:65]
	v_mul_f32_e32 v11, v8, v145
	v_cmp_gt_f32_e32 vcc, s33, v11
	v_and_b32_e32 v14, 0xffff0000, v14
	v_mul_f32_e32 v10, v166, v53
	v_cndmask_b32_e32 v11, 0, v139, vcc
	v_fmac_f32_e32 v11, v8, v145
	v_exp_f32_e32 v11, v11
	v_cndmask_b32_e32 v12, 1.0, v140, vcc
	v_lshlrev_b32_e32 v55, 16, v15
	v_cndmask_b32_e64 v9, 0, v9, s[62:63]
	v_mul_f32_e32 v12, v11, v12
	v_cndmask_b32_e64 v128, 1.0, v12, s[66:67]
	v_mul_f32_e32 v12, v8, v146
	v_cmp_gt_f32_e32 vcc, s33, v12
	v_mul_f32_e32 v11, v165, v13
	v_cndmask_b32_e64 v10, 0, v10, s[64:65]
	v_cndmask_b32_e32 v12, 0, v139, vcc
	v_fmac_f32_e32 v12, v8, v146
	v_exp_f32_e32 v12, v12
	v_cndmask_b32_e32 v13, 1.0, v140, vcc
	v_cndmask_b32_e64 v11, 0, v11, s[66:67]
	v_and_b32_e32 v15, 0xffff0000, v15
	v_mul_f32_e32 v13, v12, v13
	v_cndmask_b32_e64 v129, 1.0, v13, s[68:69]
	v_mul_f32_e32 v13, v8, v147
	v_cmp_gt_f32_e32 vcc, s33, v13
	v_mul_f32_e32 v12, v164, v54
	v_cndmask_b32_e64 v12, 0, v12, s[68:69]
	v_cndmask_b32_e32 v13, 0, v139, vcc
	v_fmac_f32_e32 v13, v8, v147
	v_exp_f32_e32 v13, v13
	v_cndmask_b32_e32 v48, 1.0, v140, vcc
	v_mul_f32_e32 v15, v161, v15
	v_cndmask_b32_e64 v15, 0, v15, s[74:75]
	v_mul_f32_e32 v48, v13, v48
	v_mul_f32_e32 v13, v163, v14
	v_mul_f32_e32 v14, v8, v148
	v_cmp_gt_f32_e32 vcc, s33, v14
	v_cndmask_b32_e64 v130, 1.0, v48, s[70:71]
	v_cndmask_b32_e64 v13, 0, v13, s[70:71]
	v_cndmask_b32_e32 v14, 0, v139, vcc
	v_fmac_f32_e32 v14, v8, v148
	v_exp_f32_e32 v14, v14
	v_cndmask_b32_e32 v48, 1.0, v140, vcc
	v_mul_f32_e32 v51, v25, v51
	v_readlane_b32 s10, v167, 40
	v_mul_f32_e32 v48, v14, v48
	v_cndmask_b32_e64 v131, 1.0, v48, s[72:73]
	v_mul_f32_e32 v48, v8, v149
	v_cmp_gt_f32_e32 vcc, s33, v48
	v_mul_f32_e32 v14, v162, v55
	v_cndmask_b32_e64 v14, 0, v14, s[72:73]
	v_cndmask_b32_e32 v48, 0, v139, vcc
	v_fmac_f32_e32 v48, v8, v149
	v_exp_f32_e32 v48, v48
	v_cndmask_b32_e32 v52, 1.0, v140, vcc
	v_readlane_b32 s11, v167, 41
	v_mul_f32_e32 v48, v48, v52
	v_cndmask_b32_e64 v132, 1.0, v48, s[74:75]
	v_mul_f32_e32 v48, v8, v150
	v_cmp_gt_f32_e32 vcc, s33, v48
	s_nop 1
	v_cndmask_b32_e32 v48, 0, v139, vcc
	v_fmac_f32_e32 v48, v8, v150
	v_exp_f32_e32 v48, v48
	v_cndmask_b32_e32 v52, 1.0, v140, vcc
	v_mul_f32_e32 v48, v48, v52
	v_cndmask_b32_e64 v133, 1.0, v48, s[76:77]
	v_mul_f32_e32 v48, v8, v151
	v_cmp_gt_f32_e32 vcc, s33, v48
	v_mul_f32_e32 v52, v160, v56
	v_cndmask_b32_e64 v52, 0, v52, s[76:77]
	v_cndmask_b32_e32 v48, 0, v139, vcc
	v_fmac_f32_e32 v48, v8, v151
	v_exp_f32_e32 v48, v48
	v_cndmask_b32_e32 v53, 1.0, v140, vcc
	v_mul_f32_e32 v48, v48, v53
	v_cndmask_b32_e64 v134, 1.0, v48, s[78:79]
	v_mul_f32_e32 v48, v8, v152
	v_cmp_gt_f32_e32 vcc, s33, v48
	v_mul_f32_e32 v53, v159, v57
	v_cndmask_b32_e64 v53, 0, v53, s[78:79]
	;; [unrolled: 10-line block ×5, first 2 shown]
	v_cndmask_b32_e32 v48, 0, v139, vcc
	v_fmac_f32_e32 v48, v8, v155
	v_exp_f32_e32 v48, v48
	v_cndmask_b32_e32 v55, 1.0, v140, vcc
	v_mul_f32_e32 v48, v48, v55
	v_mul_f32_e32 v55, v23, v61
	v_pk_mul_f32 v[60:61], v[8:9], v[26:27] op_sel_hi:[0,1]
	v_mul_f32_e32 v8, v16, v63
	v_cmp_gt_f32_e32 vcc, s33, v60
	v_cndmask_b32_e64 v59, 0, v8, s[90:91]
	v_cndmask_b32_e64 v58, 1.0, v48, s[86:87]
	v_cndmask_b32_e32 v8, 0, v139, vcc
	v_add_f32_e32 v8, v60, v8
	v_exp_f32_e32 v8, v8
	v_cndmask_b32_e32 v48, 1.0, v140, vcc
	v_cmp_gt_f32_e32 vcc, s33, v61
	v_cndmask_b32_e64 v55, 0, v55, s[86:87]
	v_mul_f32_e32 v8, v8, v48
	v_cndmask_b32_e32 v48, 0, v139, vcc
	v_add_f32_e32 v48, v61, v48
	v_exp_f32_e32 v48, v48
	v_cndmask_b32_e32 v60, 1.0, v140, vcc
	v_cndmask_b32_e64 v64, 1.0, v8, s[90:91]
	v_mul_f32_e32 v8, v126, v125
	v_mul_f32_e32 v48, v48, v60
	v_cndmask_b32_e64 v65, 1.0, v48, s[88:89]
	v_fma_f32 v48, v126, v124, v9
	v_mul_f32_e32 v8, v8, v127
	v_fma_f32 v48, v48, v127, v10
	v_mul_f32_e32 v8, v8, v128
	;; [unrolled: 2-line block ×10, first 2 shown]
	v_fma_f32 v8, v48, v136, v57
	v_fma_f32 v8, v8, v62, v54
	;; [unrolled: 1-line block ×3, first 2 shown]
	v_mov_b32_e32 v63, v64
	v_pk_mul_f32 v[72:73], v[66:67], v[62:63]
	v_pk_fma_f32 v[66:67], v[66:67], v[62:63], v[58:59]
	v_pk_mul_f32 v[72:73], v[72:73], v[58:59]
	v_cndmask_b32_e64 v61, 0, v51, s[88:89]
	v_mov_b32_e32 v73, v67
	v_mov_b32_e32 v68, v65
	;; [unrolled: 1-line block ×3, first 2 shown]
	v_pk_mul_f32 v[66:67], v[72:73], v[64:65]
	v_mov_b32_e32 v60, v65
	v_pk_mul_f32 v[68:69], v[66:67], v[68:69]
	v_pk_fma_f32 v[66:67], v[72:73], v[64:65], v[60:61]
	s_nop 0
	v_mov_b32_dpp v8, v68 row_shr:1 row_mask:0xf bank_mask:0xf
	v_mov_b32_dpp v48, v67 row_shr:1 row_mask:0xf bank_mask:0xf
	v_mul_f32_e32 v51, v68, v8
	v_fma_f32 v48, v68, v48, v67
	v_cndmask_b32_e64 v66, v51, v68, s[0:1]
	v_cndmask_b32_e64 v69, v48, v67, s[0:1]
	;; [unrolled: 1-line block ×4, first 2 shown]
	v_mov_b32_dpp v51, v69 row_shr:2 row_mask:0xf bank_mask:0xf
	v_mov_b32_dpp v48, v68 row_shr:2 row_mask:0xf bank_mask:0xf
	s_and_saveexec_b64 s[2:3], s[10:11]
; %bb.181:                              ;   in Loop: Header=BB30_110 Depth=2
	v_fmac_f32_e32 v69, v68, v51
	v_mul_f32_e32 v68, v68, v48
	v_mov_b32_e32 v66, v68
	v_mov_b32_e32 v8, v69
; %bb.182:                              ;   in Loop: Header=BB30_110 Depth=2
	s_or_b64 exec, exec, s[2:3]
	v_readlane_b32 s10, v167, 42
	v_mov_b32_dpp v48, v68 row_shr:4 row_mask:0xf bank_mask:0xf
	v_mov_b32_dpp v51, v69 row_shr:4 row_mask:0xf bank_mask:0xf
	v_readlane_b32 s11, v167, 43
	s_and_saveexec_b64 s[2:3], s[10:11]
; %bb.183:                              ;   in Loop: Header=BB30_110 Depth=2
	v_fmac_f32_e32 v69, v68, v51
	v_mul_f32_e32 v68, v68, v48
	v_mov_b32_e32 v66, v68
	v_mov_b32_e32 v8, v69
; %bb.184:                              ;   in Loop: Header=BB30_110 Depth=2
	s_or_b64 exec, exec, s[2:3]
	v_readlane_b32 s10, v167, 44
	v_mov_b32_dpp v48, v68 row_shr:8 row_mask:0xf bank_mask:0xf
	v_mov_b32_dpp v51, v69 row_shr:8 row_mask:0xf bank_mask:0xf
	v_readlane_b32 s11, v167, 45
	s_and_saveexec_b64 s[2:3], s[10:11]
; %bb.185:                              ;   in Loop: Header=BB30_110 Depth=2
	v_fmac_f32_e32 v69, v68, v51
	v_mul_f32_e32 v68, v68, v48
	v_mov_b32_e32 v66, v68
	v_mov_b32_e32 v8, v69
; %bb.186:                              ;   in Loop: Header=BB30_110 Depth=2
	s_or_b64 exec, exec, s[2:3]
	v_readlane_b32 s10, v167, 46
	v_mov_b32_dpp v48, v68 row_bcast:15 row_mask:0xf bank_mask:0xf
	v_mov_b32_dpp v51, v69 row_bcast:15 row_mask:0xf bank_mask:0xf
	v_readlane_b32 s11, v167, 47
	s_and_saveexec_b64 s[2:3], s[10:11]
; %bb.187:                              ;   in Loop: Header=BB30_110 Depth=2
	v_fmac_f32_e32 v69, v68, v51
	v_mul_f32_e32 v68, v68, v48
	v_mov_b32_e32 v66, v68
	v_mov_b32_e32 v8, v69
; %bb.188:                              ;   in Loop: Header=BB30_110 Depth=2
	s_or_b64 exec, exec, s[2:3]
	v_readlane_b32 s10, v167, 48
	v_mov_b32_dpp v51, v68 row_bcast:31 row_mask:0xf bank_mask:0xf
	v_mov_b32_dpp v48, v69 row_bcast:31 row_mask:0xf bank_mask:0xf
	v_readlane_b32 s11, v167, 49
	s_and_saveexec_b64 s[2:3], s[10:11]
; %bb.189:                              ;   in Loop: Header=BB30_110 Depth=2
	v_fmac_f32_e32 v69, v68, v48
	v_mul_f32_e32 v66, v68, v51
	v_mov_b32_e32 v67, v69
	v_mov_b32_e32 v8, v69
	v_mov_b64_e32 v[68:69], v[66:67]
; %bb.190:                              ;   in Loop: Header=BB30_110 Depth=2
	s_or_b64 exec, exec, s[2:3]
	v_readlane_b32 s10, v167, 50
	v_readlane_b32 s11, v167, 51
	s_and_saveexec_b64 s[2:3], s[10:11]
	s_cbranch_execz .LBB30_192
; %bb.191:                              ;   in Loop: Header=BB30_110 Depth=2
	ds_write_b64 v119, v[68:69] offset:8448
.LBB30_192:                             ;   in Loop: Header=BB30_110 Depth=2
	s_or_b64 exec, exec, s[2:3]
	v_readlane_b32 s10, v167, 52
	v_readlane_b32 s11, v167, 53
	s_waitcnt lgkmcnt(0)
	s_barrier
	s_and_saveexec_b64 s[2:3], s[10:11]
	s_cbranch_execz .LBB30_194
; %bb.193:                              ;   in Loop: Header=BB30_110 Depth=2
	ds_read_b64 v[68:69], v120 offset:8448
	v_readlane_b32 s10, v167, 54
	v_readlane_b32 s11, v167, 55
	s_waitcnt lgkmcnt(0)
	v_mov_b32_dpp v48, v68 row_shr:1 row_mask:0xf bank_mask:0xf
	v_mov_b32_dpp v51, v69 row_shr:1 row_mask:0xf bank_mask:0xf
	v_fma_f32 v51, v68, v51, v69
	v_mul_f32_e32 v48, v68, v48
	v_cndmask_b32_e64 v68, v48, v68, s[10:11]
	v_cndmask_b32_e64 v69, v51, v69, s[10:11]
	ds_write_b64 v120, v[68:69] offset:8448
.LBB30_194:                             ;   in Loop: Header=BB30_110 Depth=2
	s_or_b64 exec, exec, s[2:3]
	s_waitcnt lgkmcnt(0)
	s_barrier
	s_waitcnt lgkmcnt(0)
                                        ; implicit-def: $vgpr68
	s_and_saveexec_b64 s[2:3], s[20:21]
	s_cbranch_execz .LBB30_196
; %bb.195:                              ;   in Loop: Header=BB30_110 Depth=2
	ds_read_b64 v[68:69], v119 offset:8440
	s_waitcnt lgkmcnt(0)
	v_mul_f32_e32 v48, v66, v68
	v_fmac_f32_e32 v8, v66, v69
	v_mov_b32_e32 v66, v48
.LBB30_196:                             ;   in Loop: Header=BB30_110 Depth=2
	s_or_b64 exec, exec, s[2:3]
	ds_bpermute_b32 v60, v121, v66
	ds_bpermute_b32 v8, v121, v8
	v_readlane_b32 s10, v167, 56
	v_readlane_b32 s11, v167, 57
	s_and_saveexec_b64 s[2:3], s[10:11]
	s_cbranch_execz .LBB30_200
; %bb.197:                              ;   in Loop: Header=BB30_110 Depth=2
	ds_read_b64 v[66:67], v17 offset:8456
	s_and_saveexec_b64 vcc, s[22:23]
	s_cbranch_execz .LBB30_199
; %bb.198:                              ;   in Loop: Header=BB30_110 Depth=2
	v_mov_b32_e32 v51, v49
	ds_write_b64 v17, v[50:51] offset:8456
.LBB30_199:                             ;   in Loop: Header=BB30_110 Depth=2
	s_or_b64 exec, exec, vcc
	s_waitcnt lgkmcnt(0)
	v_mul_f32_e32 v51, v66, v49
	v_pk_add_f32 v[48:49], v[50:51], v[66:67]
	v_mul_f32_e32 v50, v50, v66
.LBB30_200:                             ;   in Loop: Header=BB30_110 Depth=2
	s_or_b64 exec, exec, s[2:3]
	s_waitcnt lgkmcnt(0)
	s_barrier
	ds_read_b32 v48, v17 offset:8460
	s_and_saveexec_b64 s[2:3], s[22:23]
	s_cbranch_execz .LBB30_109
; %bb.201:                              ;   in Loop: Header=BB30_110 Depth=2
	v_mov_b32_e32 v51, v49
	v_mov_b32_e32 v63, s9
	s_andn2_b64 vcc, exec, s[96:97]
	ds_write_b64 v63, v[50:51]
	s_cbranch_vccnz .LBB30_109
; %bb.202:                              ;   in Loop: Header=BB30_110 Depth=2
	v_bfe_u32 v50, v49, 16, 1
	s_movk_i32 s5, 0x7fff
	v_add3_u32 v50, v49, v50, s5
	s_mov_b32 s5, s7
	s_lshl_b64 s[10:11], s[4:5], 1
	v_readlane_b32 s5, v167, 28
	v_lshrrev_b32_e32 v50, 16, v50
	v_cmp_o_f32_e32 vcc, v49, v49
	s_add_u32 s10, s5, s10
	v_readlane_b32 s5, v167, 29
	v_cndmask_b32_e32 v49, v141, v50, vcc
	s_addc_u32 s11, s5, s11
	global_store_short v17, v49, s[10:11]
	s_branch .LBB30_109
.LBB30_203:                             ;   in Loop: Header=BB30_13 Depth=1
	s_mov_b32 s6, 0x41a00000
	s_mov_b32 s10, 0x3fb8aa3b
	;; [unrolled: 1-line block ×8, first 2 shown]
.LBB30_204:                             ;   in Loop: Header=BB30_13 Depth=1
	v_bfe_u32 v0, v42, 16, 1
	s_movk_i32 s2, 0x7fff
	v_bfe_u32 v1, v43, 16, 1
	v_add3_u32 v0, v42, v0, s2
	v_bfe_u32 v2, v40, 16, 1
	v_add3_u32 v1, v43, v1, s2
	v_lshrrev_b32_e32 v0, 16, v0
	v_cmp_o_f32_e32 vcc, v42, v42
	v_bfe_u32 v3, v41, 16, 1
	v_add3_u32 v2, v40, v2, s2
	v_lshrrev_b32_e32 v1, 16, v1
	v_cndmask_b32_e32 v0, v141, v0, vcc
	v_cmp_o_f32_e32 vcc, v43, v43
	v_add3_u32 v3, v41, v3, s2
	v_lshrrev_b32_e32 v2, 16, v2
	v_cndmask_b32_e32 v4, v141, v1, vcc
	v_cmp_o_f32_e32 vcc, v40, v40
	v_lshrrev_b32_e32 v3, 16, v3
	v_bfe_u32 v6, v36, 16, 1
	v_cndmask_b32_e32 v1, v141, v2, vcc
	v_cmp_o_f32_e32 vcc, v41, v41
	v_bfe_u32 v2, v38, 16, 1
	v_add3_u32 v2, v38, v2, s2
	v_cndmask_b32_e32 v5, v141, v3, vcc
	v_bfe_u32 v3, v39, 16, 1
	v_add3_u32 v3, v39, v3, s2
	v_lshrrev_b32_e32 v2, 16, v2
	v_cmp_o_f32_e32 vcc, v38, v38
	v_bfe_u32 v7, v37, 16, 1
	v_add3_u32 v6, v36, v6, s2
	v_lshrrev_b32_e32 v3, 16, v3
	v_cndmask_b32_e32 v2, v141, v2, vcc
	v_cmp_o_f32_e32 vcc, v39, v39
	v_add3_u32 v7, v37, v7, s2
	v_lshrrev_b32_e32 v6, 16, v6
	v_cndmask_b32_e32 v8, v141, v3, vcc
	v_cmp_o_f32_e32 vcc, v36, v36
	v_lshrrev_b32_e32 v7, 16, v7
	s_mov_b32 s3, 0x5040100
	v_cndmask_b32_e32 v3, v141, v6, vcc
	v_cmp_o_f32_e32 vcc, v37, v37
	v_perm_b32 v2, v8, v2, s3
	v_perm_b32 v1, v5, v1, s3
	v_cndmask_b32_e32 v6, v141, v7, vcc
	v_perm_b32 v3, v6, v3, s3
	v_perm_b32 v0, v4, v0, s3
	s_barrier
	ds_write_b128 v102, v[0:3]
	v_bfe_u32 v0, v34, 16, 1
	v_bfe_u32 v1, v35, 16, 1
	v_add3_u32 v0, v34, v0, s2
	v_bfe_u32 v2, v32, 16, 1
	v_add3_u32 v1, v35, v1, s2
	v_lshrrev_b32_e32 v0, 16, v0
	v_cmp_o_f32_e32 vcc, v34, v34
	v_bfe_u32 v3, v33, 16, 1
	v_add3_u32 v2, v32, v2, s2
	v_lshrrev_b32_e32 v1, 16, v1
	v_cndmask_b32_e32 v0, v141, v0, vcc
	v_cmp_o_f32_e32 vcc, v35, v35
	v_add3_u32 v3, v33, v3, s2
	v_lshrrev_b32_e32 v2, 16, v2
	v_cndmask_b32_e32 v4, v141, v1, vcc
	v_cmp_o_f32_e32 vcc, v32, v32
	v_lshrrev_b32_e32 v3, 16, v3
	v_bfe_u32 v6, v28, 16, 1
	v_cndmask_b32_e32 v1, v141, v2, vcc
	v_cmp_o_f32_e32 vcc, v33, v33
	v_bfe_u32 v2, v30, 16, 1
	v_add3_u32 v2, v30, v2, s2
	v_cndmask_b32_e32 v5, v141, v3, vcc
	v_bfe_u32 v3, v31, 16, 1
	v_add3_u32 v3, v31, v3, s2
	v_lshrrev_b32_e32 v2, 16, v2
	v_cmp_o_f32_e32 vcc, v30, v30
	v_bfe_u32 v7, v29, 16, 1
	v_add3_u32 v6, v28, v6, s2
	v_lshrrev_b32_e32 v3, 16, v3
	v_cndmask_b32_e32 v2, v141, v2, vcc
	v_cmp_o_f32_e32 vcc, v31, v31
	v_add3_u32 v7, v29, v7, s2
	v_lshrrev_b32_e32 v6, 16, v6
	v_cndmask_b32_e32 v8, v141, v3, vcc
	v_cmp_o_f32_e32 vcc, v28, v28
	v_lshrrev_b32_e32 v7, 16, v7
	v_perm_b32 v2, v8, v2, s3
	v_cndmask_b32_e32 v3, v141, v6, vcc
	v_cmp_o_f32_e32 vcc, v29, v29
	v_perm_b32 v1, v5, v1, s3
	v_perm_b32 v0, v4, v0, s3
	v_cndmask_b32_e32 v6, v141, v7, vcc
	v_perm_b32 v3, v6, v3, s3
	ds_write_b128 v102, v[0:3] offset:16
	; wave barrier
	ds_read_u16 v16, v87 offset:128
	ds_read_u16 v15, v88 offset:256
	;; [unrolled: 1-line block ×15, first 2 shown]
	v_readlane_b32 s2, v167, 60
	v_readlane_b32 s3, v167, 61
	s_mov_b32 s3, s7
	s_nop 0
	v_lshl_add_u64 v[0:1], s[2:3], 1, v[20:21]
	s_and_saveexec_b64 s[2:3], s[26:27]
	s_cbranch_execz .LBB30_206
; %bb.205:                              ;   in Loop: Header=BB30_13 Depth=1
	ds_read_u16 v23, v86
	s_waitcnt lgkmcnt(0)
	global_store_short v[0:1], v23, off
.LBB30_206:                             ;   in Loop: Header=BB30_13 Depth=1
	s_or_b64 exec, exec, s[2:3]
	s_and_saveexec_b64 s[2:3], s[28:29]
	v_readlane_b32 s8, v167, 62
	v_readlane_b32 s9, v167, 63
	s_cbranch_execnz .LBB30_223
; %bb.207:                              ;   in Loop: Header=BB30_13 Depth=1
	s_or_b64 exec, exec, s[2:3]
	s_and_saveexec_b64 s[2:3], s[30:31]
	s_cbranch_execnz .LBB30_224
.LBB30_208:                             ;   in Loop: Header=BB30_13 Depth=1
	s_or_b64 exec, exec, s[2:3]
	s_and_saveexec_b64 s[2:3], s[34:35]
	s_cbranch_execnz .LBB30_225
.LBB30_209:                             ;   in Loop: Header=BB30_13 Depth=1
	s_or_b64 exec, exec, s[2:3]
	s_and_saveexec_b64 s[2:3], s[36:37]
	s_cbranch_execnz .LBB30_226
.LBB30_210:                             ;   in Loop: Header=BB30_13 Depth=1
	s_or_b64 exec, exec, s[2:3]
	s_and_saveexec_b64 s[2:3], s[38:39]
	s_cbranch_execnz .LBB30_227
.LBB30_211:                             ;   in Loop: Header=BB30_13 Depth=1
	s_or_b64 exec, exec, s[2:3]
	s_and_saveexec_b64 s[2:3], s[40:41]
	s_cbranch_execnz .LBB30_228
.LBB30_212:                             ;   in Loop: Header=BB30_13 Depth=1
	s_or_b64 exec, exec, s[2:3]
	s_and_saveexec_b64 s[2:3], s[42:43]
	s_cbranch_execnz .LBB30_229
.LBB30_213:                             ;   in Loop: Header=BB30_13 Depth=1
	s_or_b64 exec, exec, s[2:3]
	s_and_saveexec_b64 s[2:3], s[44:45]
	s_cbranch_execnz .LBB30_230
.LBB30_214:                             ;   in Loop: Header=BB30_13 Depth=1
	s_or_b64 exec, exec, s[2:3]
	s_and_saveexec_b64 s[2:3], s[46:47]
	s_cbranch_execnz .LBB30_231
.LBB30_215:                             ;   in Loop: Header=BB30_13 Depth=1
	s_or_b64 exec, exec, s[2:3]
	s_and_saveexec_b64 s[2:3], s[48:49]
	s_cbranch_execnz .LBB30_232
.LBB30_216:                             ;   in Loop: Header=BB30_13 Depth=1
	s_or_b64 exec, exec, s[2:3]
	s_and_saveexec_b64 s[2:3], s[50:51]
	s_cbranch_execnz .LBB30_233
.LBB30_217:                             ;   in Loop: Header=BB30_13 Depth=1
	s_or_b64 exec, exec, s[2:3]
	s_and_saveexec_b64 s[2:3], s[52:53]
	s_cbranch_execnz .LBB30_234
.LBB30_218:                             ;   in Loop: Header=BB30_13 Depth=1
	s_or_b64 exec, exec, s[2:3]
	s_and_saveexec_b64 s[2:3], s[54:55]
	s_cbranch_execnz .LBB30_235
.LBB30_219:                             ;   in Loop: Header=BB30_13 Depth=1
	s_or_b64 exec, exec, s[2:3]
	s_and_saveexec_b64 s[2:3], s[56:57]
	s_cbranch_execnz .LBB30_236
.LBB30_220:                             ;   in Loop: Header=BB30_13 Depth=1
	s_or_b64 exec, exec, s[2:3]
	s_and_saveexec_b64 s[2:3], s[58:59]
	s_cbranch_execz .LBB30_12
	s_branch .LBB30_237
.LBB30_221:                             ;   in Loop: Header=BB30_13 Depth=1
	global_load_ushort v32, v[8:9], off offset:1664
	s_or_b64 exec, exec, s[2:3]
	s_and_saveexec_b64 s[2:3], s[56:57]
	s_cbranch_execz .LBB30_73
.LBB30_222:                             ;   in Loop: Header=BB30_13 Depth=1
	global_load_ushort v31, v[8:9], off offset:1792
	s_or_b64 exec, exec, s[2:3]
	v_mov_b32_e32 v33, 0
	s_and_saveexec_b64 s[2:3], s[58:59]
	s_cbranch_execnz .LBB30_74
	s_branch .LBB30_75
.LBB30_223:                             ;   in Loop: Header=BB30_13 Depth=1
	s_waitcnt lgkmcnt(14)
	global_store_short v[0:1], v16, off offset:128
	s_or_b64 exec, exec, s[2:3]
	s_and_saveexec_b64 s[2:3], s[30:31]
	s_cbranch_execz .LBB30_208
.LBB30_224:                             ;   in Loop: Header=BB30_13 Depth=1
	s_waitcnt lgkmcnt(13)
	global_store_short v[0:1], v15, off offset:256
	s_or_b64 exec, exec, s[2:3]
	s_and_saveexec_b64 s[2:3], s[34:35]
	s_cbranch_execz .LBB30_209
.LBB30_225:                             ;   in Loop: Header=BB30_13 Depth=1
	s_waitcnt lgkmcnt(12)
	global_store_short v[0:1], v14, off offset:384
	s_or_b64 exec, exec, s[2:3]
	s_and_saveexec_b64 s[2:3], s[36:37]
	s_cbranch_execz .LBB30_210
.LBB30_226:                             ;   in Loop: Header=BB30_13 Depth=1
	s_waitcnt lgkmcnt(11)
	global_store_short v[0:1], v13, off offset:512
	s_or_b64 exec, exec, s[2:3]
	s_and_saveexec_b64 s[2:3], s[38:39]
	s_cbranch_execz .LBB30_211
.LBB30_227:                             ;   in Loop: Header=BB30_13 Depth=1
	s_waitcnt lgkmcnt(10)
	global_store_short v[0:1], v12, off offset:640
	s_or_b64 exec, exec, s[2:3]
	s_and_saveexec_b64 s[2:3], s[40:41]
	s_cbranch_execz .LBB30_212
.LBB30_228:                             ;   in Loop: Header=BB30_13 Depth=1
	s_waitcnt lgkmcnt(9)
	global_store_short v[0:1], v11, off offset:768
	s_or_b64 exec, exec, s[2:3]
	s_and_saveexec_b64 s[2:3], s[42:43]
	s_cbranch_execz .LBB30_213
.LBB30_229:                             ;   in Loop: Header=BB30_13 Depth=1
	s_waitcnt lgkmcnt(8)
	global_store_short v[0:1], v10, off offset:896
	s_or_b64 exec, exec, s[2:3]
	s_and_saveexec_b64 s[2:3], s[44:45]
	s_cbranch_execz .LBB30_214
.LBB30_230:                             ;   in Loop: Header=BB30_13 Depth=1
	s_waitcnt lgkmcnt(7)
	global_store_short v[0:1], v9, off offset:1024
	s_or_b64 exec, exec, s[2:3]
	s_and_saveexec_b64 s[2:3], s[46:47]
	s_cbranch_execz .LBB30_215
.LBB30_231:                             ;   in Loop: Header=BB30_13 Depth=1
	s_waitcnt lgkmcnt(6)
	global_store_short v[0:1], v8, off offset:1152
	s_or_b64 exec, exec, s[2:3]
	s_and_saveexec_b64 s[2:3], s[48:49]
	s_cbranch_execz .LBB30_216
.LBB30_232:                             ;   in Loop: Header=BB30_13 Depth=1
	s_waitcnt lgkmcnt(5)
	global_store_short v[0:1], v7, off offset:1280
	s_or_b64 exec, exec, s[2:3]
	s_and_saveexec_b64 s[2:3], s[50:51]
	s_cbranch_execz .LBB30_217
.LBB30_233:                             ;   in Loop: Header=BB30_13 Depth=1
	s_waitcnt lgkmcnt(4)
	global_store_short v[0:1], v6, off offset:1408
	s_or_b64 exec, exec, s[2:3]
	s_and_saveexec_b64 s[2:3], s[52:53]
	s_cbranch_execz .LBB30_218
.LBB30_234:                             ;   in Loop: Header=BB30_13 Depth=1
	s_waitcnt lgkmcnt(3)
	global_store_short v[0:1], v5, off offset:1536
	s_or_b64 exec, exec, s[2:3]
	s_and_saveexec_b64 s[2:3], s[54:55]
	s_cbranch_execz .LBB30_219
.LBB30_235:                             ;   in Loop: Header=BB30_13 Depth=1
	s_waitcnt lgkmcnt(2)
	global_store_short v[0:1], v4, off offset:1664
	s_or_b64 exec, exec, s[2:3]
	s_and_saveexec_b64 s[2:3], s[56:57]
	s_cbranch_execz .LBB30_220
.LBB30_236:                             ;   in Loop: Header=BB30_13 Depth=1
	s_waitcnt lgkmcnt(1)
	global_store_short v[0:1], v3, off offset:1792
	s_or_b64 exec, exec, s[2:3]
	s_and_saveexec_b64 s[2:3], s[58:59]
	s_cbranch_execz .LBB30_12
.LBB30_237:                             ;   in Loop: Header=BB30_13 Depth=1
	s_waitcnt lgkmcnt(0)
	global_store_short v[0:1], v2, off offset:1920
	s_branch .LBB30_12
.LBB30_238:
	s_endpgm
	.section	.rodata,"a",@progbits
	.p2align	6, 0x0
	.amdhsa_kernel _Z25selective_scan_fwd_kernelI32Selective_Scan_fwd_kernel_traitsILi128ELi16ELi1ELb0ELb1ELb1ELb0ELb1EN3c108BFloat16EfS2_EEv13SSMParamsBase
		.amdhsa_group_segment_fixed_size 0
		.amdhsa_private_segment_fixed_size 0
		.amdhsa_kernarg_size 248
		.amdhsa_user_sgpr_count 2
		.amdhsa_user_sgpr_dispatch_ptr 0
		.amdhsa_user_sgpr_queue_ptr 0
		.amdhsa_user_sgpr_kernarg_segment_ptr 1
		.amdhsa_user_sgpr_dispatch_id 0
		.amdhsa_user_sgpr_kernarg_preload_length 0
		.amdhsa_user_sgpr_kernarg_preload_offset 0
		.amdhsa_user_sgpr_private_segment_size 0
		.amdhsa_uses_dynamic_stack 0
		.amdhsa_enable_private_segment 0
		.amdhsa_system_sgpr_workgroup_id_x 1
		.amdhsa_system_sgpr_workgroup_id_y 1
		.amdhsa_system_sgpr_workgroup_id_z 0
		.amdhsa_system_sgpr_workgroup_info 0
		.amdhsa_system_vgpr_workitem_id 0
		.amdhsa_next_free_vgpr 168
		.amdhsa_next_free_sgpr 100
		.amdhsa_accum_offset 168
		.amdhsa_reserve_vcc 1
		.amdhsa_float_round_mode_32 0
		.amdhsa_float_round_mode_16_64 0
		.amdhsa_float_denorm_mode_32 3
		.amdhsa_float_denorm_mode_16_64 3
		.amdhsa_dx10_clamp 1
		.amdhsa_ieee_mode 1
		.amdhsa_fp16_overflow 0
		.amdhsa_tg_split 0
		.amdhsa_exception_fp_ieee_invalid_op 0
		.amdhsa_exception_fp_denorm_src 0
		.amdhsa_exception_fp_ieee_div_zero 0
		.amdhsa_exception_fp_ieee_overflow 0
		.amdhsa_exception_fp_ieee_underflow 0
		.amdhsa_exception_fp_ieee_inexact 0
		.amdhsa_exception_int_div_zero 0
	.end_amdhsa_kernel
	.section	.text._Z25selective_scan_fwd_kernelI32Selective_Scan_fwd_kernel_traitsILi128ELi16ELi1ELb0ELb1ELb1ELb0ELb1EN3c108BFloat16EfS2_EEv13SSMParamsBase,"axG",@progbits,_Z25selective_scan_fwd_kernelI32Selective_Scan_fwd_kernel_traitsILi128ELi16ELi1ELb0ELb1ELb1ELb0ELb1EN3c108BFloat16EfS2_EEv13SSMParamsBase,comdat
.Lfunc_end30:
	.size	_Z25selective_scan_fwd_kernelI32Selective_Scan_fwd_kernel_traitsILi128ELi16ELi1ELb0ELb1ELb1ELb0ELb1EN3c108BFloat16EfS2_EEv13SSMParamsBase, .Lfunc_end30-_Z25selective_scan_fwd_kernelI32Selective_Scan_fwd_kernel_traitsILi128ELi16ELi1ELb0ELb1ELb1ELb0ELb1EN3c108BFloat16EfS2_EEv13SSMParamsBase
                                        ; -- End function
	.section	.AMDGPU.csdata,"",@progbits
; Kernel info:
; codeLenInByte = 20860
; NumSgprs: 106
; NumVgprs: 168
; NumAgprs: 0
; TotalNumVgprs: 168
; ScratchSize: 0
; MemoryBound: 0
; FloatMode: 240
; IeeeMode: 1
; LDSByteSize: 0 bytes/workgroup (compile time only)
; SGPRBlocks: 13
; VGPRBlocks: 20
; NumSGPRsForWavesPerEU: 106
; NumVGPRsForWavesPerEU: 168
; AccumOffset: 168
; Occupancy: 3
; WaveLimiterHint : 1
; COMPUTE_PGM_RSRC2:SCRATCH_EN: 0
; COMPUTE_PGM_RSRC2:USER_SGPR: 2
; COMPUTE_PGM_RSRC2:TRAP_HANDLER: 0
; COMPUTE_PGM_RSRC2:TGID_X_EN: 1
; COMPUTE_PGM_RSRC2:TGID_Y_EN: 1
; COMPUTE_PGM_RSRC2:TGID_Z_EN: 0
; COMPUTE_PGM_RSRC2:TIDIG_COMP_CNT: 0
; COMPUTE_PGM_RSRC3_GFX90A:ACCUM_OFFSET: 41
; COMPUTE_PGM_RSRC3_GFX90A:TG_SPLIT: 0
	.section	.text._Z25selective_scan_fwd_kernelI32Selective_Scan_fwd_kernel_traitsILi128ELi16ELi1ELb0ELb1ELb1ELb0ELb0EN3c108BFloat16EfS2_EEv13SSMParamsBase,"axG",@progbits,_Z25selective_scan_fwd_kernelI32Selective_Scan_fwd_kernel_traitsILi128ELi16ELi1ELb0ELb1ELb1ELb0ELb0EN3c108BFloat16EfS2_EEv13SSMParamsBase,comdat
	.protected	_Z25selective_scan_fwd_kernelI32Selective_Scan_fwd_kernel_traitsILi128ELi16ELi1ELb0ELb1ELb1ELb0ELb0EN3c108BFloat16EfS2_EEv13SSMParamsBase ; -- Begin function _Z25selective_scan_fwd_kernelI32Selective_Scan_fwd_kernel_traitsILi128ELi16ELi1ELb0ELb1ELb1ELb0ELb0EN3c108BFloat16EfS2_EEv13SSMParamsBase
	.globl	_Z25selective_scan_fwd_kernelI32Selective_Scan_fwd_kernel_traitsILi128ELi16ELi1ELb0ELb1ELb1ELb0ELb0EN3c108BFloat16EfS2_EEv13SSMParamsBase
	.p2align	8
	.type	_Z25selective_scan_fwd_kernelI32Selective_Scan_fwd_kernel_traitsILi128ELi16ELi1ELb0ELb1ELb1ELb0ELb0EN3c108BFloat16EfS2_EEv13SSMParamsBase,@function
_Z25selective_scan_fwd_kernelI32Selective_Scan_fwd_kernel_traitsILi128ELi16ELi1ELb0ELb1ELb1ELb0ELb0EN3c108BFloat16EfS2_EEv13SSMParamsBase: ; @_Z25selective_scan_fwd_kernelI32Selective_Scan_fwd_kernel_traitsILi128ELi16ELi1ELb0ELb1ELb1ELb0ELb0EN3c108BFloat16EfS2_EEv13SSMParamsBase
; %bb.0:
	s_load_dword s29, s[0:1], 0x18
	s_load_dwordx4 s[4:7], s[0:1], 0xe8
	s_mov_b32 s24, s3
                                        ; implicit-def: $vgpr167 : SGPR spill to VGPR lane
	s_waitcnt lgkmcnt(0)
	s_abs_i32 s28, s29
	v_cvt_f32_u32_e32 v1, s28
	s_cmp_eq_u64 s[6:7], 0
	v_rcp_iflag_f32_e32 v1, v1
	s_nop 0
	v_mul_f32_e32 v1, 0x4f7ffffe, v1
	v_cvt_u32_f32_e32 v1, v1
	s_nop 0
	v_readfirstlane_b32 s30, v1
	s_cbranch_scc1 .LBB31_2
; %bb.1:
	s_ashr_i32 s3, s2, 31
	s_add_u32 s6, s6, s2
	s_addc_u32 s7, s7, s3
	v_mov_b32_e32 v1, 0
	global_load_ubyte v1, v1, s[6:7]
	s_waitcnt vmcnt(0)
	v_and_b32_e32 v1, 1, v1
	v_cmp_eq_u32_e64 s[6:7], 1, v1
	s_branch .LBB31_3
.LBB31_2:
	s_mov_b64 s[6:7], 0
.LBB31_3:
	s_nop 0
	v_writelane_b32 v167, s6, 0
	s_cmp_eq_u64 s[4:5], 0
	s_nop 0
	v_writelane_b32 v167, s7, 1
	s_load_dwordx2 s[6:7], s[0:1], 0x20
	s_cbranch_scc1 .LBB31_5
; %bb.4:
	s_ashr_i32 s3, s2, 31
	s_lshl_b64 s[8:9], s[2:3], 2
	s_add_u32 s4, s4, s8
	s_addc_u32 s5, s5, s9
	s_load_dword s26, s[4:5], 0x0
	s_waitcnt lgkmcnt(0)
	s_ashr_i32 s27, s26, 31
	s_cmp_eq_u64 s[6:7], s[26:27]
	s_cbranch_scc0 .LBB31_6
	s_branch .LBB31_238
.LBB31_5:
	s_mov_b32 s26, s2
	s_ashr_i32 s27, s26, 31
	s_waitcnt lgkmcnt(0)
	s_cmp_eq_u64 s[6:7], s[26:27]
	s_cbranch_scc1 .LBB31_238
.LBB31_6:
	s_load_dwordx16 s[36:51], s[0:1], 0x88
	s_load_dwordx2 s[34:35], s[0:1], 0x8
	s_mov_b32 s3, 0
	v_writelane_b32 v167, s3, 2
	v_writelane_b32 v167, s3, 3
	s_waitcnt lgkmcnt(0)
	s_cmp_eq_u64 s[42:43], 0
	s_cbranch_scc1 .LBB31_8
; %bb.7:
	s_ashr_i32 s25, s24, 31
	s_lshl_b64 s[4:5], s[24:25], 2
	s_add_u32 s4, s42, s4
	s_addc_u32 s5, s43, s5
	s_load_dword s3, s[4:5], 0x0
	s_waitcnt lgkmcnt(0)
	v_writelane_b32 v167, s3, 3
.LBB31_8:
	s_cmp_eq_u64 s[48:49], 0
	s_cbranch_scc1 .LBB31_10
; %bb.9:
	s_ashr_i32 s25, s24, 31
	s_lshl_b64 s[4:5], s[24:25], 2
	s_add_u32 s4, s48, s4
	s_addc_u32 s5, s49, s5
	s_load_dword s3, s[4:5], 0x0
	s_waitcnt lgkmcnt(0)
	v_writelane_b32 v167, s3, 2
.LBB31_10:
	s_cmp_lt_i32 s34, 1
	s_cbranch_scc1 .LBB31_238
; %bb.11:
	s_sub_i32 s3, 0, s28
	s_mul_i32 s3, s3, s30
	s_mul_hi_u32 s3, s30, s3
	s_abs_i32 s6, s24
	s_add_i32 s30, s30, s3
	s_load_dwordx8 s[52:59], s[0:1], 0x2c
	s_load_dwordx2 s[14:15], s[0:1], 0x5c
	s_load_dwordx4 s[60:63], s[0:1], 0x4c
	s_load_dwordx4 s[64:67], s[0:1], 0x7c
	s_load_dwordx2 s[4:5], s[0:1], 0x6c
	s_load_dwordx2 s[20:21], s[0:1], 0xc8
	s_mul_hi_u32 s3, s6, s30
	s_load_dword s25, s[0:1], 0x28
	s_ashr_i32 s0, s24, 31
	s_ashr_i32 s1, s29, 31
	s_xor_b32 s0, s0, s1
	s_mul_i32 s1, s3, s28
	s_sub_i32 s1, s6, s1
	s_add_i32 s6, s3, 1
	s_sub_i32 s7, s1, s28
	s_cmp_ge_u32 s1, s28
	s_cselect_b32 s3, s6, s3
	s_cselect_b32 s1, s7, s1
	s_add_i32 s6, s3, 1
	s_cmp_ge_u32 s1, s28
	s_cselect_b32 s1, s6, s3
	s_xor_b32 s1, s1, s0
	s_waitcnt lgkmcnt(0)
	s_mul_i32 s6, s62, s2
	s_mov_b32 s7, 0
	s_sub_i32 s3, s1, s0
	s_lshl_b64 s[0:1], s[6:7], 1
	s_add_u32 s16, s44, s0
	s_mul_i32 s6, s63, s24
	s_addc_u32 s17, s45, s1
	s_lshl_b64 s[0:1], s[6:7], 1
	s_add_u32 s10, s16, s0
	s_mul_i32 s6, s14, s2
	s_addc_u32 s11, s17, s1
	;; [unrolled: 4-line block ×3, first 2 shown]
	s_lshl_b64 s[0:1], s[6:7], 1
	s_add_u32 s0, s14, s0
	s_addc_u32 s1, s16, s1
	v_writelane_b32 v167, s0, 4
	s_mul_i32 s6, s52, s24
	v_mbcnt_lo_u32_b32 v1, -1, 0
	v_writelane_b32 v167, s1, 5
	s_lshl_b64 s[0:1], s[6:7], 2
	s_add_u32 s0, s36, s0
	v_writelane_b32 v167, s0, 6
	s_addc_u32 s0, s37, s1
	s_mul_i32 s6, s54, s2
	v_writelane_b32 v167, s0, 7
	s_lshl_b64 s[0:1], s[6:7], 1
	s_add_u32 s8, s38, s0
	s_mul_i32 s6, s3, s57
	s_addc_u32 s9, s39, s1
	s_lshl_b64 s[0:1], s[6:7], 1
	s_add_u32 s0, s8, s0
	s_addc_u32 s1, s9, s1
	v_writelane_b32 v167, s0, 8
	v_lshlrev_b32_e32 v19, 4, v0
	v_mbcnt_hi_u32_b32 v18, -1, v1
	v_writelane_b32 v167, s1, 9
	v_writelane_b32 v167, s52, 10
	s_mul_i32 s6, s58, s2
	s_lshl_b64 s[0:1], s[6:7], 1
	v_writelane_b32 v167, s53, 11
	v_writelane_b32 v167, s54, 12
	;; [unrolled: 1-line block ×7, first 2 shown]
	s_add_u32 s8, s40, s0
	v_writelane_b32 v167, s60, 18
	s_mul_i32 s6, s3, s61
	s_addc_u32 s9, s41, s1
	v_writelane_b32 v167, s61, 19
	s_lshl_b64 s[0:1], s[6:7], 1
	v_writelane_b32 v167, s62, 20
	s_add_u32 s0, s8, s0
	v_writelane_b32 v167, s63, 21
	s_addc_u32 s1, s9, s1
	v_writelane_b32 v167, s0, 22
	s_mul_i32 s6, s26, s64
	v_and_b32_e32 v2, 0x400, v19
	v_writelane_b32 v167, s1, 23
	s_lshl_b64 s[0:1], s[6:7], 1
	v_writelane_b32 v167, s64, 24
	s_add_u32 s3, s20, s0
	s_mul_i32 s6, s65, s24
	v_writelane_b32 v167, s65, 25
	s_addc_u32 s8, s21, s1
	v_writelane_b32 v167, s66, 26
	s_lshl_b64 s[0:1], s[6:7], 1
	v_writelane_b32 v167, s67, 27
	s_add_u32 s0, s3, s0
	v_writelane_b32 v167, s0, 28
	s_addc_u32 s0, s8, s1
	v_writelane_b32 v167, s0, 29
	s_add_i32 s0, s34, 0x7ff
	s_lshr_b32 s1, s0, 11
	s_bitcmp1_b32 s25, 0
	v_or_b32_e32 v70, v18, v2
	s_cselect_b64 s[8:9], -1, 0
	v_lshrrev_b32_e32 v1, 5, v70
	v_writelane_b32 v167, s8, 30
	s_cmp_gt_i32 s35, 0
	v_and_b32_e32 v1, 34, v1
	v_and_b32_e32 v20, 64, v0
	v_writelane_b32 v167, s9, 31
	s_cselect_b64 s[8:9], -1, 0
	v_add_u32_e32 v3, 64, v70
	v_or_b32_e32 v71, 0x80, v70
	v_add_u32_e32 v4, 0xc0, v70
	v_or_b32_e32 v74, 0x100, v70
	;; [unrolled: 2-line block ×7, first 2 shown]
	v_add_u32_e32 v85, 0x3c0, v70
	v_add_u32_e32 v1, v1, v70
	v_add_u16_e32 v22, v18, v20
	v_writelane_b32 v167, s8, 32
	v_lshl_add_u32 v86, v1, 1, 0
	v_lshrrev_b32_e32 v1, 5, v3
	v_lshrrev_b32_e32 v3, 5, v71
	;; [unrolled: 1-line block ×15, first 2 shown]
	v_lshrrev_b16_e32 v22, 1, v22
	v_writelane_b32 v167, s9, 33
	v_and_b32_e32 v1, 38, v1
	v_and_b32_e32 v3, 38, v3
	;; [unrolled: 1-line block ×15, first 2 shown]
	v_add_lshl_u32 v21, v18, v20, 4
	v_and_b32_e32 v22, 0x7e, v22
	v_writelane_b32 v167, s34, 34
	v_add_lshl_u32 v1, v1, v70, 1
	v_add_lshl_u32 v3, v3, v70, 1
	;; [unrolled: 1-line block ×16, first 2 shown]
	s_add_i32 s0, 0, 0x1080
	v_writelane_b32 v167, s35, 35
	v_add_u32_e32 v103, s0, v1
	v_add_u32_e32 v104, s0, v3
	;; [unrolled: 1-line block ×16, first 2 shown]
	v_writelane_b32 v167, s1, 36
	s_add_i32 s0, s1, -1
	s_mul_i32 s6, s4, s2
	s_and_b32 s8, s34, 0x7ff
	v_writelane_b32 v167, s0, 37
	s_lshl_b64 s[0:1], s[6:7], 1
	s_add_u32 s2, s50, s0
	s_mul_i32 s6, s5, s24
	s_addc_u32 s3, s51, s1
	s_lshl_b64 s[0:1], s[6:7], 1
	s_add_u32 s2, s2, s0
	s_addc_u32 s3, s3, s1
	s_cmp_eq_u32 s8, 0
	s_cselect_b64 s[0:1], -1, 0
	v_add_u32_e32 v87, 0, v1
	v_writelane_b32 v167, s0, 38
	v_and_b32_e32 v1, 15, v18
	v_cmp_lt_u32_e64 s[4:5], 1, v1
	v_writelane_b32 v167, s1, 39
	v_cmp_eq_u32_e64 s[0:1], 0, v1
	v_writelane_b32 v167, s4, 40
	v_add_u32_e32 v88, 0, v3
	v_and_b32_e32 v3, 64, v18
	v_writelane_b32 v167, s5, 41
	v_cmp_lt_u32_e64 s[4:5], 3, v1
	v_mov_b32_e32 v17, 0
	v_add_u32_e32 v101, 0, v16
	v_writelane_b32 v167, s4, 42
	v_lshlrev_b32_e32 v16, 1, v18
	v_lshl_add_u32 v120, v0, 3, 0
	v_writelane_b32 v167, s5, 43
	v_cmp_lt_u32_e64 s[4:5], 7, v1
	v_and_b32_e32 v1, 16, v18
	v_cmp_lt_u32_e64 s[20:21], 63, v0
	v_writelane_b32 v167, s4, 44
	v_cmp_eq_u32_e64 s[22:23], 0, v0
	v_add_u32_e32 v89, 0, v4
	v_writelane_b32 v167, s5, 45
	v_cmp_ne_u32_e64 s[4:5], 0, v1
	v_or_b32_e32 v1, 63, v20
	v_add_u32_e32 v90, 0, v5
	v_writelane_b32 v167, s4, 46
	v_add_u32_e32 v91, 0, v6
	v_add_u32_e32 v92, 0, v7
	v_writelane_b32 v167, s5, 47
	v_cmp_lt_u32_e64 s[4:5], 31, v18
	v_add_u32_e32 v93, 0, v8
	v_add_u32_e32 v94, 0, v9
	v_writelane_b32 v167, s4, 48
	v_add_u32_e32 v95, 0, v10
	v_add_u32_e32 v96, 0, v11
	v_writelane_b32 v167, s5, 49
	v_cmp_eq_u32_e64 s[4:5], v1, v0
	v_lshrrev_b32_e32 v1, 3, v0
	v_and_b32_e32 v1, 8, v1
	v_writelane_b32 v167, s4, 50
	v_add_u32_e32 v119, 0, v1
	v_and_b32_e32 v1, 1, v18
	v_writelane_b32 v167, s5, 51
	v_cmp_gt_u32_e64 s[4:5], 2, v0
	v_add_u32_e32 v97, 0, v12
	v_add_u32_e32 v98, 0, v13
	v_writelane_b32 v167, s4, 52
	v_add_u32_e32 v99, 0, v14
	v_add_u32_e32 v100, 0, v15
	v_writelane_b32 v167, s5, 53
	v_cmp_eq_u32_e64 s[4:5], 0, v1
	v_add_u32_e32 v1, -1, v18
	v_cmp_lt_i32_e32 vcc, v1, v3
	v_writelane_b32 v167, s4, 54
	v_add_u32_e32 v102, 0, v21
	v_cndmask_b32_e32 v1, v1, v18, vcc
	v_writelane_b32 v167, s5, 55
	v_cmp_gt_u32_e64 s[4:5], 64, v0
	v_lshlrev_b32_e32 v121, 2, v1
	v_lshl_add_u64 v[0:1], s[2:3], 0, v[16:17]
	v_writelane_b32 v167, s4, 56
	v_lshlrev_b32_e32 v16, 1, v2
	s_add_i32 s2, 0, 0x2110
	v_writelane_b32 v167, s5, 57
	v_cmp_eq_u32_e64 s[24:25], 0, v18
	v_lshl_add_u64 v[20:21], v[0:1], 0, v[16:17]
	v_lshlrev_b32_e32 v22, 1, v2
	s_mov_b32 s6, 0x41a00000
	s_mov_b32 s8, 0x3fb8aa3b
	;; [unrolled: 1-line block ×8, first 2 shown]
	v_writelane_b32 v167, s2, 58
	s_mov_b32 s33, 0xc2fc0000
	s_mov_b32 s3, 0
	v_mov_b32_e32 v137, 0x3ecc95a3
	v_mov_b32_e32 v138, 0x7f800000
	v_mov_b32_e32 v139, 0x42800000
	v_mov_b32_e32 v140, 0x1f800000
	v_mov_b32_e32 v141, 0x7fc0
	v_mov_b32_e32 v24, 0x3f317218
                                        ; implicit-def: $vgpr0
	s_branch .LBB31_13
.LBB31_12:                              ;   in Loop: Header=BB31_13 Depth=1
	s_or_b64 exec, exec, s[2:3]
	v_readlane_b32 s2, v167, 4
	v_readlane_b32 s3, v167, 5
	s_add_u32 s2, s2, 0x1000
	s_addc_u32 s3, s3, 0
	v_writelane_b32 v167, s2, 4
	s_add_u32 s10, s10, 0x1000
	s_addc_u32 s11, s11, 0
	v_writelane_b32 v167, s3, 5
	s_nop 0
	v_readlane_b32 s2, v167, 8
	v_readlane_b32 s3, v167, 9
	s_add_u32 s2, s2, 0x1000
	s_addc_u32 s3, s3, 0
	v_writelane_b32 v167, s2, 8
	s_nop 1
	v_writelane_b32 v167, s3, 9
	s_nop 0
	v_readlane_b32 s2, v167, 22
	v_readlane_b32 s3, v167, 23
	s_add_u32 s2, s2, 0x1000
	s_addc_u32 s3, s3, 0
	v_writelane_b32 v167, s2, 22
	s_nop 1
	v_writelane_b32 v167, s3, 23
	s_nop 0
	v_readlane_b32 s3, v167, 59
	s_add_i32 s3, s3, 1
	v_readlane_b32 s2, v167, 36
	s_cmp_eq_u32 s3, s2
	s_cbranch_scc1 .LBB31_238
.LBB31_13:                              ; =>This Loop Header: Depth=1
                                        ;     Child Loop BB31_110 Depth 2
	v_writelane_b32 v167, s3, 59
	s_lshl_b32 s18, s3, 11
	v_readlane_b32 s2, v167, 34
	s_mov_b32 s4, s18
	v_readlane_b32 s3, v167, 35
	v_writelane_b32 v167, s4, 60
	s_waitcnt lgkmcnt(14)
	v_lshlrev_b32_e32 v16, 1, v18
	s_sub_i32 s88, s2, s18
	v_writelane_b32 v167, s5, 61
	v_writelane_b32 v167, s10, 62
	v_mov_b32_e32 v23, v17
	v_cmp_gt_u32_e64 s[26:27], s88, v70
	v_lshl_add_u64 v[0:1], s[10:11], 0, v[16:17]
	v_writelane_b32 v167, s11, 63
	v_lshl_add_u64 v[0:1], v[0:1], 0, v[22:23]
	s_waitcnt lgkmcnt(0)
	v_mov_b32_e32 v2, 0
	s_barrier
	s_and_saveexec_b64 s[2:3], s[26:27]
	s_cbranch_execz .LBB31_15
; %bb.14:                               ;   in Loop: Header=BB31_13 Depth=1
	global_load_ushort v2, v[0:1], off
.LBB31_15:                              ;   in Loop: Header=BB31_13 Depth=1
	s_or_b64 exec, exec, s[2:3]
	v_add_u32_e32 v3, 64, v70
	v_cmp_gt_u32_e64 s[28:29], s88, v3
	v_mov_b32_e32 v3, 0
	v_mov_b32_e32 v4, 0
	s_and_saveexec_b64 s[2:3], s[28:29]
	s_cbranch_execz .LBB31_17
; %bb.16:                               ;   in Loop: Header=BB31_13 Depth=1
	global_load_ushort v4, v[0:1], off offset:128
.LBB31_17:                              ;   in Loop: Header=BB31_13 Depth=1
	s_or_b64 exec, exec, s[2:3]
	v_cmp_gt_u32_e64 s[30:31], s88, v71
	s_and_saveexec_b64 s[2:3], s[30:31]
	s_cbranch_execz .LBB31_19
; %bb.18:                               ;   in Loop: Header=BB31_13 Depth=1
	global_load_ushort v3, v[0:1], off offset:256
.LBB31_19:                              ;   in Loop: Header=BB31_13 Depth=1
	s_or_b64 exec, exec, s[2:3]
	v_add_u32_e32 v5, 0xc0, v70
	v_cmp_gt_u32_e64 s[34:35], s88, v5
	v_mov_b32_e32 v5, 0
	v_mov_b32_e32 v6, 0
	s_and_saveexec_b64 s[2:3], s[34:35]
	s_cbranch_execz .LBB31_21
; %bb.20:                               ;   in Loop: Header=BB31_13 Depth=1
	global_load_ushort v6, v[0:1], off offset:384
.LBB31_21:                              ;   in Loop: Header=BB31_13 Depth=1
	s_or_b64 exec, exec, s[2:3]
	v_cmp_gt_u32_e64 s[36:37], s88, v74
	s_and_saveexec_b64 s[2:3], s[36:37]
	s_cbranch_execz .LBB31_23
; %bb.22:                               ;   in Loop: Header=BB31_13 Depth=1
	global_load_ushort v5, v[0:1], off offset:512
.LBB31_23:                              ;   in Loop: Header=BB31_13 Depth=1
	s_or_b64 exec, exec, s[2:3]
	v_cmp_gt_u32_e64 s[38:39], s88, v75
	v_mov_b32_e32 v7, 0
	v_mov_b32_e32 v8, 0
	s_and_saveexec_b64 s[2:3], s[38:39]
	s_cbranch_execz .LBB31_25
; %bb.24:                               ;   in Loop: Header=BB31_13 Depth=1
	global_load_ushort v8, v[0:1], off offset:640
.LBB31_25:                              ;   in Loop: Header=BB31_13 Depth=1
	s_or_b64 exec, exec, s[2:3]
	v_cmp_gt_u32_e64 s[40:41], s88, v76
	s_and_saveexec_b64 s[2:3], s[40:41]
	s_cbranch_execz .LBB31_27
; %bb.26:                               ;   in Loop: Header=BB31_13 Depth=1
	global_load_ushort v7, v[0:1], off offset:768
.LBB31_27:                              ;   in Loop: Header=BB31_13 Depth=1
	s_or_b64 exec, exec, s[2:3]
	;; [unrolled: 16-line block ×6, first 2 shown]
	v_cmp_gt_u32_e64 s[58:59], s88, v85
	v_mov_b32_e32 v10, 0
	v_mov_b32_e32 v26, 0
	s_and_saveexec_b64 s[2:3], s[58:59]
	s_cbranch_execz .LBB31_45
; %bb.44:                               ;   in Loop: Header=BB31_13 Depth=1
	global_load_ushort v26, v[0:1], off offset:1920
.LBB31_45:                              ;   in Loop: Header=BB31_13 Depth=1
	s_or_b64 exec, exec, s[2:3]
	s_waitcnt vmcnt(0)
	ds_write_b16 v86, v2
	ds_write_b16 v87, v4 offset:128
	ds_write_b16 v88, v3 offset:256
	;; [unrolled: 1-line block ×15, first 2 shown]
	; wave barrier
	ds_read_b128 v[0:3], v102
	ds_read_b128 v[4:7], v102 offset:16
	v_readlane_b32 s2, v167, 4
	v_readlane_b32 s3, v167, 5
	v_mov_b32_e32 v23, v17
	s_waitcnt lgkmcnt(0)
	v_lshl_add_u64 v[8:9], s[2:3], 0, v[16:17]
	v_lshl_add_u64 v[8:9], v[8:9], 0, v[22:23]
	s_barrier
	s_and_saveexec_b64 s[2:3], s[26:27]
	s_cbranch_execz .LBB31_47
; %bb.46:                               ;   in Loop: Header=BB31_13 Depth=1
	global_load_ushort v10, v[8:9], off
.LBB31_47:                              ;   in Loop: Header=BB31_13 Depth=1
	s_or_b64 exec, exec, s[2:3]
	v_mov_b32_e32 v11, 0
	v_mov_b32_e32 v12, 0
	s_and_saveexec_b64 s[2:3], s[28:29]
	s_cbranch_execz .LBB31_49
; %bb.48:                               ;   in Loop: Header=BB31_13 Depth=1
	global_load_ushort v12, v[8:9], off offset:128
.LBB31_49:                              ;   in Loop: Header=BB31_13 Depth=1
	s_or_b64 exec, exec, s[2:3]
	s_and_saveexec_b64 s[2:3], s[30:31]
	s_cbranch_execz .LBB31_51
; %bb.50:                               ;   in Loop: Header=BB31_13 Depth=1
	global_load_ushort v11, v[8:9], off offset:256
.LBB31_51:                              ;   in Loop: Header=BB31_13 Depth=1
	s_or_b64 exec, exec, s[2:3]
	v_mov_b32_e32 v13, 0
	v_mov_b32_e32 v14, 0
	s_and_saveexec_b64 s[2:3], s[34:35]
	s_cbranch_execz .LBB31_53
; %bb.52:                               ;   in Loop: Header=BB31_13 Depth=1
	global_load_ushort v14, v[8:9], off offset:384
.LBB31_53:                              ;   in Loop: Header=BB31_13 Depth=1
	s_or_b64 exec, exec, s[2:3]
	s_and_saveexec_b64 s[2:3], s[36:37]
	s_cbranch_execz .LBB31_55
; %bb.54:                               ;   in Loop: Header=BB31_13 Depth=1
	global_load_ushort v13, v[8:9], off offset:512
.LBB31_55:                              ;   in Loop: Header=BB31_13 Depth=1
	;; [unrolled: 14-line block ×6, first 2 shown]
	s_or_b64 exec, exec, s[2:3]
	v_mov_b32_e32 v31, 0
	v_mov_b32_e32 v32, 0
	s_and_saveexec_b64 s[2:3], s[54:55]
	s_cbranch_execnz .LBB31_221
; %bb.72:                               ;   in Loop: Header=BB31_13 Depth=1
	s_or_b64 exec, exec, s[2:3]
	s_and_saveexec_b64 s[2:3], s[56:57]
	s_cbranch_execnz .LBB31_222
.LBB31_73:                              ;   in Loop: Header=BB31_13 Depth=1
	s_or_b64 exec, exec, s[2:3]
	v_mov_b32_e32 v33, 0
	s_and_saveexec_b64 s[2:3], s[58:59]
	s_cbranch_execz .LBB31_75
.LBB31_74:                              ;   in Loop: Header=BB31_13 Depth=1
	global_load_ushort v33, v[8:9], off offset:1920
.LBB31_75:                              ;   in Loop: Header=BB31_13 Depth=1
	s_or_b64 exec, exec, s[2:3]
	s_waitcnt vmcnt(0)
	ds_write_b16 v86, v10
	ds_write_b16 v87, v12 offset:128
	ds_write_b16 v88, v11 offset:256
	;; [unrolled: 1-line block ×15, first 2 shown]
	; wave barrier
	ds_read_b128 v[12:15], v102
	ds_read_b128 v[8:11], v102 offset:16
	v_readlane_b32 s2, v167, 2
	s_waitcnt lgkmcnt(1)
	v_lshlrev_b32_e32 v23, 16, v12
	v_add_f32_e32 v142, s2, v23
	v_readlane_b32 s2, v167, 30
	v_cmp_ge_f32_e32 vcc, s6, v142
	v_readlane_b32 s3, v167, 31
	s_and_b64 s[2:3], s[2:3], vcc
	s_and_saveexec_b64 s[4:5], s[2:3]
	s_cbranch_execz .LBB31_77
; %bb.76:                               ;   in Loop: Header=BB31_13 Depth=1
	v_mul_f32_e32 v23, 0x3fb8aa3b, v142
	v_rndne_f32_e32 v25, v23
	v_sub_f32_e32 v26, v23, v25
	v_fma_f32 v23, v142, s8, -v23
	v_fmac_f32_e32 v23, 0x32a5705f, v142
	v_add_f32_e32 v23, v26, v23
	v_cvt_i32_f32_e32 v25, v25
	v_exp_f32_e32 v23, v23
	v_cmp_ngt_f32_e32 vcc, s9, v142
	v_ldexp_f32 v23, v23, v25
	s_nop 0
	v_cndmask_b32_e32 v23, 0, v23, vcc
	v_cmp_nlt_f32_e32 vcc, s12, v142
	s_nop 1
	v_cndmask_b32_e32 v42, v138, v23, vcc
	v_add_f32_e32 v23, 1.0, v42
	v_add_f32_e32 v25, -1.0, v23
	v_sub_f32_e32 v26, v25, v23
	v_add_f32_e32 v26, 1.0, v26
	v_sub_f32_e32 v25, v42, v25
	v_add_f32_e32 v25, v25, v26
	v_frexp_mant_f32_e32 v28, v23
	v_cvt_f64_f32_e32 v[26:27], v23
	v_frexp_exp_i32_f64_e32 v26, v[26:27]
	v_cmp_gt_f32_e32 vcc, s14, v28
	v_cmp_gt_f32_e64 s[60:61], s16, v42
	s_nop 0
	v_subbrev_co_u32_e32 v34, vcc, 0, v26, vcc
	v_sub_u32_e32 v26, 0, v34
	v_ldexp_f32 v23, v23, v26
	v_ldexp_f32 v25, v25, v26
	v_add_f32_e32 v26, -1.0, v23
	v_add_f32_e32 v27, 1.0, v26
	v_sub_f32_e32 v27, v23, v27
	v_add_f32_e32 v28, v25, v27
	v_add_f32_e32 v27, 1.0, v23
	v_add_f32_e32 v29, -1.0, v27
	v_sub_f32_e32 v23, v23, v29
	v_add_f32_e32 v23, v25, v23
	v_add_f32_e32 v25, v27, v23
	v_rcp_f32_e32 v35, v25
	v_sub_f32_e32 v27, v27, v25
	v_add_f32_e32 v23, v23, v27
	v_add_f32_e32 v27, v26, v28
	v_sub_f32_e32 v26, v26, v27
	v_mul_f32_e32 v37, v27, v35
	v_add_f32_e32 v36, v28, v26
	v_mul_f32_e32 v28, v25, v37
	v_fma_f32 v30, v37, v25, -v28
	v_fmac_f32_e32 v30, v37, v23
	v_add_f32_e32 v26, v28, v30
	v_sub_f32_e32 v29, v27, v26
	v_pk_add_f32 v[32:33], v[26:27], v[28:29] neg_lo:[0,1] neg_hi:[0,1]
	v_mov_b32_e32 v31, v26
	v_pk_add_f32 v[26:27], v[32:33], v[30:31] neg_lo:[0,1] neg_hi:[0,1]
	v_cmp_eq_f32_e32 vcc, s13, v42
	v_add_f32_e32 v27, v36, v27
	v_add_f32_e32 v26, v26, v27
	v_add_f32_e32 v27, v29, v26
	v_mul_f32_e32 v36, v35, v27
	v_mul_f32_e32 v28, v25, v36
	v_fma_f32 v30, v36, v25, -v28
	v_fmac_f32_e32 v30, v36, v23
	v_sub_f32_e32 v23, v29, v27
	v_add_f32_e32 v23, v26, v23
	v_add_f32_e32 v26, v28, v30
	v_sub_f32_e32 v29, v27, v26
	v_pk_add_f32 v[32:33], v[26:27], v[28:29] neg_lo:[0,1] neg_hi:[0,1]
	v_mov_b32_e32 v31, v26
	v_pk_add_f32 v[26:27], v[32:33], v[30:31] neg_lo:[0,1] neg_hi:[0,1]
	s_or_b64 vcc, s[60:61], vcc
	v_add_f32_e32 v23, v23, v27
	v_add_f32_e32 v23, v26, v23
	;; [unrolled: 1-line block ×4, first 2 shown]
	v_sub_f32_e32 v25, v27, v37
	v_mul_f32_e32 v23, v35, v23
	v_sub_f32_e32 v25, v36, v25
	v_add_f32_e32 v23, v25, v23
	v_add_f32_e32 v28, v27, v23
	v_cvt_f32_i32_e32 v26, v34
	v_mul_f32_e32 v30, v28, v28
	v_fmamk_f32 v25, v30, 0x3e9b6dac, v137
	v_sub_f32_e32 v27, v28, v27
	v_fmaak_f32 v25, v30, v25, 0x3f2aaada
	v_sub_f32_e32 v23, v23, v27
	v_mul_f32_e32 v27, v28, v30
	v_pk_mul_f32 v[30:31], v[26:27], v[24:25]
	v_ldexp_f32 v29, v28, 1
	v_fma_f32 v28, v26, s15, -v30
	v_fmac_f32_e32 v28, 0xb102e308, v26
	v_pk_add_f32 v[26:27], v[30:31], v[28:29]
	v_ldexp_f32 v23, v23, 1
	v_sub_f32_e32 v25, v27, v29
	v_sub_f32_e32 v25, v31, v25
	v_add_f32_e32 v33, v23, v25
	v_mov_b32_e32 v32, v30
	v_pk_add_f32 v[30:31], v[26:27], v[30:31] neg_lo:[0,1] neg_hi:[0,1]
	v_pk_add_f32 v[34:35], v[26:27], v[32:33]
	v_mov_b32_e32 v29, v26
	v_mov_b32_e32 v31, v35
	v_pk_add_f32 v[36:37], v[28:29], v[30:31] neg_lo:[0,1] neg_hi:[0,1]
	v_pk_add_f32 v[28:29], v[28:29], v[30:31]
	v_mov_b32_e32 v32, v33
	v_mov_b32_e32 v30, v29
	v_pk_add_f32 v[38:39], v[30:31], v[26:27] neg_lo:[0,1] neg_hi:[0,1]
	v_mov_b32_e32 v28, v35
	v_mov_b32_e32 v23, v38
	v_pk_add_f32 v[40:41], v[34:35], v[22:23] neg_lo:[0,1] neg_hi:[0,1]
	v_mov_b32_e32 v34, v27
	v_mov_b32_e32 v35, v38
	;; [unrolled: 1-line block ×3, first 2 shown]
	v_pk_add_f32 v[28:29], v[28:29], v[34:35] neg_lo:[0,1] neg_hi:[0,1]
	v_mov_b32_e32 v33, v26
	v_pk_add_f32 v[26:27], v[32:33], v[28:29] neg_lo:[0,1] neg_hi:[0,1]
	v_mov_b32_e32 v40, v36
	v_pk_add_f32 v[28:29], v[40:41], v[26:27]
	s_nop 0
	v_mov_b32_e32 v32, v29
	v_pk_add_f32 v[32:33], v[28:29], v[32:33]
	s_nop 0
	v_pk_add_f32 v[30:31], v[30:31], v[32:33]
	v_mov_b32_e32 v27, v32
	v_mov_b32_e32 v29, v30
	v_pk_add_f32 v[34:35], v[28:29], v[36:37] neg_lo:[0,1] neg_hi:[0,1]
	s_nop 0
	v_sub_f32_e32 v23, v28, v34
	v_pk_add_f32 v[26:27], v[26:27], v[34:35] neg_lo:[0,1] neg_hi:[0,1]
	v_sub_f32_e32 v23, v36, v23
	v_add_f32_e32 v23, v26, v23
	v_add_f32_e32 v23, v23, v27
	;; [unrolled: 1-line block ×3, first 2 shown]
	v_cndmask_b32_e32 v142, v23, v42, vcc
.LBB31_77:                              ;   in Loop: Header=BB31_13 Depth=1
	s_or_b64 exec, exec, s[4:5]
	v_and_b32_e32 v12, 0xffff0000, v12
	v_readlane_b32 s2, v167, 2
	s_nop 1
	v_add_f32_e32 v143, s2, v12
	v_readlane_b32 s2, v167, 30
	v_cmp_ge_f32_e32 vcc, s6, v143
	v_readlane_b32 s3, v167, 31
	s_and_b64 s[2:3], s[2:3], vcc
	s_and_saveexec_b64 s[4:5], s[2:3]
	s_cbranch_execz .LBB31_79
; %bb.78:                               ;   in Loop: Header=BB31_13 Depth=1
	v_mul_f32_e32 v12, 0x3fb8aa3b, v143
	v_rndne_f32_e32 v23, v12
	v_sub_f32_e32 v25, v12, v23
	v_fma_f32 v12, v143, s8, -v12
	v_fmac_f32_e32 v12, 0x32a5705f, v143
	v_add_f32_e32 v12, v25, v12
	v_cvt_i32_f32_e32 v23, v23
	v_exp_f32_e32 v12, v12
	v_cmp_ngt_f32_e32 vcc, s9, v143
	v_ldexp_f32 v12, v12, v23
	s_nop 0
	v_cndmask_b32_e32 v12, 0, v12, vcc
	v_cmp_nlt_f32_e32 vcc, s12, v143
	s_nop 1
	v_cndmask_b32_e32 v40, v138, v12, vcc
	v_add_f32_e32 v12, 1.0, v40
	v_add_f32_e32 v23, -1.0, v12
	v_sub_f32_e32 v25, v23, v12
	v_add_f32_e32 v25, 1.0, v25
	v_sub_f32_e32 v23, v40, v23
	v_add_f32_e32 v23, v23, v25
	v_frexp_mant_f32_e32 v25, v12
	v_cvt_f64_f32_e32 v[26:27], v12
	v_frexp_exp_i32_f64_e32 v26, v[26:27]
	v_cmp_gt_f32_e32 vcc, s14, v25
	v_cmp_gt_f32_e64 s[60:61], s16, v40
	s_nop 0
	v_subbrev_co_u32_e32 v34, vcc, 0, v26, vcc
	v_sub_u32_e32 v25, 0, v34
	v_ldexp_f32 v12, v12, v25
	v_ldexp_f32 v23, v23, v25
	v_add_f32_e32 v25, -1.0, v12
	v_add_f32_e32 v27, 1.0, v12
	v_add_f32_e32 v26, 1.0, v25
	v_add_f32_e32 v28, -1.0, v27
	v_sub_f32_e32 v26, v12, v26
	v_sub_f32_e32 v12, v12, v28
	v_add_f32_e32 v12, v23, v12
	v_add_f32_e32 v26, v23, v26
	;; [unrolled: 1-line block ×3, first 2 shown]
	v_rcp_f32_e32 v35, v23
	v_sub_f32_e32 v27, v27, v23
	v_add_f32_e32 v12, v12, v27
	v_add_f32_e32 v27, v25, v26
	v_mul_f32_e32 v36, v27, v35
	v_mul_f32_e32 v28, v23, v36
	v_fma_f32 v30, v36, v23, -v28
	v_sub_f32_e32 v25, v25, v27
	v_fmac_f32_e32 v30, v36, v12
	v_add_f32_e32 v25, v26, v25
	v_add_f32_e32 v26, v28, v30
	v_sub_f32_e32 v29, v27, v26
	v_pk_add_f32 v[32:33], v[26:27], v[28:29] neg_lo:[0,1] neg_hi:[0,1]
	v_mov_b32_e32 v31, v26
	v_pk_add_f32 v[26:27], v[32:33], v[30:31] neg_lo:[0,1] neg_hi:[0,1]
	v_cmp_eq_f32_e32 vcc, s13, v40
	v_add_f32_e32 v25, v25, v27
	v_add_f32_e32 v25, v26, v25
	;; [unrolled: 1-line block ×3, first 2 shown]
	v_mul_f32_e32 v37, v35, v27
	v_mul_f32_e32 v28, v23, v37
	v_fma_f32 v30, v37, v23, -v28
	v_fmac_f32_e32 v30, v37, v12
	v_add_f32_e32 v26, v28, v30
	v_sub_f32_e32 v12, v29, v27
	v_sub_f32_e32 v29, v27, v26
	v_pk_add_f32 v[32:33], v[26:27], v[28:29] neg_lo:[0,1] neg_hi:[0,1]
	v_mov_b32_e32 v31, v26
	v_add_f32_e32 v12, v25, v12
	v_pk_add_f32 v[26:27], v[32:33], v[30:31] neg_lo:[0,1] neg_hi:[0,1]
	v_add_f32_e32 v23, v36, v37
	v_add_f32_e32 v12, v12, v27
	;; [unrolled: 1-line block ×4, first 2 shown]
	v_sub_f32_e32 v25, v23, v36
	v_mul_f32_e32 v12, v35, v12
	v_sub_f32_e32 v25, v37, v25
	v_add_f32_e32 v12, v25, v12
	v_add_f32_e32 v27, v23, v12
	v_cvt_f32_i32_e32 v26, v34
	v_mul_f32_e32 v28, v27, v27
	v_fmamk_f32 v25, v28, 0x3e9b6dac, v137
	v_fmaak_f32 v25, v28, v25, 0x3f2aaada
	v_sub_f32_e32 v23, v27, v23
	v_ldexp_f32 v29, v27, 1
	v_mul_f32_e32 v27, v27, v28
	v_pk_mul_f32 v[30:31], v[26:27], v[24:25]
	v_sub_f32_e32 v12, v12, v23
	v_fma_f32 v28, v26, s15, -v30
	v_fmac_f32_e32 v28, 0xb102e308, v26
	v_pk_add_f32 v[26:27], v[30:31], v[28:29]
	v_ldexp_f32 v12, v12, 1
	v_sub_f32_e32 v23, v27, v29
	v_sub_f32_e32 v23, v31, v23
	v_add_f32_e32 v33, v12, v23
	v_mov_b32_e32 v32, v30
	v_pk_add_f32 v[30:31], v[26:27], v[30:31] neg_lo:[0,1] neg_hi:[0,1]
	v_pk_add_f32 v[34:35], v[26:27], v[32:33]
	v_mov_b32_e32 v29, v26
	v_mov_b32_e32 v31, v35
	v_pk_add_f32 v[36:37], v[28:29], v[30:31] neg_lo:[0,1] neg_hi:[0,1]
	v_pk_add_f32 v[28:29], v[28:29], v[30:31]
	s_or_b64 vcc, s[60:61], vcc
	v_mov_b32_e32 v12, v29
	v_pk_add_f32 v[30:31], v[12:13], v[26:27] neg_lo:[0,1] neg_hi:[0,1]
	v_mov_b32_e32 v28, v35
	v_mov_b32_e32 v23, v30
	v_pk_add_f32 v[38:39], v[34:35], v[22:23] neg_lo:[0,1] neg_hi:[0,1]
	v_mov_b32_e32 v34, v27
	v_mov_b32_e32 v35, v30
	v_mov_b32_e32 v37, v29
	v_pk_add_f32 v[28:29], v[28:29], v[34:35] neg_lo:[0,1] neg_hi:[0,1]
	v_mov_b32_e32 v30, v33
	v_mov_b32_e32 v31, v26
	v_pk_add_f32 v[26:27], v[30:31], v[28:29] neg_lo:[0,1] neg_hi:[0,1]
	v_mov_b32_e32 v38, v36
	v_pk_add_f32 v[28:29], v[38:39], v[26:27]
	s_nop 0
	v_mov_b32_e32 v30, v29
	v_pk_add_f32 v[30:31], v[28:29], v[30:31]
	s_nop 0
	v_pk_add_f32 v[32:33], v[12:13], v[30:31]
	v_mov_b32_e32 v27, v30
	v_mov_b32_e32 v29, v32
	v_pk_add_f32 v[34:35], v[28:29], v[36:37] neg_lo:[0,1] neg_hi:[0,1]
	s_nop 0
	v_sub_f32_e32 v12, v28, v34
	v_pk_add_f32 v[26:27], v[26:27], v[34:35] neg_lo:[0,1] neg_hi:[0,1]
	v_sub_f32_e32 v12, v36, v12
	v_add_f32_e32 v12, v26, v12
	v_add_f32_e32 v12, v12, v27
	;; [unrolled: 1-line block ×3, first 2 shown]
	v_cndmask_b32_e32 v143, v12, v40, vcc
.LBB31_79:                              ;   in Loop: Header=BB31_13 Depth=1
	s_or_b64 exec, exec, s[4:5]
	v_lshlrev_b32_e32 v12, 16, v13
	v_readlane_b32 s2, v167, 2
	s_nop 1
	v_add_f32_e32 v144, s2, v12
	v_readlane_b32 s2, v167, 30
	v_cmp_ge_f32_e32 vcc, s6, v144
	v_readlane_b32 s3, v167, 31
	s_and_b64 s[2:3], s[2:3], vcc
	s_and_saveexec_b64 s[4:5], s[2:3]
	s_cbranch_execz .LBB31_81
; %bb.80:                               ;   in Loop: Header=BB31_13 Depth=1
	v_mul_f32_e32 v12, 0x3fb8aa3b, v144
	v_rndne_f32_e32 v23, v12
	v_sub_f32_e32 v25, v12, v23
	v_fma_f32 v12, v144, s8, -v12
	v_fmac_f32_e32 v12, 0x32a5705f, v144
	v_add_f32_e32 v12, v25, v12
	v_cvt_i32_f32_e32 v23, v23
	v_exp_f32_e32 v12, v12
	v_cmp_ngt_f32_e32 vcc, s9, v144
	v_ldexp_f32 v12, v12, v23
	s_nop 0
	v_cndmask_b32_e32 v12, 0, v12, vcc
	v_cmp_nlt_f32_e32 vcc, s12, v144
	s_nop 1
	v_cndmask_b32_e32 v40, v138, v12, vcc
	v_add_f32_e32 v12, 1.0, v40
	v_add_f32_e32 v23, -1.0, v12
	v_sub_f32_e32 v25, v23, v12
	v_add_f32_e32 v25, 1.0, v25
	v_sub_f32_e32 v23, v40, v23
	v_add_f32_e32 v23, v23, v25
	v_frexp_mant_f32_e32 v25, v12
	v_cvt_f64_f32_e32 v[26:27], v12
	v_frexp_exp_i32_f64_e32 v26, v[26:27]
	v_cmp_gt_f32_e32 vcc, s14, v25
	v_cmp_gt_f32_e64 s[60:61], s16, v40
	s_nop 0
	v_subbrev_co_u32_e32 v34, vcc, 0, v26, vcc
	v_sub_u32_e32 v25, 0, v34
	v_ldexp_f32 v12, v12, v25
	v_ldexp_f32 v23, v23, v25
	v_add_f32_e32 v25, -1.0, v12
	v_add_f32_e32 v27, 1.0, v12
	v_add_f32_e32 v26, 1.0, v25
	v_add_f32_e32 v28, -1.0, v27
	v_sub_f32_e32 v26, v12, v26
	v_sub_f32_e32 v12, v12, v28
	v_add_f32_e32 v12, v23, v12
	v_add_f32_e32 v26, v23, v26
	;; [unrolled: 1-line block ×3, first 2 shown]
	v_rcp_f32_e32 v35, v23
	v_sub_f32_e32 v27, v27, v23
	v_add_f32_e32 v12, v12, v27
	v_add_f32_e32 v27, v25, v26
	v_mul_f32_e32 v36, v27, v35
	v_mul_f32_e32 v28, v23, v36
	v_fma_f32 v30, v36, v23, -v28
	v_sub_f32_e32 v25, v25, v27
	v_fmac_f32_e32 v30, v36, v12
	v_add_f32_e32 v25, v26, v25
	v_add_f32_e32 v26, v28, v30
	v_sub_f32_e32 v29, v27, v26
	v_pk_add_f32 v[32:33], v[26:27], v[28:29] neg_lo:[0,1] neg_hi:[0,1]
	v_mov_b32_e32 v31, v26
	v_pk_add_f32 v[26:27], v[32:33], v[30:31] neg_lo:[0,1] neg_hi:[0,1]
	v_cmp_eq_f32_e32 vcc, s13, v40
	v_add_f32_e32 v25, v25, v27
	v_add_f32_e32 v25, v26, v25
	;; [unrolled: 1-line block ×3, first 2 shown]
	v_mul_f32_e32 v37, v35, v27
	v_mul_f32_e32 v28, v23, v37
	v_fma_f32 v30, v37, v23, -v28
	v_fmac_f32_e32 v30, v37, v12
	v_add_f32_e32 v26, v28, v30
	v_sub_f32_e32 v12, v29, v27
	v_sub_f32_e32 v29, v27, v26
	v_pk_add_f32 v[32:33], v[26:27], v[28:29] neg_lo:[0,1] neg_hi:[0,1]
	v_mov_b32_e32 v31, v26
	v_add_f32_e32 v12, v25, v12
	v_pk_add_f32 v[26:27], v[32:33], v[30:31] neg_lo:[0,1] neg_hi:[0,1]
	v_add_f32_e32 v23, v36, v37
	v_add_f32_e32 v12, v12, v27
	;; [unrolled: 1-line block ×4, first 2 shown]
	v_sub_f32_e32 v25, v23, v36
	v_mul_f32_e32 v12, v35, v12
	v_sub_f32_e32 v25, v37, v25
	v_add_f32_e32 v12, v25, v12
	v_add_f32_e32 v27, v23, v12
	v_cvt_f32_i32_e32 v26, v34
	v_mul_f32_e32 v28, v27, v27
	v_fmamk_f32 v25, v28, 0x3e9b6dac, v137
	v_fmaak_f32 v25, v28, v25, 0x3f2aaada
	v_sub_f32_e32 v23, v27, v23
	v_ldexp_f32 v29, v27, 1
	v_mul_f32_e32 v27, v27, v28
	v_pk_mul_f32 v[30:31], v[26:27], v[24:25]
	v_sub_f32_e32 v12, v12, v23
	v_fma_f32 v28, v26, s15, -v30
	v_fmac_f32_e32 v28, 0xb102e308, v26
	v_pk_add_f32 v[26:27], v[30:31], v[28:29]
	v_ldexp_f32 v12, v12, 1
	v_sub_f32_e32 v23, v27, v29
	v_sub_f32_e32 v23, v31, v23
	v_add_f32_e32 v33, v12, v23
	v_mov_b32_e32 v32, v30
	v_pk_add_f32 v[30:31], v[26:27], v[30:31] neg_lo:[0,1] neg_hi:[0,1]
	v_pk_add_f32 v[34:35], v[26:27], v[32:33]
	v_mov_b32_e32 v29, v26
	v_mov_b32_e32 v31, v35
	v_pk_add_f32 v[36:37], v[28:29], v[30:31] neg_lo:[0,1] neg_hi:[0,1]
	v_pk_add_f32 v[28:29], v[28:29], v[30:31]
	s_or_b64 vcc, s[60:61], vcc
	v_mov_b32_e32 v12, v29
	v_pk_add_f32 v[30:31], v[12:13], v[26:27] neg_lo:[0,1] neg_hi:[0,1]
	v_mov_b32_e32 v28, v35
	v_mov_b32_e32 v23, v30
	v_pk_add_f32 v[38:39], v[34:35], v[22:23] neg_lo:[0,1] neg_hi:[0,1]
	v_mov_b32_e32 v34, v27
	v_mov_b32_e32 v35, v30
	;; [unrolled: 1-line block ×3, first 2 shown]
	v_pk_add_f32 v[28:29], v[28:29], v[34:35] neg_lo:[0,1] neg_hi:[0,1]
	v_mov_b32_e32 v30, v33
	v_mov_b32_e32 v31, v26
	v_pk_add_f32 v[26:27], v[30:31], v[28:29] neg_lo:[0,1] neg_hi:[0,1]
	v_mov_b32_e32 v38, v36
	v_pk_add_f32 v[28:29], v[38:39], v[26:27]
	s_nop 0
	v_mov_b32_e32 v30, v29
	v_pk_add_f32 v[30:31], v[28:29], v[30:31]
	s_nop 0
	v_pk_add_f32 v[32:33], v[12:13], v[30:31]
	v_mov_b32_e32 v27, v30
	v_mov_b32_e32 v29, v32
	v_pk_add_f32 v[34:35], v[28:29], v[36:37] neg_lo:[0,1] neg_hi:[0,1]
	s_nop 0
	v_sub_f32_e32 v12, v28, v34
	v_pk_add_f32 v[26:27], v[26:27], v[34:35] neg_lo:[0,1] neg_hi:[0,1]
	v_sub_f32_e32 v12, v36, v12
	v_add_f32_e32 v12, v26, v12
	v_add_f32_e32 v12, v12, v27
	;; [unrolled: 1-line block ×3, first 2 shown]
	v_cndmask_b32_e32 v144, v12, v40, vcc
.LBB31_81:                              ;   in Loop: Header=BB31_13 Depth=1
	s_or_b64 exec, exec, s[4:5]
	v_and_b32_e32 v12, 0xffff0000, v13
	v_readlane_b32 s2, v167, 2
	s_nop 1
	v_add_f32_e32 v145, s2, v12
	v_readlane_b32 s2, v167, 30
	v_cmp_ge_f32_e32 vcc, s6, v145
	v_readlane_b32 s3, v167, 31
	s_and_b64 s[2:3], s[2:3], vcc
	s_and_saveexec_b64 s[4:5], s[2:3]
	s_cbranch_execz .LBB31_83
; %bb.82:                               ;   in Loop: Header=BB31_13 Depth=1
	v_mul_f32_e32 v12, 0x3fb8aa3b, v145
	v_rndne_f32_e32 v13, v12
	v_sub_f32_e32 v23, v12, v13
	v_fma_f32 v12, v145, s8, -v12
	v_fmac_f32_e32 v12, 0x32a5705f, v145
	v_add_f32_e32 v12, v23, v12
	v_cvt_i32_f32_e32 v13, v13
	v_exp_f32_e32 v12, v12
	v_cmp_ngt_f32_e32 vcc, s9, v145
	v_ldexp_f32 v12, v12, v13
	s_nop 0
	v_cndmask_b32_e32 v12, 0, v12, vcc
	v_cmp_nlt_f32_e32 vcc, s12, v145
	s_nop 1
	v_cndmask_b32_e32 v40, v138, v12, vcc
	v_add_f32_e32 v23, 1.0, v40
	v_add_f32_e32 v12, -1.0, v23
	v_sub_f32_e32 v13, v12, v23
	v_add_f32_e32 v13, 1.0, v13
	v_sub_f32_e32 v12, v40, v12
	v_add_f32_e32 v25, v12, v13
	v_frexp_mant_f32_e32 v26, v23
	v_cvt_f64_f32_e32 v[12:13], v23
	v_frexp_exp_i32_f64_e32 v12, v[12:13]
	v_cmp_gt_f32_e32 vcc, s14, v26
	v_cmp_gt_f32_e64 s[60:61], s16, v40
	s_nop 0
	v_subbrev_co_u32_e32 v32, vcc, 0, v12, vcc
	v_sub_u32_e32 v12, 0, v32
	v_ldexp_f32 v13, v23, v12
	v_add_f32_e32 v23, -1.0, v13
	v_add_f32_e32 v26, 1.0, v13
	v_ldexp_f32 v12, v25, v12
	v_add_f32_e32 v25, 1.0, v23
	v_add_f32_e32 v27, -1.0, v26
	v_sub_f32_e32 v25, v13, v25
	v_sub_f32_e32 v13, v13, v27
	v_add_f32_e32 v25, v12, v25
	v_add_f32_e32 v12, v12, v13
	;; [unrolled: 1-line block ×3, first 2 shown]
	v_rcp_f32_e32 v35, v33
	v_sub_f32_e32 v13, v26, v33
	v_add_f32_e32 v34, v12, v13
	v_add_f32_e32 v13, v23, v25
	v_sub_f32_e32 v12, v23, v13
	v_add_f32_e32 v23, v25, v12
	v_mul_f32_e32 v25, v13, v35
	v_mul_f32_e32 v26, v33, v25
	v_fma_f32 v28, v25, v33, -v26
	v_fmac_f32_e32 v28, v25, v34
	v_add_f32_e32 v12, v26, v28
	v_sub_f32_e32 v27, v13, v12
	v_pk_add_f32 v[30:31], v[12:13], v[26:27] neg_lo:[0,1] neg_hi:[0,1]
	v_mov_b32_e32 v29, v12
	v_pk_add_f32 v[12:13], v[30:31], v[28:29] neg_lo:[0,1] neg_hi:[0,1]
	v_cmp_eq_f32_e32 vcc, s13, v40
	v_add_f32_e32 v13, v23, v13
	v_add_f32_e32 v12, v12, v13
	;; [unrolled: 1-line block ×3, first 2 shown]
	v_mul_f32_e32 v23, v35, v13
	v_mul_f32_e32 v26, v33, v23
	v_fma_f32 v28, v23, v33, -v26
	v_fmac_f32_e32 v28, v23, v34
	v_sub_f32_e32 v27, v27, v13
	v_add_f32_e32 v33, v12, v27
	v_add_f32_e32 v12, v26, v28
	v_sub_f32_e32 v27, v13, v12
	v_pk_add_f32 v[30:31], v[12:13], v[26:27] neg_lo:[0,1] neg_hi:[0,1]
	v_mov_b32_e32 v29, v12
	v_pk_add_f32 v[12:13], v[30:31], v[28:29] neg_lo:[0,1] neg_hi:[0,1]
	s_or_b64 vcc, s[60:61], vcc
	v_add_f32_e32 v13, v33, v13
	v_add_f32_e32 v12, v12, v13
	v_add_f32_e32 v13, v25, v23
	v_add_f32_e32 v12, v27, v12
	v_sub_f32_e32 v25, v13, v25
	v_mul_f32_e32 v12, v35, v12
	v_sub_f32_e32 v23, v23, v25
	v_add_f32_e32 v23, v23, v12
	v_add_f32_e32 v26, v13, v23
	v_mul_f32_e32 v28, v26, v26
	v_fmamk_f32 v12, v28, 0x3e9b6dac, v137
	v_fmaak_f32 v25, v28, v12, 0x3f2aaada
	v_cvt_f32_i32_e32 v12, v32
	v_sub_f32_e32 v13, v26, v13
	v_sub_f32_e32 v13, v23, v13
	v_ldexp_f32 v23, v13, 1
	v_mul_f32_e32 v13, v26, v28
	v_pk_mul_f32 v[28:29], v[12:13], v[24:25]
	v_ldexp_f32 v27, v26, 1
	v_fma_f32 v26, v12, s15, -v28
	v_fmac_f32_e32 v26, 0xb102e308, v12
	v_pk_add_f32 v[12:13], v[28:29], v[26:27]
	v_mov_b32_e32 v30, v28
	v_sub_f32_e32 v25, v13, v27
	v_sub_f32_e32 v25, v29, v25
	v_add_f32_e32 v31, v23, v25
	v_pk_add_f32 v[28:29], v[12:13], v[28:29] neg_lo:[0,1] neg_hi:[0,1]
	v_pk_add_f32 v[32:33], v[12:13], v[30:31]
	v_mov_b32_e32 v27, v12
	v_mov_b32_e32 v29, v33
	v_pk_add_f32 v[34:35], v[26:27], v[28:29] neg_lo:[0,1] neg_hi:[0,1]
	v_pk_add_f32 v[26:27], v[26:27], v[28:29]
	v_mov_b32_e32 v30, v31
	v_mov_b32_e32 v28, v27
	v_pk_add_f32 v[36:37], v[28:29], v[12:13] neg_lo:[0,1] neg_hi:[0,1]
	v_mov_b32_e32 v26, v33
	v_mov_b32_e32 v23, v36
	v_pk_add_f32 v[38:39], v[32:33], v[22:23] neg_lo:[0,1] neg_hi:[0,1]
	v_mov_b32_e32 v32, v13
	v_mov_b32_e32 v33, v36
	;; [unrolled: 1-line block ×3, first 2 shown]
	v_pk_add_f32 v[26:27], v[26:27], v[32:33] neg_lo:[0,1] neg_hi:[0,1]
	v_mov_b32_e32 v31, v12
	v_pk_add_f32 v[12:13], v[30:31], v[26:27] neg_lo:[0,1] neg_hi:[0,1]
	v_mov_b32_e32 v38, v34
	v_pk_add_f32 v[26:27], v[38:39], v[12:13]
	s_nop 0
	v_mov_b32_e32 v30, v27
	v_pk_add_f32 v[30:31], v[26:27], v[30:31]
	s_nop 0
	v_pk_add_f32 v[28:29], v[28:29], v[30:31]
	v_mov_b32_e32 v13, v30
	v_mov_b32_e32 v27, v28
	v_pk_add_f32 v[32:33], v[26:27], v[34:35] neg_lo:[0,1] neg_hi:[0,1]
	s_nop 0
	v_sub_f32_e32 v23, v26, v32
	v_pk_add_f32 v[12:13], v[12:13], v[32:33] neg_lo:[0,1] neg_hi:[0,1]
	v_sub_f32_e32 v23, v34, v23
	v_add_f32_e32 v12, v12, v23
	v_add_f32_e32 v12, v12, v13
	;; [unrolled: 1-line block ×3, first 2 shown]
	v_cndmask_b32_e32 v145, v12, v40, vcc
.LBB31_83:                              ;   in Loop: Header=BB31_13 Depth=1
	s_or_b64 exec, exec, s[4:5]
	v_lshlrev_b32_e32 v12, 16, v14
	v_readlane_b32 s2, v167, 2
	s_nop 1
	v_add_f32_e32 v146, s2, v12
	v_readlane_b32 s2, v167, 30
	v_cmp_ge_f32_e32 vcc, s6, v146
	v_readlane_b32 s3, v167, 31
	s_and_b64 s[2:3], s[2:3], vcc
	s_and_saveexec_b64 s[4:5], s[2:3]
	s_cbranch_execz .LBB31_85
; %bb.84:                               ;   in Loop: Header=BB31_13 Depth=1
	v_mul_f32_e32 v12, 0x3fb8aa3b, v146
	v_rndne_f32_e32 v13, v12
	v_sub_f32_e32 v23, v12, v13
	v_fma_f32 v12, v146, s8, -v12
	v_fmac_f32_e32 v12, 0x32a5705f, v146
	v_add_f32_e32 v12, v23, v12
	v_cvt_i32_f32_e32 v13, v13
	v_exp_f32_e32 v12, v12
	v_cmp_ngt_f32_e32 vcc, s9, v146
	v_ldexp_f32 v12, v12, v13
	s_nop 0
	v_cndmask_b32_e32 v12, 0, v12, vcc
	v_cmp_nlt_f32_e32 vcc, s12, v146
	s_nop 1
	v_cndmask_b32_e32 v40, v138, v12, vcc
	v_add_f32_e32 v23, 1.0, v40
	v_add_f32_e32 v12, -1.0, v23
	v_sub_f32_e32 v13, v12, v23
	v_add_f32_e32 v13, 1.0, v13
	v_sub_f32_e32 v12, v40, v12
	v_add_f32_e32 v25, v12, v13
	v_frexp_mant_f32_e32 v26, v23
	v_cvt_f64_f32_e32 v[12:13], v23
	v_frexp_exp_i32_f64_e32 v12, v[12:13]
	v_cmp_gt_f32_e32 vcc, s14, v26
	v_cmp_gt_f32_e64 s[60:61], s16, v40
	s_nop 0
	v_subbrev_co_u32_e32 v32, vcc, 0, v12, vcc
	v_sub_u32_e32 v12, 0, v32
	v_ldexp_f32 v13, v23, v12
	v_add_f32_e32 v23, -1.0, v13
	v_add_f32_e32 v26, 1.0, v13
	v_ldexp_f32 v12, v25, v12
	v_add_f32_e32 v25, 1.0, v23
	v_add_f32_e32 v27, -1.0, v26
	v_sub_f32_e32 v25, v13, v25
	v_sub_f32_e32 v13, v13, v27
	v_add_f32_e32 v25, v12, v25
	v_add_f32_e32 v12, v12, v13
	;; [unrolled: 1-line block ×3, first 2 shown]
	v_rcp_f32_e32 v35, v33
	v_sub_f32_e32 v13, v26, v33
	v_add_f32_e32 v34, v12, v13
	v_add_f32_e32 v13, v23, v25
	v_sub_f32_e32 v12, v23, v13
	v_add_f32_e32 v23, v25, v12
	v_mul_f32_e32 v25, v13, v35
	v_mul_f32_e32 v26, v33, v25
	v_fma_f32 v28, v25, v33, -v26
	v_fmac_f32_e32 v28, v25, v34
	v_add_f32_e32 v12, v26, v28
	v_sub_f32_e32 v27, v13, v12
	v_pk_add_f32 v[30:31], v[12:13], v[26:27] neg_lo:[0,1] neg_hi:[0,1]
	v_mov_b32_e32 v29, v12
	v_pk_add_f32 v[12:13], v[30:31], v[28:29] neg_lo:[0,1] neg_hi:[0,1]
	v_cmp_eq_f32_e32 vcc, s13, v40
	v_add_f32_e32 v13, v23, v13
	v_add_f32_e32 v12, v12, v13
	;; [unrolled: 1-line block ×3, first 2 shown]
	v_mul_f32_e32 v23, v35, v13
	v_mul_f32_e32 v26, v33, v23
	v_fma_f32 v28, v23, v33, -v26
	v_fmac_f32_e32 v28, v23, v34
	v_sub_f32_e32 v27, v27, v13
	v_add_f32_e32 v33, v12, v27
	v_add_f32_e32 v12, v26, v28
	v_sub_f32_e32 v27, v13, v12
	v_pk_add_f32 v[30:31], v[12:13], v[26:27] neg_lo:[0,1] neg_hi:[0,1]
	v_mov_b32_e32 v29, v12
	v_pk_add_f32 v[12:13], v[30:31], v[28:29] neg_lo:[0,1] neg_hi:[0,1]
	s_or_b64 vcc, s[60:61], vcc
	v_add_f32_e32 v13, v33, v13
	v_add_f32_e32 v12, v12, v13
	;; [unrolled: 1-line block ×4, first 2 shown]
	v_sub_f32_e32 v25, v13, v25
	v_mul_f32_e32 v12, v35, v12
	v_sub_f32_e32 v23, v23, v25
	v_add_f32_e32 v23, v23, v12
	v_add_f32_e32 v26, v13, v23
	v_mul_f32_e32 v28, v26, v26
	v_fmamk_f32 v12, v28, 0x3e9b6dac, v137
	v_fmaak_f32 v25, v28, v12, 0x3f2aaada
	v_cvt_f32_i32_e32 v12, v32
	v_sub_f32_e32 v13, v26, v13
	v_sub_f32_e32 v13, v23, v13
	v_ldexp_f32 v23, v13, 1
	v_mul_f32_e32 v13, v26, v28
	v_pk_mul_f32 v[28:29], v[12:13], v[24:25]
	v_ldexp_f32 v27, v26, 1
	v_fma_f32 v26, v12, s15, -v28
	v_fmac_f32_e32 v26, 0xb102e308, v12
	v_pk_add_f32 v[12:13], v[28:29], v[26:27]
	v_mov_b32_e32 v30, v28
	v_sub_f32_e32 v25, v13, v27
	v_sub_f32_e32 v25, v29, v25
	v_add_f32_e32 v31, v23, v25
	v_pk_add_f32 v[28:29], v[12:13], v[28:29] neg_lo:[0,1] neg_hi:[0,1]
	v_pk_add_f32 v[32:33], v[12:13], v[30:31]
	v_mov_b32_e32 v27, v12
	v_mov_b32_e32 v29, v33
	v_pk_add_f32 v[34:35], v[26:27], v[28:29] neg_lo:[0,1] neg_hi:[0,1]
	v_pk_add_f32 v[26:27], v[26:27], v[28:29]
	v_mov_b32_e32 v30, v31
	v_mov_b32_e32 v28, v27
	v_pk_add_f32 v[36:37], v[28:29], v[12:13] neg_lo:[0,1] neg_hi:[0,1]
	v_mov_b32_e32 v26, v33
	v_mov_b32_e32 v23, v36
	v_pk_add_f32 v[38:39], v[32:33], v[22:23] neg_lo:[0,1] neg_hi:[0,1]
	v_mov_b32_e32 v32, v13
	v_mov_b32_e32 v33, v36
	;; [unrolled: 1-line block ×3, first 2 shown]
	v_pk_add_f32 v[26:27], v[26:27], v[32:33] neg_lo:[0,1] neg_hi:[0,1]
	v_mov_b32_e32 v31, v12
	v_pk_add_f32 v[12:13], v[30:31], v[26:27] neg_lo:[0,1] neg_hi:[0,1]
	v_mov_b32_e32 v38, v34
	v_pk_add_f32 v[26:27], v[38:39], v[12:13]
	s_nop 0
	v_mov_b32_e32 v30, v27
	v_pk_add_f32 v[30:31], v[26:27], v[30:31]
	s_nop 0
	v_pk_add_f32 v[28:29], v[28:29], v[30:31]
	v_mov_b32_e32 v13, v30
	v_mov_b32_e32 v27, v28
	v_pk_add_f32 v[32:33], v[26:27], v[34:35] neg_lo:[0,1] neg_hi:[0,1]
	s_nop 0
	v_sub_f32_e32 v23, v26, v32
	v_pk_add_f32 v[12:13], v[12:13], v[32:33] neg_lo:[0,1] neg_hi:[0,1]
	v_sub_f32_e32 v23, v34, v23
	v_add_f32_e32 v12, v12, v23
	v_add_f32_e32 v12, v12, v13
	;; [unrolled: 1-line block ×3, first 2 shown]
	v_cndmask_b32_e32 v146, v12, v40, vcc
.LBB31_85:                              ;   in Loop: Header=BB31_13 Depth=1
	s_or_b64 exec, exec, s[4:5]
	v_and_b32_e32 v12, 0xffff0000, v14
	v_readlane_b32 s2, v167, 2
	s_nop 1
	v_add_f32_e32 v147, s2, v12
	v_readlane_b32 s2, v167, 30
	v_cmp_ge_f32_e32 vcc, s6, v147
	v_readlane_b32 s3, v167, 31
	s_and_b64 s[2:3], s[2:3], vcc
	s_and_saveexec_b64 s[4:5], s[2:3]
	s_cbranch_execz .LBB31_87
; %bb.86:                               ;   in Loop: Header=BB31_13 Depth=1
	v_mul_f32_e32 v12, 0x3fb8aa3b, v147
	v_rndne_f32_e32 v13, v12
	v_sub_f32_e32 v14, v12, v13
	v_fma_f32 v12, v147, s8, -v12
	v_fmac_f32_e32 v12, 0x32a5705f, v147
	v_add_f32_e32 v12, v14, v12
	v_cvt_i32_f32_e32 v13, v13
	v_exp_f32_e32 v12, v12
	v_cmp_ngt_f32_e32 vcc, s9, v147
	v_ldexp_f32 v12, v12, v13
	s_nop 0
	v_cndmask_b32_e32 v12, 0, v12, vcc
	v_cmp_nlt_f32_e32 vcc, s12, v147
	s_nop 1
	v_cndmask_b32_e32 v38, v138, v12, vcc
	v_add_f32_e32 v14, 1.0, v38
	v_add_f32_e32 v12, -1.0, v14
	v_sub_f32_e32 v13, v12, v14
	v_add_f32_e32 v13, 1.0, v13
	v_sub_f32_e32 v12, v38, v12
	v_add_f32_e32 v23, v12, v13
	v_frexp_mant_f32_e32 v25, v14
	v_cvt_f64_f32_e32 v[12:13], v14
	v_frexp_exp_i32_f64_e32 v12, v[12:13]
	v_cmp_gt_f32_e32 vcc, s14, v25
	v_cmp_gt_f32_e64 s[60:61], s16, v38
	s_nop 0
	v_subbrev_co_u32_e32 v32, vcc, 0, v12, vcc
	v_sub_u32_e32 v12, 0, v32
	v_ldexp_f32 v13, v14, v12
	v_add_f32_e32 v14, -1.0, v13
	v_add_f32_e32 v25, 1.0, v13
	v_ldexp_f32 v12, v23, v12
	v_add_f32_e32 v23, 1.0, v14
	v_add_f32_e32 v26, -1.0, v25
	v_sub_f32_e32 v23, v13, v23
	v_sub_f32_e32 v13, v13, v26
	v_add_f32_e32 v23, v12, v23
	v_add_f32_e32 v12, v12, v13
	;; [unrolled: 1-line block ×3, first 2 shown]
	v_rcp_f32_e32 v34, v33
	v_sub_f32_e32 v13, v25, v33
	v_add_f32_e32 v25, v12, v13
	v_add_f32_e32 v13, v14, v23
	v_sub_f32_e32 v12, v14, v13
	v_add_f32_e32 v14, v23, v12
	v_mul_f32_e32 v23, v13, v34
	v_mul_f32_e32 v26, v33, v23
	v_fma_f32 v28, v23, v33, -v26
	v_fmac_f32_e32 v28, v23, v25
	v_add_f32_e32 v12, v26, v28
	v_sub_f32_e32 v27, v13, v12
	v_pk_add_f32 v[30:31], v[12:13], v[26:27] neg_lo:[0,1] neg_hi:[0,1]
	v_mov_b32_e32 v29, v12
	v_pk_add_f32 v[12:13], v[30:31], v[28:29] neg_lo:[0,1] neg_hi:[0,1]
	v_cmp_eq_f32_e32 vcc, s13, v38
	v_add_f32_e32 v13, v14, v13
	v_add_f32_e32 v12, v12, v13
	;; [unrolled: 1-line block ×3, first 2 shown]
	v_mul_f32_e32 v14, v34, v13
	v_mul_f32_e32 v26, v33, v14
	v_fma_f32 v28, v14, v33, -v26
	v_fmac_f32_e32 v28, v14, v25
	v_sub_f32_e32 v25, v27, v13
	v_add_f32_e32 v25, v12, v25
	v_add_f32_e32 v12, v26, v28
	v_sub_f32_e32 v27, v13, v12
	v_pk_add_f32 v[30:31], v[12:13], v[26:27] neg_lo:[0,1] neg_hi:[0,1]
	v_mov_b32_e32 v29, v12
	v_pk_add_f32 v[12:13], v[30:31], v[28:29] neg_lo:[0,1] neg_hi:[0,1]
	s_or_b64 vcc, s[60:61], vcc
	v_add_f32_e32 v13, v25, v13
	v_add_f32_e32 v12, v12, v13
	;; [unrolled: 1-line block ×4, first 2 shown]
	v_sub_f32_e32 v23, v13, v23
	v_mul_f32_e32 v12, v34, v12
	v_sub_f32_e32 v14, v14, v23
	v_add_f32_e32 v14, v14, v12
	v_add_f32_e32 v23, v13, v14
	v_mul_f32_e32 v26, v23, v23
	v_fmamk_f32 v12, v26, 0x3e9b6dac, v137
	v_fmaak_f32 v25, v26, v12, 0x3f2aaada
	v_cvt_f32_i32_e32 v12, v32
	v_sub_f32_e32 v13, v23, v13
	v_sub_f32_e32 v13, v14, v13
	v_ldexp_f32 v14, v13, 1
	v_mul_f32_e32 v13, v23, v26
	v_pk_mul_f32 v[28:29], v[12:13], v[24:25]
	v_ldexp_f32 v27, v23, 1
	v_fma_f32 v26, v12, s15, -v28
	v_fmac_f32_e32 v26, 0xb102e308, v12
	v_pk_add_f32 v[12:13], v[28:29], v[26:27]
	v_mov_b32_e32 v30, v28
	v_sub_f32_e32 v23, v13, v27
	v_sub_f32_e32 v23, v29, v23
	v_add_f32_e32 v31, v14, v23
	v_pk_add_f32 v[28:29], v[12:13], v[28:29] neg_lo:[0,1] neg_hi:[0,1]
	v_pk_add_f32 v[32:33], v[12:13], v[30:31]
	v_mov_b32_e32 v27, v12
	v_mov_b32_e32 v29, v33
	v_pk_add_f32 v[34:35], v[26:27], v[28:29] neg_lo:[0,1] neg_hi:[0,1]
	v_pk_add_f32 v[26:27], v[26:27], v[28:29]
	s_nop 0
	v_mov_b32_e32 v14, v27
	v_pk_add_f32 v[28:29], v[14:15], v[12:13] neg_lo:[0,1] neg_hi:[0,1]
	v_mov_b32_e32 v26, v33
	v_mov_b32_e32 v23, v28
	v_pk_add_f32 v[36:37], v[32:33], v[22:23] neg_lo:[0,1] neg_hi:[0,1]
	v_mov_b32_e32 v32, v13
	v_mov_b32_e32 v33, v28
	;; [unrolled: 1-line block ×3, first 2 shown]
	v_pk_add_f32 v[26:27], v[26:27], v[32:33] neg_lo:[0,1] neg_hi:[0,1]
	v_mov_b32_e32 v28, v31
	v_mov_b32_e32 v29, v12
	v_pk_add_f32 v[12:13], v[28:29], v[26:27] neg_lo:[0,1] neg_hi:[0,1]
	v_mov_b32_e32 v36, v34
	v_pk_add_f32 v[26:27], v[36:37], v[12:13]
	s_nop 0
	v_mov_b32_e32 v28, v27
	v_pk_add_f32 v[28:29], v[26:27], v[28:29]
	s_nop 0
	v_pk_add_f32 v[30:31], v[14:15], v[28:29]
	v_mov_b32_e32 v13, v28
	v_mov_b32_e32 v27, v30
	v_pk_add_f32 v[32:33], v[26:27], v[34:35] neg_lo:[0,1] neg_hi:[0,1]
	s_nop 0
	v_sub_f32_e32 v14, v26, v32
	v_pk_add_f32 v[12:13], v[12:13], v[32:33] neg_lo:[0,1] neg_hi:[0,1]
	v_sub_f32_e32 v14, v34, v14
	v_add_f32_e32 v12, v12, v14
	v_add_f32_e32 v12, v12, v13
	;; [unrolled: 1-line block ×3, first 2 shown]
	v_cndmask_b32_e32 v147, v12, v38, vcc
.LBB31_87:                              ;   in Loop: Header=BB31_13 Depth=1
	s_or_b64 exec, exec, s[4:5]
	v_lshlrev_b32_e32 v12, 16, v15
	v_readlane_b32 s2, v167, 2
	s_nop 1
	v_add_f32_e32 v148, s2, v12
	v_readlane_b32 s2, v167, 30
	v_cmp_ge_f32_e32 vcc, s6, v148
	v_readlane_b32 s3, v167, 31
	s_and_b64 s[2:3], s[2:3], vcc
	s_and_saveexec_b64 s[4:5], s[2:3]
	s_cbranch_execz .LBB31_89
; %bb.88:                               ;   in Loop: Header=BB31_13 Depth=1
	v_mul_f32_e32 v12, 0x3fb8aa3b, v148
	v_rndne_f32_e32 v13, v12
	v_sub_f32_e32 v14, v12, v13
	v_fma_f32 v12, v148, s8, -v12
	v_fmac_f32_e32 v12, 0x32a5705f, v148
	v_add_f32_e32 v12, v14, v12
	v_cvt_i32_f32_e32 v13, v13
	v_exp_f32_e32 v12, v12
	v_cmp_ngt_f32_e32 vcc, s9, v148
	v_ldexp_f32 v12, v12, v13
	s_nop 0
	v_cndmask_b32_e32 v12, 0, v12, vcc
	v_cmp_nlt_f32_e32 vcc, s12, v148
	s_nop 1
	v_cndmask_b32_e32 v38, v138, v12, vcc
	v_add_f32_e32 v14, 1.0, v38
	v_add_f32_e32 v12, -1.0, v14
	v_sub_f32_e32 v13, v12, v14
	v_add_f32_e32 v13, 1.0, v13
	v_sub_f32_e32 v12, v38, v12
	v_add_f32_e32 v23, v12, v13
	v_frexp_mant_f32_e32 v25, v14
	v_cvt_f64_f32_e32 v[12:13], v14
	v_frexp_exp_i32_f64_e32 v12, v[12:13]
	v_cmp_gt_f32_e32 vcc, s14, v25
	v_cmp_gt_f32_e64 s[60:61], s16, v38
	s_nop 0
	v_subbrev_co_u32_e32 v32, vcc, 0, v12, vcc
	v_sub_u32_e32 v12, 0, v32
	v_ldexp_f32 v13, v14, v12
	v_add_f32_e32 v14, -1.0, v13
	v_add_f32_e32 v25, 1.0, v13
	v_ldexp_f32 v12, v23, v12
	v_add_f32_e32 v23, 1.0, v14
	v_add_f32_e32 v26, -1.0, v25
	v_sub_f32_e32 v23, v13, v23
	v_sub_f32_e32 v13, v13, v26
	v_add_f32_e32 v23, v12, v23
	v_add_f32_e32 v12, v12, v13
	;; [unrolled: 1-line block ×3, first 2 shown]
	v_rcp_f32_e32 v34, v33
	v_sub_f32_e32 v13, v25, v33
	v_add_f32_e32 v25, v12, v13
	v_add_f32_e32 v13, v14, v23
	v_sub_f32_e32 v12, v14, v13
	v_add_f32_e32 v14, v23, v12
	v_mul_f32_e32 v23, v13, v34
	v_mul_f32_e32 v26, v33, v23
	v_fma_f32 v28, v23, v33, -v26
	v_fmac_f32_e32 v28, v23, v25
	v_add_f32_e32 v12, v26, v28
	v_sub_f32_e32 v27, v13, v12
	v_pk_add_f32 v[30:31], v[12:13], v[26:27] neg_lo:[0,1] neg_hi:[0,1]
	v_mov_b32_e32 v29, v12
	v_pk_add_f32 v[12:13], v[30:31], v[28:29] neg_lo:[0,1] neg_hi:[0,1]
	v_cmp_eq_f32_e32 vcc, s13, v38
	v_add_f32_e32 v13, v14, v13
	v_add_f32_e32 v12, v12, v13
	;; [unrolled: 1-line block ×3, first 2 shown]
	v_mul_f32_e32 v14, v34, v13
	v_mul_f32_e32 v26, v33, v14
	v_fma_f32 v28, v14, v33, -v26
	v_fmac_f32_e32 v28, v14, v25
	v_sub_f32_e32 v25, v27, v13
	v_add_f32_e32 v25, v12, v25
	v_add_f32_e32 v12, v26, v28
	v_sub_f32_e32 v27, v13, v12
	v_pk_add_f32 v[30:31], v[12:13], v[26:27] neg_lo:[0,1] neg_hi:[0,1]
	v_mov_b32_e32 v29, v12
	v_pk_add_f32 v[12:13], v[30:31], v[28:29] neg_lo:[0,1] neg_hi:[0,1]
	s_or_b64 vcc, s[60:61], vcc
	v_add_f32_e32 v13, v25, v13
	v_add_f32_e32 v12, v12, v13
	;; [unrolled: 1-line block ×4, first 2 shown]
	v_sub_f32_e32 v23, v13, v23
	v_mul_f32_e32 v12, v34, v12
	v_sub_f32_e32 v14, v14, v23
	v_add_f32_e32 v14, v14, v12
	v_add_f32_e32 v23, v13, v14
	v_mul_f32_e32 v26, v23, v23
	v_fmamk_f32 v12, v26, 0x3e9b6dac, v137
	v_fmaak_f32 v25, v26, v12, 0x3f2aaada
	v_cvt_f32_i32_e32 v12, v32
	v_sub_f32_e32 v13, v23, v13
	v_sub_f32_e32 v13, v14, v13
	v_ldexp_f32 v14, v13, 1
	v_mul_f32_e32 v13, v23, v26
	v_pk_mul_f32 v[28:29], v[12:13], v[24:25]
	v_ldexp_f32 v27, v23, 1
	v_fma_f32 v26, v12, s15, -v28
	v_fmac_f32_e32 v26, 0xb102e308, v12
	v_pk_add_f32 v[12:13], v[28:29], v[26:27]
	v_mov_b32_e32 v30, v28
	v_sub_f32_e32 v23, v13, v27
	v_sub_f32_e32 v23, v29, v23
	v_add_f32_e32 v31, v14, v23
	v_pk_add_f32 v[28:29], v[12:13], v[28:29] neg_lo:[0,1] neg_hi:[0,1]
	v_pk_add_f32 v[32:33], v[12:13], v[30:31]
	v_mov_b32_e32 v27, v12
	v_mov_b32_e32 v29, v33
	v_pk_add_f32 v[34:35], v[26:27], v[28:29] neg_lo:[0,1] neg_hi:[0,1]
	v_pk_add_f32 v[26:27], v[26:27], v[28:29]
	s_nop 0
	v_mov_b32_e32 v14, v27
	v_pk_add_f32 v[28:29], v[14:15], v[12:13] neg_lo:[0,1] neg_hi:[0,1]
	v_mov_b32_e32 v26, v33
	v_mov_b32_e32 v23, v28
	v_pk_add_f32 v[36:37], v[32:33], v[22:23] neg_lo:[0,1] neg_hi:[0,1]
	v_mov_b32_e32 v32, v13
	v_mov_b32_e32 v33, v28
	;; [unrolled: 1-line block ×3, first 2 shown]
	v_pk_add_f32 v[26:27], v[26:27], v[32:33] neg_lo:[0,1] neg_hi:[0,1]
	v_mov_b32_e32 v28, v31
	v_mov_b32_e32 v29, v12
	v_pk_add_f32 v[12:13], v[28:29], v[26:27] neg_lo:[0,1] neg_hi:[0,1]
	v_mov_b32_e32 v36, v34
	v_pk_add_f32 v[26:27], v[36:37], v[12:13]
	s_nop 0
	v_mov_b32_e32 v28, v27
	v_pk_add_f32 v[28:29], v[26:27], v[28:29]
	s_nop 0
	v_pk_add_f32 v[30:31], v[14:15], v[28:29]
	v_mov_b32_e32 v13, v28
	v_mov_b32_e32 v27, v30
	v_pk_add_f32 v[32:33], v[26:27], v[34:35] neg_lo:[0,1] neg_hi:[0,1]
	s_nop 0
	v_sub_f32_e32 v14, v26, v32
	v_pk_add_f32 v[12:13], v[12:13], v[32:33] neg_lo:[0,1] neg_hi:[0,1]
	v_sub_f32_e32 v14, v34, v14
	v_add_f32_e32 v12, v12, v14
	v_add_f32_e32 v12, v12, v13
	;; [unrolled: 1-line block ×3, first 2 shown]
	v_cndmask_b32_e32 v148, v12, v38, vcc
.LBB31_89:                              ;   in Loop: Header=BB31_13 Depth=1
	s_or_b64 exec, exec, s[4:5]
	v_and_b32_e32 v12, 0xffff0000, v15
	v_readlane_b32 s2, v167, 2
	s_nop 1
	v_add_f32_e32 v149, s2, v12
	v_readlane_b32 s2, v167, 30
	v_cmp_ge_f32_e32 vcc, s6, v149
	v_readlane_b32 s3, v167, 31
	s_and_b64 s[2:3], s[2:3], vcc
	s_and_saveexec_b64 s[4:5], s[2:3]
	s_cbranch_execz .LBB31_91
; %bb.90:                               ;   in Loop: Header=BB31_13 Depth=1
	v_mul_f32_e32 v12, 0x3fb8aa3b, v149
	v_rndne_f32_e32 v13, v12
	v_sub_f32_e32 v14, v12, v13
	v_fma_f32 v12, v149, s8, -v12
	v_fmac_f32_e32 v12, 0x32a5705f, v149
	v_add_f32_e32 v12, v14, v12
	v_cvt_i32_f32_e32 v13, v13
	v_exp_f32_e32 v12, v12
	v_cmp_ngt_f32_e32 vcc, s9, v149
	v_ldexp_f32 v12, v12, v13
	s_nop 0
	v_cndmask_b32_e32 v12, 0, v12, vcc
	v_cmp_nlt_f32_e32 vcc, s12, v149
	s_nop 1
	v_cndmask_b32_e32 v38, v138, v12, vcc
	v_add_f32_e32 v14, 1.0, v38
	v_add_f32_e32 v12, -1.0, v14
	v_sub_f32_e32 v13, v12, v14
	v_add_f32_e32 v13, 1.0, v13
	v_sub_f32_e32 v12, v38, v12
	v_add_f32_e32 v15, v12, v13
	v_frexp_mant_f32_e32 v23, v14
	v_cvt_f64_f32_e32 v[12:13], v14
	v_frexp_exp_i32_f64_e32 v12, v[12:13]
	v_cmp_gt_f32_e32 vcc, s14, v23
	v_cmp_gt_f32_e64 s[60:61], s16, v38
	s_nop 0
	v_subbrev_co_u32_e32 v23, vcc, 0, v12, vcc
	v_sub_u32_e32 v12, 0, v23
	v_ldexp_f32 v13, v14, v12
	v_add_f32_e32 v14, -1.0, v13
	v_add_f32_e32 v25, 1.0, v13
	v_ldexp_f32 v12, v15, v12
	v_add_f32_e32 v15, 1.0, v14
	v_add_f32_e32 v26, -1.0, v25
	v_sub_f32_e32 v15, v13, v15
	v_sub_f32_e32 v13, v13, v26
	v_add_f32_e32 v15, v12, v15
	v_add_f32_e32 v12, v12, v13
	;; [unrolled: 1-line block ×3, first 2 shown]
	v_rcp_f32_e32 v31, v30
	v_sub_f32_e32 v13, v25, v30
	v_add_f32_e32 v25, v12, v13
	v_add_f32_e32 v13, v14, v15
	v_mul_f32_e32 v33, v13, v31
	v_sub_f32_e32 v12, v14, v13
	v_mul_f32_e32 v14, v30, v33
	v_fma_f32 v26, v33, v30, -v14
	v_fmac_f32_e32 v26, v33, v25
	v_add_f32_e32 v32, v15, v12
	v_add_f32_e32 v12, v14, v26
	v_sub_f32_e32 v15, v13, v12
	v_pk_add_f32 v[28:29], v[12:13], v[14:15] neg_lo:[0,1] neg_hi:[0,1]
	v_mov_b32_e32 v27, v12
	v_pk_add_f32 v[12:13], v[28:29], v[26:27] neg_lo:[0,1] neg_hi:[0,1]
	v_cmp_eq_f32_e32 vcc, s13, v38
	v_add_f32_e32 v13, v32, v13
	v_add_f32_e32 v12, v12, v13
	;; [unrolled: 1-line block ×3, first 2 shown]
	v_mul_f32_e32 v32, v31, v13
	v_mul_f32_e32 v14, v30, v32
	v_fma_f32 v26, v32, v30, -v14
	v_fmac_f32_e32 v26, v32, v25
	v_sub_f32_e32 v15, v15, v13
	v_add_f32_e32 v25, v12, v15
	v_add_f32_e32 v12, v14, v26
	v_sub_f32_e32 v15, v13, v12
	v_pk_add_f32 v[28:29], v[12:13], v[14:15] neg_lo:[0,1] neg_hi:[0,1]
	v_mov_b32_e32 v27, v12
	v_pk_add_f32 v[12:13], v[28:29], v[26:27] neg_lo:[0,1] neg_hi:[0,1]
	s_or_b64 vcc, s[60:61], vcc
	v_add_f32_e32 v13, v25, v13
	v_add_f32_e32 v12, v12, v13
	;; [unrolled: 1-line block ×4, first 2 shown]
	v_sub_f32_e32 v14, v13, v33
	v_mul_f32_e32 v12, v31, v12
	v_sub_f32_e32 v14, v32, v14
	v_add_f32_e32 v14, v14, v12
	v_add_f32_e32 v26, v13, v14
	v_mul_f32_e32 v27, v26, v26
	v_fmamk_f32 v12, v27, 0x3e9b6dac, v137
	v_fmaak_f32 v25, v27, v12, 0x3f2aaada
	v_cvt_f32_i32_e32 v12, v23
	v_sub_f32_e32 v13, v26, v13
	v_sub_f32_e32 v13, v14, v13
	v_ldexp_f32 v23, v13, 1
	v_mul_f32_e32 v13, v26, v27
	v_ldexp_f32 v15, v26, 1
	v_pk_mul_f32 v[26:27], v[12:13], v[24:25]
	s_nop 0
	v_fma_f32 v14, v12, s15, -v26
	v_fmac_f32_e32 v14, 0xb102e308, v12
	v_pk_add_f32 v[12:13], v[26:27], v[14:15]
	v_mov_b32_e32 v28, v26
	v_sub_f32_e32 v15, v13, v15
	v_sub_f32_e32 v15, v27, v15
	v_add_f32_e32 v29, v23, v15
	v_pk_add_f32 v[26:27], v[12:13], v[26:27] neg_lo:[0,1] neg_hi:[0,1]
	v_pk_add_f32 v[30:31], v[12:13], v[28:29]
	v_mov_b32_e32 v15, v12
	v_mov_b32_e32 v27, v31
	v_pk_add_f32 v[32:33], v[14:15], v[26:27] neg_lo:[0,1] neg_hi:[0,1]
	v_pk_add_f32 v[14:15], v[14:15], v[26:27]
	v_mov_b32_e32 v28, v29
	v_mov_b32_e32 v26, v15
	v_pk_add_f32 v[34:35], v[26:27], v[12:13] neg_lo:[0,1] neg_hi:[0,1]
	v_mov_b32_e32 v14, v31
	v_mov_b32_e32 v23, v34
	v_pk_add_f32 v[36:37], v[30:31], v[22:23] neg_lo:[0,1] neg_hi:[0,1]
	v_mov_b32_e32 v30, v13
	v_mov_b32_e32 v31, v34
	;; [unrolled: 1-line block ×3, first 2 shown]
	v_pk_add_f32 v[14:15], v[14:15], v[30:31] neg_lo:[0,1] neg_hi:[0,1]
	v_mov_b32_e32 v29, v12
	v_pk_add_f32 v[12:13], v[28:29], v[14:15] neg_lo:[0,1] neg_hi:[0,1]
	v_mov_b32_e32 v36, v32
	v_pk_add_f32 v[14:15], v[36:37], v[12:13]
	s_nop 0
	v_mov_b32_e32 v28, v15
	v_pk_add_f32 v[28:29], v[14:15], v[28:29]
	s_nop 0
	v_pk_add_f32 v[26:27], v[26:27], v[28:29]
	v_mov_b32_e32 v13, v28
	v_mov_b32_e32 v15, v26
	v_pk_add_f32 v[30:31], v[14:15], v[32:33] neg_lo:[0,1] neg_hi:[0,1]
	s_nop 0
	v_sub_f32_e32 v14, v14, v30
	v_pk_add_f32 v[12:13], v[12:13], v[30:31] neg_lo:[0,1] neg_hi:[0,1]
	v_sub_f32_e32 v14, v32, v14
	v_add_f32_e32 v12, v12, v14
	v_add_f32_e32 v12, v12, v13
	;; [unrolled: 1-line block ×3, first 2 shown]
	v_cndmask_b32_e32 v149, v12, v38, vcc
.LBB31_91:                              ;   in Loop: Header=BB31_13 Depth=1
	s_or_b64 exec, exec, s[4:5]
	s_waitcnt lgkmcnt(0)
	v_lshlrev_b32_e32 v12, 16, v8
	v_readlane_b32 s2, v167, 2
	s_nop 1
	v_add_f32_e32 v150, s2, v12
	v_readlane_b32 s2, v167, 30
	v_cmp_ge_f32_e32 vcc, s6, v150
	v_readlane_b32 s3, v167, 31
	s_and_b64 s[2:3], s[2:3], vcc
	s_and_saveexec_b64 s[4:5], s[2:3]
	s_cbranch_execz .LBB31_93
; %bb.92:                               ;   in Loop: Header=BB31_13 Depth=1
	v_mul_f32_e32 v12, 0x3fb8aa3b, v150
	v_rndne_f32_e32 v13, v12
	v_sub_f32_e32 v14, v12, v13
	v_fma_f32 v12, v150, s8, -v12
	v_fmac_f32_e32 v12, 0x32a5705f, v150
	v_add_f32_e32 v12, v14, v12
	v_cvt_i32_f32_e32 v13, v13
	v_exp_f32_e32 v12, v12
	v_cmp_ngt_f32_e32 vcc, s9, v150
	v_ldexp_f32 v12, v12, v13
	s_nop 0
	v_cndmask_b32_e32 v12, 0, v12, vcc
	v_cmp_nlt_f32_e32 vcc, s12, v150
	s_nop 1
	v_cndmask_b32_e32 v38, v138, v12, vcc
	v_add_f32_e32 v14, 1.0, v38
	v_add_f32_e32 v12, -1.0, v14
	v_sub_f32_e32 v13, v12, v14
	v_add_f32_e32 v13, 1.0, v13
	v_sub_f32_e32 v12, v38, v12
	v_add_f32_e32 v15, v12, v13
	v_frexp_mant_f32_e32 v23, v14
	v_cvt_f64_f32_e32 v[12:13], v14
	v_frexp_exp_i32_f64_e32 v12, v[12:13]
	v_cmp_gt_f32_e32 vcc, s14, v23
	v_cmp_gt_f32_e64 s[60:61], s16, v38
	s_nop 0
	v_subbrev_co_u32_e32 v23, vcc, 0, v12, vcc
	v_sub_u32_e32 v12, 0, v23
	v_ldexp_f32 v13, v14, v12
	v_add_f32_e32 v14, -1.0, v13
	v_add_f32_e32 v25, 1.0, v13
	v_ldexp_f32 v12, v15, v12
	v_add_f32_e32 v15, 1.0, v14
	v_add_f32_e32 v26, -1.0, v25
	v_sub_f32_e32 v15, v13, v15
	v_sub_f32_e32 v13, v13, v26
	v_add_f32_e32 v15, v12, v15
	v_add_f32_e32 v12, v12, v13
	;; [unrolled: 1-line block ×3, first 2 shown]
	v_rcp_f32_e32 v31, v30
	v_sub_f32_e32 v13, v25, v30
	v_add_f32_e32 v25, v12, v13
	v_add_f32_e32 v13, v14, v15
	v_mul_f32_e32 v33, v13, v31
	v_sub_f32_e32 v12, v14, v13
	v_mul_f32_e32 v14, v30, v33
	v_fma_f32 v26, v33, v30, -v14
	v_fmac_f32_e32 v26, v33, v25
	v_add_f32_e32 v32, v15, v12
	v_add_f32_e32 v12, v14, v26
	v_sub_f32_e32 v15, v13, v12
	v_pk_add_f32 v[28:29], v[12:13], v[14:15] neg_lo:[0,1] neg_hi:[0,1]
	v_mov_b32_e32 v27, v12
	v_pk_add_f32 v[12:13], v[28:29], v[26:27] neg_lo:[0,1] neg_hi:[0,1]
	v_cmp_eq_f32_e32 vcc, s13, v38
	v_add_f32_e32 v13, v32, v13
	v_add_f32_e32 v12, v12, v13
	v_add_f32_e32 v13, v15, v12
	v_mul_f32_e32 v32, v31, v13
	v_mul_f32_e32 v14, v30, v32
	v_fma_f32 v26, v32, v30, -v14
	v_fmac_f32_e32 v26, v32, v25
	v_sub_f32_e32 v15, v15, v13
	v_add_f32_e32 v25, v12, v15
	v_add_f32_e32 v12, v14, v26
	v_sub_f32_e32 v15, v13, v12
	v_pk_add_f32 v[28:29], v[12:13], v[14:15] neg_lo:[0,1] neg_hi:[0,1]
	v_mov_b32_e32 v27, v12
	v_pk_add_f32 v[12:13], v[28:29], v[26:27] neg_lo:[0,1] neg_hi:[0,1]
	s_or_b64 vcc, s[60:61], vcc
	v_add_f32_e32 v13, v25, v13
	v_add_f32_e32 v12, v12, v13
	;; [unrolled: 1-line block ×4, first 2 shown]
	v_sub_f32_e32 v14, v13, v33
	v_mul_f32_e32 v12, v31, v12
	v_sub_f32_e32 v14, v32, v14
	v_add_f32_e32 v14, v14, v12
	v_add_f32_e32 v26, v13, v14
	v_mul_f32_e32 v27, v26, v26
	v_fmamk_f32 v12, v27, 0x3e9b6dac, v137
	v_fmaak_f32 v25, v27, v12, 0x3f2aaada
	v_cvt_f32_i32_e32 v12, v23
	v_sub_f32_e32 v13, v26, v13
	v_sub_f32_e32 v13, v14, v13
	v_ldexp_f32 v23, v13, 1
	v_mul_f32_e32 v13, v26, v27
	v_ldexp_f32 v15, v26, 1
	v_pk_mul_f32 v[26:27], v[12:13], v[24:25]
	s_nop 0
	v_fma_f32 v14, v12, s15, -v26
	v_fmac_f32_e32 v14, 0xb102e308, v12
	v_pk_add_f32 v[12:13], v[26:27], v[14:15]
	v_mov_b32_e32 v28, v26
	v_sub_f32_e32 v15, v13, v15
	v_sub_f32_e32 v15, v27, v15
	v_add_f32_e32 v29, v23, v15
	v_pk_add_f32 v[26:27], v[12:13], v[26:27] neg_lo:[0,1] neg_hi:[0,1]
	v_pk_add_f32 v[30:31], v[12:13], v[28:29]
	v_mov_b32_e32 v15, v12
	v_mov_b32_e32 v27, v31
	v_pk_add_f32 v[32:33], v[14:15], v[26:27] neg_lo:[0,1] neg_hi:[0,1]
	v_pk_add_f32 v[14:15], v[14:15], v[26:27]
	v_mov_b32_e32 v28, v29
	v_mov_b32_e32 v26, v15
	v_pk_add_f32 v[34:35], v[26:27], v[12:13] neg_lo:[0,1] neg_hi:[0,1]
	v_mov_b32_e32 v14, v31
	v_mov_b32_e32 v23, v34
	v_pk_add_f32 v[36:37], v[30:31], v[22:23] neg_lo:[0,1] neg_hi:[0,1]
	v_mov_b32_e32 v30, v13
	v_mov_b32_e32 v31, v34
	;; [unrolled: 1-line block ×3, first 2 shown]
	v_pk_add_f32 v[14:15], v[14:15], v[30:31] neg_lo:[0,1] neg_hi:[0,1]
	v_mov_b32_e32 v29, v12
	v_pk_add_f32 v[12:13], v[28:29], v[14:15] neg_lo:[0,1] neg_hi:[0,1]
	v_mov_b32_e32 v36, v32
	v_pk_add_f32 v[14:15], v[36:37], v[12:13]
	s_nop 0
	v_mov_b32_e32 v28, v15
	v_pk_add_f32 v[28:29], v[14:15], v[28:29]
	s_nop 0
	v_pk_add_f32 v[26:27], v[26:27], v[28:29]
	v_mov_b32_e32 v13, v28
	v_mov_b32_e32 v15, v26
	v_pk_add_f32 v[30:31], v[14:15], v[32:33] neg_lo:[0,1] neg_hi:[0,1]
	s_nop 0
	v_sub_f32_e32 v14, v14, v30
	v_pk_add_f32 v[12:13], v[12:13], v[30:31] neg_lo:[0,1] neg_hi:[0,1]
	v_sub_f32_e32 v14, v32, v14
	v_add_f32_e32 v12, v12, v14
	v_add_f32_e32 v12, v12, v13
	;; [unrolled: 1-line block ×3, first 2 shown]
	v_cndmask_b32_e32 v150, v12, v38, vcc
.LBB31_93:                              ;   in Loop: Header=BB31_13 Depth=1
	s_or_b64 exec, exec, s[4:5]
	v_and_b32_e32 v8, 0xffff0000, v8
	v_readlane_b32 s2, v167, 2
	s_nop 1
	v_add_f32_e32 v151, s2, v8
	v_readlane_b32 s2, v167, 30
	v_cmp_ge_f32_e32 vcc, s6, v151
	v_readlane_b32 s3, v167, 31
	s_and_b64 s[2:3], s[2:3], vcc
	s_and_saveexec_b64 s[4:5], s[2:3]
	s_cbranch_execz .LBB31_95
; %bb.94:                               ;   in Loop: Header=BB31_13 Depth=1
	v_mul_f32_e32 v8, 0x3fb8aa3b, v151
	v_rndne_f32_e32 v12, v8
	v_sub_f32_e32 v13, v8, v12
	v_fma_f32 v8, v151, s8, -v8
	v_fmac_f32_e32 v8, 0x32a5705f, v151
	v_add_f32_e32 v8, v13, v8
	v_cvt_i32_f32_e32 v12, v12
	v_exp_f32_e32 v8, v8
	v_cmp_ngt_f32_e32 vcc, s9, v151
	v_ldexp_f32 v8, v8, v12
	s_nop 0
	v_cndmask_b32_e32 v8, 0, v8, vcc
	v_cmp_nlt_f32_e32 vcc, s12, v151
	s_nop 1
	v_cndmask_b32_e32 v36, v138, v8, vcc
	v_add_f32_e32 v8, 1.0, v36
	v_add_f32_e32 v12, -1.0, v8
	v_sub_f32_e32 v13, v12, v8
	v_add_f32_e32 v13, 1.0, v13
	v_sub_f32_e32 v12, v36, v12
	v_add_f32_e32 v14, v12, v13
	v_frexp_mant_f32_e32 v15, v8
	v_cvt_f64_f32_e32 v[12:13], v8
	v_frexp_exp_i32_f64_e32 v12, v[12:13]
	v_cmp_gt_f32_e32 vcc, s14, v15
	v_cmp_gt_f32_e64 s[60:61], s16, v36
	s_nop 0
	v_subbrev_co_u32_e32 v23, vcc, 0, v12, vcc
	v_sub_u32_e32 v12, 0, v23
	v_ldexp_f32 v8, v8, v12
	v_ldexp_f32 v12, v14, v12
	v_add_f32_e32 v14, -1.0, v8
	v_add_f32_e32 v13, 1.0, v14
	v_sub_f32_e32 v13, v8, v13
	v_add_f32_e32 v15, v12, v13
	v_add_f32_e32 v13, 1.0, v8
	v_add_f32_e32 v25, -1.0, v13
	v_sub_f32_e32 v8, v8, v25
	v_add_f32_e32 v8, v12, v8
	v_add_f32_e32 v25, v13, v8
	v_rcp_f32_e32 v30, v25
	v_sub_f32_e32 v12, v13, v25
	v_add_f32_e32 v13, v14, v15
	v_add_f32_e32 v8, v8, v12
	v_mul_f32_e32 v32, v13, v30
	v_sub_f32_e32 v12, v14, v13
	v_mul_f32_e32 v14, v25, v32
	v_fma_f32 v26, v32, v25, -v14
	v_fmac_f32_e32 v26, v32, v8
	v_add_f32_e32 v31, v15, v12
	v_add_f32_e32 v12, v14, v26
	v_sub_f32_e32 v15, v13, v12
	v_pk_add_f32 v[28:29], v[12:13], v[14:15] neg_lo:[0,1] neg_hi:[0,1]
	v_mov_b32_e32 v27, v12
	v_pk_add_f32 v[12:13], v[28:29], v[26:27] neg_lo:[0,1] neg_hi:[0,1]
	v_cmp_eq_f32_e32 vcc, s13, v36
	v_add_f32_e32 v13, v31, v13
	v_add_f32_e32 v12, v12, v13
	;; [unrolled: 1-line block ×3, first 2 shown]
	v_mul_f32_e32 v31, v30, v13
	v_mul_f32_e32 v14, v25, v31
	v_fma_f32 v26, v31, v25, -v14
	v_fmac_f32_e32 v26, v31, v8
	v_sub_f32_e32 v8, v15, v13
	v_add_f32_e32 v8, v12, v8
	v_add_f32_e32 v12, v14, v26
	v_sub_f32_e32 v15, v13, v12
	v_pk_add_f32 v[28:29], v[12:13], v[14:15] neg_lo:[0,1] neg_hi:[0,1]
	v_mov_b32_e32 v27, v12
	v_pk_add_f32 v[12:13], v[28:29], v[26:27] neg_lo:[0,1] neg_hi:[0,1]
	s_or_b64 vcc, s[60:61], vcc
	v_add_f32_e32 v8, v8, v13
	v_add_f32_e32 v8, v12, v8
	;; [unrolled: 1-line block ×4, first 2 shown]
	v_sub_f32_e32 v12, v13, v32
	v_mul_f32_e32 v8, v30, v8
	v_sub_f32_e32 v12, v31, v12
	v_add_f32_e32 v8, v12, v8
	v_add_f32_e32 v14, v13, v8
	v_mul_f32_e32 v26, v14, v14
	v_fmamk_f32 v12, v26, 0x3e9b6dac, v137
	v_fmaak_f32 v25, v26, v12, 0x3f2aaada
	v_cvt_f32_i32_e32 v12, v23
	v_sub_f32_e32 v13, v14, v13
	v_sub_f32_e32 v8, v8, v13
	v_mul_f32_e32 v13, v14, v26
	v_pk_mul_f32 v[26:27], v[12:13], v[24:25]
	v_ldexp_f32 v15, v14, 1
	v_fma_f32 v14, v12, s15, -v26
	v_fmac_f32_e32 v14, 0xb102e308, v12
	v_pk_add_f32 v[12:13], v[26:27], v[14:15]
	v_ldexp_f32 v8, v8, 1
	v_sub_f32_e32 v15, v13, v15
	v_sub_f32_e32 v15, v27, v15
	v_add_f32_e32 v29, v8, v15
	v_mov_b32_e32 v28, v26
	v_pk_add_f32 v[26:27], v[12:13], v[26:27] neg_lo:[0,1] neg_hi:[0,1]
	v_pk_add_f32 v[30:31], v[12:13], v[28:29]
	v_mov_b32_e32 v15, v12
	v_mov_b32_e32 v27, v31
	v_pk_add_f32 v[32:33], v[14:15], v[26:27] neg_lo:[0,1] neg_hi:[0,1]
	v_pk_add_f32 v[14:15], v[14:15], v[26:27]
	s_nop 0
	v_mov_b32_e32 v8, v15
	v_pk_add_f32 v[26:27], v[8:9], v[12:13] neg_lo:[0,1] neg_hi:[0,1]
	v_mov_b32_e32 v14, v31
	v_mov_b32_e32 v23, v26
	v_pk_add_f32 v[34:35], v[30:31], v[22:23] neg_lo:[0,1] neg_hi:[0,1]
	v_mov_b32_e32 v30, v13
	v_mov_b32_e32 v31, v26
	;; [unrolled: 1-line block ×3, first 2 shown]
	v_pk_add_f32 v[14:15], v[14:15], v[30:31] neg_lo:[0,1] neg_hi:[0,1]
	v_mov_b32_e32 v26, v29
	v_mov_b32_e32 v27, v12
	v_pk_add_f32 v[12:13], v[26:27], v[14:15] neg_lo:[0,1] neg_hi:[0,1]
	v_mov_b32_e32 v34, v32
	v_pk_add_f32 v[14:15], v[34:35], v[12:13]
	s_nop 0
	v_mov_b32_e32 v26, v15
	v_pk_add_f32 v[26:27], v[14:15], v[26:27]
	s_nop 0
	v_pk_add_f32 v[28:29], v[8:9], v[26:27]
	v_mov_b32_e32 v13, v26
	v_mov_b32_e32 v15, v28
	v_pk_add_f32 v[30:31], v[14:15], v[32:33] neg_lo:[0,1] neg_hi:[0,1]
	s_nop 0
	v_sub_f32_e32 v8, v14, v30
	v_pk_add_f32 v[12:13], v[12:13], v[30:31] neg_lo:[0,1] neg_hi:[0,1]
	v_sub_f32_e32 v8, v32, v8
	v_add_f32_e32 v8, v12, v8
	v_add_f32_e32 v8, v8, v13
	;; [unrolled: 1-line block ×3, first 2 shown]
	v_cndmask_b32_e32 v151, v8, v36, vcc
.LBB31_95:                              ;   in Loop: Header=BB31_13 Depth=1
	s_or_b64 exec, exec, s[4:5]
	v_lshlrev_b32_e32 v8, 16, v9
	v_readlane_b32 s2, v167, 2
	s_nop 1
	v_add_f32_e32 v152, s2, v8
	v_readlane_b32 s2, v167, 30
	v_cmp_ge_f32_e32 vcc, s6, v152
	v_readlane_b32 s3, v167, 31
	s_and_b64 s[2:3], s[2:3], vcc
	s_and_saveexec_b64 s[4:5], s[2:3]
	s_cbranch_execz .LBB31_97
; %bb.96:                               ;   in Loop: Header=BB31_13 Depth=1
	v_mul_f32_e32 v8, 0x3fb8aa3b, v152
	v_rndne_f32_e32 v12, v8
	v_sub_f32_e32 v13, v8, v12
	v_fma_f32 v8, v152, s8, -v8
	v_fmac_f32_e32 v8, 0x32a5705f, v152
	v_add_f32_e32 v8, v13, v8
	v_cvt_i32_f32_e32 v12, v12
	v_exp_f32_e32 v8, v8
	v_cmp_ngt_f32_e32 vcc, s9, v152
	v_ldexp_f32 v8, v8, v12
	s_nop 0
	v_cndmask_b32_e32 v8, 0, v8, vcc
	v_cmp_nlt_f32_e32 vcc, s12, v152
	s_nop 1
	v_cndmask_b32_e32 v36, v138, v8, vcc
	v_add_f32_e32 v8, 1.0, v36
	v_add_f32_e32 v12, -1.0, v8
	v_sub_f32_e32 v13, v12, v8
	v_add_f32_e32 v13, 1.0, v13
	v_sub_f32_e32 v12, v36, v12
	v_add_f32_e32 v14, v12, v13
	v_frexp_mant_f32_e32 v15, v8
	v_cvt_f64_f32_e32 v[12:13], v8
	v_frexp_exp_i32_f64_e32 v12, v[12:13]
	v_cmp_gt_f32_e32 vcc, s14, v15
	v_cmp_gt_f32_e64 s[60:61], s16, v36
	s_nop 0
	v_subbrev_co_u32_e32 v23, vcc, 0, v12, vcc
	v_sub_u32_e32 v12, 0, v23
	v_ldexp_f32 v8, v8, v12
	v_ldexp_f32 v12, v14, v12
	v_add_f32_e32 v14, -1.0, v8
	v_add_f32_e32 v13, 1.0, v14
	v_sub_f32_e32 v13, v8, v13
	v_add_f32_e32 v15, v12, v13
	v_add_f32_e32 v13, 1.0, v8
	v_add_f32_e32 v25, -1.0, v13
	v_sub_f32_e32 v8, v8, v25
	v_add_f32_e32 v8, v12, v8
	v_add_f32_e32 v25, v13, v8
	v_rcp_f32_e32 v30, v25
	v_sub_f32_e32 v12, v13, v25
	v_add_f32_e32 v13, v14, v15
	v_add_f32_e32 v8, v8, v12
	v_mul_f32_e32 v32, v13, v30
	v_sub_f32_e32 v12, v14, v13
	v_mul_f32_e32 v14, v25, v32
	v_fma_f32 v26, v32, v25, -v14
	v_fmac_f32_e32 v26, v32, v8
	v_add_f32_e32 v31, v15, v12
	v_add_f32_e32 v12, v14, v26
	v_sub_f32_e32 v15, v13, v12
	v_pk_add_f32 v[28:29], v[12:13], v[14:15] neg_lo:[0,1] neg_hi:[0,1]
	v_mov_b32_e32 v27, v12
	v_pk_add_f32 v[12:13], v[28:29], v[26:27] neg_lo:[0,1] neg_hi:[0,1]
	v_cmp_eq_f32_e32 vcc, s13, v36
	v_add_f32_e32 v13, v31, v13
	v_add_f32_e32 v12, v12, v13
	;; [unrolled: 1-line block ×3, first 2 shown]
	v_mul_f32_e32 v31, v30, v13
	v_mul_f32_e32 v14, v25, v31
	v_fma_f32 v26, v31, v25, -v14
	v_fmac_f32_e32 v26, v31, v8
	v_sub_f32_e32 v8, v15, v13
	v_add_f32_e32 v8, v12, v8
	v_add_f32_e32 v12, v14, v26
	v_sub_f32_e32 v15, v13, v12
	v_pk_add_f32 v[28:29], v[12:13], v[14:15] neg_lo:[0,1] neg_hi:[0,1]
	v_mov_b32_e32 v27, v12
	v_pk_add_f32 v[12:13], v[28:29], v[26:27] neg_lo:[0,1] neg_hi:[0,1]
	s_or_b64 vcc, s[60:61], vcc
	v_add_f32_e32 v8, v8, v13
	v_add_f32_e32 v8, v12, v8
	;; [unrolled: 1-line block ×4, first 2 shown]
	v_sub_f32_e32 v12, v13, v32
	v_mul_f32_e32 v8, v30, v8
	v_sub_f32_e32 v12, v31, v12
	v_add_f32_e32 v8, v12, v8
	v_add_f32_e32 v14, v13, v8
	v_mul_f32_e32 v26, v14, v14
	v_fmamk_f32 v12, v26, 0x3e9b6dac, v137
	v_fmaak_f32 v25, v26, v12, 0x3f2aaada
	v_cvt_f32_i32_e32 v12, v23
	v_sub_f32_e32 v13, v14, v13
	v_sub_f32_e32 v8, v8, v13
	v_mul_f32_e32 v13, v14, v26
	v_pk_mul_f32 v[26:27], v[12:13], v[24:25]
	v_ldexp_f32 v15, v14, 1
	v_fma_f32 v14, v12, s15, -v26
	v_fmac_f32_e32 v14, 0xb102e308, v12
	v_pk_add_f32 v[12:13], v[26:27], v[14:15]
	v_ldexp_f32 v8, v8, 1
	v_sub_f32_e32 v15, v13, v15
	v_sub_f32_e32 v15, v27, v15
	v_add_f32_e32 v29, v8, v15
	v_mov_b32_e32 v28, v26
	v_pk_add_f32 v[26:27], v[12:13], v[26:27] neg_lo:[0,1] neg_hi:[0,1]
	v_pk_add_f32 v[30:31], v[12:13], v[28:29]
	v_mov_b32_e32 v15, v12
	v_mov_b32_e32 v27, v31
	v_pk_add_f32 v[32:33], v[14:15], v[26:27] neg_lo:[0,1] neg_hi:[0,1]
	v_pk_add_f32 v[14:15], v[14:15], v[26:27]
	s_nop 0
	v_mov_b32_e32 v8, v15
	v_pk_add_f32 v[26:27], v[8:9], v[12:13] neg_lo:[0,1] neg_hi:[0,1]
	v_mov_b32_e32 v14, v31
	v_mov_b32_e32 v23, v26
	v_pk_add_f32 v[34:35], v[30:31], v[22:23] neg_lo:[0,1] neg_hi:[0,1]
	v_mov_b32_e32 v30, v13
	v_mov_b32_e32 v31, v26
	;; [unrolled: 1-line block ×3, first 2 shown]
	v_pk_add_f32 v[14:15], v[14:15], v[30:31] neg_lo:[0,1] neg_hi:[0,1]
	v_mov_b32_e32 v26, v29
	v_mov_b32_e32 v27, v12
	v_pk_add_f32 v[12:13], v[26:27], v[14:15] neg_lo:[0,1] neg_hi:[0,1]
	v_mov_b32_e32 v34, v32
	v_pk_add_f32 v[14:15], v[34:35], v[12:13]
	s_nop 0
	v_mov_b32_e32 v26, v15
	v_pk_add_f32 v[26:27], v[14:15], v[26:27]
	s_nop 0
	v_pk_add_f32 v[28:29], v[8:9], v[26:27]
	v_mov_b32_e32 v13, v26
	v_mov_b32_e32 v15, v28
	v_pk_add_f32 v[30:31], v[14:15], v[32:33] neg_lo:[0,1] neg_hi:[0,1]
	s_nop 0
	v_sub_f32_e32 v8, v14, v30
	v_pk_add_f32 v[12:13], v[12:13], v[30:31] neg_lo:[0,1] neg_hi:[0,1]
	v_sub_f32_e32 v8, v32, v8
	v_add_f32_e32 v8, v12, v8
	v_add_f32_e32 v8, v8, v13
	;; [unrolled: 1-line block ×3, first 2 shown]
	v_cndmask_b32_e32 v152, v8, v36, vcc
.LBB31_97:                              ;   in Loop: Header=BB31_13 Depth=1
	s_or_b64 exec, exec, s[4:5]
	v_and_b32_e32 v8, 0xffff0000, v9
	v_readlane_b32 s2, v167, 2
	s_nop 1
	v_add_f32_e32 v153, s2, v8
	v_readlane_b32 s2, v167, 30
	v_cmp_ge_f32_e32 vcc, s6, v153
	v_readlane_b32 s3, v167, 31
	s_and_b64 s[2:3], s[2:3], vcc
	s_and_saveexec_b64 s[4:5], s[2:3]
	s_cbranch_execz .LBB31_99
; %bb.98:                               ;   in Loop: Header=BB31_13 Depth=1
	v_mul_f32_e32 v8, 0x3fb8aa3b, v153
	v_rndne_f32_e32 v9, v8
	v_sub_f32_e32 v12, v8, v9
	v_fma_f32 v8, v153, s8, -v8
	v_fmac_f32_e32 v8, 0x32a5705f, v153
	v_add_f32_e32 v8, v12, v8
	v_cvt_i32_f32_e32 v9, v9
	v_exp_f32_e32 v8, v8
	v_cmp_ngt_f32_e32 vcc, s9, v153
	v_ldexp_f32 v8, v8, v9
	s_nop 0
	v_cndmask_b32_e32 v8, 0, v8, vcc
	v_cmp_nlt_f32_e32 vcc, s12, v153
	s_nop 1
	v_cndmask_b32_e32 v23, v138, v8, vcc
	v_add_f32_e32 v12, 1.0, v23
	v_add_f32_e32 v8, -1.0, v12
	v_sub_f32_e32 v9, v8, v12
	v_add_f32_e32 v9, 1.0, v9
	v_sub_f32_e32 v8, v23, v8
	v_add_f32_e32 v13, v8, v9
	v_frexp_mant_f32_e32 v14, v12
	v_cvt_f64_f32_e32 v[8:9], v12
	v_frexp_exp_i32_f64_e32 v8, v[8:9]
	v_cmp_gt_f32_e32 vcc, s14, v14
	v_cmp_gt_f32_e64 s[60:61], s16, v23
	s_nop 0
	v_subbrev_co_u32_e32 v28, vcc, 0, v8, vcc
	v_sub_u32_e32 v8, 0, v28
	v_ldexp_f32 v9, v12, v8
	v_add_f32_e32 v12, -1.0, v9
	v_add_f32_e32 v14, 1.0, v9
	v_ldexp_f32 v8, v13, v8
	v_add_f32_e32 v13, 1.0, v12
	v_add_f32_e32 v15, -1.0, v14
	v_sub_f32_e32 v13, v9, v13
	v_sub_f32_e32 v9, v9, v15
	v_add_f32_e32 v13, v8, v13
	v_add_f32_e32 v8, v8, v9
	;; [unrolled: 1-line block ×3, first 2 shown]
	v_rcp_f32_e32 v30, v25
	v_sub_f32_e32 v9, v14, v25
	v_add_f32_e32 v29, v8, v9
	v_add_f32_e32 v9, v12, v13
	v_mul_f32_e32 v32, v9, v30
	v_sub_f32_e32 v8, v12, v9
	v_mul_f32_e32 v12, v25, v32
	v_fma_f32 v14, v32, v25, -v12
	v_fmac_f32_e32 v14, v32, v29
	v_add_f32_e32 v31, v13, v8
	v_add_f32_e32 v8, v12, v14
	v_sub_f32_e32 v13, v9, v8
	v_pk_add_f32 v[26:27], v[8:9], v[12:13] neg_lo:[0,1] neg_hi:[0,1]
	v_mov_b32_e32 v15, v8
	v_pk_add_f32 v[8:9], v[26:27], v[14:15] neg_lo:[0,1] neg_hi:[0,1]
	v_cmp_eq_f32_e32 vcc, s13, v23
	v_add_f32_e32 v9, v31, v9
	v_add_f32_e32 v8, v8, v9
	;; [unrolled: 1-line block ×3, first 2 shown]
	v_mul_f32_e32 v31, v30, v9
	v_mul_f32_e32 v12, v25, v31
	v_fma_f32 v14, v31, v25, -v12
	v_fmac_f32_e32 v14, v31, v29
	v_sub_f32_e32 v13, v13, v9
	v_add_f32_e32 v25, v8, v13
	v_add_f32_e32 v8, v12, v14
	v_sub_f32_e32 v13, v9, v8
	v_pk_add_f32 v[26:27], v[8:9], v[12:13] neg_lo:[0,1] neg_hi:[0,1]
	v_mov_b32_e32 v15, v8
	v_pk_add_f32 v[8:9], v[26:27], v[14:15] neg_lo:[0,1] neg_hi:[0,1]
	s_or_b64 vcc, s[60:61], vcc
	v_add_f32_e32 v9, v25, v9
	v_add_f32_e32 v8, v8, v9
	;; [unrolled: 1-line block ×4, first 2 shown]
	v_sub_f32_e32 v12, v9, v32
	v_mul_f32_e32 v8, v30, v8
	v_sub_f32_e32 v12, v31, v12
	v_add_f32_e32 v12, v12, v8
	v_add_f32_e32 v14, v9, v12
	v_mul_f32_e32 v15, v14, v14
	v_fmamk_f32 v8, v15, 0x3e9b6dac, v137
	v_fmaak_f32 v25, v15, v8, 0x3f2aaada
	v_cvt_f32_i32_e32 v8, v28
	v_sub_f32_e32 v9, v14, v9
	v_sub_f32_e32 v9, v12, v9
	v_ldexp_f32 v26, v9, 1
	v_mul_f32_e32 v9, v14, v15
	v_ldexp_f32 v13, v14, 1
	v_pk_mul_f32 v[14:15], v[8:9], v[24:25]
	s_nop 0
	v_fma_f32 v12, v8, s15, -v14
	v_fmac_f32_e32 v12, 0xb102e308, v8
	v_pk_add_f32 v[8:9], v[14:15], v[12:13]
	s_nop 0
	v_sub_f32_e32 v13, v9, v13
	v_sub_f32_e32 v13, v15, v13
	v_add_f32_e32 v27, v26, v13
	v_mov_b32_e32 v26, v14
	v_pk_add_f32 v[14:15], v[8:9], v[14:15] neg_lo:[0,1] neg_hi:[0,1]
	v_pk_add_f32 v[28:29], v[8:9], v[26:27]
	v_mov_b32_e32 v13, v8
	v_mov_b32_e32 v15, v29
	v_pk_add_f32 v[30:31], v[12:13], v[14:15] neg_lo:[0,1] neg_hi:[0,1]
	v_pk_add_f32 v[12:13], v[12:13], v[14:15]
	v_mov_b32_e32 v26, v27
	v_mov_b32_e32 v14, v13
	v_pk_add_f32 v[32:33], v[14:15], v[8:9] neg_lo:[0,1] neg_hi:[0,1]
	v_mov_b32_e32 v12, v29
	v_mov_b32_e32 v15, v32
	v_pk_add_f32 v[34:35], v[28:29], v[14:15] neg_lo:[0,1] neg_hi:[0,1]
	v_mov_b32_e32 v28, v9
	v_mov_b32_e32 v29, v32
	;; [unrolled: 1-line block ×3, first 2 shown]
	v_pk_add_f32 v[12:13], v[12:13], v[28:29] neg_lo:[0,1] neg_hi:[0,1]
	v_mov_b32_e32 v27, v8
	v_pk_add_f32 v[8:9], v[26:27], v[12:13] neg_lo:[0,1] neg_hi:[0,1]
	v_mov_b32_e32 v34, v30
	v_pk_add_f32 v[12:13], v[34:35], v[8:9]
	s_nop 0
	v_mov_b32_e32 v26, v13
	v_pk_add_f32 v[26:27], v[12:13], v[26:27]
	s_nop 0
	v_pk_add_f32 v[14:15], v[14:15], v[26:27]
	v_mov_b32_e32 v9, v26
	v_mov_b32_e32 v13, v14
	v_pk_add_f32 v[28:29], v[12:13], v[30:31] neg_lo:[0,1] neg_hi:[0,1]
	s_nop 0
	v_sub_f32_e32 v12, v12, v28
	v_pk_add_f32 v[8:9], v[8:9], v[28:29] neg_lo:[0,1] neg_hi:[0,1]
	v_sub_f32_e32 v12, v30, v12
	v_add_f32_e32 v8, v8, v12
	v_add_f32_e32 v8, v8, v9
	;; [unrolled: 1-line block ×3, first 2 shown]
	v_cndmask_b32_e32 v153, v8, v23, vcc
.LBB31_99:                              ;   in Loop: Header=BB31_13 Depth=1
	s_or_b64 exec, exec, s[4:5]
	v_lshlrev_b32_e32 v8, 16, v10
	v_readlane_b32 s2, v167, 2
	s_nop 1
	v_add_f32_e32 v154, s2, v8
	v_readlane_b32 s2, v167, 30
	v_cmp_ge_f32_e32 vcc, s6, v154
	v_readlane_b32 s3, v167, 31
	s_and_b64 s[2:3], s[2:3], vcc
	s_and_saveexec_b64 s[4:5], s[2:3]
	s_cbranch_execz .LBB31_101
; %bb.100:                              ;   in Loop: Header=BB31_13 Depth=1
	v_mul_f32_e32 v8, 0x3fb8aa3b, v154
	v_rndne_f32_e32 v9, v8
	v_sub_f32_e32 v12, v8, v9
	v_fma_f32 v8, v154, s8, -v8
	v_fmac_f32_e32 v8, 0x32a5705f, v154
	v_add_f32_e32 v8, v12, v8
	v_cvt_i32_f32_e32 v9, v9
	v_exp_f32_e32 v8, v8
	v_cmp_ngt_f32_e32 vcc, s9, v154
	v_ldexp_f32 v8, v8, v9
	s_nop 0
	v_cndmask_b32_e32 v8, 0, v8, vcc
	v_cmp_nlt_f32_e32 vcc, s12, v154
	s_nop 1
	v_cndmask_b32_e32 v23, v138, v8, vcc
	v_add_f32_e32 v12, 1.0, v23
	v_add_f32_e32 v8, -1.0, v12
	v_sub_f32_e32 v9, v8, v12
	v_add_f32_e32 v9, 1.0, v9
	v_sub_f32_e32 v8, v23, v8
	v_add_f32_e32 v13, v8, v9
	v_frexp_mant_f32_e32 v14, v12
	v_cvt_f64_f32_e32 v[8:9], v12
	v_frexp_exp_i32_f64_e32 v8, v[8:9]
	v_cmp_gt_f32_e32 vcc, s14, v14
	v_cmp_gt_f32_e64 s[60:61], s16, v23
	s_nop 0
	v_subbrev_co_u32_e32 v28, vcc, 0, v8, vcc
	v_sub_u32_e32 v8, 0, v28
	v_ldexp_f32 v9, v12, v8
	v_add_f32_e32 v12, -1.0, v9
	v_add_f32_e32 v14, 1.0, v9
	v_ldexp_f32 v8, v13, v8
	v_add_f32_e32 v13, 1.0, v12
	v_add_f32_e32 v15, -1.0, v14
	v_sub_f32_e32 v13, v9, v13
	v_sub_f32_e32 v9, v9, v15
	v_add_f32_e32 v13, v8, v13
	v_add_f32_e32 v8, v8, v9
	;; [unrolled: 1-line block ×3, first 2 shown]
	v_rcp_f32_e32 v30, v25
	v_sub_f32_e32 v9, v14, v25
	v_add_f32_e32 v29, v8, v9
	v_add_f32_e32 v9, v12, v13
	v_mul_f32_e32 v32, v9, v30
	v_sub_f32_e32 v8, v12, v9
	v_mul_f32_e32 v12, v25, v32
	v_fma_f32 v14, v32, v25, -v12
	v_fmac_f32_e32 v14, v32, v29
	v_add_f32_e32 v31, v13, v8
	v_add_f32_e32 v8, v12, v14
	v_sub_f32_e32 v13, v9, v8
	v_pk_add_f32 v[26:27], v[8:9], v[12:13] neg_lo:[0,1] neg_hi:[0,1]
	v_mov_b32_e32 v15, v8
	v_pk_add_f32 v[8:9], v[26:27], v[14:15] neg_lo:[0,1] neg_hi:[0,1]
	v_cmp_eq_f32_e32 vcc, s13, v23
	v_add_f32_e32 v9, v31, v9
	v_add_f32_e32 v8, v8, v9
	;; [unrolled: 1-line block ×3, first 2 shown]
	v_mul_f32_e32 v31, v30, v9
	v_mul_f32_e32 v12, v25, v31
	v_fma_f32 v14, v31, v25, -v12
	v_fmac_f32_e32 v14, v31, v29
	v_sub_f32_e32 v13, v13, v9
	v_add_f32_e32 v25, v8, v13
	v_add_f32_e32 v8, v12, v14
	v_sub_f32_e32 v13, v9, v8
	v_pk_add_f32 v[26:27], v[8:9], v[12:13] neg_lo:[0,1] neg_hi:[0,1]
	v_mov_b32_e32 v15, v8
	v_pk_add_f32 v[8:9], v[26:27], v[14:15] neg_lo:[0,1] neg_hi:[0,1]
	s_or_b64 vcc, s[60:61], vcc
	v_add_f32_e32 v9, v25, v9
	v_add_f32_e32 v8, v8, v9
	;; [unrolled: 1-line block ×4, first 2 shown]
	v_sub_f32_e32 v12, v9, v32
	v_mul_f32_e32 v8, v30, v8
	v_sub_f32_e32 v12, v31, v12
	v_add_f32_e32 v12, v12, v8
	v_add_f32_e32 v14, v9, v12
	v_mul_f32_e32 v15, v14, v14
	v_fmamk_f32 v8, v15, 0x3e9b6dac, v137
	v_fmaak_f32 v25, v15, v8, 0x3f2aaada
	v_cvt_f32_i32_e32 v8, v28
	v_sub_f32_e32 v9, v14, v9
	v_sub_f32_e32 v9, v12, v9
	v_ldexp_f32 v26, v9, 1
	v_mul_f32_e32 v9, v14, v15
	v_ldexp_f32 v13, v14, 1
	v_pk_mul_f32 v[14:15], v[8:9], v[24:25]
	s_nop 0
	v_fma_f32 v12, v8, s15, -v14
	v_fmac_f32_e32 v12, 0xb102e308, v8
	v_pk_add_f32 v[8:9], v[14:15], v[12:13]
	s_nop 0
	v_sub_f32_e32 v13, v9, v13
	v_sub_f32_e32 v13, v15, v13
	v_add_f32_e32 v27, v26, v13
	v_mov_b32_e32 v26, v14
	v_pk_add_f32 v[14:15], v[8:9], v[14:15] neg_lo:[0,1] neg_hi:[0,1]
	v_pk_add_f32 v[28:29], v[8:9], v[26:27]
	v_mov_b32_e32 v13, v8
	v_mov_b32_e32 v15, v29
	v_pk_add_f32 v[30:31], v[12:13], v[14:15] neg_lo:[0,1] neg_hi:[0,1]
	v_pk_add_f32 v[12:13], v[12:13], v[14:15]
	v_mov_b32_e32 v26, v27
	v_mov_b32_e32 v14, v13
	v_pk_add_f32 v[32:33], v[14:15], v[8:9] neg_lo:[0,1] neg_hi:[0,1]
	v_mov_b32_e32 v12, v29
	v_mov_b32_e32 v15, v32
	v_pk_add_f32 v[34:35], v[28:29], v[14:15] neg_lo:[0,1] neg_hi:[0,1]
	v_mov_b32_e32 v28, v9
	v_mov_b32_e32 v29, v32
	;; [unrolled: 1-line block ×3, first 2 shown]
	v_pk_add_f32 v[12:13], v[12:13], v[28:29] neg_lo:[0,1] neg_hi:[0,1]
	v_mov_b32_e32 v27, v8
	v_pk_add_f32 v[8:9], v[26:27], v[12:13] neg_lo:[0,1] neg_hi:[0,1]
	v_mov_b32_e32 v34, v30
	v_pk_add_f32 v[12:13], v[34:35], v[8:9]
	s_nop 0
	v_mov_b32_e32 v26, v13
	v_pk_add_f32 v[26:27], v[12:13], v[26:27]
	s_nop 0
	v_pk_add_f32 v[14:15], v[14:15], v[26:27]
	v_mov_b32_e32 v9, v26
	v_mov_b32_e32 v13, v14
	v_pk_add_f32 v[28:29], v[12:13], v[30:31] neg_lo:[0,1] neg_hi:[0,1]
	s_nop 0
	v_sub_f32_e32 v12, v12, v28
	v_pk_add_f32 v[8:9], v[8:9], v[28:29] neg_lo:[0,1] neg_hi:[0,1]
	v_sub_f32_e32 v12, v30, v12
	v_add_f32_e32 v8, v8, v12
	v_add_f32_e32 v8, v8, v9
	;; [unrolled: 1-line block ×3, first 2 shown]
	v_cndmask_b32_e32 v154, v8, v23, vcc
.LBB31_101:                             ;   in Loop: Header=BB31_13 Depth=1
	s_or_b64 exec, exec, s[4:5]
	v_and_b32_e32 v8, 0xffff0000, v10
	v_readlane_b32 s2, v167, 2
	s_nop 1
	v_add_f32_e32 v155, s2, v8
	v_readlane_b32 s2, v167, 30
	v_cmp_ge_f32_e32 vcc, s6, v155
	v_readlane_b32 s3, v167, 31
	s_and_b64 s[2:3], s[2:3], vcc
	s_and_saveexec_b64 s[4:5], s[2:3]
	s_cbranch_execz .LBB31_103
; %bb.102:                              ;   in Loop: Header=BB31_13 Depth=1
	v_mul_f32_e32 v8, 0x3fb8aa3b, v155
	v_rndne_f32_e32 v9, v8
	v_sub_f32_e32 v10, v8, v9
	v_fma_f32 v8, v155, s8, -v8
	v_fmac_f32_e32 v8, 0x32a5705f, v155
	v_add_f32_e32 v8, v10, v8
	v_cvt_i32_f32_e32 v9, v9
	v_exp_f32_e32 v8, v8
	v_cmp_ngt_f32_e32 vcc, s9, v155
	v_ldexp_f32 v8, v8, v9
	s_nop 0
	v_cndmask_b32_e32 v8, 0, v8, vcc
	v_cmp_nlt_f32_e32 vcc, s12, v155
	s_nop 1
	v_cndmask_b32_e32 v23, v138, v8, vcc
	v_add_f32_e32 v10, 1.0, v23
	v_add_f32_e32 v8, -1.0, v10
	v_sub_f32_e32 v9, v8, v10
	v_add_f32_e32 v9, 1.0, v9
	v_sub_f32_e32 v8, v23, v8
	v_add_f32_e32 v12, v8, v9
	v_frexp_mant_f32_e32 v13, v10
	v_cvt_f64_f32_e32 v[8:9], v10
	v_frexp_exp_i32_f64_e32 v8, v[8:9]
	v_cmp_gt_f32_e32 vcc, s14, v13
	v_cmp_gt_f32_e64 s[60:61], s16, v23
	s_nop 0
	v_subbrev_co_u32_e32 v28, vcc, 0, v8, vcc
	v_sub_u32_e32 v8, 0, v28
	v_ldexp_f32 v9, v10, v8
	v_add_f32_e32 v10, -1.0, v9
	v_add_f32_e32 v13, 1.0, v9
	v_ldexp_f32 v8, v12, v8
	v_add_f32_e32 v12, 1.0, v10
	v_add_f32_e32 v14, -1.0, v13
	v_sub_f32_e32 v12, v9, v12
	v_sub_f32_e32 v9, v9, v14
	v_add_f32_e32 v12, v8, v12
	v_add_f32_e32 v8, v8, v9
	;; [unrolled: 1-line block ×3, first 2 shown]
	v_rcp_f32_e32 v30, v25
	v_sub_f32_e32 v9, v13, v25
	v_add_f32_e32 v29, v8, v9
	v_add_f32_e32 v9, v10, v12
	v_sub_f32_e32 v8, v10, v9
	v_mul_f32_e32 v31, v9, v30
	v_add_f32_e32 v10, v12, v8
	v_mul_f32_e32 v12, v25, v31
	v_fma_f32 v14, v31, v25, -v12
	v_fmac_f32_e32 v14, v31, v29
	v_add_f32_e32 v8, v12, v14
	v_sub_f32_e32 v13, v9, v8
	v_pk_add_f32 v[26:27], v[8:9], v[12:13] neg_lo:[0,1] neg_hi:[0,1]
	v_mov_b32_e32 v15, v8
	v_pk_add_f32 v[8:9], v[26:27], v[14:15] neg_lo:[0,1] neg_hi:[0,1]
	v_cmp_eq_f32_e32 vcc, s13, v23
	v_add_f32_e32 v9, v10, v9
	v_add_f32_e32 v8, v8, v9
	;; [unrolled: 1-line block ×3, first 2 shown]
	v_mul_f32_e32 v10, v30, v9
	v_mul_f32_e32 v12, v25, v10
	v_fma_f32 v14, v10, v25, -v12
	v_fmac_f32_e32 v14, v10, v29
	v_sub_f32_e32 v13, v13, v9
	v_add_f32_e32 v25, v8, v13
	v_add_f32_e32 v8, v12, v14
	v_sub_f32_e32 v13, v9, v8
	v_pk_add_f32 v[26:27], v[8:9], v[12:13] neg_lo:[0,1] neg_hi:[0,1]
	v_mov_b32_e32 v15, v8
	v_pk_add_f32 v[8:9], v[26:27], v[14:15] neg_lo:[0,1] neg_hi:[0,1]
	s_or_b64 vcc, s[60:61], vcc
	v_add_f32_e32 v9, v25, v9
	v_add_f32_e32 v8, v8, v9
	;; [unrolled: 1-line block ×4, first 2 shown]
	v_sub_f32_e32 v12, v9, v31
	v_mul_f32_e32 v8, v30, v8
	v_sub_f32_e32 v10, v10, v12
	v_add_f32_e32 v10, v10, v8
	v_add_f32_e32 v12, v9, v10
	v_mul_f32_e32 v14, v12, v12
	v_fmamk_f32 v8, v14, 0x3e9b6dac, v137
	v_fmaak_f32 v25, v14, v8, 0x3f2aaada
	v_cvt_f32_i32_e32 v8, v28
	v_sub_f32_e32 v9, v12, v9
	v_sub_f32_e32 v9, v10, v9
	v_ldexp_f32 v10, v9, 1
	v_mul_f32_e32 v9, v12, v14
	v_pk_mul_f32 v[14:15], v[8:9], v[24:25]
	v_ldexp_f32 v13, v12, 1
	v_fma_f32 v12, v8, s15, -v14
	v_fmac_f32_e32 v12, 0xb102e308, v8
	v_pk_add_f32 v[8:9], v[14:15], v[12:13]
	v_mov_b32_e32 v26, v14
	v_sub_f32_e32 v13, v9, v13
	v_sub_f32_e32 v13, v15, v13
	v_add_f32_e32 v27, v10, v13
	v_pk_add_f32 v[14:15], v[8:9], v[14:15] neg_lo:[0,1] neg_hi:[0,1]
	v_pk_add_f32 v[28:29], v[8:9], v[26:27]
	v_mov_b32_e32 v13, v8
	v_mov_b32_e32 v15, v29
	v_pk_add_f32 v[30:31], v[12:13], v[14:15] neg_lo:[0,1] neg_hi:[0,1]
	v_pk_add_f32 v[12:13], v[12:13], v[14:15]
	s_nop 0
	v_mov_b32_e32 v10, v13
	v_pk_add_f32 v[14:15], v[10:11], v[8:9] neg_lo:[0,1] neg_hi:[0,1]
	v_mov_b32_e32 v12, v29
	v_mov_b32_e32 v15, v14
	v_pk_add_f32 v[32:33], v[28:29], v[14:15] neg_lo:[0,1] neg_hi:[0,1]
	v_mov_b32_e32 v28, v9
	v_mov_b32_e32 v29, v14
	;; [unrolled: 1-line block ×3, first 2 shown]
	v_pk_add_f32 v[12:13], v[12:13], v[28:29] neg_lo:[0,1] neg_hi:[0,1]
	v_mov_b32_e32 v14, v27
	v_mov_b32_e32 v15, v8
	v_pk_add_f32 v[8:9], v[14:15], v[12:13] neg_lo:[0,1] neg_hi:[0,1]
	v_mov_b32_e32 v32, v30
	v_pk_add_f32 v[12:13], v[32:33], v[8:9]
	s_nop 0
	v_mov_b32_e32 v14, v13
	v_pk_add_f32 v[14:15], v[12:13], v[14:15]
	s_nop 0
	v_pk_add_f32 v[26:27], v[10:11], v[14:15]
	v_mov_b32_e32 v9, v14
	v_mov_b32_e32 v13, v26
	v_pk_add_f32 v[28:29], v[12:13], v[30:31] neg_lo:[0,1] neg_hi:[0,1]
	s_nop 0
	v_sub_f32_e32 v10, v12, v28
	v_pk_add_f32 v[8:9], v[8:9], v[28:29] neg_lo:[0,1] neg_hi:[0,1]
	v_sub_f32_e32 v10, v30, v10
	v_add_f32_e32 v8, v8, v10
	v_add_f32_e32 v8, v8, v9
	;; [unrolled: 1-line block ×3, first 2 shown]
	v_cndmask_b32_e32 v155, v8, v23, vcc
.LBB31_103:                             ;   in Loop: Header=BB31_13 Depth=1
	s_or_b64 exec, exec, s[4:5]
	v_lshlrev_b32_e32 v8, 16, v11
	v_readlane_b32 s2, v167, 2
	s_nop 1
	v_add_f32_e32 v26, s2, v8
	v_readlane_b32 s2, v167, 30
	v_cmp_ge_f32_e32 vcc, s6, v26
	v_readlane_b32 s3, v167, 31
	s_and_b64 s[2:3], s[2:3], vcc
	s_and_saveexec_b64 s[4:5], s[2:3]
	s_cbranch_execz .LBB31_105
; %bb.104:                              ;   in Loop: Header=BB31_13 Depth=1
	v_mul_f32_e32 v8, 0x3fb8aa3b, v26
	v_rndne_f32_e32 v9, v8
	v_sub_f32_e32 v10, v8, v9
	v_fma_f32 v8, v26, s8, -v8
	v_fmac_f32_e32 v8, 0x32a5705f, v26
	v_add_f32_e32 v8, v10, v8
	v_cvt_i32_f32_e32 v9, v9
	v_exp_f32_e32 v8, v8
	v_cmp_ngt_f32_e32 vcc, s9, v26
	v_ldexp_f32 v8, v8, v9
	s_nop 0
	v_cndmask_b32_e32 v8, 0, v8, vcc
	v_cmp_nlt_f32_e32 vcc, s12, v26
	s_nop 1
	v_cndmask_b32_e32 v23, v138, v8, vcc
	v_add_f32_e32 v10, 1.0, v23
	v_add_f32_e32 v8, -1.0, v10
	v_sub_f32_e32 v9, v8, v10
	v_add_f32_e32 v9, 1.0, v9
	v_sub_f32_e32 v8, v23, v8
	v_add_f32_e32 v12, v8, v9
	v_frexp_mant_f32_e32 v13, v10
	v_cvt_f64_f32_e32 v[8:9], v10
	v_frexp_exp_i32_f64_e32 v8, v[8:9]
	v_cmp_gt_f32_e32 vcc, s14, v13
	v_cmp_gt_f32_e64 s[60:61], s16, v23
	s_nop 0
	v_subbrev_co_u32_e32 v28, vcc, 0, v8, vcc
	v_sub_u32_e32 v8, 0, v28
	v_ldexp_f32 v9, v10, v8
	v_add_f32_e32 v10, -1.0, v9
	v_add_f32_e32 v13, 1.0, v9
	v_ldexp_f32 v8, v12, v8
	v_add_f32_e32 v12, 1.0, v10
	v_add_f32_e32 v14, -1.0, v13
	v_sub_f32_e32 v12, v9, v12
	v_sub_f32_e32 v9, v9, v14
	v_add_f32_e32 v12, v8, v12
	v_add_f32_e32 v8, v8, v9
	;; [unrolled: 1-line block ×3, first 2 shown]
	v_rcp_f32_e32 v30, v25
	v_sub_f32_e32 v9, v13, v25
	v_add_f32_e32 v29, v8, v9
	v_add_f32_e32 v9, v10, v12
	v_sub_f32_e32 v8, v10, v9
	v_mul_f32_e32 v31, v9, v30
	v_add_f32_e32 v10, v12, v8
	v_mul_f32_e32 v12, v25, v31
	v_fma_f32 v14, v31, v25, -v12
	v_fmac_f32_e32 v14, v31, v29
	v_add_f32_e32 v8, v12, v14
	v_sub_f32_e32 v13, v9, v8
	v_pk_add_f32 v[26:27], v[8:9], v[12:13] neg_lo:[0,1] neg_hi:[0,1]
	v_mov_b32_e32 v15, v8
	v_pk_add_f32 v[8:9], v[26:27], v[14:15] neg_lo:[0,1] neg_hi:[0,1]
	v_cmp_eq_f32_e32 vcc, s13, v23
	v_add_f32_e32 v9, v10, v9
	v_add_f32_e32 v8, v8, v9
	;; [unrolled: 1-line block ×3, first 2 shown]
	v_mul_f32_e32 v10, v30, v9
	v_mul_f32_e32 v12, v25, v10
	v_fma_f32 v14, v10, v25, -v12
	v_fmac_f32_e32 v14, v10, v29
	v_sub_f32_e32 v13, v13, v9
	v_add_f32_e32 v25, v8, v13
	v_add_f32_e32 v8, v12, v14
	v_sub_f32_e32 v13, v9, v8
	v_pk_add_f32 v[26:27], v[8:9], v[12:13] neg_lo:[0,1] neg_hi:[0,1]
	v_mov_b32_e32 v15, v8
	v_pk_add_f32 v[8:9], v[26:27], v[14:15] neg_lo:[0,1] neg_hi:[0,1]
	s_or_b64 vcc, s[60:61], vcc
	v_add_f32_e32 v9, v25, v9
	v_add_f32_e32 v8, v8, v9
	;; [unrolled: 1-line block ×4, first 2 shown]
	v_sub_f32_e32 v12, v9, v31
	v_mul_f32_e32 v8, v30, v8
	v_sub_f32_e32 v10, v10, v12
	v_add_f32_e32 v10, v10, v8
	v_add_f32_e32 v12, v9, v10
	v_mul_f32_e32 v14, v12, v12
	v_fmamk_f32 v8, v14, 0x3e9b6dac, v137
	v_fmaak_f32 v25, v14, v8, 0x3f2aaada
	v_cvt_f32_i32_e32 v8, v28
	v_sub_f32_e32 v9, v12, v9
	v_sub_f32_e32 v9, v10, v9
	v_ldexp_f32 v10, v9, 1
	v_mul_f32_e32 v9, v12, v14
	v_pk_mul_f32 v[14:15], v[8:9], v[24:25]
	v_ldexp_f32 v13, v12, 1
	v_fma_f32 v12, v8, s15, -v14
	v_fmac_f32_e32 v12, 0xb102e308, v8
	v_pk_add_f32 v[8:9], v[14:15], v[12:13]
	v_mov_b32_e32 v26, v14
	v_sub_f32_e32 v13, v9, v13
	v_sub_f32_e32 v13, v15, v13
	v_add_f32_e32 v27, v10, v13
	v_pk_add_f32 v[14:15], v[8:9], v[14:15] neg_lo:[0,1] neg_hi:[0,1]
	v_pk_add_f32 v[28:29], v[8:9], v[26:27]
	v_mov_b32_e32 v13, v8
	v_mov_b32_e32 v15, v29
	v_pk_add_f32 v[30:31], v[12:13], v[14:15] neg_lo:[0,1] neg_hi:[0,1]
	v_pk_add_f32 v[12:13], v[12:13], v[14:15]
	s_nop 0
	v_mov_b32_e32 v10, v13
	v_pk_add_f32 v[14:15], v[10:11], v[8:9] neg_lo:[0,1] neg_hi:[0,1]
	v_mov_b32_e32 v12, v29
	v_mov_b32_e32 v15, v14
	v_pk_add_f32 v[32:33], v[28:29], v[14:15] neg_lo:[0,1] neg_hi:[0,1]
	v_mov_b32_e32 v28, v9
	v_mov_b32_e32 v29, v14
	;; [unrolled: 1-line block ×3, first 2 shown]
	v_pk_add_f32 v[12:13], v[12:13], v[28:29] neg_lo:[0,1] neg_hi:[0,1]
	v_mov_b32_e32 v14, v27
	v_mov_b32_e32 v15, v8
	v_pk_add_f32 v[8:9], v[14:15], v[12:13] neg_lo:[0,1] neg_hi:[0,1]
	v_mov_b32_e32 v32, v30
	v_pk_add_f32 v[12:13], v[32:33], v[8:9]
	s_nop 0
	v_mov_b32_e32 v14, v13
	v_pk_add_f32 v[14:15], v[12:13], v[14:15]
	s_nop 0
	v_pk_add_f32 v[26:27], v[10:11], v[14:15]
	v_mov_b32_e32 v9, v14
	v_mov_b32_e32 v13, v26
	v_pk_add_f32 v[28:29], v[12:13], v[30:31] neg_lo:[0,1] neg_hi:[0,1]
	s_nop 0
	v_sub_f32_e32 v10, v12, v28
	v_pk_add_f32 v[8:9], v[8:9], v[28:29] neg_lo:[0,1] neg_hi:[0,1]
	v_sub_f32_e32 v10, v30, v10
	v_add_f32_e32 v8, v8, v10
	v_add_f32_e32 v8, v8, v9
	;; [unrolled: 1-line block ×3, first 2 shown]
	v_cndmask_b32_e32 v26, v8, v23, vcc
.LBB31_105:                             ;   in Loop: Header=BB31_13 Depth=1
	s_or_b64 exec, exec, s[4:5]
	v_and_b32_e32 v8, 0xffff0000, v11
	v_readlane_b32 s2, v167, 2
	s_nop 1
	v_add_f32_e32 v27, s2, v8
	v_readlane_b32 s2, v167, 30
	v_cmp_ge_f32_e32 vcc, s6, v27
	v_readlane_b32 s3, v167, 31
	s_and_b64 s[2:3], s[2:3], vcc
	s_and_saveexec_b64 s[4:5], s[2:3]
	s_cbranch_execz .LBB31_107
; %bb.106:                              ;   in Loop: Header=BB31_13 Depth=1
	v_mul_f32_e32 v8, 0x3fb8aa3b, v27
	v_rndne_f32_e32 v9, v8
	v_sub_f32_e32 v10, v8, v9
	v_fma_f32 v8, v27, s8, -v8
	v_fmac_f32_e32 v8, 0x32a5705f, v27
	v_add_f32_e32 v8, v10, v8
	v_cvt_i32_f32_e32 v9, v9
	v_exp_f32_e32 v8, v8
	v_cmp_ngt_f32_e32 vcc, s9, v27
	v_ldexp_f32 v8, v8, v9
	s_nop 0
	v_cndmask_b32_e32 v8, 0, v8, vcc
	v_cmp_nlt_f32_e32 vcc, s12, v27
	s_nop 1
	v_cndmask_b32_e32 v23, v138, v8, vcc
	v_add_f32_e32 v10, 1.0, v23
	v_add_f32_e32 v8, -1.0, v10
	v_sub_f32_e32 v9, v8, v10
	v_add_f32_e32 v9, 1.0, v9
	v_sub_f32_e32 v8, v23, v8
	v_add_f32_e32 v11, v8, v9
	v_frexp_mant_f32_e32 v12, v10
	v_cvt_f64_f32_e32 v[8:9], v10
	v_frexp_exp_i32_f64_e32 v8, v[8:9]
	v_cmp_gt_f32_e32 vcc, s14, v12
	v_cmp_gt_f32_e64 s[60:61], s16, v23
	s_nop 0
	v_subbrev_co_u32_e32 v27, vcc, 0, v8, vcc
	v_sub_u32_e32 v8, 0, v27
	v_ldexp_f32 v9, v10, v8
	v_add_f32_e32 v10, -1.0, v9
	v_add_f32_e32 v12, 1.0, v9
	v_ldexp_f32 v8, v11, v8
	v_add_f32_e32 v11, 1.0, v10
	v_add_f32_e32 v13, -1.0, v12
	v_sub_f32_e32 v11, v9, v11
	v_sub_f32_e32 v9, v9, v13
	v_add_f32_e32 v11, v8, v11
	v_add_f32_e32 v8, v8, v9
	;; [unrolled: 1-line block ×3, first 2 shown]
	v_rcp_f32_e32 v29, v25
	v_sub_f32_e32 v9, v12, v25
	v_add_f32_e32 v28, v8, v9
	v_add_f32_e32 v9, v10, v11
	v_mul_f32_e32 v31, v9, v29
	v_sub_f32_e32 v8, v10, v9
	v_mul_f32_e32 v10, v25, v31
	v_fma_f32 v12, v31, v25, -v10
	v_fmac_f32_e32 v12, v31, v28
	v_add_f32_e32 v30, v11, v8
	v_add_f32_e32 v8, v10, v12
	v_sub_f32_e32 v11, v9, v8
	v_pk_add_f32 v[14:15], v[8:9], v[10:11] neg_lo:[0,1] neg_hi:[0,1]
	v_mov_b32_e32 v13, v8
	v_pk_add_f32 v[8:9], v[14:15], v[12:13] neg_lo:[0,1] neg_hi:[0,1]
	v_cmp_eq_f32_e32 vcc, s13, v23
	v_add_f32_e32 v9, v30, v9
	v_add_f32_e32 v8, v8, v9
	;; [unrolled: 1-line block ×3, first 2 shown]
	v_mul_f32_e32 v30, v29, v9
	v_mul_f32_e32 v10, v25, v30
	v_fma_f32 v12, v30, v25, -v10
	v_fmac_f32_e32 v12, v30, v28
	v_sub_f32_e32 v11, v11, v9
	v_add_f32_e32 v25, v8, v11
	v_add_f32_e32 v8, v10, v12
	v_sub_f32_e32 v11, v9, v8
	v_pk_add_f32 v[14:15], v[8:9], v[10:11] neg_lo:[0,1] neg_hi:[0,1]
	v_mov_b32_e32 v13, v8
	v_pk_add_f32 v[8:9], v[14:15], v[12:13] neg_lo:[0,1] neg_hi:[0,1]
	s_or_b64 vcc, s[60:61], vcc
	v_add_f32_e32 v9, v25, v9
	v_add_f32_e32 v8, v8, v9
	;; [unrolled: 1-line block ×4, first 2 shown]
	v_sub_f32_e32 v10, v9, v31
	v_mul_f32_e32 v8, v29, v8
	v_sub_f32_e32 v10, v30, v10
	v_add_f32_e32 v10, v10, v8
	v_add_f32_e32 v12, v9, v10
	v_mul_f32_e32 v13, v12, v12
	v_fmamk_f32 v8, v13, 0x3e9b6dac, v137
	v_fmaak_f32 v25, v13, v8, 0x3f2aaada
	v_cvt_f32_i32_e32 v8, v27
	v_sub_f32_e32 v9, v12, v9
	v_sub_f32_e32 v9, v10, v9
	v_ldexp_f32 v14, v9, 1
	v_mul_f32_e32 v9, v12, v13
	v_ldexp_f32 v11, v12, 1
	v_pk_mul_f32 v[12:13], v[8:9], v[24:25]
	s_nop 0
	v_fma_f32 v10, v8, s15, -v12
	v_fmac_f32_e32 v10, 0xb102e308, v8
	v_pk_add_f32 v[8:9], v[12:13], v[10:11]
	s_nop 0
	v_sub_f32_e32 v11, v9, v11
	v_sub_f32_e32 v11, v13, v11
	v_add_f32_e32 v15, v14, v11
	v_mov_b32_e32 v14, v12
	v_pk_add_f32 v[12:13], v[8:9], v[12:13] neg_lo:[0,1] neg_hi:[0,1]
	v_pk_add_f32 v[28:29], v[8:9], v[14:15]
	v_mov_b32_e32 v11, v8
	v_mov_b32_e32 v13, v29
	v_pk_add_f32 v[30:31], v[10:11], v[12:13] neg_lo:[0,1] neg_hi:[0,1]
	v_pk_add_f32 v[10:11], v[10:11], v[12:13]
	v_mov_b32_e32 v14, v15
	v_mov_b32_e32 v12, v11
	v_pk_add_f32 v[32:33], v[12:13], v[8:9] neg_lo:[0,1] neg_hi:[0,1]
	v_mov_b32_e32 v10, v29
	v_mov_b32_e32 v13, v32
	v_pk_add_f32 v[34:35], v[28:29], v[12:13] neg_lo:[0,1] neg_hi:[0,1]
	v_mov_b32_e32 v28, v9
	v_mov_b32_e32 v29, v32
	;; [unrolled: 1-line block ×3, first 2 shown]
	v_pk_add_f32 v[10:11], v[10:11], v[28:29] neg_lo:[0,1] neg_hi:[0,1]
	v_mov_b32_e32 v15, v8
	v_pk_add_f32 v[8:9], v[14:15], v[10:11] neg_lo:[0,1] neg_hi:[0,1]
	v_mov_b32_e32 v34, v30
	v_pk_add_f32 v[10:11], v[34:35], v[8:9]
	s_nop 0
	v_mov_b32_e32 v14, v11
	v_pk_add_f32 v[14:15], v[10:11], v[14:15]
	s_nop 0
	v_pk_add_f32 v[12:13], v[12:13], v[14:15]
	v_mov_b32_e32 v9, v14
	v_mov_b32_e32 v11, v12
	v_pk_add_f32 v[28:29], v[10:11], v[30:31] neg_lo:[0,1] neg_hi:[0,1]
	s_nop 0
	v_sub_f32_e32 v10, v10, v28
	v_pk_add_f32 v[8:9], v[8:9], v[28:29] neg_lo:[0,1] neg_hi:[0,1]
	v_sub_f32_e32 v10, v30, v10
	v_add_f32_e32 v8, v8, v10
	v_add_f32_e32 v8, v8, v9
	;; [unrolled: 1-line block ×3, first 2 shown]
	v_cndmask_b32_e32 v27, v8, v23, vcc
.LBB31_107:                             ;   in Loop: Header=BB31_13 Depth=1
	s_or_b64 exec, exec, s[4:5]
	v_lshlrev_b32_e32 v8, 16, v7
	v_readlane_b32 s2, v167, 3
	v_and_b32_e32 v15, 0xffff0000, v7
	v_and_b32_e32 v7, 0xffff0000, v6
	v_lshlrev_b32_e32 v6, 16, v6
	v_and_b32_e32 v9, 0xffff0000, v5
	v_lshlrev_b32_e32 v5, 16, v5
	;; [unrolled: 2-line block ×7, first 2 shown]
	v_mul_f32_e32 v28, s2, v8
	v_mul_f32_e32 v31, s2, v7
	;; [unrolled: 1-line block ×16, first 2 shown]
	v_readlane_b32 s2, v167, 32
	v_readlane_b32 s3, v167, 33
	s_and_b64 vcc, exec, s[2:3]
	s_barrier
	s_cbranch_vccz .LBB31_204
; %bb.108:                              ;   in Loop: Header=BB31_13 Depth=1
	v_readlane_b32 s2, v167, 8
	v_readlane_b32 s3, v167, 9
	v_mul_f32_e32 v123, v142, v0
	v_cmp_gt_u32_e32 vcc, s88, v19
	v_lshl_add_u64 v[44:45], s[2:3], 0, v[16:17]
	v_readlane_b32 s2, v167, 22
	v_readlane_b32 s3, v167, 23
	v_or_b32_e32 v0, 1, v19
	v_mov_b32_e32 v23, v17
	v_lshl_add_u64 v[46:47], s[2:3], 0, v[16:17]
	v_readlane_b32 s3, v167, 59
	s_cmp_lg_u32 s3, 0
	v_readlane_b32 s2, v167, 37
	s_cselect_b64 s[94:95], -1, 0
	s_cmp_eq_u32 s3, s2
	v_readlane_b32 s2, v167, 38
	v_readlane_b32 s3, v167, 39
	s_cselect_b64 s[96:97], -1, 0
	s_or_b64 s[60:61], s[2:3], vcc
	v_cmp_gt_u32_e32 vcc, s88, v0
	v_or_b32_e32 v0, 2, v19
	s_or_b64 s[62:63], s[2:3], vcc
	v_cmp_gt_u32_e32 vcc, s88, v0
	v_or_b32_e32 v0, 3, v19
	s_or_b64 s[64:65], s[2:3], vcc
	v_cmp_gt_u32_e32 vcc, s88, v0
	v_or_b32_e32 v0, 4, v19
	s_or_b64 s[66:67], s[2:3], vcc
	v_cmp_gt_u32_e32 vcc, s88, v0
	v_or_b32_e32 v0, 5, v19
	s_or_b64 s[68:69], s[2:3], vcc
	v_cmp_gt_u32_e32 vcc, s88, v0
	v_or_b32_e32 v0, 6, v19
	s_or_b64 s[70:71], s[2:3], vcc
	v_cmp_gt_u32_e32 vcc, s88, v0
	v_or_b32_e32 v0, 7, v19
	s_or_b64 s[72:73], s[2:3], vcc
	v_cmp_gt_u32_e32 vcc, s88, v0
	v_or_b32_e32 v0, 8, v19
	s_or_b64 s[74:75], s[2:3], vcc
	v_cmp_gt_u32_e32 vcc, s88, v0
	v_or_b32_e32 v0, 9, v19
	s_or_b64 s[76:77], s[2:3], vcc
	v_cmp_gt_u32_e32 vcc, s88, v0
	v_or_b32_e32 v0, 10, v19
	s_or_b64 s[78:79], s[2:3], vcc
	v_cmp_gt_u32_e32 vcc, s88, v0
	v_or_b32_e32 v0, 11, v19
	s_or_b64 s[80:81], s[2:3], vcc
	v_cmp_gt_u32_e32 vcc, s88, v0
	v_or_b32_e32 v0, 12, v19
	s_or_b64 s[82:83], s[2:3], vcc
	v_cmp_gt_u32_e32 vcc, s88, v0
	v_or_b32_e32 v0, 13, v19
	s_or_b64 s[84:85], s[2:3], vcc
	v_cmp_gt_u32_e32 vcc, s88, v0
	v_or_b32_e32 v0, 14, v19
	s_or_b64 s[86:87], s[2:3], vcc
	v_cmp_gt_u32_e32 vcc, s88, v0
	v_or_b32_e32 v0, 15, v19
	v_cmp_gt_u32_e64 s[88:89], s88, v0
	s_or_b64 s[88:89], s[2:3], s[88:89]
	s_or_b64 s[90:91], s[2:3], vcc
	v_readlane_b32 s2, v167, 34
	s_mov_b32 s6, 0
	v_readlane_b32 s3, v167, 35
	v_mul_f32_e32 v25, v27, v15
	v_lshl_add_u64 v[44:45], v[44:45], 0, v[22:23]
	v_lshl_add_u64 v[46:47], v[46:47], 0, v[22:23]
	v_mul_f32_e32 v16, v26, v8
	v_mul_f32_e32 v23, v155, v7
	;; [unrolled: 1-line block ×14, first 2 shown]
	s_mov_b32 s92, s6
	s_mov_b32 s98, s6
	s_mov_b32 s4, s6
	s_mov_b32 s8, s3
	v_readlane_b32 s9, v167, 58
	s_branch .LBB31_110
.LBB31_109:                             ;   in Loop: Header=BB31_110 Depth=2
	s_or_b64 exec, exec, s[2:3]
	v_cndmask_b32_e64 v8, v8, v69, s[24:25]
	v_cndmask_b32_e64 v49, v60, v68, s[24:25]
	v_mul_f32_e32 v49, v49, v125
	v_fma_f32 v8, v8, v125, v124
	v_cndmask_b32_e64 v8, v8, v124, s[22:23]
	v_cndmask_b32_e64 v49, v49, v125, s[22:23]
	s_waitcnt lgkmcnt(0)
	v_fmac_f32_e32 v8, v48, v49
	v_fmac_f32_e32 v9, v8, v126
	;; [unrolled: 1-line block ×10, first 2 shown]
	v_readlane_b32 s12, v167, 24
	v_fmac_f32_e32 v56, v53, v135
	v_readlane_b32 s13, v167, 25
	v_readlane_b32 s14, v167, 26
	;; [unrolled: 1-line block ×3, first 2 shown]
	v_fmac_f32_e32 v57, v56, v136
	s_add_i32 s4, s4, s14
	v_readlane_b32 s12, v167, 18
	v_fmac_f32_e32 v54, v57, v62
	v_readlane_b32 s13, v167, 19
	v_readlane_b32 s14, v167, 20
	;; [unrolled: 1-line block ×3, first 2 shown]
	v_fmac_f32_e32 v55, v54, v58
	s_add_i32 s98, s98, s12
	v_readlane_b32 s12, v167, 10
	v_fmac_f32_e32 v59, v55, v64
	v_readlane_b32 s13, v167, 11
	v_readlane_b32 s16, v167, 14
	v_fmac_f32_e32 v61, v59, v65
	v_and_b32_e32 v49, 0xffff0000, v4
	v_and_b32_e32 v51, 0xffff0000, v5
	v_lshlrev_b32_e32 v48, 16, v4
	v_lshlrev_b32_e32 v50, 16, v5
	v_and_b32_e32 v5, 0xffff0000, v6
	v_and_b32_e32 v63, 0xffff0000, v7
	v_lshlrev_b32_e32 v4, 16, v6
	v_lshlrev_b32_e32 v62, 16, v7
	v_and_b32_e32 v7, 0xffff0000, v0
	v_and_b32_e32 v65, 0xffff0000, v1
	v_lshlrev_b32_e32 v6, 16, v0
	v_lshlrev_b32_e32 v64, 16, v1
	v_and_b32_e32 v1, 0xffff0000, v2
	v_and_b32_e32 v67, 0xffff0000, v3
	v_lshlrev_b32_e32 v0, 16, v2
	v_lshlrev_b32_e32 v66, 16, v3
	v_mov_b32_e32 v60, v59
	s_add_i32 s9, s9, 8
	s_add_i32 s8, s8, -1
	s_add_i32 s92, s92, s16
	s_add_i32 s6, s6, s13
	v_pk_fma_f32 v[40:41], v[10:11], v[50:51], v[40:41]
	v_pk_fma_f32 v[42:43], v[8:9], v[48:49], v[42:43]
	;; [unrolled: 1-line block ×7, first 2 shown]
	s_cmp_eq_u32 s8, 0
	v_pk_fma_f32 v[30:31], v[54:55], v[0:1], v[30:31]
	v_readlane_b32 s14, v167, 12
	v_readlane_b32 s15, v167, 13
	v_readlane_b32 s17, v167, 15
	v_readlane_b32 s18, v167, 16
	v_readlane_b32 s19, v167, 17
	s_cbranch_scc1 .LBB31_203
.LBB31_110:                             ;   Parent Loop BB31_13 Depth=1
                                        ; =>  This Inner Loop Header: Depth=2
	s_lshl_b64 s[2:3], s[6:7], 2
	v_readlane_b32 s5, v167, 6
	s_add_u32 s2, s5, s2
	v_readlane_b32 s5, v167, 7
	s_addc_u32 s3, s5, s3
	global_load_dword v48, v17, s[2:3]
	s_mov_b32 s93, s7
	v_lshl_add_u64 v[0:1], s[92:93], 1, v[44:45]
	v_mov_b32_e32 v2, 0
	v_mov_b32_e32 v3, 0
	s_and_saveexec_b64 s[2:3], s[26:27]
	s_cbranch_execz .LBB31_112
; %bb.111:                              ;   in Loop: Header=BB31_110 Depth=2
	global_load_ushort v3, v[0:1], off
.LBB31_112:                             ;   in Loop: Header=BB31_110 Depth=2
	s_or_b64 exec, exec, s[2:3]
	s_and_saveexec_b64 s[2:3], s[28:29]
	s_cbranch_execz .LBB31_114
; %bb.113:                              ;   in Loop: Header=BB31_110 Depth=2
	global_load_ushort v2, v[0:1], off offset:128
.LBB31_114:                             ;   in Loop: Header=BB31_110 Depth=2
	s_or_b64 exec, exec, s[2:3]
	v_mov_b32_e32 v4, 0
	v_mov_b32_e32 v5, 0
	s_and_saveexec_b64 s[2:3], s[30:31]
	s_cbranch_execz .LBB31_116
; %bb.115:                              ;   in Loop: Header=BB31_110 Depth=2
	global_load_ushort v5, v[0:1], off offset:256
.LBB31_116:                             ;   in Loop: Header=BB31_110 Depth=2
	s_or_b64 exec, exec, s[2:3]
	s_and_saveexec_b64 s[2:3], s[34:35]
	s_cbranch_execz .LBB31_118
; %bb.117:                              ;   in Loop: Header=BB31_110 Depth=2
	global_load_ushort v4, v[0:1], off offset:384
.LBB31_118:                             ;   in Loop: Header=BB31_110 Depth=2
	s_or_b64 exec, exec, s[2:3]
	v_mov_b32_e32 v6, 0
	v_mov_b32_e32 v7, 0
	s_and_saveexec_b64 s[2:3], s[36:37]
	s_cbranch_execz .LBB31_120
; %bb.119:                              ;   in Loop: Header=BB31_110 Depth=2
	global_load_ushort v7, v[0:1], off offset:512
.LBB31_120:                             ;   in Loop: Header=BB31_110 Depth=2
	;; [unrolled: 14-line block ×7, first 2 shown]
	s_or_b64 exec, exec, s[2:3]
	s_and_saveexec_b64 s[2:3], s[58:59]
	s_cbranch_execz .LBB31_142
; %bb.141:                              ;   in Loop: Header=BB31_110 Depth=2
	global_load_ushort v49, v[0:1], off offset:1920
.LBB31_142:                             ;   in Loop: Header=BB31_110 Depth=2
	s_or_b64 exec, exec, s[2:3]
	s_waitcnt vmcnt(0)
	ds_write_b16 v86, v3
	ds_write_b16 v87, v2 offset:128
	ds_write_b16 v88, v5 offset:256
	ds_write_b16 v89, v4 offset:384
	ds_write_b16 v90, v7 offset:512
	ds_write_b16 v91, v6 offset:640
	ds_write_b16 v92, v9 offset:768
	ds_write_b16 v93, v8 offset:896
	ds_write_b16 v94, v11 offset:1024
	ds_write_b16 v95, v10 offset:1152
	ds_write_b16 v96, v13 offset:1280
	ds_write_b16 v97, v12 offset:1408
	ds_write_b16 v98, v15 offset:1536
	ds_write_b16 v99, v14 offset:1664
	ds_write_b16 v100, v50 offset:1792
	ds_write_b16 v101, v49 offset:1920
	; wave barrier
	ds_read_b128 v[12:15], v102
	ds_read_b128 v[8:11], v102 offset:16
	s_mov_b32 s99, s7
	v_lshl_add_u64 v[0:1], s[98:99], 1, v[46:47]
	v_mov_b32_e32 v2, 0
	v_mov_b32_e32 v3, 0
	s_and_saveexec_b64 s[2:3], s[26:27]
	s_cbranch_execz .LBB31_144
; %bb.143:                              ;   in Loop: Header=BB31_110 Depth=2
	global_load_ushort v3, v[0:1], off
.LBB31_144:                             ;   in Loop: Header=BB31_110 Depth=2
	s_or_b64 exec, exec, s[2:3]
	s_and_saveexec_b64 s[2:3], s[28:29]
	s_cbranch_execz .LBB31_146
; %bb.145:                              ;   in Loop: Header=BB31_110 Depth=2
	global_load_ushort v2, v[0:1], off offset:128
.LBB31_146:                             ;   in Loop: Header=BB31_110 Depth=2
	s_or_b64 exec, exec, s[2:3]
	v_mov_b32_e32 v4, 0
	v_mov_b32_e32 v5, 0
	s_and_saveexec_b64 s[2:3], s[30:31]
	s_cbranch_execz .LBB31_148
; %bb.147:                              ;   in Loop: Header=BB31_110 Depth=2
	global_load_ushort v5, v[0:1], off offset:256
.LBB31_148:                             ;   in Loop: Header=BB31_110 Depth=2
	s_or_b64 exec, exec, s[2:3]
	s_and_saveexec_b64 s[2:3], s[34:35]
	s_cbranch_execz .LBB31_150
; %bb.149:                              ;   in Loop: Header=BB31_110 Depth=2
	global_load_ushort v4, v[0:1], off offset:384
.LBB31_150:                             ;   in Loop: Header=BB31_110 Depth=2
	s_or_b64 exec, exec, s[2:3]
	v_mov_b32_e32 v6, 0
	v_mov_b32_e32 v7, 0
	s_and_saveexec_b64 s[2:3], s[36:37]
	s_cbranch_execz .LBB31_152
; %bb.151:                              ;   in Loop: Header=BB31_110 Depth=2
	global_load_ushort v7, v[0:1], off offset:512
.LBB31_152:                             ;   in Loop: Header=BB31_110 Depth=2
	;; [unrolled: 14-line block ×7, first 2 shown]
	s_or_b64 exec, exec, s[2:3]
	s_and_saveexec_b64 s[2:3], s[58:59]
	s_cbranch_execz .LBB31_174
; %bb.173:                              ;   in Loop: Header=BB31_110 Depth=2
	global_load_ushort v57, v[0:1], off offset:1920
.LBB31_174:                             ;   in Loop: Header=BB31_110 Depth=2
	s_or_b64 exec, exec, s[2:3]
	s_waitcnt vmcnt(0)
	ds_write_b16 v86, v3 offset:4224
	ds_write_b16 v103, v2 offset:128
	;; [unrolled: 1-line block ×16, first 2 shown]
	; wave barrier
	ds_read_b128 v[4:7], v102 offset:4224
	ds_read_b128 v[0:3], v118 offset:16
	s_andn2_b64 vcc, exec, s[94:95]
	s_cbranch_vccnz .LBB31_176
; %bb.175:                              ;   in Loop: Header=BB31_110 Depth=2
	v_mov_b32_e32 v49, s9
	ds_read_b64 v[50:51], v49
	s_waitcnt lgkmcnt(0)
	v_mov_b32_e32 v49, v51
	s_cbranch_execz .LBB31_177
	s_branch .LBB31_180
.LBB31_176:                             ;   in Loop: Header=BB31_110 Depth=2
                                        ; implicit-def: $vgpr50
                                        ; implicit-def: $vgpr49
.LBB31_177:                             ;   in Loop: Header=BB31_110 Depth=2
	v_readlane_b32 s2, v167, 0
	v_readlane_b32 s3, v167, 1
	s_andn2_b64 vcc, exec, s[2:3]
	v_mov_b32_e32 v49, 0
	s_cbranch_vccnz .LBB31_179
; %bb.178:                              ;   in Loop: Header=BB31_110 Depth=2
	s_mov_b32 s5, s7
	s_lshl_b64 s[2:3], s[4:5], 1
	v_readlane_b32 s5, v167, 28
	s_add_u32 s2, s5, s2
	v_readlane_b32 s5, v167, 29
	s_addc_u32 s3, s5, s3
	global_load_ushort v49, v17, s[2:3]
	s_waitcnt vmcnt(0)
	v_lshlrev_b32_e32 v49, 16, v49
.LBB31_179:                             ;   in Loop: Header=BB31_110 Depth=2
	v_mov_b32_e32 v50, 1.0
.LBB31_180:                             ;   in Loop: Header=BB31_110 Depth=2
	s_waitcnt lgkmcnt(14)
	v_lshlrev_b32_e32 v56, 16, v8
	v_and_b32_e32 v57, 0xffff0000, v8
	v_mul_f32_e32 v8, 0x3fb8aa3b, v48
	v_lshlrev_b32_e32 v58, 16, v9
	v_and_b32_e32 v59, 0xffff0000, v9
	v_mul_f32_e32 v9, v8, v142
	v_cmp_gt_f32_e32 vcc, s33, v9
	v_lshlrev_b32_e32 v60, 16, v10
	v_and_b32_e32 v61, 0xffff0000, v10
	v_cndmask_b32_e32 v9, 0, v139, vcc
	v_fmac_f32_e32 v9, v8, v142
	v_exp_f32_e32 v9, v9
	v_cndmask_b32_e32 v10, 1.0, v140, vcc
	v_lshlrev_b32_e32 v52, 16, v12
	v_lshlrev_b32_e32 v63, 16, v11
	v_mul_f32_e32 v9, v9, v10
	v_cndmask_b32_e64 v125, 1.0, v9, s[60:61]
	v_mul_f32_e32 v9, v8, v143
	v_cmp_gt_f32_e32 vcc, s33, v9
	v_mul_f32_e32 v10, v123, v52
	v_cndmask_b32_e64 v124, 0, v10, s[60:61]
	v_cndmask_b32_e32 v9, 0, v139, vcc
	v_fmac_f32_e32 v9, v8, v143
	v_exp_f32_e32 v9, v9
	v_cndmask_b32_e32 v10, 1.0, v140, vcc
	v_and_b32_e32 v51, 0xffff0000, v11
	v_and_b32_e32 v12, 0xffff0000, v12
	v_mul_f32_e32 v10, v9, v10
	v_cndmask_b32_e64 v126, 1.0, v10, s[62:63]
	v_mul_f32_e32 v10, v8, v144
	v_cmp_gt_f32_e32 vcc, s33, v10
	v_mul_f32_e32 v9, v122, v12
	v_lshlrev_b32_e32 v53, 16, v13
	v_cndmask_b32_e32 v10, 0, v139, vcc
	v_fmac_f32_e32 v10, v8, v144
	v_exp_f32_e32 v10, v10
	v_cndmask_b32_e32 v11, 1.0, v140, vcc
	v_and_b32_e32 v13, 0xffff0000, v13
	v_lshlrev_b32_e32 v54, 16, v14
	v_mul_f32_e32 v11, v10, v11
	v_cndmask_b32_e64 v127, 1.0, v11, s[64:65]
	v_mul_f32_e32 v11, v8, v145
	v_cmp_gt_f32_e32 vcc, s33, v11
	v_and_b32_e32 v14, 0xffff0000, v14
	v_mul_f32_e32 v10, v166, v53
	v_cndmask_b32_e32 v11, 0, v139, vcc
	v_fmac_f32_e32 v11, v8, v145
	v_exp_f32_e32 v11, v11
	v_cndmask_b32_e32 v12, 1.0, v140, vcc
	v_lshlrev_b32_e32 v55, 16, v15
	v_cndmask_b32_e64 v9, 0, v9, s[62:63]
	v_mul_f32_e32 v12, v11, v12
	v_cndmask_b32_e64 v128, 1.0, v12, s[66:67]
	v_mul_f32_e32 v12, v8, v146
	v_cmp_gt_f32_e32 vcc, s33, v12
	v_mul_f32_e32 v11, v165, v13
	v_cndmask_b32_e64 v10, 0, v10, s[64:65]
	v_cndmask_b32_e32 v12, 0, v139, vcc
	v_fmac_f32_e32 v12, v8, v146
	v_exp_f32_e32 v12, v12
	v_cndmask_b32_e32 v13, 1.0, v140, vcc
	v_cndmask_b32_e64 v11, 0, v11, s[66:67]
	v_and_b32_e32 v15, 0xffff0000, v15
	v_mul_f32_e32 v13, v12, v13
	v_cndmask_b32_e64 v129, 1.0, v13, s[68:69]
	v_mul_f32_e32 v13, v8, v147
	v_cmp_gt_f32_e32 vcc, s33, v13
	v_mul_f32_e32 v12, v164, v54
	v_cndmask_b32_e64 v12, 0, v12, s[68:69]
	v_cndmask_b32_e32 v13, 0, v139, vcc
	v_fmac_f32_e32 v13, v8, v147
	v_exp_f32_e32 v13, v13
	v_cndmask_b32_e32 v48, 1.0, v140, vcc
	v_mul_f32_e32 v15, v161, v15
	v_cndmask_b32_e64 v15, 0, v15, s[74:75]
	v_mul_f32_e32 v48, v13, v48
	v_mul_f32_e32 v13, v163, v14
	;; [unrolled: 1-line block ×3, first 2 shown]
	v_cmp_gt_f32_e32 vcc, s33, v14
	v_cndmask_b32_e64 v130, 1.0, v48, s[70:71]
	v_cndmask_b32_e64 v13, 0, v13, s[70:71]
	v_cndmask_b32_e32 v14, 0, v139, vcc
	v_fmac_f32_e32 v14, v8, v148
	v_exp_f32_e32 v14, v14
	v_cndmask_b32_e32 v48, 1.0, v140, vcc
	v_mul_f32_e32 v51, v25, v51
	v_readlane_b32 s10, v167, 40
	v_mul_f32_e32 v48, v14, v48
	v_cndmask_b32_e64 v131, 1.0, v48, s[72:73]
	v_mul_f32_e32 v48, v8, v149
	v_cmp_gt_f32_e32 vcc, s33, v48
	v_mul_f32_e32 v14, v162, v55
	v_cndmask_b32_e64 v14, 0, v14, s[72:73]
	v_cndmask_b32_e32 v48, 0, v139, vcc
	v_fmac_f32_e32 v48, v8, v149
	v_exp_f32_e32 v48, v48
	v_cndmask_b32_e32 v52, 1.0, v140, vcc
	v_readlane_b32 s11, v167, 41
	v_mul_f32_e32 v48, v48, v52
	v_cndmask_b32_e64 v132, 1.0, v48, s[74:75]
	v_mul_f32_e32 v48, v8, v150
	v_cmp_gt_f32_e32 vcc, s33, v48
	s_nop 1
	v_cndmask_b32_e32 v48, 0, v139, vcc
	v_fmac_f32_e32 v48, v8, v150
	v_exp_f32_e32 v48, v48
	v_cndmask_b32_e32 v52, 1.0, v140, vcc
	v_mul_f32_e32 v48, v48, v52
	v_cndmask_b32_e64 v133, 1.0, v48, s[76:77]
	v_mul_f32_e32 v48, v8, v151
	v_cmp_gt_f32_e32 vcc, s33, v48
	v_mul_f32_e32 v52, v160, v56
	v_cndmask_b32_e64 v52, 0, v52, s[76:77]
	v_cndmask_b32_e32 v48, 0, v139, vcc
	v_fmac_f32_e32 v48, v8, v151
	v_exp_f32_e32 v48, v48
	v_cndmask_b32_e32 v53, 1.0, v140, vcc
	v_mul_f32_e32 v48, v48, v53
	v_cndmask_b32_e64 v134, 1.0, v48, s[78:79]
	v_mul_f32_e32 v48, v8, v152
	v_cmp_gt_f32_e32 vcc, s33, v48
	v_mul_f32_e32 v53, v159, v57
	v_cndmask_b32_e64 v53, 0, v53, s[78:79]
	;; [unrolled: 10-line block ×5, first 2 shown]
	v_cndmask_b32_e32 v48, 0, v139, vcc
	v_fmac_f32_e32 v48, v8, v155
	v_exp_f32_e32 v48, v48
	v_cndmask_b32_e32 v55, 1.0, v140, vcc
	v_mul_f32_e32 v48, v48, v55
	v_mul_f32_e32 v55, v23, v61
	v_pk_mul_f32 v[60:61], v[8:9], v[26:27] op_sel_hi:[0,1]
	v_mul_f32_e32 v8, v16, v63
	v_cmp_gt_f32_e32 vcc, s33, v60
	v_cndmask_b32_e64 v59, 0, v8, s[90:91]
	v_cndmask_b32_e64 v58, 1.0, v48, s[86:87]
	v_cndmask_b32_e32 v8, 0, v139, vcc
	v_add_f32_e32 v8, v60, v8
	v_exp_f32_e32 v8, v8
	v_cndmask_b32_e32 v48, 1.0, v140, vcc
	v_cmp_gt_f32_e32 vcc, s33, v61
	v_cndmask_b32_e64 v55, 0, v55, s[86:87]
	v_mul_f32_e32 v8, v8, v48
	v_cndmask_b32_e32 v48, 0, v139, vcc
	v_add_f32_e32 v48, v61, v48
	v_exp_f32_e32 v48, v48
	v_cndmask_b32_e32 v60, 1.0, v140, vcc
	v_cndmask_b32_e64 v64, 1.0, v8, s[90:91]
	v_mul_f32_e32 v8, v126, v125
	v_mul_f32_e32 v48, v48, v60
	v_cndmask_b32_e64 v65, 1.0, v48, s[88:89]
	v_fma_f32 v48, v126, v124, v9
	v_mul_f32_e32 v8, v8, v127
	v_fma_f32 v48, v48, v127, v10
	v_mul_f32_e32 v8, v8, v128
	;; [unrolled: 2-line block ×10, first 2 shown]
	v_fma_f32 v8, v48, v136, v57
	v_fma_f32 v8, v8, v62, v54
	;; [unrolled: 1-line block ×3, first 2 shown]
	v_mov_b32_e32 v63, v64
	v_pk_mul_f32 v[72:73], v[66:67], v[62:63]
	v_pk_fma_f32 v[66:67], v[66:67], v[62:63], v[58:59]
	v_pk_mul_f32 v[72:73], v[72:73], v[58:59]
	v_cndmask_b32_e64 v61, 0, v51, s[88:89]
	v_mov_b32_e32 v73, v67
	v_mov_b32_e32 v68, v65
	;; [unrolled: 1-line block ×3, first 2 shown]
	v_pk_mul_f32 v[66:67], v[72:73], v[64:65]
	v_mov_b32_e32 v60, v65
	v_pk_mul_f32 v[68:69], v[66:67], v[68:69]
	v_pk_fma_f32 v[66:67], v[72:73], v[64:65], v[60:61]
	s_nop 0
	v_mov_b32_dpp v8, v68 row_shr:1 row_mask:0xf bank_mask:0xf
	v_mov_b32_dpp v48, v67 row_shr:1 row_mask:0xf bank_mask:0xf
	v_mul_f32_e32 v51, v68, v8
	v_fma_f32 v48, v68, v48, v67
	v_cndmask_b32_e64 v66, v51, v68, s[0:1]
	v_cndmask_b32_e64 v69, v48, v67, s[0:1]
	;; [unrolled: 1-line block ×4, first 2 shown]
	v_mov_b32_dpp v51, v69 row_shr:2 row_mask:0xf bank_mask:0xf
	v_mov_b32_dpp v48, v68 row_shr:2 row_mask:0xf bank_mask:0xf
	s_and_saveexec_b64 s[2:3], s[10:11]
; %bb.181:                              ;   in Loop: Header=BB31_110 Depth=2
	v_fmac_f32_e32 v69, v68, v51
	v_mul_f32_e32 v68, v68, v48
	v_mov_b32_e32 v66, v68
	v_mov_b32_e32 v8, v69
; %bb.182:                              ;   in Loop: Header=BB31_110 Depth=2
	s_or_b64 exec, exec, s[2:3]
	v_readlane_b32 s10, v167, 42
	v_mov_b32_dpp v48, v68 row_shr:4 row_mask:0xf bank_mask:0xf
	v_mov_b32_dpp v51, v69 row_shr:4 row_mask:0xf bank_mask:0xf
	v_readlane_b32 s11, v167, 43
	s_and_saveexec_b64 s[2:3], s[10:11]
; %bb.183:                              ;   in Loop: Header=BB31_110 Depth=2
	v_fmac_f32_e32 v69, v68, v51
	v_mul_f32_e32 v68, v68, v48
	v_mov_b32_e32 v66, v68
	v_mov_b32_e32 v8, v69
; %bb.184:                              ;   in Loop: Header=BB31_110 Depth=2
	s_or_b64 exec, exec, s[2:3]
	v_readlane_b32 s10, v167, 44
	v_mov_b32_dpp v48, v68 row_shr:8 row_mask:0xf bank_mask:0xf
	v_mov_b32_dpp v51, v69 row_shr:8 row_mask:0xf bank_mask:0xf
	v_readlane_b32 s11, v167, 45
	s_and_saveexec_b64 s[2:3], s[10:11]
; %bb.185:                              ;   in Loop: Header=BB31_110 Depth=2
	v_fmac_f32_e32 v69, v68, v51
	v_mul_f32_e32 v68, v68, v48
	v_mov_b32_e32 v66, v68
	v_mov_b32_e32 v8, v69
; %bb.186:                              ;   in Loop: Header=BB31_110 Depth=2
	s_or_b64 exec, exec, s[2:3]
	v_readlane_b32 s10, v167, 46
	v_mov_b32_dpp v48, v68 row_bcast:15 row_mask:0xf bank_mask:0xf
	v_mov_b32_dpp v51, v69 row_bcast:15 row_mask:0xf bank_mask:0xf
	v_readlane_b32 s11, v167, 47
	s_and_saveexec_b64 s[2:3], s[10:11]
; %bb.187:                              ;   in Loop: Header=BB31_110 Depth=2
	v_fmac_f32_e32 v69, v68, v51
	v_mul_f32_e32 v68, v68, v48
	v_mov_b32_e32 v66, v68
	v_mov_b32_e32 v8, v69
; %bb.188:                              ;   in Loop: Header=BB31_110 Depth=2
	s_or_b64 exec, exec, s[2:3]
	v_readlane_b32 s10, v167, 48
	v_mov_b32_dpp v51, v68 row_bcast:31 row_mask:0xf bank_mask:0xf
	v_mov_b32_dpp v48, v69 row_bcast:31 row_mask:0xf bank_mask:0xf
	v_readlane_b32 s11, v167, 49
	s_and_saveexec_b64 s[2:3], s[10:11]
; %bb.189:                              ;   in Loop: Header=BB31_110 Depth=2
	v_fmac_f32_e32 v69, v68, v48
	v_mul_f32_e32 v66, v68, v51
	v_mov_b32_e32 v67, v69
	v_mov_b32_e32 v8, v69
	v_mov_b64_e32 v[68:69], v[66:67]
; %bb.190:                              ;   in Loop: Header=BB31_110 Depth=2
	s_or_b64 exec, exec, s[2:3]
	v_readlane_b32 s10, v167, 50
	v_readlane_b32 s11, v167, 51
	s_and_saveexec_b64 s[2:3], s[10:11]
	s_cbranch_execz .LBB31_192
; %bb.191:                              ;   in Loop: Header=BB31_110 Depth=2
	ds_write_b64 v119, v[68:69] offset:8448
.LBB31_192:                             ;   in Loop: Header=BB31_110 Depth=2
	s_or_b64 exec, exec, s[2:3]
	v_readlane_b32 s10, v167, 52
	v_readlane_b32 s11, v167, 53
	s_waitcnt lgkmcnt(0)
	s_barrier
	s_and_saveexec_b64 s[2:3], s[10:11]
	s_cbranch_execz .LBB31_194
; %bb.193:                              ;   in Loop: Header=BB31_110 Depth=2
	ds_read_b64 v[68:69], v120 offset:8448
	v_readlane_b32 s10, v167, 54
	v_readlane_b32 s11, v167, 55
	s_waitcnt lgkmcnt(0)
	v_mov_b32_dpp v48, v68 row_shr:1 row_mask:0xf bank_mask:0xf
	v_mov_b32_dpp v51, v69 row_shr:1 row_mask:0xf bank_mask:0xf
	v_fma_f32 v51, v68, v51, v69
	v_mul_f32_e32 v48, v68, v48
	v_cndmask_b32_e64 v68, v48, v68, s[10:11]
	v_cndmask_b32_e64 v69, v51, v69, s[10:11]
	ds_write_b64 v120, v[68:69] offset:8448
.LBB31_194:                             ;   in Loop: Header=BB31_110 Depth=2
	s_or_b64 exec, exec, s[2:3]
	s_waitcnt lgkmcnt(0)
	s_barrier
	s_waitcnt lgkmcnt(0)
                                        ; implicit-def: $vgpr68
	s_and_saveexec_b64 s[2:3], s[20:21]
	s_cbranch_execz .LBB31_196
; %bb.195:                              ;   in Loop: Header=BB31_110 Depth=2
	ds_read_b64 v[68:69], v119 offset:8440
	s_waitcnt lgkmcnt(0)
	v_mul_f32_e32 v48, v66, v68
	v_fmac_f32_e32 v8, v66, v69
	v_mov_b32_e32 v66, v48
.LBB31_196:                             ;   in Loop: Header=BB31_110 Depth=2
	s_or_b64 exec, exec, s[2:3]
	ds_bpermute_b32 v60, v121, v66
	ds_bpermute_b32 v8, v121, v8
	v_readlane_b32 s10, v167, 56
	v_readlane_b32 s11, v167, 57
	s_and_saveexec_b64 s[2:3], s[10:11]
	s_cbranch_execz .LBB31_200
; %bb.197:                              ;   in Loop: Header=BB31_110 Depth=2
	ds_read_b64 v[66:67], v17 offset:8456
	s_and_saveexec_b64 vcc, s[22:23]
	s_cbranch_execz .LBB31_199
; %bb.198:                              ;   in Loop: Header=BB31_110 Depth=2
	v_mov_b32_e32 v51, v49
	ds_write_b64 v17, v[50:51] offset:8456
.LBB31_199:                             ;   in Loop: Header=BB31_110 Depth=2
	s_or_b64 exec, exec, vcc
	s_waitcnt lgkmcnt(0)
	v_mul_f32_e32 v51, v66, v49
	v_pk_add_f32 v[48:49], v[50:51], v[66:67]
	v_mul_f32_e32 v50, v50, v66
.LBB31_200:                             ;   in Loop: Header=BB31_110 Depth=2
	s_or_b64 exec, exec, s[2:3]
	s_waitcnt lgkmcnt(0)
	s_barrier
	ds_read_b32 v48, v17 offset:8460
	s_and_saveexec_b64 s[2:3], s[22:23]
	s_cbranch_execz .LBB31_109
; %bb.201:                              ;   in Loop: Header=BB31_110 Depth=2
	v_mov_b32_e32 v51, v49
	v_mov_b32_e32 v63, s9
	s_andn2_b64 vcc, exec, s[96:97]
	ds_write_b64 v63, v[50:51]
	s_cbranch_vccnz .LBB31_109
; %bb.202:                              ;   in Loop: Header=BB31_110 Depth=2
	v_bfe_u32 v50, v49, 16, 1
	s_movk_i32 s5, 0x7fff
	v_add3_u32 v50, v49, v50, s5
	s_mov_b32 s5, s7
	s_lshl_b64 s[10:11], s[4:5], 1
	v_readlane_b32 s5, v167, 28
	v_lshrrev_b32_e32 v50, 16, v50
	v_cmp_o_f32_e32 vcc, v49, v49
	s_add_u32 s10, s5, s10
	v_readlane_b32 s5, v167, 29
	v_cndmask_b32_e32 v49, v141, v50, vcc
	s_addc_u32 s11, s5, s11
	global_store_short v17, v49, s[10:11]
	s_branch .LBB31_109
.LBB31_203:                             ;   in Loop: Header=BB31_13 Depth=1
	s_mov_b32 s6, 0x41a00000
	s_mov_b32 s8, 0x3fb8aa3b
	;; [unrolled: 1-line block ×8, first 2 shown]
.LBB31_204:                             ;   in Loop: Header=BB31_13 Depth=1
	v_bfe_u32 v0, v42, 16, 1
	s_movk_i32 s2, 0x7fff
	v_bfe_u32 v1, v43, 16, 1
	v_add3_u32 v0, v42, v0, s2
	v_bfe_u32 v2, v40, 16, 1
	v_add3_u32 v1, v43, v1, s2
	v_lshrrev_b32_e32 v0, 16, v0
	v_cmp_o_f32_e32 vcc, v42, v42
	v_bfe_u32 v3, v41, 16, 1
	v_add3_u32 v2, v40, v2, s2
	v_lshrrev_b32_e32 v1, 16, v1
	v_cndmask_b32_e32 v0, v141, v0, vcc
	v_cmp_o_f32_e32 vcc, v43, v43
	v_add3_u32 v3, v41, v3, s2
	v_lshrrev_b32_e32 v2, 16, v2
	v_cndmask_b32_e32 v4, v141, v1, vcc
	v_cmp_o_f32_e32 vcc, v40, v40
	v_lshrrev_b32_e32 v3, 16, v3
	v_bfe_u32 v6, v36, 16, 1
	v_cndmask_b32_e32 v1, v141, v2, vcc
	v_cmp_o_f32_e32 vcc, v41, v41
	v_bfe_u32 v2, v38, 16, 1
	v_add3_u32 v2, v38, v2, s2
	v_cndmask_b32_e32 v5, v141, v3, vcc
	v_bfe_u32 v3, v39, 16, 1
	v_add3_u32 v3, v39, v3, s2
	v_lshrrev_b32_e32 v2, 16, v2
	v_cmp_o_f32_e32 vcc, v38, v38
	v_bfe_u32 v7, v37, 16, 1
	v_add3_u32 v6, v36, v6, s2
	v_lshrrev_b32_e32 v3, 16, v3
	v_cndmask_b32_e32 v2, v141, v2, vcc
	v_cmp_o_f32_e32 vcc, v39, v39
	v_add3_u32 v7, v37, v7, s2
	v_lshrrev_b32_e32 v6, 16, v6
	v_cndmask_b32_e32 v8, v141, v3, vcc
	v_cmp_o_f32_e32 vcc, v36, v36
	v_lshrrev_b32_e32 v7, 16, v7
	s_mov_b32 s3, 0x5040100
	v_cndmask_b32_e32 v3, v141, v6, vcc
	v_cmp_o_f32_e32 vcc, v37, v37
	v_perm_b32 v2, v8, v2, s3
	v_perm_b32 v1, v5, v1, s3
	v_cndmask_b32_e32 v6, v141, v7, vcc
	v_perm_b32 v3, v6, v3, s3
	v_perm_b32 v0, v4, v0, s3
	s_barrier
	ds_write_b128 v102, v[0:3]
	v_bfe_u32 v0, v34, 16, 1
	v_bfe_u32 v1, v35, 16, 1
	v_add3_u32 v0, v34, v0, s2
	v_bfe_u32 v2, v32, 16, 1
	v_add3_u32 v1, v35, v1, s2
	v_lshrrev_b32_e32 v0, 16, v0
	v_cmp_o_f32_e32 vcc, v34, v34
	v_bfe_u32 v3, v33, 16, 1
	v_add3_u32 v2, v32, v2, s2
	v_lshrrev_b32_e32 v1, 16, v1
	v_cndmask_b32_e32 v0, v141, v0, vcc
	v_cmp_o_f32_e32 vcc, v35, v35
	v_add3_u32 v3, v33, v3, s2
	v_lshrrev_b32_e32 v2, 16, v2
	v_cndmask_b32_e32 v4, v141, v1, vcc
	v_cmp_o_f32_e32 vcc, v32, v32
	v_lshrrev_b32_e32 v3, 16, v3
	v_bfe_u32 v6, v28, 16, 1
	v_cndmask_b32_e32 v1, v141, v2, vcc
	v_cmp_o_f32_e32 vcc, v33, v33
	v_bfe_u32 v2, v30, 16, 1
	v_add3_u32 v2, v30, v2, s2
	v_cndmask_b32_e32 v5, v141, v3, vcc
	v_bfe_u32 v3, v31, 16, 1
	v_add3_u32 v3, v31, v3, s2
	v_lshrrev_b32_e32 v2, 16, v2
	v_cmp_o_f32_e32 vcc, v30, v30
	v_bfe_u32 v7, v29, 16, 1
	v_add3_u32 v6, v28, v6, s2
	v_lshrrev_b32_e32 v3, 16, v3
	v_cndmask_b32_e32 v2, v141, v2, vcc
	v_cmp_o_f32_e32 vcc, v31, v31
	v_add3_u32 v7, v29, v7, s2
	v_lshrrev_b32_e32 v6, 16, v6
	v_cndmask_b32_e32 v8, v141, v3, vcc
	v_cmp_o_f32_e32 vcc, v28, v28
	v_lshrrev_b32_e32 v7, 16, v7
	v_perm_b32 v2, v8, v2, s3
	v_cndmask_b32_e32 v3, v141, v6, vcc
	v_cmp_o_f32_e32 vcc, v29, v29
	v_perm_b32 v1, v5, v1, s3
	v_perm_b32 v0, v4, v0, s3
	v_cndmask_b32_e32 v6, v141, v7, vcc
	v_perm_b32 v3, v6, v3, s3
	ds_write_b128 v102, v[0:3] offset:16
	; wave barrier
	ds_read_u16 v16, v87 offset:128
	ds_read_u16 v15, v88 offset:256
	;; [unrolled: 1-line block ×15, first 2 shown]
	v_readlane_b32 s2, v167, 60
	v_readlane_b32 s3, v167, 61
	s_mov_b32 s3, s7
	s_nop 0
	v_lshl_add_u64 v[0:1], s[2:3], 1, v[20:21]
	s_and_saveexec_b64 s[2:3], s[26:27]
	s_cbranch_execz .LBB31_206
; %bb.205:                              ;   in Loop: Header=BB31_13 Depth=1
	ds_read_u16 v23, v86
	s_waitcnt lgkmcnt(0)
	global_store_short v[0:1], v23, off
.LBB31_206:                             ;   in Loop: Header=BB31_13 Depth=1
	s_or_b64 exec, exec, s[2:3]
	s_and_saveexec_b64 s[2:3], s[28:29]
	v_readlane_b32 s10, v167, 62
	v_readlane_b32 s11, v167, 63
	s_cbranch_execnz .LBB31_223
; %bb.207:                              ;   in Loop: Header=BB31_13 Depth=1
	s_or_b64 exec, exec, s[2:3]
	s_and_saveexec_b64 s[2:3], s[30:31]
	s_cbranch_execnz .LBB31_224
.LBB31_208:                             ;   in Loop: Header=BB31_13 Depth=1
	s_or_b64 exec, exec, s[2:3]
	s_and_saveexec_b64 s[2:3], s[34:35]
	s_cbranch_execnz .LBB31_225
.LBB31_209:                             ;   in Loop: Header=BB31_13 Depth=1
	s_or_b64 exec, exec, s[2:3]
	s_and_saveexec_b64 s[2:3], s[36:37]
	s_cbranch_execnz .LBB31_226
.LBB31_210:                             ;   in Loop: Header=BB31_13 Depth=1
	s_or_b64 exec, exec, s[2:3]
	s_and_saveexec_b64 s[2:3], s[38:39]
	s_cbranch_execnz .LBB31_227
.LBB31_211:                             ;   in Loop: Header=BB31_13 Depth=1
	s_or_b64 exec, exec, s[2:3]
	s_and_saveexec_b64 s[2:3], s[40:41]
	s_cbranch_execnz .LBB31_228
.LBB31_212:                             ;   in Loop: Header=BB31_13 Depth=1
	s_or_b64 exec, exec, s[2:3]
	s_and_saveexec_b64 s[2:3], s[42:43]
	s_cbranch_execnz .LBB31_229
.LBB31_213:                             ;   in Loop: Header=BB31_13 Depth=1
	s_or_b64 exec, exec, s[2:3]
	s_and_saveexec_b64 s[2:3], s[44:45]
	s_cbranch_execnz .LBB31_230
.LBB31_214:                             ;   in Loop: Header=BB31_13 Depth=1
	s_or_b64 exec, exec, s[2:3]
	s_and_saveexec_b64 s[2:3], s[46:47]
	s_cbranch_execnz .LBB31_231
.LBB31_215:                             ;   in Loop: Header=BB31_13 Depth=1
	s_or_b64 exec, exec, s[2:3]
	s_and_saveexec_b64 s[2:3], s[48:49]
	s_cbranch_execnz .LBB31_232
.LBB31_216:                             ;   in Loop: Header=BB31_13 Depth=1
	s_or_b64 exec, exec, s[2:3]
	s_and_saveexec_b64 s[2:3], s[50:51]
	s_cbranch_execnz .LBB31_233
.LBB31_217:                             ;   in Loop: Header=BB31_13 Depth=1
	s_or_b64 exec, exec, s[2:3]
	s_and_saveexec_b64 s[2:3], s[52:53]
	s_cbranch_execnz .LBB31_234
.LBB31_218:                             ;   in Loop: Header=BB31_13 Depth=1
	s_or_b64 exec, exec, s[2:3]
	s_and_saveexec_b64 s[2:3], s[54:55]
	s_cbranch_execnz .LBB31_235
.LBB31_219:                             ;   in Loop: Header=BB31_13 Depth=1
	s_or_b64 exec, exec, s[2:3]
	s_and_saveexec_b64 s[2:3], s[56:57]
	s_cbranch_execnz .LBB31_236
.LBB31_220:                             ;   in Loop: Header=BB31_13 Depth=1
	s_or_b64 exec, exec, s[2:3]
	s_and_saveexec_b64 s[2:3], s[58:59]
	s_cbranch_execz .LBB31_12
	s_branch .LBB31_237
.LBB31_221:                             ;   in Loop: Header=BB31_13 Depth=1
	global_load_ushort v32, v[8:9], off offset:1664
	s_or_b64 exec, exec, s[2:3]
	s_and_saveexec_b64 s[2:3], s[56:57]
	s_cbranch_execz .LBB31_73
.LBB31_222:                             ;   in Loop: Header=BB31_13 Depth=1
	global_load_ushort v31, v[8:9], off offset:1792
	s_or_b64 exec, exec, s[2:3]
	v_mov_b32_e32 v33, 0
	s_and_saveexec_b64 s[2:3], s[58:59]
	s_cbranch_execnz .LBB31_74
	s_branch .LBB31_75
.LBB31_223:                             ;   in Loop: Header=BB31_13 Depth=1
	s_waitcnt lgkmcnt(14)
	global_store_short v[0:1], v16, off offset:128
	s_or_b64 exec, exec, s[2:3]
	s_and_saveexec_b64 s[2:3], s[30:31]
	s_cbranch_execz .LBB31_208
.LBB31_224:                             ;   in Loop: Header=BB31_13 Depth=1
	s_waitcnt lgkmcnt(13)
	global_store_short v[0:1], v15, off offset:256
	s_or_b64 exec, exec, s[2:3]
	s_and_saveexec_b64 s[2:3], s[34:35]
	s_cbranch_execz .LBB31_209
.LBB31_225:                             ;   in Loop: Header=BB31_13 Depth=1
	s_waitcnt lgkmcnt(12)
	global_store_short v[0:1], v14, off offset:384
	s_or_b64 exec, exec, s[2:3]
	s_and_saveexec_b64 s[2:3], s[36:37]
	s_cbranch_execz .LBB31_210
.LBB31_226:                             ;   in Loop: Header=BB31_13 Depth=1
	s_waitcnt lgkmcnt(11)
	global_store_short v[0:1], v13, off offset:512
	s_or_b64 exec, exec, s[2:3]
	s_and_saveexec_b64 s[2:3], s[38:39]
	s_cbranch_execz .LBB31_211
.LBB31_227:                             ;   in Loop: Header=BB31_13 Depth=1
	s_waitcnt lgkmcnt(10)
	global_store_short v[0:1], v12, off offset:640
	s_or_b64 exec, exec, s[2:3]
	s_and_saveexec_b64 s[2:3], s[40:41]
	s_cbranch_execz .LBB31_212
.LBB31_228:                             ;   in Loop: Header=BB31_13 Depth=1
	s_waitcnt lgkmcnt(9)
	global_store_short v[0:1], v11, off offset:768
	s_or_b64 exec, exec, s[2:3]
	s_and_saveexec_b64 s[2:3], s[42:43]
	s_cbranch_execz .LBB31_213
.LBB31_229:                             ;   in Loop: Header=BB31_13 Depth=1
	s_waitcnt lgkmcnt(8)
	global_store_short v[0:1], v10, off offset:896
	s_or_b64 exec, exec, s[2:3]
	s_and_saveexec_b64 s[2:3], s[44:45]
	s_cbranch_execz .LBB31_214
.LBB31_230:                             ;   in Loop: Header=BB31_13 Depth=1
	s_waitcnt lgkmcnt(7)
	global_store_short v[0:1], v9, off offset:1024
	s_or_b64 exec, exec, s[2:3]
	s_and_saveexec_b64 s[2:3], s[46:47]
	s_cbranch_execz .LBB31_215
.LBB31_231:                             ;   in Loop: Header=BB31_13 Depth=1
	s_waitcnt lgkmcnt(6)
	global_store_short v[0:1], v8, off offset:1152
	s_or_b64 exec, exec, s[2:3]
	s_and_saveexec_b64 s[2:3], s[48:49]
	s_cbranch_execz .LBB31_216
.LBB31_232:                             ;   in Loop: Header=BB31_13 Depth=1
	s_waitcnt lgkmcnt(5)
	global_store_short v[0:1], v7, off offset:1280
	s_or_b64 exec, exec, s[2:3]
	s_and_saveexec_b64 s[2:3], s[50:51]
	s_cbranch_execz .LBB31_217
.LBB31_233:                             ;   in Loop: Header=BB31_13 Depth=1
	s_waitcnt lgkmcnt(4)
	global_store_short v[0:1], v6, off offset:1408
	s_or_b64 exec, exec, s[2:3]
	s_and_saveexec_b64 s[2:3], s[52:53]
	s_cbranch_execz .LBB31_218
.LBB31_234:                             ;   in Loop: Header=BB31_13 Depth=1
	s_waitcnt lgkmcnt(3)
	global_store_short v[0:1], v5, off offset:1536
	s_or_b64 exec, exec, s[2:3]
	s_and_saveexec_b64 s[2:3], s[54:55]
	s_cbranch_execz .LBB31_219
.LBB31_235:                             ;   in Loop: Header=BB31_13 Depth=1
	s_waitcnt lgkmcnt(2)
	global_store_short v[0:1], v4, off offset:1664
	s_or_b64 exec, exec, s[2:3]
	s_and_saveexec_b64 s[2:3], s[56:57]
	s_cbranch_execz .LBB31_220
.LBB31_236:                             ;   in Loop: Header=BB31_13 Depth=1
	s_waitcnt lgkmcnt(1)
	global_store_short v[0:1], v3, off offset:1792
	s_or_b64 exec, exec, s[2:3]
	s_and_saveexec_b64 s[2:3], s[58:59]
	s_cbranch_execz .LBB31_12
.LBB31_237:                             ;   in Loop: Header=BB31_13 Depth=1
	s_waitcnt lgkmcnt(0)
	global_store_short v[0:1], v2, off offset:1920
	s_branch .LBB31_12
.LBB31_238:
	s_endpgm
	.section	.rodata,"a",@progbits
	.p2align	6, 0x0
	.amdhsa_kernel _Z25selective_scan_fwd_kernelI32Selective_Scan_fwd_kernel_traitsILi128ELi16ELi1ELb0ELb1ELb1ELb0ELb0EN3c108BFloat16EfS2_EEv13SSMParamsBase
		.amdhsa_group_segment_fixed_size 0
		.amdhsa_private_segment_fixed_size 0
		.amdhsa_kernarg_size 248
		.amdhsa_user_sgpr_count 2
		.amdhsa_user_sgpr_dispatch_ptr 0
		.amdhsa_user_sgpr_queue_ptr 0
		.amdhsa_user_sgpr_kernarg_segment_ptr 1
		.amdhsa_user_sgpr_dispatch_id 0
		.amdhsa_user_sgpr_kernarg_preload_length 0
		.amdhsa_user_sgpr_kernarg_preload_offset 0
		.amdhsa_user_sgpr_private_segment_size 0
		.amdhsa_uses_dynamic_stack 0
		.amdhsa_enable_private_segment 0
		.amdhsa_system_sgpr_workgroup_id_x 1
		.amdhsa_system_sgpr_workgroup_id_y 1
		.amdhsa_system_sgpr_workgroup_id_z 0
		.amdhsa_system_sgpr_workgroup_info 0
		.amdhsa_system_vgpr_workitem_id 0
		.amdhsa_next_free_vgpr 168
		.amdhsa_next_free_sgpr 100
		.amdhsa_accum_offset 168
		.amdhsa_reserve_vcc 1
		.amdhsa_float_round_mode_32 0
		.amdhsa_float_round_mode_16_64 0
		.amdhsa_float_denorm_mode_32 3
		.amdhsa_float_denorm_mode_16_64 3
		.amdhsa_dx10_clamp 1
		.amdhsa_ieee_mode 1
		.amdhsa_fp16_overflow 0
		.amdhsa_tg_split 0
		.amdhsa_exception_fp_ieee_invalid_op 0
		.amdhsa_exception_fp_denorm_src 0
		.amdhsa_exception_fp_ieee_div_zero 0
		.amdhsa_exception_fp_ieee_overflow 0
		.amdhsa_exception_fp_ieee_underflow 0
		.amdhsa_exception_fp_ieee_inexact 0
		.amdhsa_exception_int_div_zero 0
	.end_amdhsa_kernel
	.section	.text._Z25selective_scan_fwd_kernelI32Selective_Scan_fwd_kernel_traitsILi128ELi16ELi1ELb0ELb1ELb1ELb0ELb0EN3c108BFloat16EfS2_EEv13SSMParamsBase,"axG",@progbits,_Z25selective_scan_fwd_kernelI32Selective_Scan_fwd_kernel_traitsILi128ELi16ELi1ELb0ELb1ELb1ELb0ELb0EN3c108BFloat16EfS2_EEv13SSMParamsBase,comdat
.Lfunc_end31:
	.size	_Z25selective_scan_fwd_kernelI32Selective_Scan_fwd_kernel_traitsILi128ELi16ELi1ELb0ELb1ELb1ELb0ELb0EN3c108BFloat16EfS2_EEv13SSMParamsBase, .Lfunc_end31-_Z25selective_scan_fwd_kernelI32Selective_Scan_fwd_kernel_traitsILi128ELi16ELi1ELb0ELb1ELb1ELb0ELb0EN3c108BFloat16EfS2_EEv13SSMParamsBase
                                        ; -- End function
	.section	.AMDGPU.csdata,"",@progbits
; Kernel info:
; codeLenInByte = 20872
; NumSgprs: 106
; NumVgprs: 168
; NumAgprs: 0
; TotalNumVgprs: 168
; ScratchSize: 0
; MemoryBound: 0
; FloatMode: 240
; IeeeMode: 1
; LDSByteSize: 0 bytes/workgroup (compile time only)
; SGPRBlocks: 13
; VGPRBlocks: 20
; NumSGPRsForWavesPerEU: 106
; NumVGPRsForWavesPerEU: 168
; AccumOffset: 168
; Occupancy: 3
; WaveLimiterHint : 0
; COMPUTE_PGM_RSRC2:SCRATCH_EN: 0
; COMPUTE_PGM_RSRC2:USER_SGPR: 2
; COMPUTE_PGM_RSRC2:TRAP_HANDLER: 0
; COMPUTE_PGM_RSRC2:TGID_X_EN: 1
; COMPUTE_PGM_RSRC2:TGID_Y_EN: 1
; COMPUTE_PGM_RSRC2:TGID_Z_EN: 0
; COMPUTE_PGM_RSRC2:TIDIG_COMP_CNT: 0
; COMPUTE_PGM_RSRC3_GFX90A:ACCUM_OFFSET: 41
; COMPUTE_PGM_RSRC3_GFX90A:TG_SPLIT: 0
	.section	.text._Z25selective_scan_fwd_kernelI32Selective_Scan_fwd_kernel_traitsILi64ELi4ELi1ELb1ELb1ELb1ELb1ELb1EN3c108BFloat16EffEEv13SSMParamsBase,"axG",@progbits,_Z25selective_scan_fwd_kernelI32Selective_Scan_fwd_kernel_traitsILi64ELi4ELi1ELb1ELb1ELb1ELb1ELb1EN3c108BFloat16EffEEv13SSMParamsBase,comdat
	.protected	_Z25selective_scan_fwd_kernelI32Selective_Scan_fwd_kernel_traitsILi64ELi4ELi1ELb1ELb1ELb1ELb1ELb1EN3c108BFloat16EffEEv13SSMParamsBase ; -- Begin function _Z25selective_scan_fwd_kernelI32Selective_Scan_fwd_kernel_traitsILi64ELi4ELi1ELb1ELb1ELb1ELb1ELb1EN3c108BFloat16EffEEv13SSMParamsBase
	.globl	_Z25selective_scan_fwd_kernelI32Selective_Scan_fwd_kernel_traitsILi64ELi4ELi1ELb1ELb1ELb1ELb1ELb1EN3c108BFloat16EffEEv13SSMParamsBase
	.p2align	8
	.type	_Z25selective_scan_fwd_kernelI32Selective_Scan_fwd_kernel_traitsILi64ELi4ELi1ELb1ELb1ELb1ELb1ELb1EN3c108BFloat16EffEEv13SSMParamsBase,@function
_Z25selective_scan_fwd_kernelI32Selective_Scan_fwd_kernel_traitsILi64ELi4ELi1ELb1ELb1ELb1ELb1ELb1EN3c108BFloat16EffEEv13SSMParamsBase: ; @_Z25selective_scan_fwd_kernelI32Selective_Scan_fwd_kernel_traitsILi64ELi4ELi1ELb1ELb1ELb1ELb1ELb1EN3c108BFloat16EffEEv13SSMParamsBase
; %bb.0:
	s_load_dword s37, s[0:1], 0x18
	s_load_dwordx4 s[4:7], s[0:1], 0xe8
	s_load_dwordx8 s[20:27], s[0:1], 0xc8
	s_mov_b32 s34, s3
	s_ashr_i32 s3, s2, 31
	s_lshl_b64 s[8:9], s[2:3], 2
	s_waitcnt lgkmcnt(0)
	s_abs_i32 s36, s37
	v_cvt_f32_u32_e32 v1, s36
	s_add_u32 s28, s26, s8
	s_addc_u32 s29, s27, s9
	s_cmp_eq_u64 s[6:7], 0
	v_rcp_iflag_f32_e32 v1, v1
	s_nop 0
	v_mul_f32_e32 v1, 0x4f7ffffe, v1
	v_cvt_u32_f32_e32 v1, v1
	s_nop 0
	v_readfirstlane_b32 s56, v1
	s_cbranch_scc1 .LBB32_102
; %bb.1:
	s_add_u32 s6, s6, s2
	s_addc_u32 s7, s7, s3
	v_mov_b32_e32 v1, 0
	global_load_ubyte v1, v1, s[6:7]
	s_waitcnt vmcnt(0)
	v_and_b32_e32 v1, 1, v1
	v_cmp_eq_u32_e64 s[38:39], 1, v1
	s_load_dwordx2 s[6:7], s[0:1], 0x20
	s_cmp_eq_u64 s[4:5], 0
	s_cbranch_scc1 .LBB32_3
.LBB32_2:
	s_add_u32 s2, s4, s8
	s_addc_u32 s3, s5, s9
	s_load_dword s2, s[2:3], 0x0
	s_waitcnt lgkmcnt(0)
	s_ashr_i32 s3, s2, 31
.LBB32_3:
	s_waitcnt lgkmcnt(0)
	s_cmp_eq_u64 s[6:7], s[2:3]
	s_cbranch_scc1 .LBB32_101
; %bb.4:
	s_load_dwordx16 s[4:19], s[0:1], 0x88
	s_load_dwordx2 s[26:27], s[28:29], 0x0
	s_mov_b32 s33, 0
	s_mov_b32 s76, 0
	s_waitcnt lgkmcnt(0)
	s_cmp_eq_u64 s[10:11], 0
	s_cbranch_scc1 .LBB32_6
; %bb.5:
	s_ashr_i32 s35, s34, 31
	s_lshl_b64 s[28:29], s[34:35], 2
	s_add_u32 s10, s10, s28
	s_addc_u32 s11, s11, s29
	s_load_dword s76, s[10:11], 0x0
.LBB32_6:
	s_cmp_eq_u64 s[16:17], 0
	s_cbranch_scc1 .LBB32_8
; %bb.7:
	s_ashr_i32 s35, s34, 31
	s_lshl_b64 s[10:11], s[34:35], 2
	s_add_u32 s10, s16, s10
	s_addc_u32 s11, s17, s11
	s_load_dword s33, s[10:11], 0x0
.LBB32_8:
	s_sub_i32 s77, s27, s26
	s_cmp_lt_i32 s77, 1
	s_cbranch_scc1 .LBB32_101
; %bb.9:
	s_sub_i32 s3, 0, s36
	s_mul_i32 s3, s3, s56
	s_mul_hi_u32 s3, s56, s3
	s_abs_i32 s16, s34
	s_add_i32 s56, s56, s3
	s_load_dwordx8 s[40:47], s[0:1], 0x2c
	s_load_dwordx2 s[10:11], s[0:1], 0x7c
	s_load_dwordx4 s[28:31], s[0:1], 0x6c
	s_load_dwordx8 s[48:55], s[0:1], 0x4c
	s_load_dword s78, s[0:1], 0x84
	s_mul_hi_u32 s3, s16, s56
	s_load_dword s79, s[0:1], 0xc
	s_load_dword s17, s[0:1], 0x28
	s_ashr_i32 s0, s34, 31
	s_ashr_i32 s1, s37, 31
	s_xor_b32 s0, s0, s1
	s_mul_i32 s1, s3, s36
	s_sub_i32 s1, s16, s1
	s_add_i32 s16, s3, 1
	s_sub_i32 s27, s1, s36
	s_cmp_ge_u32 s1, s36
	s_cselect_b32 s3, s16, s3
	s_cselect_b32 s1, s27, s1
	s_add_i32 s16, s3, 1
	s_cmp_ge_u32 s1, s36
	s_cselect_b32 s1, s16, s3
	s_xor_b32 s1, s1, s0
	s_waitcnt lgkmcnt(0)
	s_mul_i32 s56, s26, s50
	s_mov_b32 s57, 0
	s_sub_i32 s3, s1, s0
	s_lshl_b64 s[0:1], s[56:57], 1
	s_add_u32 s12, s12, s0
	s_mul_i32 s56, s51, s34
	s_addc_u32 s13, s13, s1
	s_lshl_b64 s[0:1], s[56:57], 1
	s_add_u32 s50, s12, s0
	s_mul_i32 s56, s26, s52
	s_addc_u32 s51, s13, s1
	;; [unrolled: 4-line block ×9, first 2 shown]
	s_lshl_b64 s[0:1], s[56:57], 2
	s_add_u32 s2, s20, s0
	s_mul_i32 s56, s11, s34
	v_mbcnt_lo_u32_b32 v2, -1, 0
	s_addc_u32 s3, s21, s1
	s_lshl_b64 s[0:1], s[56:57], 2
	v_mbcnt_hi_u32_b32 v2, -1, v2
	s_add_u32 s45, s2, s0
	v_lshrrev_b32_e32 v3, 5, v2
	s_addc_u32 s49, s3, s1
	s_add_i32 s0, s77, 0x7ff
	v_and_b32_e32 v3, 2, v3
	s_lshr_b32 s81, s0, 11
	v_add_u32_e32 v40, 64, v2
	v_or_b32_e32 v41, 0x80, v2
	v_add_u32_e32 v42, 0xc0, v2
	v_add_u32_e32 v3, v3, v2
	v_lshl_add_u32 v43, v3, 1, 0
	v_lshrrev_b32_e32 v3, 5, v40
	v_lshrrev_b32_e32 v4, 5, v41
	;; [unrolled: 1-line block ×3, first 2 shown]
	s_bitcmp1_b32 s17, 0
	v_and_b32_e32 v3, 6, v3
	v_and_b32_e32 v4, 6, v4
	;; [unrolled: 1-line block ×3, first 2 shown]
	s_cselect_b64 s[58:59], -1, 0
	s_cmp_gt_i32 s79, 0
	v_add_lshl_u32 v3, v3, v2, 1
	v_add_lshl_u32 v4, v4, v2, 1
	v_add_lshl_u32 v5, v5, v2, 1
	s_cselect_b64 s[60:61], -1, 0
	s_add_i32 s0, 0, 0x210
	s_mul_i32 s56, s26, s28
	v_add_u32_e32 v48, s0, v3
	v_add_u32_e32 v49, s0, v4
	;; [unrolled: 1-line block ×3, first 2 shown]
	s_and_b32 s2, s77, 0xff
	s_add_i32 s82, s81, -1
	s_lshl_b64 s[0:1], s[56:57], 1
	s_add_u32 s3, s18, s0
	s_mul_i32 s56, s29, s34
	s_addc_u32 s4, s19, s1
	s_lshl_b64 s[0:1], s[56:57], 1
	s_add_u32 s18, s3, s0
	s_mul_i32 s56, s26, s54
	s_addc_u32 s19, s4, s1
	;; [unrolled: 4-line block ×5, first 2 shown]
	s_lshl_b64 s[0:1], s[56:57], 1
	s_add_u32 s22, s3, s0
	v_add_u32_e32 v44, 0, v3
	s_addc_u32 s23, s4, s1
	v_and_b32_e32 v3, 15, v2
	s_cmp_eq_u32 s2, 0
	v_cmp_eq_u32_e64 s[0:1], 0, v3
	v_cmp_lt_u32_e64 s[2:3], 1, v3
	v_cmp_lt_u32_e64 s[4:5], 3, v3
	;; [unrolled: 1-line block ×3, first 2 shown]
	v_and_b32_e32 v3, 16, v2
	v_add_u32_e32 v45, 0, v4
	v_lshrrev_b32_e32 v6, 3, v2
	v_cmp_ne_u32_e64 s[8:9], 0, v3
	v_add_u32_e32 v3, -1, v2
	v_and_b32_e32 v4, 64, v2
	v_and_b32_e32 v6, 14, v6
	v_cmp_lt_i32_e32 vcc, v3, v4
	v_mov_b32_e32 v1, 0
	v_lshlrev_b32_e32 v11, 2, v0
	v_lshl_add_u32 v6, v2, 2, v6
	v_cmp_eq_u32_e64 s[12:13], 63, v0
	v_cndmask_b32_e32 v3, v3, v2, vcc
	v_cmp_gt_u32_e64 s[14:15], 64, v0
	v_cmp_eq_u32_e64 s[16:17], 0, v0
	v_lshlrev_b32_e32 v0, 1, v2
                                        ; implicit-def: $vgpr12
	v_add_u32_e32 v46, 0, v5
	v_lshl_add_u32 v47, v6, 1, 0
	s_cselect_b64 s[54:55], -1, 0
	v_cmp_lt_u32_e64 s[10:11], 31, v2
	v_lshlrev_b32_e32 v51, 2, v3
	v_lshl_add_u64 v[4:5], s[18:19], 0, v[0:1]
	v_lshl_add_u64 v[6:7], s[20:21], 0, v[0:1]
	;; [unrolled: 1-line block ×3, first 2 shown]
	v_or_b32_e32 v3, 1, v11
	v_or_b32_e32 v10, 2, v11
	;; [unrolled: 1-line block ×3, first 2 shown]
	v_lshlrev_b32_e32 v0, 1, v2
	s_mov_b32 s83, 0x41a00000
	s_mov_b32 s84, 0x3fb8aa3b
	s_mov_b32 s85, 0xc2ce8ed0
	s_mov_b32 s86, 0x42b17218
	s_mov_b32 s87, 0x7f800000
	s_mov_b32 s88, 0x3f2aaaab
	v_mov_b32_e32 v53, 0x3ecc95a3
	s_mov_b32 s89, 0x3f317218
	s_mov_b32 s90, 0x33800000
	s_add_i32 s91, 0, 0x428
	s_mov_b32 s92, 0xc2fc0000
	s_movk_i32 s93, 0x7fff
	s_mov_b32 s94, 0x5040100
	s_mov_b32 s95, 0xbfb8aa3b
	;; [unrolled: 1-line block ×4, first 2 shown]
	v_mov_b32_e32 v54, 0x7f800000
	v_mov_b32_e32 v12, 0x3f317218
	v_mov_b32_e32 v55, 0x42800000
	v_mov_b32_e32 v56, 0x1f800000
	v_mov_b32_e32 v57, 0x7fc0
	s_mov_b32 s98, 0
	s_branch .LBB32_11
.LBB32_10:                              ;   in Loop: Header=BB32_11 Depth=1
	s_or_b64 exec, exec, s[18:19]
	s_add_u32 s52, s52, 0x200
	s_addc_u32 s53, s53, 0
	s_add_u32 s50, s50, 0x200
	s_addc_u32 s51, s51, 0
	;; [unrolled: 2-line block ×4, first 2 shown]
	s_add_i32 s98, s98, 1
	s_cmp_lg_u32 s98, s81
	s_cbranch_scc0 .LBB32_101
.LBB32_11:                              ; =>This Loop Header: Depth=1
                                        ;     Child Loop BB32_36 Depth 2
	s_lshl_b32 s62, s98, 8
	s_sub_i32 s34, s77, s62
	v_lshl_add_u64 v[14:15], s[50:51], 0, v[0:1]
	v_cmp_gt_u32_e64 s[18:19], s34, v2
	s_waitcnt lgkmcnt(1)
	v_mov_b32_e32 v16, 0
	s_waitcnt lgkmcnt(0)
	; wave barrier
	s_and_saveexec_b64 s[20:21], s[18:19]
	s_cbranch_execz .LBB32_13
; %bb.12:                               ;   in Loop: Header=BB32_11 Depth=1
	global_load_ushort v16, v[14:15], off
.LBB32_13:                              ;   in Loop: Header=BB32_11 Depth=1
	s_or_b64 exec, exec, s[20:21]
	v_cmp_gt_u32_e64 s[20:21], s34, v40
	v_mov_b32_e32 v17, 0
	v_mov_b32_e32 v18, 0
	s_and_saveexec_b64 s[22:23], s[20:21]
	s_cbranch_execz .LBB32_15
; %bb.14:                               ;   in Loop: Header=BB32_11 Depth=1
	global_load_ushort v18, v[14:15], off offset:128
.LBB32_15:                              ;   in Loop: Header=BB32_11 Depth=1
	s_or_b64 exec, exec, s[22:23]
	v_cmp_gt_u32_e64 s[22:23], s34, v41
	s_and_saveexec_b64 s[24:25], s[22:23]
	s_cbranch_execz .LBB32_17
; %bb.16:                               ;   in Loop: Header=BB32_11 Depth=1
	global_load_ushort v17, v[14:15], off offset:256
.LBB32_17:                              ;   in Loop: Header=BB32_11 Depth=1
	s_or_b64 exec, exec, s[24:25]
	v_cmp_gt_u32_e64 s[24:25], s34, v42
	s_waitcnt lgkmcnt(0)
	v_mov_b32_e32 v13, 0
	v_mov_b32_e32 v19, 0
	s_and_saveexec_b64 s[26:27], s[24:25]
	s_cbranch_execz .LBB32_19
; %bb.18:                               ;   in Loop: Header=BB32_11 Depth=1
	global_load_ushort v19, v[14:15], off offset:384
.LBB32_19:                              ;   in Loop: Header=BB32_11 Depth=1
	s_or_b64 exec, exec, s[26:27]
	s_waitcnt vmcnt(0)
	ds_write_b16 v43, v16
	ds_write_b16 v44, v18 offset:128
	ds_write_b16 v45, v17 offset:256
	;; [unrolled: 1-line block ×3, first 2 shown]
	; wave barrier
	ds_read_b64 v[16:17], v47
	v_lshl_add_u64 v[14:15], s[52:53], 0, v[0:1]
	s_waitcnt lgkmcnt(0)
	; wave barrier
	s_waitcnt lgkmcnt(0)
	s_and_saveexec_b64 s[26:27], s[18:19]
	s_cbranch_execz .LBB32_21
; %bb.20:                               ;   in Loop: Header=BB32_11 Depth=1
	global_load_ushort v13, v[14:15], off
.LBB32_21:                              ;   in Loop: Header=BB32_11 Depth=1
	s_or_b64 exec, exec, s[26:27]
	v_mov_b32_e32 v18, 0
	v_mov_b32_e32 v19, 0
	s_and_saveexec_b64 s[26:27], s[20:21]
	s_cbranch_execnz .LBB32_92
; %bb.22:                               ;   in Loop: Header=BB32_11 Depth=1
	s_or_b64 exec, exec, s[26:27]
	s_and_saveexec_b64 s[26:27], s[22:23]
	s_cbranch_execnz .LBB32_93
.LBB32_23:                              ;   in Loop: Header=BB32_11 Depth=1
	s_or_b64 exec, exec, s[26:27]
	v_mov_b32_e32 v20, 0
	s_and_saveexec_b64 s[26:27], s[24:25]
	s_cbranch_execz .LBB32_25
.LBB32_24:                              ;   in Loop: Header=BB32_11 Depth=1
	global_load_ushort v20, v[14:15], off offset:384
.LBB32_25:                              ;   in Loop: Header=BB32_11 Depth=1
	s_or_b64 exec, exec, s[26:27]
	s_waitcnt vmcnt(0)
	ds_write_b16 v43, v13
	ds_write_b16 v44, v19 offset:128
	ds_write_b16 v45, v18 offset:256
	;; [unrolled: 1-line block ×3, first 2 shown]
	; wave barrier
	ds_read_b64 v[14:15], v47
	s_waitcnt lgkmcnt(0)
	v_lshlrev_b32_e32 v13, 16, v14
	v_add_f32_e32 v58, s33, v13
	v_cmp_ge_f32_e32 vcc, s83, v58
	s_and_b64 s[26:27], s[58:59], vcc
	s_and_saveexec_b64 s[28:29], s[26:27]
	s_cbranch_execz .LBB32_27
; %bb.26:                               ;   in Loop: Header=BB32_11 Depth=1
	v_mul_f32_e32 v13, 0x3fb8aa3b, v58
	v_rndne_f32_e32 v18, v13
	v_sub_f32_e32 v19, v13, v18
	v_fma_f32 v13, v58, s84, -v13
	v_fmac_f32_e32 v13, 0x32a5705f, v58
	v_add_f32_e32 v13, v19, v13
	v_cvt_i32_f32_e32 v18, v18
	v_exp_f32_e32 v13, v13
	v_cmp_ngt_f32_e32 vcc, s85, v58
	v_ldexp_f32 v13, v13, v18
	s_nop 0
	v_cndmask_b32_e32 v13, 0, v13, vcc
	v_cmp_nlt_f32_e32 vcc, s86, v58
	s_nop 1
	v_cndmask_b32_e32 v34, v54, v13, vcc
	v_add_f32_e32 v13, 1.0, v34
	v_add_f32_e32 v18, -1.0, v13
	v_sub_f32_e32 v19, v18, v13
	v_add_f32_e32 v19, 1.0, v19
	v_sub_f32_e32 v18, v34, v18
	v_add_f32_e32 v20, v18, v19
	v_frexp_mant_f32_e32 v21, v13
	v_cvt_f64_f32_e32 v[18:19], v13
	v_frexp_exp_i32_f64_e32 v18, v[18:19]
	v_cmp_gt_f32_e32 vcc, s88, v21
	v_cmp_gt_f32_e64 s[26:27], s90, v34
	s_nop 0
	v_subbrev_co_u32_e32 v26, vcc, 0, v18, vcc
	v_sub_u32_e32 v18, 0, v26
	v_ldexp_f32 v13, v13, v18
	v_ldexp_f32 v18, v20, v18
	v_add_f32_e32 v20, -1.0, v13
	v_add_f32_e32 v19, 1.0, v20
	v_sub_f32_e32 v19, v13, v19
	v_add_f32_e32 v21, v18, v19
	v_add_f32_e32 v19, 1.0, v13
	v_add_f32_e32 v22, -1.0, v19
	v_sub_f32_e32 v13, v13, v22
	v_add_f32_e32 v13, v18, v13
	v_add_f32_e32 v27, v19, v13
	v_rcp_f32_e32 v28, v27
	v_sub_f32_e32 v18, v19, v27
	v_add_f32_e32 v19, v20, v21
	v_add_f32_e32 v13, v13, v18
	v_mul_f32_e32 v30, v19, v28
	v_sub_f32_e32 v18, v20, v19
	v_mul_f32_e32 v20, v27, v30
	v_fma_f32 v22, v30, v27, -v20
	v_fmac_f32_e32 v22, v30, v13
	v_add_f32_e32 v29, v21, v18
	v_add_f32_e32 v18, v20, v22
	v_sub_f32_e32 v21, v19, v18
	v_pk_add_f32 v[24:25], v[18:19], v[20:21] neg_lo:[0,1] neg_hi:[0,1]
	v_mov_b32_e32 v23, v18
	v_pk_add_f32 v[18:19], v[24:25], v[22:23] neg_lo:[0,1] neg_hi:[0,1]
	v_cmp_eq_f32_e32 vcc, s87, v34
	v_add_f32_e32 v19, v29, v19
	v_add_f32_e32 v18, v18, v19
	;; [unrolled: 1-line block ×3, first 2 shown]
	v_mul_f32_e32 v29, v28, v19
	v_mul_f32_e32 v20, v27, v29
	v_fma_f32 v22, v29, v27, -v20
	v_fmac_f32_e32 v22, v29, v13
	v_sub_f32_e32 v13, v21, v19
	v_add_f32_e32 v13, v18, v13
	v_add_f32_e32 v18, v20, v22
	v_sub_f32_e32 v21, v19, v18
	v_pk_add_f32 v[24:25], v[18:19], v[20:21] neg_lo:[0,1] neg_hi:[0,1]
	v_mov_b32_e32 v23, v18
	v_pk_add_f32 v[18:19], v[24:25], v[22:23] neg_lo:[0,1] neg_hi:[0,1]
	s_or_b64 vcc, s[26:27], vcc
	v_add_f32_e32 v13, v13, v19
	v_add_f32_e32 v13, v18, v13
	;; [unrolled: 1-line block ×4, first 2 shown]
	v_sub_f32_e32 v18, v19, v30
	v_mul_f32_e32 v13, v28, v13
	v_sub_f32_e32 v18, v29, v18
	v_add_f32_e32 v20, v18, v13
	v_add_f32_e32 v22, v19, v20
	v_cvt_f32_i32_e32 v18, v26
	v_mul_f32_e32 v23, v22, v22
	v_sub_f32_e32 v19, v22, v19
	v_fmamk_f32 v13, v23, 0x3e9b6dac, v53
	v_sub_f32_e32 v19, v20, v19
	v_fmaak_f32 v13, v23, v13, 0x3f2aaada
	v_ldexp_f32 v24, v19, 1
	v_mul_f32_e32 v19, v22, v23
	v_ldexp_f32 v21, v22, 1
	v_pk_mul_f32 v[22:23], v[18:19], v[12:13]
	s_nop 0
	v_fma_f32 v20, v18, s89, -v22
	v_fmac_f32_e32 v20, 0xb102e308, v18
	v_pk_add_f32 v[18:19], v[22:23], v[20:21]
	s_nop 0
	v_sub_f32_e32 v13, v19, v21
	v_sub_f32_e32 v13, v23, v13
	v_add_f32_e32 v25, v24, v13
	v_mov_b32_e32 v24, v22
	v_pk_add_f32 v[22:23], v[18:19], v[22:23] neg_lo:[0,1] neg_hi:[0,1]
	v_pk_add_f32 v[26:27], v[18:19], v[24:25]
	v_mov_b32_e32 v21, v18
	v_mov_b32_e32 v23, v27
	v_pk_add_f32 v[28:29], v[20:21], v[22:23] neg_lo:[0,1] neg_hi:[0,1]
	v_pk_add_f32 v[20:21], v[20:21], v[22:23]
	v_mov_b32_e32 v24, v25
	v_mov_b32_e32 v22, v21
	v_pk_add_f32 v[30:31], v[22:23], v[18:19] neg_lo:[0,1] neg_hi:[0,1]
	v_mov_b32_e32 v20, v27
	v_mov_b32_e32 v13, v30
	v_pk_add_f32 v[32:33], v[26:27], v[12:13] neg_lo:[0,1] neg_hi:[0,1]
	v_mov_b32_e32 v26, v19
	v_mov_b32_e32 v27, v30
	;; [unrolled: 1-line block ×3, first 2 shown]
	v_pk_add_f32 v[20:21], v[20:21], v[26:27] neg_lo:[0,1] neg_hi:[0,1]
	v_mov_b32_e32 v25, v18
	v_pk_add_f32 v[18:19], v[24:25], v[20:21] neg_lo:[0,1] neg_hi:[0,1]
	v_mov_b32_e32 v32, v28
	v_pk_add_f32 v[20:21], v[32:33], v[18:19]
	s_nop 0
	v_mov_b32_e32 v24, v21
	v_pk_add_f32 v[24:25], v[20:21], v[24:25]
	s_nop 0
	v_pk_add_f32 v[22:23], v[22:23], v[24:25]
	v_mov_b32_e32 v19, v24
	v_mov_b32_e32 v21, v22
	v_pk_add_f32 v[26:27], v[20:21], v[28:29] neg_lo:[0,1] neg_hi:[0,1]
	s_nop 0
	v_sub_f32_e32 v13, v20, v26
	v_pk_add_f32 v[18:19], v[18:19], v[26:27] neg_lo:[0,1] neg_hi:[0,1]
	v_sub_f32_e32 v13, v28, v13
	v_add_f32_e32 v13, v18, v13
	v_add_f32_e32 v13, v13, v19
	;; [unrolled: 1-line block ×3, first 2 shown]
	v_cndmask_b32_e32 v58, v13, v34, vcc
.LBB32_27:                              ;   in Loop: Header=BB32_11 Depth=1
	s_or_b64 exec, exec, s[28:29]
	v_and_b32_e32 v13, 0xffff0000, v14
	v_add_f32_e32 v59, s33, v13
	v_cmp_ge_f32_e32 vcc, s83, v59
	s_and_b64 s[26:27], s[58:59], vcc
	s_and_saveexec_b64 s[28:29], s[26:27]
	s_cbranch_execz .LBB32_29
; %bb.28:                               ;   in Loop: Header=BB32_11 Depth=1
	v_mul_f32_e32 v13, 0x3fb8aa3b, v59
	v_rndne_f32_e32 v14, v13
	v_sub_f32_e32 v18, v13, v14
	v_fma_f32 v13, v59, s84, -v13
	v_fmac_f32_e32 v13, 0x32a5705f, v59
	v_add_f32_e32 v13, v18, v13
	v_cvt_i32_f32_e32 v14, v14
	v_exp_f32_e32 v13, v13
	v_cmp_ngt_f32_e32 vcc, s85, v59
	v_ldexp_f32 v13, v13, v14
	s_nop 0
	v_cndmask_b32_e32 v13, 0, v13, vcc
	v_cmp_nlt_f32_e32 vcc, s86, v59
	s_nop 1
	v_cndmask_b32_e32 v32, v54, v13, vcc
	v_add_f32_e32 v13, 1.0, v32
	v_add_f32_e32 v14, -1.0, v13
	v_sub_f32_e32 v18, v14, v13
	v_add_f32_e32 v18, 1.0, v18
	v_sub_f32_e32 v14, v32, v14
	v_add_f32_e32 v14, v14, v18
	v_frexp_mant_f32_e32 v20, v13
	v_cvt_f64_f32_e32 v[18:19], v13
	v_frexp_exp_i32_f64_e32 v18, v[18:19]
	v_cmp_gt_f32_e32 vcc, s88, v20
	v_cmp_gt_f32_e64 s[26:27], s90, v32
	s_nop 0
	v_subbrev_co_u32_e32 v26, vcc, 0, v18, vcc
	v_sub_u32_e32 v18, 0, v26
	v_ldexp_f32 v13, v13, v18
	v_ldexp_f32 v14, v14, v18
	v_add_f32_e32 v18, -1.0, v13
	v_add_f32_e32 v19, 1.0, v18
	v_sub_f32_e32 v19, v13, v19
	v_add_f32_e32 v20, v14, v19
	v_add_f32_e32 v19, 1.0, v13
	v_add_f32_e32 v21, -1.0, v19
	v_sub_f32_e32 v13, v13, v21
	v_add_f32_e32 v13, v14, v13
	v_add_f32_e32 v14, v19, v13
	v_rcp_f32_e32 v27, v14
	v_sub_f32_e32 v19, v19, v14
	v_add_f32_e32 v13, v13, v19
	v_add_f32_e32 v19, v18, v20
	v_sub_f32_e32 v18, v18, v19
	v_mul_f32_e32 v29, v19, v27
	v_add_f32_e32 v28, v20, v18
	v_mul_f32_e32 v20, v14, v29
	v_fma_f32 v22, v29, v14, -v20
	v_fmac_f32_e32 v22, v29, v13
	v_add_f32_e32 v18, v20, v22
	v_sub_f32_e32 v21, v19, v18
	v_pk_add_f32 v[24:25], v[18:19], v[20:21] neg_lo:[0,1] neg_hi:[0,1]
	v_mov_b32_e32 v23, v18
	v_pk_add_f32 v[18:19], v[24:25], v[22:23] neg_lo:[0,1] neg_hi:[0,1]
	v_cmp_eq_f32_e32 vcc, s87, v32
	v_add_f32_e32 v19, v28, v19
	v_add_f32_e32 v18, v18, v19
	;; [unrolled: 1-line block ×3, first 2 shown]
	v_mul_f32_e32 v28, v27, v19
	v_mul_f32_e32 v20, v14, v28
	v_fma_f32 v22, v28, v14, -v20
	v_fmac_f32_e32 v22, v28, v13
	v_sub_f32_e32 v13, v21, v19
	v_add_f32_e32 v13, v18, v13
	v_add_f32_e32 v18, v20, v22
	v_sub_f32_e32 v21, v19, v18
	v_pk_add_f32 v[24:25], v[18:19], v[20:21] neg_lo:[0,1] neg_hi:[0,1]
	v_mov_b32_e32 v23, v18
	v_pk_add_f32 v[18:19], v[24:25], v[22:23] neg_lo:[0,1] neg_hi:[0,1]
	v_add_f32_e32 v14, v29, v28
	v_add_f32_e32 v13, v13, v19
	;; [unrolled: 1-line block ×4, first 2 shown]
	v_sub_f32_e32 v18, v14, v29
	v_mul_f32_e32 v13, v27, v13
	v_sub_f32_e32 v18, v28, v18
	v_add_f32_e32 v19, v18, v13
	v_add_f32_e32 v20, v14, v19
	v_cvt_f32_i32_e32 v18, v26
	v_mul_f32_e32 v22, v20, v20
	v_fmamk_f32 v13, v22, 0x3e9b6dac, v53
	v_sub_f32_e32 v14, v20, v14
	v_fmaak_f32 v13, v22, v13, 0x3f2aaada
	v_sub_f32_e32 v14, v19, v14
	v_mul_f32_e32 v19, v20, v22
	v_pk_mul_f32 v[22:23], v[18:19], v[12:13]
	v_ldexp_f32 v21, v20, 1
	v_fma_f32 v20, v18, s89, -v22
	v_fmac_f32_e32 v20, 0xb102e308, v18
	v_pk_add_f32 v[18:19], v[22:23], v[20:21]
	v_ldexp_f32 v14, v14, 1
	v_sub_f32_e32 v13, v19, v21
	v_sub_f32_e32 v13, v23, v13
	v_add_f32_e32 v25, v14, v13
	v_mov_b32_e32 v24, v22
	v_pk_add_f32 v[22:23], v[18:19], v[22:23] neg_lo:[0,1] neg_hi:[0,1]
	v_pk_add_f32 v[26:27], v[18:19], v[24:25]
	v_mov_b32_e32 v21, v18
	v_mov_b32_e32 v23, v27
	v_pk_add_f32 v[28:29], v[20:21], v[22:23] neg_lo:[0,1] neg_hi:[0,1]
	v_pk_add_f32 v[20:21], v[20:21], v[22:23]
	s_or_b64 vcc, s[26:27], vcc
	v_mov_b32_e32 v14, v21
	v_pk_add_f32 v[22:23], v[14:15], v[18:19] neg_lo:[0,1] neg_hi:[0,1]
	v_mov_b32_e32 v20, v27
	v_mov_b32_e32 v13, v22
	v_pk_add_f32 v[30:31], v[26:27], v[12:13] neg_lo:[0,1] neg_hi:[0,1]
	v_mov_b32_e32 v26, v19
	v_mov_b32_e32 v27, v22
	;; [unrolled: 1-line block ×3, first 2 shown]
	v_pk_add_f32 v[20:21], v[20:21], v[26:27] neg_lo:[0,1] neg_hi:[0,1]
	v_mov_b32_e32 v22, v25
	v_mov_b32_e32 v23, v18
	v_pk_add_f32 v[18:19], v[22:23], v[20:21] neg_lo:[0,1] neg_hi:[0,1]
	v_mov_b32_e32 v30, v28
	v_pk_add_f32 v[20:21], v[30:31], v[18:19]
	s_nop 0
	v_mov_b32_e32 v22, v21
	v_pk_add_f32 v[22:23], v[20:21], v[22:23]
	s_nop 0
	v_pk_add_f32 v[24:25], v[14:15], v[22:23]
	v_mov_b32_e32 v19, v22
	v_mov_b32_e32 v21, v24
	v_pk_add_f32 v[26:27], v[20:21], v[28:29] neg_lo:[0,1] neg_hi:[0,1]
	s_nop 0
	v_sub_f32_e32 v13, v20, v26
	v_pk_add_f32 v[18:19], v[18:19], v[26:27] neg_lo:[0,1] neg_hi:[0,1]
	v_sub_f32_e32 v13, v28, v13
	v_add_f32_e32 v13, v18, v13
	v_add_f32_e32 v13, v13, v19
	;; [unrolled: 1-line block ×3, first 2 shown]
	v_cndmask_b32_e32 v59, v13, v32, vcc
.LBB32_29:                              ;   in Loop: Header=BB32_11 Depth=1
	s_or_b64 exec, exec, s[28:29]
	v_lshlrev_b32_e32 v13, 16, v15
	v_add_f32_e32 v19, s33, v13
	v_cmp_ge_f32_e32 vcc, s83, v19
	s_and_b64 s[26:27], s[58:59], vcc
	s_and_saveexec_b64 s[28:29], s[26:27]
	s_cbranch_execz .LBB32_31
; %bb.30:                               ;   in Loop: Header=BB32_11 Depth=1
	v_mul_f32_e32 v13, 0x3fb8aa3b, v19
	v_rndne_f32_e32 v14, v13
	v_sub_f32_e32 v18, v13, v14
	v_fma_f32 v13, v19, s84, -v13
	v_fmac_f32_e32 v13, 0x32a5705f, v19
	v_add_f32_e32 v13, v18, v13
	v_cvt_i32_f32_e32 v14, v14
	v_exp_f32_e32 v13, v13
	v_cmp_ngt_f32_e32 vcc, s85, v19
	v_ldexp_f32 v13, v13, v14
	s_nop 0
	v_cndmask_b32_e32 v13, 0, v13, vcc
	v_cmp_nlt_f32_e32 vcc, s86, v19
	s_nop 1
	v_cndmask_b32_e32 v32, v54, v13, vcc
	v_add_f32_e32 v13, 1.0, v32
	v_add_f32_e32 v14, -1.0, v13
	v_sub_f32_e32 v18, v14, v13
	v_add_f32_e32 v18, 1.0, v18
	v_sub_f32_e32 v14, v32, v14
	v_add_f32_e32 v14, v14, v18
	v_frexp_mant_f32_e32 v20, v13
	v_cvt_f64_f32_e32 v[18:19], v13
	v_frexp_exp_i32_f64_e32 v18, v[18:19]
	v_cmp_gt_f32_e32 vcc, s88, v20
	v_cmp_gt_f32_e64 s[26:27], s90, v32
	s_nop 0
	v_subbrev_co_u32_e32 v26, vcc, 0, v18, vcc
	v_sub_u32_e32 v18, 0, v26
	v_ldexp_f32 v13, v13, v18
	v_ldexp_f32 v14, v14, v18
	v_add_f32_e32 v18, -1.0, v13
	v_add_f32_e32 v19, 1.0, v18
	v_sub_f32_e32 v19, v13, v19
	v_add_f32_e32 v20, v14, v19
	v_add_f32_e32 v19, 1.0, v13
	v_add_f32_e32 v21, -1.0, v19
	v_sub_f32_e32 v13, v13, v21
	v_add_f32_e32 v13, v14, v13
	v_add_f32_e32 v14, v19, v13
	v_rcp_f32_e32 v27, v14
	v_sub_f32_e32 v19, v19, v14
	v_add_f32_e32 v13, v13, v19
	v_add_f32_e32 v19, v18, v20
	v_sub_f32_e32 v18, v18, v19
	v_mul_f32_e32 v29, v19, v27
	v_add_f32_e32 v28, v20, v18
	v_mul_f32_e32 v20, v14, v29
	v_fma_f32 v22, v29, v14, -v20
	v_fmac_f32_e32 v22, v29, v13
	v_add_f32_e32 v18, v20, v22
	v_sub_f32_e32 v21, v19, v18
	v_pk_add_f32 v[24:25], v[18:19], v[20:21] neg_lo:[0,1] neg_hi:[0,1]
	v_mov_b32_e32 v23, v18
	v_pk_add_f32 v[18:19], v[24:25], v[22:23] neg_lo:[0,1] neg_hi:[0,1]
	v_cmp_eq_f32_e32 vcc, s87, v32
	v_add_f32_e32 v19, v28, v19
	v_add_f32_e32 v18, v18, v19
	;; [unrolled: 1-line block ×3, first 2 shown]
	v_mul_f32_e32 v28, v27, v19
	v_mul_f32_e32 v20, v14, v28
	v_fma_f32 v22, v28, v14, -v20
	v_fmac_f32_e32 v22, v28, v13
	v_sub_f32_e32 v13, v21, v19
	v_add_f32_e32 v13, v18, v13
	v_add_f32_e32 v18, v20, v22
	v_sub_f32_e32 v21, v19, v18
	v_pk_add_f32 v[24:25], v[18:19], v[20:21] neg_lo:[0,1] neg_hi:[0,1]
	v_mov_b32_e32 v23, v18
	v_pk_add_f32 v[18:19], v[24:25], v[22:23] neg_lo:[0,1] neg_hi:[0,1]
	v_add_f32_e32 v14, v29, v28
	v_add_f32_e32 v13, v13, v19
	;; [unrolled: 1-line block ×4, first 2 shown]
	v_sub_f32_e32 v18, v14, v29
	v_mul_f32_e32 v13, v27, v13
	v_sub_f32_e32 v18, v28, v18
	v_add_f32_e32 v19, v18, v13
	v_add_f32_e32 v20, v14, v19
	v_cvt_f32_i32_e32 v18, v26
	v_mul_f32_e32 v22, v20, v20
	v_fmamk_f32 v13, v22, 0x3e9b6dac, v53
	v_sub_f32_e32 v14, v20, v14
	v_fmaak_f32 v13, v22, v13, 0x3f2aaada
	v_sub_f32_e32 v14, v19, v14
	v_mul_f32_e32 v19, v20, v22
	v_pk_mul_f32 v[22:23], v[18:19], v[12:13]
	v_ldexp_f32 v21, v20, 1
	v_fma_f32 v20, v18, s89, -v22
	v_fmac_f32_e32 v20, 0xb102e308, v18
	v_pk_add_f32 v[18:19], v[22:23], v[20:21]
	v_ldexp_f32 v14, v14, 1
	v_sub_f32_e32 v13, v19, v21
	v_sub_f32_e32 v13, v23, v13
	v_add_f32_e32 v25, v14, v13
	v_mov_b32_e32 v24, v22
	v_pk_add_f32 v[22:23], v[18:19], v[22:23] neg_lo:[0,1] neg_hi:[0,1]
	v_pk_add_f32 v[26:27], v[18:19], v[24:25]
	v_mov_b32_e32 v21, v18
	v_mov_b32_e32 v23, v27
	v_pk_add_f32 v[28:29], v[20:21], v[22:23] neg_lo:[0,1] neg_hi:[0,1]
	v_pk_add_f32 v[20:21], v[20:21], v[22:23]
	s_or_b64 vcc, s[26:27], vcc
	v_mov_b32_e32 v14, v21
	v_pk_add_f32 v[22:23], v[14:15], v[18:19] neg_lo:[0,1] neg_hi:[0,1]
	v_mov_b32_e32 v20, v27
	v_mov_b32_e32 v13, v22
	v_pk_add_f32 v[30:31], v[26:27], v[12:13] neg_lo:[0,1] neg_hi:[0,1]
	v_mov_b32_e32 v26, v19
	v_mov_b32_e32 v27, v22
	;; [unrolled: 1-line block ×3, first 2 shown]
	v_pk_add_f32 v[20:21], v[20:21], v[26:27] neg_lo:[0,1] neg_hi:[0,1]
	v_mov_b32_e32 v22, v25
	v_mov_b32_e32 v23, v18
	v_pk_add_f32 v[18:19], v[22:23], v[20:21] neg_lo:[0,1] neg_hi:[0,1]
	v_mov_b32_e32 v30, v28
	v_pk_add_f32 v[20:21], v[30:31], v[18:19]
	s_nop 0
	v_mov_b32_e32 v22, v21
	v_pk_add_f32 v[22:23], v[20:21], v[22:23]
	s_nop 0
	v_pk_add_f32 v[24:25], v[14:15], v[22:23]
	v_mov_b32_e32 v19, v22
	v_mov_b32_e32 v21, v24
	v_pk_add_f32 v[26:27], v[20:21], v[28:29] neg_lo:[0,1] neg_hi:[0,1]
	s_nop 0
	v_sub_f32_e32 v13, v20, v26
	v_pk_add_f32 v[18:19], v[18:19], v[26:27] neg_lo:[0,1] neg_hi:[0,1]
	v_sub_f32_e32 v13, v28, v13
	v_add_f32_e32 v13, v18, v13
	v_add_f32_e32 v13, v13, v19
	;; [unrolled: 1-line block ×3, first 2 shown]
	v_cndmask_b32_e32 v19, v13, v32, vcc
.LBB32_31:                              ;   in Loop: Header=BB32_11 Depth=1
	s_or_b64 exec, exec, s[28:29]
	v_and_b32_e32 v13, 0xffff0000, v15
	v_add_f32_e32 v18, s33, v13
	v_cmp_ge_f32_e32 vcc, s83, v18
	s_and_b64 s[26:27], s[58:59], vcc
	s_and_saveexec_b64 s[28:29], s[26:27]
	s_cbranch_execz .LBB32_33
; %bb.32:                               ;   in Loop: Header=BB32_11 Depth=1
	v_mul_f32_e32 v13, 0x3fb8aa3b, v18
	v_rndne_f32_e32 v14, v13
	v_sub_f32_e32 v15, v13, v14
	v_fma_f32 v13, v18, s84, -v13
	v_fmac_f32_e32 v13, 0x32a5705f, v18
	v_add_f32_e32 v13, v15, v13
	v_cvt_i32_f32_e32 v14, v14
	v_exp_f32_e32 v13, v13
	v_cmp_ngt_f32_e32 vcc, s85, v18
	v_ldexp_f32 v13, v13, v14
	s_nop 0
	v_cndmask_b32_e32 v13, 0, v13, vcc
	v_cmp_nlt_f32_e32 vcc, s86, v18
	s_nop 1
	v_cndmask_b32_e32 v32, v54, v13, vcc
	v_add_f32_e32 v13, 1.0, v32
	v_add_f32_e32 v14, -1.0, v13
	v_sub_f32_e32 v15, v14, v13
	v_add_f32_e32 v15, 1.0, v15
	v_sub_f32_e32 v14, v32, v14
	v_add_f32_e32 v18, v14, v15
	v_frexp_mant_f32_e32 v20, v13
	v_cvt_f64_f32_e32 v[14:15], v13
	v_frexp_exp_i32_f64_e32 v14, v[14:15]
	v_cmp_gt_f32_e32 vcc, s88, v20
	v_cmp_gt_f32_e64 s[26:27], s90, v32
	s_nop 0
	v_subbrev_co_u32_e32 v26, vcc, 0, v14, vcc
	v_sub_u32_e32 v14, 0, v26
	v_ldexp_f32 v13, v13, v14
	v_ldexp_f32 v14, v18, v14
	v_add_f32_e32 v18, -1.0, v13
	v_add_f32_e32 v15, 1.0, v18
	v_sub_f32_e32 v15, v13, v15
	v_add_f32_e32 v20, v14, v15
	v_add_f32_e32 v15, 1.0, v13
	v_add_f32_e32 v21, -1.0, v15
	v_sub_f32_e32 v13, v13, v21
	v_add_f32_e32 v13, v14, v13
	v_add_f32_e32 v27, v15, v13
	v_rcp_f32_e32 v28, v27
	v_sub_f32_e32 v14, v15, v27
	v_add_f32_e32 v15, v18, v20
	v_add_f32_e32 v13, v13, v14
	v_sub_f32_e32 v14, v18, v15
	v_mul_f32_e32 v29, v15, v28
	v_add_f32_e32 v18, v20, v14
	v_mul_f32_e32 v20, v27, v29
	v_fma_f32 v22, v29, v27, -v20
	v_fmac_f32_e32 v22, v29, v13
	v_add_f32_e32 v14, v20, v22
	v_sub_f32_e32 v21, v15, v14
	v_pk_add_f32 v[24:25], v[14:15], v[20:21] neg_lo:[0,1] neg_hi:[0,1]
	v_mov_b32_e32 v23, v14
	v_pk_add_f32 v[14:15], v[24:25], v[22:23] neg_lo:[0,1] neg_hi:[0,1]
	v_cmp_eq_f32_e32 vcc, s87, v32
	v_add_f32_e32 v15, v18, v15
	v_add_f32_e32 v14, v14, v15
	;; [unrolled: 1-line block ×3, first 2 shown]
	v_mul_f32_e32 v18, v28, v15
	v_mul_f32_e32 v20, v27, v18
	v_fma_f32 v22, v18, v27, -v20
	v_fmac_f32_e32 v22, v18, v13
	v_sub_f32_e32 v13, v21, v15
	v_add_f32_e32 v13, v14, v13
	v_add_f32_e32 v14, v20, v22
	v_sub_f32_e32 v21, v15, v14
	v_pk_add_f32 v[24:25], v[14:15], v[20:21] neg_lo:[0,1] neg_hi:[0,1]
	v_mov_b32_e32 v23, v14
	v_pk_add_f32 v[14:15], v[24:25], v[22:23] neg_lo:[0,1] neg_hi:[0,1]
	s_or_b64 vcc, s[26:27], vcc
	v_add_f32_e32 v13, v13, v15
	v_add_f32_e32 v13, v14, v13
	;; [unrolled: 1-line block ×4, first 2 shown]
	v_sub_f32_e32 v14, v15, v29
	v_mul_f32_e32 v13, v28, v13
	v_sub_f32_e32 v14, v18, v14
	v_add_f32_e32 v18, v14, v13
	v_add_f32_e32 v20, v15, v18
	v_cvt_f32_i32_e32 v14, v26
	v_mul_f32_e32 v22, v20, v20
	v_sub_f32_e32 v15, v20, v15
	v_fmamk_f32 v13, v22, 0x3e9b6dac, v53
	v_sub_f32_e32 v15, v18, v15
	v_fmaak_f32 v13, v22, v13, 0x3f2aaada
	v_ldexp_f32 v18, v15, 1
	v_mul_f32_e32 v15, v20, v22
	v_pk_mul_f32 v[22:23], v[14:15], v[12:13]
	v_ldexp_f32 v21, v20, 1
	v_fma_f32 v20, v14, s89, -v22
	v_fmac_f32_e32 v20, 0xb102e308, v14
	v_pk_add_f32 v[14:15], v[22:23], v[20:21]
	v_mov_b32_e32 v24, v22
	v_sub_f32_e32 v13, v15, v21
	v_sub_f32_e32 v13, v23, v13
	v_add_f32_e32 v25, v18, v13
	v_pk_add_f32 v[22:23], v[14:15], v[22:23] neg_lo:[0,1] neg_hi:[0,1]
	v_pk_add_f32 v[26:27], v[14:15], v[24:25]
	v_mov_b32_e32 v21, v14
	v_mov_b32_e32 v23, v27
	v_pk_add_f32 v[28:29], v[20:21], v[22:23] neg_lo:[0,1] neg_hi:[0,1]
	v_pk_add_f32 v[20:21], v[20:21], v[22:23]
	s_nop 0
	v_mov_b32_e32 v18, v21
	v_pk_add_f32 v[22:23], v[18:19], v[14:15] neg_lo:[0,1] neg_hi:[0,1]
	v_mov_b32_e32 v20, v27
	v_mov_b32_e32 v13, v22
	v_pk_add_f32 v[30:31], v[26:27], v[12:13] neg_lo:[0,1] neg_hi:[0,1]
	v_mov_b32_e32 v26, v15
	v_mov_b32_e32 v27, v22
	;; [unrolled: 1-line block ×3, first 2 shown]
	v_pk_add_f32 v[20:21], v[20:21], v[26:27] neg_lo:[0,1] neg_hi:[0,1]
	v_mov_b32_e32 v22, v25
	v_mov_b32_e32 v23, v14
	v_pk_add_f32 v[14:15], v[22:23], v[20:21] neg_lo:[0,1] neg_hi:[0,1]
	v_mov_b32_e32 v30, v28
	v_pk_add_f32 v[20:21], v[30:31], v[14:15]
	s_nop 0
	v_mov_b32_e32 v22, v21
	v_pk_add_f32 v[22:23], v[20:21], v[22:23]
	s_nop 0
	v_pk_add_f32 v[24:25], v[18:19], v[22:23]
	v_mov_b32_e32 v15, v22
	v_mov_b32_e32 v21, v24
	v_pk_add_f32 v[26:27], v[20:21], v[28:29] neg_lo:[0,1] neg_hi:[0,1]
	s_nop 0
	v_sub_f32_e32 v13, v20, v26
	v_pk_add_f32 v[14:15], v[14:15], v[26:27] neg_lo:[0,1] neg_hi:[0,1]
	v_sub_f32_e32 v13, v28, v13
	v_add_f32_e32 v13, v14, v13
	v_add_f32_e32 v13, v13, v15
	;; [unrolled: 1-line block ×3, first 2 shown]
	v_cndmask_b32_e32 v18, v13, v32, vcc
.LBB32_33:                              ;   in Loop: Header=BB32_11 Depth=1
	s_or_b64 exec, exec, s[28:29]
	v_lshlrev_b32_e32 v24, 16, v17
	v_and_b32_e32 v13, 0xffff0000, v17
	v_and_b32_e32 v25, 0xffff0000, v16
	v_lshlrev_b32_e32 v26, 16, v16
	v_mul_f32_e32 v14, s76, v24
	v_mul_f32_e32 v17, s76, v25
	;; [unrolled: 1-line block ×4, first 2 shown]
	s_and_b64 vcc, exec, s[60:61]
	s_waitcnt lgkmcnt(0)
	; wave barrier
	s_cbranch_vccz .LBB32_75
; %bb.34:                               ;   in Loop: Header=BB32_11 Depth=1
	s_cmp_lg_u32 s98, 0
	s_cselect_b64 s[64:65], -1, 0
	s_cmp_eq_u32 s98, s82
	v_cmp_gt_u32_e32 vcc, s34, v11
	s_cselect_b64 s[66:67], -1, 0
	s_or_b64 s[26:27], s[54:55], vcc
	v_cmp_gt_u32_e32 vcc, s34, v10
	s_mov_b32 s56, 0
	v_cmp_gt_u32_e64 s[28:29], s34, v3
	s_or_b64 s[30:31], s[54:55], vcc
	v_cmp_gt_u32_e32 vcc, s34, v52
	v_mul_f32_e32 v13, v18, v13
	v_lshl_add_u64 v[20:21], s[42:43], 0, v[0:1]
	v_lshl_add_u64 v[22:23], s[46:47], 0, v[0:1]
	v_mul_f32_e32 v60, v19, v24
	v_mul_f32_e32 v61, v59, v25
	;; [unrolled: 1-line block ×3, first 2 shown]
	s_or_b64 s[28:29], s[54:55], s[28:29]
	s_or_b64 s[34:35], s[54:55], vcc
	s_mov_b32 s68, s56
	s_mov_b32 s70, s56
	;; [unrolled: 1-line block ×5, first 2 shown]
	s_branch .LBB32_36
.LBB32_35:                              ;   in Loop: Header=BB32_36 Depth=2
	s_or_b64 exec, exec, s[36:37]
	v_mul_f32_e32 v26, v33, v32
	v_fma_f32 v27, v33, v35, v28
	v_cndmask_b32_e64 v28, v27, v28, s[16:17]
	v_cndmask_b32_e64 v26, v26, v33, s[16:17]
	s_waitcnt lgkmcnt(0)
	v_fmac_f32_e32 v28, v38, v26
	v_fmac_f32_e32 v29, v28, v31
	;; [unrolled: 1-line block ×4, first 2 shown]
	v_and_b32_e32 v27, 0xffff0000, v24
	v_and_b32_e32 v33, 0xffff0000, v25
	v_lshlrev_b32_e32 v26, 16, v24
	v_lshlrev_b32_e32 v32, 16, v25
	v_mov_b32_e32 v31, v34
	s_add_i32 s99, s99, 8
	s_add_i32 s63, s63, -1
	s_add_i32 s72, s72, s78
	s_add_i32 s70, s70, s48
	;; [unrolled: 1-line block ×4, first 2 shown]
	v_pk_fma_f32 v[14:15], v[30:31], v[32:33], v[14:15]
	s_cmp_eq_u32 s63, 0
	v_pk_fma_f32 v[16:17], v[28:29], v[26:27], v[16:17]
	s_cbranch_scc1 .LBB32_75
.LBB32_36:                              ;   Parent Loop BB32_11 Depth=1
                                        ; =>  This Inner Loop Header: Depth=2
	s_lshl_b64 s[36:37], s[56:57], 2
	s_add_u32 s36, s40, s36
	s_addc_u32 s37, s80, s37
	global_load_dword v30, v1, s[36:37]
	s_mov_b32 s69, s57
	v_lshl_add_u64 v[24:25], s[68:69], 1, v[20:21]
	v_mov_b32_e32 v26, 0
	v_mov_b32_e32 v27, 0
	s_and_saveexec_b64 s[36:37], s[18:19]
	s_cbranch_execz .LBB32_38
; %bb.37:                               ;   in Loop: Header=BB32_36 Depth=2
	global_load_ushort v27, v[24:25], off
.LBB32_38:                              ;   in Loop: Header=BB32_36 Depth=2
	s_or_b64 exec, exec, s[36:37]
	s_and_saveexec_b64 s[36:37], s[20:21]
	s_cbranch_execz .LBB32_40
; %bb.39:                               ;   in Loop: Header=BB32_36 Depth=2
	global_load_ushort v26, v[24:25], off offset:128
.LBB32_40:                              ;   in Loop: Header=BB32_36 Depth=2
	s_or_b64 exec, exec, s[36:37]
	v_mov_b32_e32 v28, 0
	v_mov_b32_e32 v29, 0
	s_and_saveexec_b64 s[36:37], s[22:23]
	s_cbranch_execz .LBB32_42
; %bb.41:                               ;   in Loop: Header=BB32_36 Depth=2
	global_load_ushort v29, v[24:25], off offset:256
.LBB32_42:                              ;   in Loop: Header=BB32_36 Depth=2
	s_or_b64 exec, exec, s[36:37]
	s_and_saveexec_b64 s[36:37], s[24:25]
	s_cbranch_execz .LBB32_44
; %bb.43:                               ;   in Loop: Header=BB32_36 Depth=2
	global_load_ushort v28, v[24:25], off offset:384
.LBB32_44:                              ;   in Loop: Header=BB32_36 Depth=2
	s_or_b64 exec, exec, s[36:37]
	s_waitcnt vmcnt(0)
	ds_write_b16 v43, v27
	ds_write_b16 v44, v26 offset:128
	ds_write_b16 v45, v29 offset:256
	;; [unrolled: 1-line block ×3, first 2 shown]
	; wave barrier
	ds_read_b64 v[28:29], v47
	s_mov_b32 s71, s57
	v_lshl_add_u64 v[24:25], s[70:71], 1, v[22:23]
	v_mov_b32_e32 v26, 0
	v_mov_b32_e32 v27, 0
	s_and_saveexec_b64 s[36:37], s[18:19]
	s_cbranch_execz .LBB32_46
; %bb.45:                               ;   in Loop: Header=BB32_36 Depth=2
	global_load_ushort v27, v[24:25], off
.LBB32_46:                              ;   in Loop: Header=BB32_36 Depth=2
	s_or_b64 exec, exec, s[36:37]
	s_and_saveexec_b64 s[36:37], s[20:21]
	s_cbranch_execz .LBB32_48
; %bb.47:                               ;   in Loop: Header=BB32_36 Depth=2
	global_load_ushort v26, v[24:25], off offset:128
.LBB32_48:                              ;   in Loop: Header=BB32_36 Depth=2
	s_or_b64 exec, exec, s[36:37]
	v_mov_b32_e32 v31, 0
	v_mov_b32_e32 v32, 0
	s_and_saveexec_b64 s[36:37], s[22:23]
	s_cbranch_execz .LBB32_50
; %bb.49:                               ;   in Loop: Header=BB32_36 Depth=2
	global_load_ushort v32, v[24:25], off offset:256
.LBB32_50:                              ;   in Loop: Header=BB32_36 Depth=2
	s_or_b64 exec, exec, s[36:37]
	s_and_saveexec_b64 s[36:37], s[24:25]
	s_cbranch_execz .LBB32_52
; %bb.51:                               ;   in Loop: Header=BB32_36 Depth=2
	global_load_ushort v31, v[24:25], off offset:384
.LBB32_52:                              ;   in Loop: Header=BB32_36 Depth=2
	s_or_b64 exec, exec, s[36:37]
	s_waitcnt vmcnt(0)
	ds_write_b16 v43, v27 offset:528
	ds_write_b16 v48, v26 offset:128
	;; [unrolled: 1-line block ×4, first 2 shown]
	; wave barrier
	ds_read_b64 v[24:25], v47 offset:528
	s_andn2_b64 vcc, exec, s[64:65]
	s_cbranch_vccnz .LBB32_54
; %bb.53:                               ;   in Loop: Header=BB32_36 Depth=2
	v_mov_b32_e32 v26, s99
	ds_read_b64 v[26:27], v26
	s_cbranch_execz .LBB32_55
	s_branch .LBB32_58
.LBB32_54:                              ;   in Loop: Header=BB32_36 Depth=2
                                        ; implicit-def: $vgpr27
.LBB32_55:                              ;   in Loop: Header=BB32_36 Depth=2
	s_andn2_b64 vcc, exec, s[38:39]
	s_waitcnt lgkmcnt(0)
	v_mov_b32_e32 v27, 0
	s_cbranch_vccnz .LBB32_57
; %bb.56:                               ;   in Loop: Header=BB32_36 Depth=2
	s_mov_b32 s73, s57
	s_lshl_b64 s[36:37], s[72:73], 2
	s_add_u32 s36, s45, s36
	s_addc_u32 s37, s49, s37
	global_load_dword v27, v1, s[36:37]
.LBB32_57:                              ;   in Loop: Header=BB32_36 Depth=2
	v_mov_b32_e32 v26, 1.0
.LBB32_58:                              ;   in Loop: Header=BB32_36 Depth=2
	v_mul_f32_e32 v30, 0x3fb8aa3b, v30
	s_waitcnt lgkmcnt(5)
	v_lshlrev_b32_e32 v31, 16, v28
	v_and_b32_e32 v32, 0xffff0000, v28
	v_mul_f32_e32 v28, v30, v58
	v_cmp_gt_f32_e32 vcc, s92, v28
	v_lshlrev_b32_e32 v36, 16, v29
	v_and_b32_e32 v37, 0xffff0000, v29
	v_cndmask_b32_e32 v28, 0, v55, vcc
	v_fmac_f32_e32 v28, v30, v58
	v_exp_f32_e32 v28, v28
	v_cndmask_b32_e32 v29, 1.0, v56, vcc
	v_mul_f32_e32 v29, v28, v29
	v_mul_f32_e32 v28, v62, v31
	;; [unrolled: 1-line block ×3, first 2 shown]
	v_cmp_gt_f32_e32 vcc, s92, v31
	v_cndmask_b32_e64 v33, 1.0, v29, s[26:27]
	v_cndmask_b32_e64 v28, 0, v28, s[26:27]
	v_cndmask_b32_e32 v31, 0, v55, vcc
	v_fmac_f32_e32 v31, v30, v59
	v_exp_f32_e32 v31, v31
	v_cndmask_b32_e32 v29, 1.0, v56, vcc
	v_mul_f32_e32 v31, v31, v29
	v_pk_mul_f32 v[34:35], v[30:31], v[18:19] op_sel_hi:[0,1]
	v_cmp_gt_f32_e32 vcc, s92, v34
	v_mul_f32_e32 v29, v61, v32
	v_cmp_gt_f32_e64 s[36:37], s92, v35
	v_cndmask_b32_e32 v32, 0, v55, vcc
	v_add_f32_e32 v32, v34, v32
	v_cndmask_b32_e64 v34, 0, v55, s[36:37]
	v_exp_f32_e32 v32, v32
	v_add_f32_e32 v34, v35, v34
	v_exp_f32_e32 v34, v34
	v_cndmask_b32_e32 v35, 1.0, v56, vcc
	v_mul_f32_e32 v32, v32, v35
	v_cndmask_b32_e64 v35, 1.0, v56, s[36:37]
	v_cndmask_b32_e64 v29, 0, v29, s[28:29]
	v_cndmask_b32_e64 v31, 1.0, v31, s[28:29]
	v_mul_f32_e32 v35, v34, v35
	v_mul_f32_e32 v30, v60, v36
	;; [unrolled: 1-line block ×3, first 2 shown]
	v_cndmask_b32_e64 v37, 1.0, v35, s[30:31]
	v_cndmask_b32_e64 v36, 1.0, v32, s[34:35]
	v_fma_f32 v32, v31, v28, v29
	v_cndmask_b32_e64 v30, 0, v30, s[30:31]
	v_mul_f32_e32 v32, v32, v37
	v_pk_add_f32 v[38:39], v[32:33], v[30:31]
	v_pk_mul_f32 v[64:65], v[32:33], v[30:31]
	v_cndmask_b32_e64 v34, 0, v34, s[34:35]
	v_mov_b32_e32 v39, v65
	v_pk_mul_f32 v[64:65], v[38:39], v[36:37]
	v_mov_b32_e32 v35, v36
	v_pk_fma_f32 v[66:67], v[38:39], v[36:37], v[34:35]
	v_pk_mul_f32 v[64:65], v[64:65], v[34:35]
	s_nop 0
	v_mov_b32_dpp v35, v66 row_shr:1 row_mask:0xf bank_mask:0xf
	v_mov_b32_dpp v32, v65 row_shr:1 row_mask:0xf bank_mask:0xf
	v_mul_f32_e32 v63, v65, v32
	v_fma_f32 v32, v65, v35, v66
	v_cndmask_b32_e64 v39, v32, v66, s[0:1]
	v_cndmask_b32_e64 v32, v32, v66, s[0:1]
	;; [unrolled: 1-line block ×4, first 2 shown]
	v_mov_b32_dpp v64, v32 row_shr:2 row_mask:0xf bank_mask:0xf
	v_mov_b32_dpp v63, v35 row_shr:2 row_mask:0xf bank_mask:0xf
	s_and_saveexec_b64 s[36:37], s[2:3]
; %bb.59:                               ;   in Loop: Header=BB32_36 Depth=2
	v_fmac_f32_e32 v32, v35, v64
	v_mul_f32_e32 v35, v35, v63
	v_mov_b32_e32 v38, v35
	v_mov_b32_e32 v39, v32
; %bb.60:                               ;   in Loop: Header=BB32_36 Depth=2
	s_or_b64 exec, exec, s[36:37]
	v_mov_b32_dpp v63, v35 row_shr:4 row_mask:0xf bank_mask:0xf
	v_mov_b32_dpp v64, v32 row_shr:4 row_mask:0xf bank_mask:0xf
	s_and_saveexec_b64 s[36:37], s[4:5]
; %bb.61:                               ;   in Loop: Header=BB32_36 Depth=2
	v_fmac_f32_e32 v32, v35, v64
	v_mul_f32_e32 v35, v35, v63
	v_mov_b32_e32 v38, v35
	v_mov_b32_e32 v39, v32
; %bb.62:                               ;   in Loop: Header=BB32_36 Depth=2
	s_or_b64 exec, exec, s[36:37]
	;; [unrolled: 10-line block ×3, first 2 shown]
	v_mov_b32_dpp v63, v35 row_bcast:15 row_mask:0xf bank_mask:0xf
	v_mov_b32_dpp v64, v32 row_bcast:15 row_mask:0xf bank_mask:0xf
	s_and_saveexec_b64 s[36:37], s[8:9]
; %bb.65:                               ;   in Loop: Header=BB32_36 Depth=2
	v_fmac_f32_e32 v32, v35, v64
	v_mul_f32_e32 v35, v35, v63
	v_mov_b32_e32 v38, v35
	v_mov_b32_e32 v39, v32
; %bb.66:                               ;   in Loop: Header=BB32_36 Depth=2
	s_or_b64 exec, exec, s[36:37]
	v_mov_b32_dpp v63, v35 row_bcast:31 row_mask:0xf bank_mask:0xf
	v_mov_b32_dpp v64, v32 row_bcast:31 row_mask:0xf bank_mask:0xf
	v_mul_f32_e32 v63, v35, v63
	v_fmac_f32_e32 v32, v35, v64
	v_cndmask_b32_e64 v38, v38, v63, s[10:11]
	v_cndmask_b32_e64 v39, v39, v32, s[10:11]
	s_and_saveexec_b64 s[36:37], s[12:13]
	s_cbranch_execz .LBB32_68
; %bb.67:                               ;   in Loop: Header=BB32_36 Depth=2
	ds_write_b64 v1, v[38:39] offset:1056
.LBB32_68:                              ;   in Loop: Header=BB32_36 Depth=2
	s_or_b64 exec, exec, s[36:37]
	ds_bpermute_b32 v32, v51, v38
	ds_bpermute_b32 v35, v51, v39
	s_waitcnt vmcnt(0) lgkmcnt(2)
	v_mov_b32_e32 v39, v27
	s_waitcnt lgkmcnt(0)
	; wave barrier
	s_waitcnt lgkmcnt(0)
	s_and_saveexec_b64 s[36:37], s[14:15]
	s_cbranch_execz .LBB32_72
; %bb.69:                               ;   in Loop: Header=BB32_36 Depth=2
	ds_read_b64 v[38:39], v1 offset:1056
	s_and_saveexec_b64 s[74:75], s[16:17]
	s_cbranch_execz .LBB32_71
; %bb.70:                               ;   in Loop: Header=BB32_36 Depth=2
	ds_write_b64 v1, v[26:27] offset:1056
.LBB32_71:                              ;   in Loop: Header=BB32_36 Depth=2
	s_or_b64 exec, exec, s[74:75]
	s_waitcnt lgkmcnt(0)
	v_fmac_f32_e32 v39, v27, v38
	v_mul_f32_e32 v26, v26, v38
	v_mov_b32_e32 v27, v39
.LBB32_72:                              ;   in Loop: Header=BB32_36 Depth=2
	s_or_b64 exec, exec, s[36:37]
	s_waitcnt lgkmcnt(0)
	; wave barrier
	ds_read_b32 v38, v1 offset:1060
	s_and_saveexec_b64 s[36:37], s[16:17]
	s_cbranch_execz .LBB32_35
; %bb.73:                               ;   in Loop: Header=BB32_36 Depth=2
	v_mov_b32_e32 v63, s99
	s_andn2_b64 vcc, exec, s[66:67]
	ds_write_b64 v63, v[26:27]
	s_cbranch_vccnz .LBB32_35
; %bb.74:                               ;   in Loop: Header=BB32_36 Depth=2
	s_mov_b32 s73, s57
	s_lshl_b64 s[74:75], s[72:73], 2
	s_add_u32 s74, s45, s74
	s_addc_u32 s75, s49, s75
	global_store_dword v1, v39, s[74:75]
	s_branch .LBB32_35
.LBB32_75:                              ;   in Loop: Header=BB32_11 Depth=1
	v_bfe_u32 v13, v14, 16, 1
	v_bfe_u32 v18, v15, 16, 1
	v_add3_u32 v13, v14, v13, s93
	v_bfe_u32 v19, v16, 16, 1
	v_add3_u32 v18, v15, v18, s93
	v_lshrrev_b32_e32 v13, 16, v13
	v_cmp_o_f32_e32 vcc, v14, v14
	v_bfe_u32 v20, v17, 16, 1
	v_add3_u32 v19, v16, v19, s93
	v_lshrrev_b32_e32 v18, 16, v18
	v_cndmask_b32_e32 v13, v57, v13, vcc
	v_cmp_o_f32_e32 vcc, v15, v15
	v_add3_u32 v20, v17, v20, s93
	v_lshrrev_b32_e32 v21, 16, v19
	v_cndmask_b32_e32 v18, v57, v18, vcc
	v_cmp_o_f32_e32 vcc, v16, v16
	v_lshrrev_b32_e32 v20, 16, v20
	v_perm_b32 v19, v18, v13, s94
	v_cndmask_b32_e32 v13, v57, v21, vcc
	v_cmp_o_f32_e32 vcc, v17, v17
	s_waitcnt lgkmcnt(0)
	; wave barrier
	s_nop 0
	v_cndmask_b32_e32 v18, v57, v20, vcc
	v_perm_b32 v18, v18, v13, s94
	ds_write_b64 v47, v[18:19]
	; wave barrier
	ds_read_u16 v21, v44 offset:128
	ds_read_u16 v20, v45 offset:256
	;; [unrolled: 1-line block ×3, first 2 shown]
	s_mov_b32 s63, s57
	v_lshl_add_u64 v[18:19], s[62:63], 1, v[4:5]
	s_and_saveexec_b64 s[26:27], s[18:19]
	s_cbranch_execnz .LBB32_94
; %bb.76:                               ;   in Loop: Header=BB32_11 Depth=1
	s_or_b64 exec, exec, s[26:27]
	s_and_saveexec_b64 s[26:27], s[20:21]
	s_cbranch_execnz .LBB32_95
.LBB32_77:                              ;   in Loop: Header=BB32_11 Depth=1
	s_or_b64 exec, exec, s[26:27]
	s_and_saveexec_b64 s[26:27], s[22:23]
	s_cbranch_execnz .LBB32_96
.LBB32_78:                              ;   in Loop: Header=BB32_11 Depth=1
	s_or_b64 exec, exec, s[26:27]
	s_and_saveexec_b64 s[26:27], s[24:25]
	s_cbranch_execz .LBB32_80
.LBB32_79:                              ;   in Loop: Header=BB32_11 Depth=1
	s_waitcnt lgkmcnt(0)
	global_store_short v[18:19], v13, off offset:384
.LBB32_80:                              ;   in Loop: Header=BB32_11 Depth=1
	s_or_b64 exec, exec, s[26:27]
	v_lshl_add_u64 v[18:19], s[62:63], 1, v[6:7]
	s_waitcnt lgkmcnt(0)
	v_mov_b32_e32 v13, 0
	v_mov_b32_e32 v20, 0
	s_waitcnt lgkmcnt(0)
	; wave barrier
	s_and_saveexec_b64 s[26:27], s[18:19]
	s_cbranch_execz .LBB32_82
; %bb.81:                               ;   in Loop: Header=BB32_11 Depth=1
	global_load_ushort v20, v[18:19], off
.LBB32_82:                              ;   in Loop: Header=BB32_11 Depth=1
	s_or_b64 exec, exec, s[26:27]
	s_and_saveexec_b64 s[26:27], s[20:21]
	s_cbranch_execz .LBB32_84
; %bb.83:                               ;   in Loop: Header=BB32_11 Depth=1
	global_load_ushort v13, v[18:19], off offset:128
.LBB32_84:                              ;   in Loop: Header=BB32_11 Depth=1
	s_or_b64 exec, exec, s[26:27]
	v_mov_b32_e32 v21, 0
	v_mov_b32_e32 v22, 0
	s_and_saveexec_b64 s[26:27], s[22:23]
	s_cbranch_execz .LBB32_86
; %bb.85:                               ;   in Loop: Header=BB32_11 Depth=1
	global_load_ushort v22, v[18:19], off offset:256
.LBB32_86:                              ;   in Loop: Header=BB32_11 Depth=1
	s_or_b64 exec, exec, s[26:27]
	s_and_saveexec_b64 s[26:27], s[24:25]
	s_cbranch_execz .LBB32_88
; %bb.87:                               ;   in Loop: Header=BB32_11 Depth=1
	global_load_ushort v21, v[18:19], off offset:384
.LBB32_88:                              ;   in Loop: Header=BB32_11 Depth=1
	s_or_b64 exec, exec, s[26:27]
	s_waitcnt vmcnt(0)
	ds_write_b16 v43, v20
	ds_write_b16 v44, v13 offset:128
	ds_write_b16 v45, v22 offset:256
	;; [unrolled: 1-line block ×3, first 2 shown]
	; wave barrier
	ds_read_b64 v[18:19], v47
	s_waitcnt lgkmcnt(0)
	; wave barrier
	s_waitcnt lgkmcnt(0)
	v_and_b32_e32 v13, 0xffff0000, v19
	v_mul_f32_e32 v20, 0xbfb8aa3b, v13
	v_fma_f32 v21, v13, s95, -v20
	v_rndne_f32_e32 v22, v20
	v_fmac_f32_e32 v21, 0xb2a5705f, v13
	v_sub_f32_e32 v20, v20, v22
	v_add_f32_e32 v20, v20, v21
	v_exp_f32_e32 v20, v20
	v_cvt_i32_f32_e32 v21, v22
	v_and_b32_e32 v22, 0xffff0000, v18
	v_lshlrev_b32_e32 v24, 16, v19
	v_mul_f32_e32 v19, 0xbfb8aa3b, v22
	v_lshlrev_b32_e32 v23, 16, v18
	v_ldexp_f32 v18, v20, v21
	v_fma_f32 v20, v22, s95, -v19
	v_rndne_f32_e32 v21, v19
	v_fmac_f32_e32 v20, 0xb2a5705f, v22
	v_sub_f32_e32 v19, v19, v21
	v_add_f32_e32 v19, v19, v20
	v_exp_f32_e32 v20, v19
	v_cvt_i32_f32_e32 v21, v21
	v_cmp_nlt_f32_e32 vcc, s96, v13
	s_nop 1
	v_cndmask_b32_e32 v18, 0, v18, vcc
	v_cmp_ngt_f32_e32 vcc, s97, v13
	s_nop 1
	v_cndmask_b32_e32 v19, v54, v18, vcc
	v_ldexp_f32 v18, v20, v21
	v_mul_f32_e32 v20, 0xbfb8aa3b, v24
	v_rndne_f32_e32 v21, v20
	v_sub_f32_e32 v25, v20, v21
	v_fma_f32 v20, v24, s95, -v20
	v_fmac_f32_e32 v20, 0xb2a5705f, v24
	v_add_f32_e32 v20, v25, v20
	v_exp_f32_e32 v20, v20
	v_cvt_i32_f32_e32 v25, v21
	v_cmp_nlt_f32_e32 vcc, s96, v22
	s_nop 1
	v_cndmask_b32_e32 v18, 0, v18, vcc
	v_cmp_ngt_f32_e32 vcc, s97, v22
	s_nop 1
	v_cndmask_b32_e32 v21, v54, v18, vcc
	v_ldexp_f32 v18, v20, v25
	v_mul_f32_e32 v20, 0xbfb8aa3b, v23
	v_rndne_f32_e32 v25, v20
	v_sub_f32_e32 v26, v20, v25
	v_fma_f32 v20, v23, s95, -v20
	v_fmac_f32_e32 v20, 0xb2a5705f, v23
	v_add_f32_e32 v20, v26, v20
	v_exp_f32_e32 v20, v20
	v_cvt_i32_f32_e32 v25, v25
	v_cmp_nlt_f32_e32 vcc, s96, v24
	v_ldexp_f32 v20, v20, v25
	s_nop 0
	v_cndmask_b32_e32 v18, 0, v18, vcc
	v_cmp_ngt_f32_e32 vcc, s97, v24
	s_nop 1
	v_cndmask_b32_e32 v18, v54, v18, vcc
	v_pk_add_f32 v[18:19], v[18:19], 1.0 op_sel_hi:[1,0]
	v_cmp_nlt_f32_e32 vcc, s96, v23
	v_div_scale_f32 v25, s[26:27], v19, v19, v13
	v_rcp_f32_e32 v26, v25
	v_cndmask_b32_e32 v20, 0, v20, vcc
	v_cmp_ngt_f32_e32 vcc, s97, v23
	v_fma_f32 v27, -v25, v26, 1.0
	s_nop 0
	v_cndmask_b32_e32 v20, v54, v20, vcc
	v_fmac_f32_e32 v26, v27, v26
	v_div_scale_f32 v27, vcc, v13, v19, v13
	v_mul_f32_e32 v28, v27, v26
	v_fma_f32 v29, -v25, v28, v27
	v_fmac_f32_e32 v28, v29, v26
	v_fma_f32 v25, -v25, v28, v27
	v_div_scale_f32 v27, s[26:27], v18, v18, v24
	v_rcp_f32_e32 v29, v27
	v_div_fmas_f32 v25, v25, v26, v28
	v_div_fixup_f32 v19, v25, v19, v13
	v_pk_add_f32 v[20:21], v[20:21], 1.0 op_sel_hi:[1,0]
	v_fma_f32 v13, -v27, v29, 1.0
	v_fmac_f32_e32 v29, v13, v29
	v_div_scale_f32 v13, vcc, v24, v18, v24
	v_mul_f32_e32 v25, v13, v29
	v_fma_f32 v26, -v27, v25, v13
	v_fmac_f32_e32 v25, v26, v29
	v_div_scale_f32 v26, s[26:27], v21, v21, v22
	v_fma_f32 v13, -v27, v25, v13
	v_rcp_f32_e32 v27, v26
	v_div_fmas_f32 v13, v13, v29, v25
	v_div_fixup_f32 v18, v13, v18, v24
	v_pk_mul_f32 v[14:15], v[14:15], v[18:19]
	v_fma_f32 v13, -v26, v27, 1.0
	v_fmac_f32_e32 v27, v13, v27
	v_div_scale_f32 v13, vcc, v22, v21, v22
	v_mul_f32_e32 v24, v13, v27
	v_fma_f32 v25, -v26, v24, v13
	v_fmac_f32_e32 v24, v25, v27
	v_div_scale_f32 v25, s[26:27], v20, v20, v23
	v_fma_f32 v13, -v26, v24, v13
	v_rcp_f32_e32 v26, v25
	v_div_fmas_f32 v13, v13, v27, v24
	v_div_fixup_f32 v21, v13, v21, v22
	v_bfe_u32 v19, v14, 16, 1
	v_fma_f32 v13, -v25, v26, 1.0
	v_fmac_f32_e32 v26, v13, v26
	v_div_scale_f32 v13, vcc, v23, v20, v23
	v_mul_f32_e32 v22, v13, v26
	v_fma_f32 v24, -v25, v22, v13
	v_fmac_f32_e32 v22, v24, v26
	v_fma_f32 v13, -v25, v22, v13
	v_div_fmas_f32 v13, v13, v26, v22
	v_div_fixup_f32 v20, v13, v20, v23
	v_pk_mul_f32 v[16:17], v[16:17], v[20:21]
	v_bfe_u32 v20, v15, 16, 1
	v_bfe_u32 v13, v16, 16, 1
	;; [unrolled: 1-line block ×3, first 2 shown]
	v_add3_u32 v13, v16, v13, s93
	v_add3_u32 v18, v17, v18, s93
	v_lshrrev_b32_e32 v13, 16, v13
	v_cmp_o_f32_e32 vcc, v16, v16
	v_add3_u32 v19, v14, v19, s93
	v_lshrrev_b32_e32 v18, 16, v18
	v_cndmask_b32_e32 v13, v57, v13, vcc
	v_cmp_o_f32_e32 vcc, v17, v17
	v_add3_u32 v20, v15, v20, s93
	v_lshrrev_b32_e32 v19, 16, v19
	v_cndmask_b32_e32 v16, v57, v18, vcc
	v_cmp_o_f32_e32 vcc, v14, v14
	v_lshrrev_b32_e32 v20, 16, v20
	v_perm_b32 v16, v16, v13, s94
	v_cndmask_b32_e32 v13, v57, v19, vcc
	v_cmp_o_f32_e32 vcc, v15, v15
	s_nop 1
	v_cndmask_b32_e32 v14, v57, v20, vcc
	v_perm_b32 v17, v14, v13, s94
	ds_write_b64 v47, v[16:17]
	; wave barrier
	ds_read_u16 v17, v44 offset:128
	ds_read_u16 v16, v45 offset:256
	;; [unrolled: 1-line block ×3, first 2 shown]
	v_lshl_add_u64 v[14:15], s[62:63], 1, v[8:9]
	s_and_saveexec_b64 s[26:27], s[18:19]
	s_cbranch_execnz .LBB32_97
; %bb.89:                               ;   in Loop: Header=BB32_11 Depth=1
	s_or_b64 exec, exec, s[26:27]
	s_and_saveexec_b64 s[18:19], s[20:21]
	s_cbranch_execnz .LBB32_98
.LBB32_90:                              ;   in Loop: Header=BB32_11 Depth=1
	s_or_b64 exec, exec, s[18:19]
	s_and_saveexec_b64 s[18:19], s[22:23]
	s_cbranch_execnz .LBB32_99
.LBB32_91:                              ;   in Loop: Header=BB32_11 Depth=1
	s_or_b64 exec, exec, s[18:19]
	s_and_saveexec_b64 s[18:19], s[24:25]
	s_cbranch_execz .LBB32_10
	s_branch .LBB32_100
.LBB32_92:                              ;   in Loop: Header=BB32_11 Depth=1
	global_load_ushort v19, v[14:15], off offset:128
	s_or_b64 exec, exec, s[26:27]
	s_and_saveexec_b64 s[26:27], s[22:23]
	s_cbranch_execz .LBB32_23
.LBB32_93:                              ;   in Loop: Header=BB32_11 Depth=1
	global_load_ushort v18, v[14:15], off offset:256
	s_or_b64 exec, exec, s[26:27]
	v_mov_b32_e32 v20, 0
	s_and_saveexec_b64 s[26:27], s[24:25]
	s_cbranch_execnz .LBB32_24
	s_branch .LBB32_25
.LBB32_94:                              ;   in Loop: Header=BB32_11 Depth=1
	ds_read_u16 v22, v43
	s_waitcnt lgkmcnt(0)
	global_store_short v[18:19], v22, off
	s_or_b64 exec, exec, s[26:27]
	s_and_saveexec_b64 s[26:27], s[20:21]
	s_cbranch_execz .LBB32_77
.LBB32_95:                              ;   in Loop: Header=BB32_11 Depth=1
	s_waitcnt lgkmcnt(2)
	global_store_short v[18:19], v21, off offset:128
	s_or_b64 exec, exec, s[26:27]
	s_and_saveexec_b64 s[26:27], s[22:23]
	s_cbranch_execz .LBB32_78
.LBB32_96:                              ;   in Loop: Header=BB32_11 Depth=1
	s_waitcnt lgkmcnt(1)
	global_store_short v[18:19], v20, off offset:256
	s_or_b64 exec, exec, s[26:27]
	s_and_saveexec_b64 s[26:27], s[24:25]
	s_cbranch_execnz .LBB32_79
	s_branch .LBB32_80
.LBB32_97:                              ;   in Loop: Header=BB32_11 Depth=1
	ds_read_u16 v18, v43
	s_waitcnt lgkmcnt(0)
	global_store_short v[14:15], v18, off
	s_or_b64 exec, exec, s[26:27]
	s_and_saveexec_b64 s[18:19], s[20:21]
	s_cbranch_execz .LBB32_90
.LBB32_98:                              ;   in Loop: Header=BB32_11 Depth=1
	s_waitcnt lgkmcnt(2)
	global_store_short v[14:15], v17, off offset:128
	s_or_b64 exec, exec, s[18:19]
	s_and_saveexec_b64 s[18:19], s[22:23]
	s_cbranch_execz .LBB32_91
.LBB32_99:                              ;   in Loop: Header=BB32_11 Depth=1
	s_waitcnt lgkmcnt(1)
	global_store_short v[14:15], v16, off offset:256
	s_or_b64 exec, exec, s[18:19]
	s_and_saveexec_b64 s[18:19], s[24:25]
	s_cbranch_execz .LBB32_10
.LBB32_100:                             ;   in Loop: Header=BB32_11 Depth=1
	s_waitcnt lgkmcnt(0)
	global_store_short v[14:15], v13, off offset:384
	s_branch .LBB32_10
.LBB32_101:
	s_endpgm
.LBB32_102:
	s_mov_b64 s[38:39], 0
	s_load_dwordx2 s[6:7], s[0:1], 0x20
	s_cmp_eq_u64 s[4:5], 0
	s_cbranch_scc0 .LBB32_2
	s_branch .LBB32_3
	.section	.rodata,"a",@progbits
	.p2align	6, 0x0
	.amdhsa_kernel _Z25selective_scan_fwd_kernelI32Selective_Scan_fwd_kernel_traitsILi64ELi4ELi1ELb1ELb1ELb1ELb1ELb1EN3c108BFloat16EffEEv13SSMParamsBase
		.amdhsa_group_segment_fixed_size 0
		.amdhsa_private_segment_fixed_size 0
		.amdhsa_kernarg_size 248
		.amdhsa_user_sgpr_count 2
		.amdhsa_user_sgpr_dispatch_ptr 0
		.amdhsa_user_sgpr_queue_ptr 0
		.amdhsa_user_sgpr_kernarg_segment_ptr 1
		.amdhsa_user_sgpr_dispatch_id 0
		.amdhsa_user_sgpr_kernarg_preload_length 0
		.amdhsa_user_sgpr_kernarg_preload_offset 0
		.amdhsa_user_sgpr_private_segment_size 0
		.amdhsa_uses_dynamic_stack 0
		.amdhsa_enable_private_segment 0
		.amdhsa_system_sgpr_workgroup_id_x 1
		.amdhsa_system_sgpr_workgroup_id_y 1
		.amdhsa_system_sgpr_workgroup_id_z 0
		.amdhsa_system_sgpr_workgroup_info 0
		.amdhsa_system_vgpr_workitem_id 0
		.amdhsa_next_free_vgpr 68
		.amdhsa_next_free_sgpr 100
		.amdhsa_accum_offset 68
		.amdhsa_reserve_vcc 1
		.amdhsa_float_round_mode_32 0
		.amdhsa_float_round_mode_16_64 0
		.amdhsa_float_denorm_mode_32 3
		.amdhsa_float_denorm_mode_16_64 3
		.amdhsa_dx10_clamp 1
		.amdhsa_ieee_mode 1
		.amdhsa_fp16_overflow 0
		.amdhsa_tg_split 0
		.amdhsa_exception_fp_ieee_invalid_op 0
		.amdhsa_exception_fp_denorm_src 0
		.amdhsa_exception_fp_ieee_div_zero 0
		.amdhsa_exception_fp_ieee_overflow 0
		.amdhsa_exception_fp_ieee_underflow 0
		.amdhsa_exception_fp_ieee_inexact 0
		.amdhsa_exception_int_div_zero 0
	.end_amdhsa_kernel
	.section	.text._Z25selective_scan_fwd_kernelI32Selective_Scan_fwd_kernel_traitsILi64ELi4ELi1ELb1ELb1ELb1ELb1ELb1EN3c108BFloat16EffEEv13SSMParamsBase,"axG",@progbits,_Z25selective_scan_fwd_kernelI32Selective_Scan_fwd_kernel_traitsILi64ELi4ELi1ELb1ELb1ELb1ELb1ELb1EN3c108BFloat16EffEEv13SSMParamsBase,comdat
.Lfunc_end32:
	.size	_Z25selective_scan_fwd_kernelI32Selective_Scan_fwd_kernel_traitsILi64ELi4ELi1ELb1ELb1ELb1ELb1ELb1EN3c108BFloat16EffEEv13SSMParamsBase, .Lfunc_end32-_Z25selective_scan_fwd_kernelI32Selective_Scan_fwd_kernel_traitsILi64ELi4ELi1ELb1ELb1ELb1ELb1ELb1EN3c108BFloat16EffEEv13SSMParamsBase
                                        ; -- End function
	.section	.AMDGPU.csdata,"",@progbits
; Kernel info:
; codeLenInByte = 7400
; NumSgprs: 106
; NumVgprs: 68
; NumAgprs: 0
; TotalNumVgprs: 68
; ScratchSize: 0
; MemoryBound: 0
; FloatMode: 240
; IeeeMode: 1
; LDSByteSize: 0 bytes/workgroup (compile time only)
; SGPRBlocks: 13
; VGPRBlocks: 8
; NumSGPRsForWavesPerEU: 106
; NumVGPRsForWavesPerEU: 68
; AccumOffset: 68
; Occupancy: 7
; WaveLimiterHint : 1
; COMPUTE_PGM_RSRC2:SCRATCH_EN: 0
; COMPUTE_PGM_RSRC2:USER_SGPR: 2
; COMPUTE_PGM_RSRC2:TRAP_HANDLER: 0
; COMPUTE_PGM_RSRC2:TGID_X_EN: 1
; COMPUTE_PGM_RSRC2:TGID_Y_EN: 1
; COMPUTE_PGM_RSRC2:TGID_Z_EN: 0
; COMPUTE_PGM_RSRC2:TIDIG_COMP_CNT: 0
; COMPUTE_PGM_RSRC3_GFX90A:ACCUM_OFFSET: 16
; COMPUTE_PGM_RSRC3_GFX90A:TG_SPLIT: 0
	.section	.text._Z25selective_scan_fwd_kernelI32Selective_Scan_fwd_kernel_traitsILi64ELi4ELi1ELb1ELb1ELb1ELb1ELb0EN3c108BFloat16EffEEv13SSMParamsBase,"axG",@progbits,_Z25selective_scan_fwd_kernelI32Selective_Scan_fwd_kernel_traitsILi64ELi4ELi1ELb1ELb1ELb1ELb1ELb0EN3c108BFloat16EffEEv13SSMParamsBase,comdat
	.protected	_Z25selective_scan_fwd_kernelI32Selective_Scan_fwd_kernel_traitsILi64ELi4ELi1ELb1ELb1ELb1ELb1ELb0EN3c108BFloat16EffEEv13SSMParamsBase ; -- Begin function _Z25selective_scan_fwd_kernelI32Selective_Scan_fwd_kernel_traitsILi64ELi4ELi1ELb1ELb1ELb1ELb1ELb0EN3c108BFloat16EffEEv13SSMParamsBase
	.globl	_Z25selective_scan_fwd_kernelI32Selective_Scan_fwd_kernel_traitsILi64ELi4ELi1ELb1ELb1ELb1ELb1ELb0EN3c108BFloat16EffEEv13SSMParamsBase
	.p2align	8
	.type	_Z25selective_scan_fwd_kernelI32Selective_Scan_fwd_kernel_traitsILi64ELi4ELi1ELb1ELb1ELb1ELb1ELb0EN3c108BFloat16EffEEv13SSMParamsBase,@function
_Z25selective_scan_fwd_kernelI32Selective_Scan_fwd_kernel_traitsILi64ELi4ELi1ELb1ELb1ELb1ELb1ELb0EN3c108BFloat16EffEEv13SSMParamsBase: ; @_Z25selective_scan_fwd_kernelI32Selective_Scan_fwd_kernel_traitsILi64ELi4ELi1ELb1ELb1ELb1ELb1ELb0EN3c108BFloat16EffEEv13SSMParamsBase
; %bb.0:
	s_load_dword s35, s[0:1], 0x18
	s_load_dwordx4 s[4:7], s[0:1], 0xe8
	s_mov_b32 s56, s3
	s_waitcnt lgkmcnt(0)
	s_abs_i32 s34, s35
	v_cvt_f32_u32_e32 v1, s34
	s_cmp_eq_u64 s[6:7], 0
	v_rcp_iflag_f32_e32 v1, v1
	s_nop 0
	v_mul_f32_e32 v1, 0x4f7ffffe, v1
	v_cvt_u32_f32_e32 v1, v1
	s_nop 0
	v_readfirstlane_b32 s20, v1
	s_cbranch_scc1 .LBB33_3
; %bb.1:
	s_ashr_i32 s3, s2, 31
	s_add_u32 s6, s6, s2
	s_addc_u32 s7, s7, s3
	v_mov_b32_e32 v1, 0
	global_load_ubyte v1, v1, s[6:7]
	s_waitcnt vmcnt(0)
	v_and_b32_e32 v1, 1, v1
	v_cmp_eq_u32_e64 s[28:29], 1, v1
	s_load_dwordx2 s[6:7], s[0:1], 0x20
	s_cmp_eq_u64 s[4:5], 0
	s_cbranch_scc1 .LBB33_4
.LBB33_2:
	s_ashr_i32 s3, s2, 31
	s_lshl_b64 s[8:9], s[2:3], 2
	s_add_u32 s4, s4, s8
	s_addc_u32 s5, s5, s9
	s_load_dword s52, s[4:5], 0x0
	s_waitcnt lgkmcnt(0)
	s_ashr_i32 s53, s52, 31
	s_cmp_eq_u64 s[6:7], s[52:53]
	s_cbranch_scc0 .LBB33_5
	s_branch .LBB33_50
.LBB33_3:
	s_mov_b64 s[28:29], 0
	s_load_dwordx2 s[6:7], s[0:1], 0x20
	s_cmp_eq_u64 s[4:5], 0
	s_cbranch_scc0 .LBB33_2
.LBB33_4:
	s_mov_b32 s52, s2
	s_ashr_i32 s53, s52, 31
	s_waitcnt lgkmcnt(0)
	s_cmp_eq_u64 s[6:7], s[52:53]
	s_cbranch_scc1 .LBB33_50
.LBB33_5:
	s_load_dwordx16 s[4:19], s[0:1], 0x88
	s_load_dwordx2 s[30:31], s[0:1], 0x8
	s_mov_b32 s33, 0
	s_mov_b32 s70, 0
	s_waitcnt lgkmcnt(0)
	s_cmp_eq_u64 s[10:11], 0
	s_cbranch_scc1 .LBB33_7
; %bb.6:
	s_ashr_i32 s57, s56, 31
	s_lshl_b64 s[22:23], s[56:57], 2
	s_add_u32 s10, s10, s22
	s_addc_u32 s11, s11, s23
	s_load_dword s70, s[10:11], 0x0
.LBB33_7:
	s_cmp_eq_u64 s[16:17], 0
	s_cbranch_scc1 .LBB33_9
; %bb.8:
	s_ashr_i32 s57, s56, 31
	s_lshl_b64 s[10:11], s[56:57], 2
	s_add_u32 s10, s16, s10
	s_addc_u32 s11, s17, s11
	s_load_dword s33, s[10:11], 0x0
.LBB33_9:
	s_cmp_lt_i32 s30, 1
	s_cbranch_scc1 .LBB33_50
; %bb.10:
	s_sub_i32 s3, 0, s34
	s_mul_i32 s3, s3, s20
	s_mul_hi_u32 s3, s20, s3
	s_load_dwordx8 s[36:43], s[0:1], 0x2c
	s_load_dwordx2 s[16:17], s[0:1], 0x7c
	s_load_dwordx4 s[24:27], s[0:1], 0x6c
	s_load_dwordx8 s[44:51], s[0:1], 0x4c
	s_load_dwordx2 s[10:11], s[0:1], 0xd8
	s_waitcnt lgkmcnt(0)
	s_abs_i32 s39, s56
	s_add_i32 s3, s20, s3
	s_load_dwordx4 s[20:23], s[0:1], 0xc8
	s_load_dword s71, s[0:1], 0x84
	s_mul_hi_u32 s3, s39, s3
	s_load_dword s53, s[0:1], 0x28
	s_ashr_i32 s0, s56, 31
	s_ashr_i32 s1, s35, 31
	s_xor_b32 s0, s0, s1
	s_mul_i32 s1, s3, s34
	s_sub_i32 s1, s39, s1
	s_add_i32 s35, s3, 1
	s_sub_i32 s39, s1, s34
	s_cmp_ge_u32 s1, s34
	s_cselect_b32 s3, s35, s3
	s_cselect_b32 s1, s39, s1
	s_add_i32 s35, s3, 1
	s_cmp_ge_u32 s1, s34
	s_cselect_b32 s1, s35, s3
	s_xor_b32 s1, s1, s0
	s_mul_i32 s34, s46, s2
	s_mov_b32 s35, 0
	s_sub_i32 s3, s1, s0
	s_lshl_b64 s[0:1], s[34:35], 1
	s_add_u32 s12, s12, s0
	s_mul_i32 s34, s47, s56
	s_addc_u32 s13, s13, s1
	s_lshl_b64 s[0:1], s[34:35], 1
	s_add_u32 s46, s12, s0
	s_mul_i32 s34, s48, s2
	s_addc_u32 s47, s13, s1
	s_lshl_b64 s[0:1], s[34:35], 1
	s_add_u32 s12, s14, s0
	s_mul_i32 s34, s49, s56
	s_addc_u32 s13, s15, s1
	s_lshl_b64 s[0:1], s[34:35], 1
	s_add_u32 s48, s12, s0
	s_mul_i32 s34, s36, s56
	s_addc_u32 s49, s13, s1
	s_lshl_b64 s[0:1], s[34:35], 2
	s_add_u32 s36, s4, s0
	s_mul_i32 s34, s38, s2
	s_addc_u32 s72, s5, s1
	s_lshl_b64 s[0:1], s[34:35], 1
	s_add_u32 s4, s6, s0
	s_mul_i32 s34, s3, s41
	s_addc_u32 s5, s7, s1
	s_lshl_b64 s[0:1], s[34:35], 1
	s_add_u32 s38, s4, s0
	s_mul_i32 s34, s42, s2
	s_addc_u32 s39, s5, s1
	s_lshl_b64 s[0:1], s[34:35], 1
	s_add_u32 s4, s8, s0
	s_mul_i32 s34, s3, s45
	s_addc_u32 s5, s9, s1
	s_lshl_b64 s[0:1], s[34:35], 1
	s_add_u32 s42, s4, s0
	s_mul_i32 s34, s52, s16
	s_addc_u32 s43, s5, s1
	s_lshl_b64 s[0:1], s[34:35], 2
	s_waitcnt lgkmcnt(0)
	s_add_u32 s3, s20, s0
	s_mul_i32 s34, s17, s56
	s_addc_u32 s4, s21, s1
	s_lshl_b64 s[0:1], s[34:35], 2
	s_add_u32 s41, s3, s0
	s_addc_u32 s45, s4, s1
	s_add_i32 s0, s30, 0x7ff
	s_lshr_b32 s73, s0, 11
	s_bitcmp1_b32 s53, 0
	s_cselect_b64 s[52:53], -1, 0
	s_cmp_gt_i32 s31, 0
	s_mul_i32 s34, s24, s2
	s_cselect_b64 s[54:55], -1, 0
	s_and_b32 s12, s30, 0xff
	s_add_i32 s74, s73, -1
	s_lshl_b64 s[4:5], s[34:35], 1
	s_add_u32 s3, s18, s4
	s_mul_i32 s34, s25, s56
	s_addc_u32 s7, s19, s5
	s_lshl_b64 s[4:5], s[34:35], 1
	s_add_u32 s6, s3, s4
	s_mul_i32 s34, s26, s2
	s_addc_u32 s7, s7, s5
	;; [unrolled: 4-line block ×5, first 2 shown]
	s_lshl_b64 s[2:3], s[34:35], 1
	s_add_u32 s10, s4, s2
	v_mov_b32_e32 v3, 0
	s_addc_u32 s11, s5, s3
	v_lshlrev_b32_e32 v2, 3, v0
	s_cmp_eq_u32 s12, 0
	v_lshlrev_b32_e32 v11, 2, v0
	v_lshl_add_u64 v[4:5], s[6:7], 0, v[2:3]
	v_lshl_add_u64 v[6:7], s[10:11], 0, v[2:3]
	;; [unrolled: 1-line block ×3, first 2 shown]
                                        ; implicit-def: $vgpr2
	v_mbcnt_lo_u32_b32 v13, -1, 0
	v_cmp_gt_u32_e64 s[0:1], 64, v0
	s_cselect_b64 s[50:51], -1, 0
	v_cmp_eq_u32_e64 s[2:3], 63, v0
	v_cmp_eq_u32_e64 s[4:5], 0, v0
	v_or_b32_e32 v1, 1, v11
	v_or_b32_e32 v10, 2, v11
	;; [unrolled: 1-line block ×3, first 2 shown]
	s_mov_b32 s75, 0x41a00000
	s_mov_b32 s76, 0x3fb8aa3b
	;; [unrolled: 1-line block ×6, first 2 shown]
	v_mov_b32_e32 v47, 0x3ecc95a3
	s_mov_b32 s81, 0x3f317218
	s_mov_b32 s82, 0x33800000
	s_add_i32 s83, 0, 0x428
	s_mov_b32 s84, 0xc2fc0000
	s_movk_i32 s85, 0x7fff
	s_mov_b32 s86, 0xbfb8aa3b
	s_mov_b32 s87, 0x42ce8ed0
	;; [unrolled: 1-line block ×3, first 2 shown]
	v_lshlrev_b32_e32 v2, 3, v0
	v_mov_b32_e32 v0, 0x7f800000
	v_mov_b32_e32 v12, 0x3f317218
	v_mbcnt_hi_u32_b32 v48, -1, v13
	v_mov_b32_e32 v49, 0x42800000
	v_mov_b32_e32 v50, 0x1f800000
	;; [unrolled: 1-line block ×4, first 2 shown]
	s_mov_b32 s89, 0
                                        ; implicit-def: $vgpr55
                                        ; implicit-def: $vgpr17
                                        ; implicit-def: $vgpr53
                                        ; implicit-def: $vgpr14
                                        ; implicit-def: $vgpr54
                                        ; implicit-def: $vgpr56
                                        ; implicit-def: $vgpr18_vgpr19
	s_branch .LBB33_12
.LBB33_11:                              ;   in Loop: Header=BB33_12 Depth=1
	s_or_b64 exec, exec, s[6:7]
	v_and_b32_e32 v13, 0xffff0000, v18
	v_mul_f32_e32 v24, 0xbfb8aa3b, v13
	v_fma_f32 v25, v13, s86, -v24
	v_rndne_f32_e32 v26, v24
	v_fmac_f32_e32 v25, 0xb2a5705f, v13
	v_sub_f32_e32 v24, v24, v26
	v_add_f32_e32 v24, v24, v25
	v_exp_f32_e32 v24, v24
	v_cvt_i32_f32_e32 v25, v26
	v_and_b32_e32 v28, 0xffff0000, v19
	v_cmp_nlt_f32_e32 vcc, s87, v13
	v_lshlrev_b32_e32 v30, 16, v18
	v_ldexp_f32 v24, v24, v25
	v_mul_f32_e32 v25, 0xbfb8aa3b, v28
	v_fma_f32 v26, v28, s86, -v25
	v_rndne_f32_e32 v27, v25
	v_fmac_f32_e32 v26, 0xb2a5705f, v28
	v_sub_f32_e32 v25, v25, v27
	v_add_f32_e32 v25, v25, v26
	v_exp_f32_e32 v26, v25
	v_cvt_i32_f32_e32 v27, v27
	v_cndmask_b32_e32 v24, 0, v24, vcc
	v_cmp_ngt_f32_e32 vcc, s88, v13
	v_lshlrev_b32_e32 v29, 16, v19
	s_add_u32 s48, s48, 0x200
	v_cndmask_b32_e32 v25, v0, v24, vcc
	v_ldexp_f32 v24, v26, v27
	v_mul_f32_e32 v26, 0xbfb8aa3b, v30
	v_rndne_f32_e32 v27, v26
	v_sub_f32_e32 v31, v26, v27
	v_fma_f32 v26, v30, s86, -v26
	v_fmac_f32_e32 v26, 0xb2a5705f, v30
	v_add_f32_e32 v26, v31, v26
	v_exp_f32_e32 v26, v26
	v_cvt_i32_f32_e32 v31, v27
	v_cmp_nlt_f32_e32 vcc, s87, v28
	s_addc_u32 s49, s49, 0
	s_add_u32 s46, s46, 0x200
	v_cndmask_b32_e32 v24, 0, v24, vcc
	v_cmp_ngt_f32_e32 vcc, s88, v28
	s_addc_u32 s47, s47, 0
	s_add_u32 s38, s38, 0x200
	v_cndmask_b32_e32 v27, v0, v24, vcc
	v_ldexp_f32 v24, v26, v31
	v_mul_f32_e32 v26, 0xbfb8aa3b, v29
	v_rndne_f32_e32 v31, v26
	v_sub_f32_e32 v32, v26, v31
	v_fma_f32 v26, v29, s86, -v26
	v_fmac_f32_e32 v26, 0xb2a5705f, v29
	v_add_f32_e32 v26, v32, v26
	v_exp_f32_e32 v26, v26
	v_cvt_i32_f32_e32 v31, v31
	v_cmp_nlt_f32_e32 vcc, s87, v30
	s_addc_u32 s39, s39, 0
	s_add_u32 s42, s42, 0x200
	v_cndmask_b32_e32 v24, 0, v24, vcc
	v_cmp_ngt_f32_e32 vcc, s88, v30
	v_ldexp_f32 v26, v26, v31
	s_addc_u32 s43, s43, 0
	v_cndmask_b32_e32 v24, v0, v24, vcc
	v_pk_add_f32 v[24:25], v[24:25], 1.0 op_sel_hi:[1,0]
	v_cmp_nlt_f32_e32 vcc, s87, v29
	v_div_scale_f32 v31, s[6:7], v25, v25, v13
	v_rcp_f32_e32 v32, v31
	v_cndmask_b32_e32 v26, 0, v26, vcc
	v_cmp_ngt_f32_e32 vcc, s88, v29
	s_add_i32 s89, s89, 1
	v_fma_f32 v33, -v31, v32, 1.0
	v_cndmask_b32_e32 v26, v0, v26, vcc
	v_fmac_f32_e32 v32, v33, v32
	v_div_scale_f32 v33, vcc, v13, v25, v13
	v_mul_f32_e32 v34, v33, v32
	v_fma_f32 v35, -v31, v34, v33
	v_fmac_f32_e32 v34, v35, v32
	v_fma_f32 v31, -v31, v34, v33
	v_div_scale_f32 v33, s[6:7], v24, v24, v30
	v_rcp_f32_e32 v35, v33
	v_div_fmas_f32 v31, v31, v32, v34
	v_div_fixup_f32 v25, v31, v25, v13
	v_pk_add_f32 v[26:27], v[26:27], 1.0 op_sel_hi:[1,0]
	v_fma_f32 v13, -v33, v35, 1.0
	v_fmac_f32_e32 v35, v13, v35
	v_div_scale_f32 v13, vcc, v30, v24, v30
	v_mul_f32_e32 v31, v13, v35
	v_fma_f32 v32, -v33, v31, v13
	v_fmac_f32_e32 v31, v32, v35
	v_div_scale_f32 v32, s[6:7], v27, v27, v28
	v_fma_f32 v13, -v33, v31, v13
	v_rcp_f32_e32 v33, v32
	v_div_fmas_f32 v13, v13, v35, v31
	v_div_fixup_f32 v24, v13, v24, v30
	v_pk_mul_f32 v[20:21], v[20:21], v[24:25]
	v_fma_f32 v13, -v32, v33, 1.0
	v_fmac_f32_e32 v33, v13, v33
	v_div_scale_f32 v13, vcc, v28, v27, v28
	v_mul_f32_e32 v30, v13, v33
	v_fma_f32 v31, -v32, v30, v13
	v_fmac_f32_e32 v30, v31, v33
	v_div_scale_f32 v31, s[6:7], v26, v26, v29
	v_fma_f32 v13, -v32, v30, v13
	v_rcp_f32_e32 v32, v31
	v_div_fmas_f32 v13, v13, v33, v30
	v_div_fixup_f32 v27, v13, v27, v28
	v_bfe_u32 v24, v20, 16, 1
	v_fma_f32 v13, -v31, v32, 1.0
	v_fmac_f32_e32 v32, v13, v32
	v_div_scale_f32 v13, vcc, v29, v26, v29
	v_mul_f32_e32 v28, v13, v32
	v_fma_f32 v30, -v31, v28, v13
	v_fmac_f32_e32 v28, v30, v32
	v_fma_f32 v13, -v31, v28, v13
	v_div_fmas_f32 v13, v13, v32, v28
	v_div_fixup_f32 v26, v13, v26, v29
	v_pk_mul_f32 v[22:23], v[22:23], v[26:27]
	v_add3_u32 v24, v20, v24, s85
	v_bfe_u32 v25, v22, 16, 1
	v_add3_u32 v25, v22, v25, s85
	v_bfe_u32 v26, v23, 16, 1
	v_lshrrev_b32_e32 v25, 16, v25
	v_cmp_o_f32_e32 vcc, v22, v22
	v_bfe_u32 v13, v21, 16, 1
	v_and_b32_e32 v24, 0xffff0000, v24
	v_add3_u32 v26, v23, v26, s85
	v_cndmask_b32_e32 v22, v52, v25, vcc
	v_cmp_o_f32_e32 vcc, v20, v20
	v_add3_u32 v13, v21, v13, s85
	v_and_b32_e32 v26, 0xffff0000, v26
	v_cndmask_b32_e32 v20, v51, v24, vcc
	v_cmp_o_f32_e32 vcc, v23, v23
	v_lshrrev_b32_e32 v13, 16, v13
	s_cmp_eq_u32 s89, s73
	v_cndmask_b32_e32 v23, v51, v26, vcc
	v_cmp_o_f32_e32 vcc, v21, v21
	v_or3_b32 v21, 0, v22, v23
	v_lshl_add_u64 v[22:23], s[56:57], 1, v[8:9]
	v_cndmask_b32_e32 v13, v52, v13, vcc
	v_or3_b32 v20, v20, 0, v13
	s_waitcnt lgkmcnt(0)
	; wave barrier
	global_store_dwordx2 v[22:23], v[20:21], off
	s_cbranch_scc1 .LBB33_50
.LBB33_12:                              ; =>This Loop Header: Depth=1
                                        ;     Child Loop BB33_25 Depth 2
	s_waitcnt lgkmcnt(0)
	; wave barrier
	s_and_saveexec_b64 s[6:7], s[0:1]
	s_cbranch_execz .LBB33_14
; %bb.13:                               ;   in Loop: Header=BB33_12 Depth=1
	global_load_dwordx2 v[14:15], v2, s[46:47]
	global_load_dwordx2 v[16:17], v2, s[48:49]
	s_waitcnt vmcnt(1)
	v_lshrrev_b32_e32 v54, 16, v14
	v_lshrrev_b32_e32 v56, 16, v15
	s_waitcnt vmcnt(0)
	v_lshrrev_b32_e32 v53, 16, v16
	v_lshrrev_b32_e32 v55, 16, v17
.LBB33_14:                              ;   in Loop: Header=BB33_12 Depth=1
	s_or_b64 exec, exec, s[6:7]
	v_lshlrev_b32_e32 v13, 16, v16
	v_add_f32_e32 v57, s33, v13
	v_cmp_ge_f32_e32 vcc, s75, v57
	s_and_b64 s[6:7], s[52:53], vcc
	s_and_saveexec_b64 s[8:9], s[6:7]
	s_cbranch_execz .LBB33_16
; %bb.15:                               ;   in Loop: Header=BB33_12 Depth=1
	v_mul_f32_e32 v13, 0x3fb8aa3b, v57
	v_rndne_f32_e32 v20, v13
	v_sub_f32_e32 v21, v13, v20
	v_fma_f32 v13, v57, s76, -v13
	v_fmac_f32_e32 v13, 0x32a5705f, v57
	v_add_f32_e32 v13, v21, v13
	v_cvt_i32_f32_e32 v20, v20
	v_exp_f32_e32 v13, v13
	v_cmp_ngt_f32_e32 vcc, s77, v57
	v_ldexp_f32 v13, v13, v20
	s_nop 0
	v_cndmask_b32_e32 v13, 0, v13, vcc
	v_cmp_nlt_f32_e32 vcc, s78, v57
	s_nop 1
	v_cndmask_b32_e32 v36, v0, v13, vcc
	v_add_f32_e32 v13, 1.0, v36
	v_add_f32_e32 v20, -1.0, v13
	v_sub_f32_e32 v21, v20, v13
	v_add_f32_e32 v21, 1.0, v21
	v_sub_f32_e32 v20, v36, v20
	v_add_f32_e32 v22, v20, v21
	v_frexp_mant_f32_e32 v23, v13
	v_cvt_f64_f32_e32 v[20:21], v13
	v_frexp_exp_i32_f64_e32 v20, v[20:21]
	v_cmp_gt_f32_e32 vcc, s80, v23
	v_cmp_gt_f32_e64 s[6:7], s82, v36
	s_nop 0
	v_subbrev_co_u32_e32 v28, vcc, 0, v20, vcc
	v_sub_u32_e32 v20, 0, v28
	v_ldexp_f32 v13, v13, v20
	v_ldexp_f32 v20, v22, v20
	v_add_f32_e32 v22, -1.0, v13
	v_add_f32_e32 v21, 1.0, v22
	v_sub_f32_e32 v21, v13, v21
	v_add_f32_e32 v23, v20, v21
	v_add_f32_e32 v21, 1.0, v13
	v_add_f32_e32 v24, -1.0, v21
	v_sub_f32_e32 v13, v13, v24
	v_add_f32_e32 v13, v20, v13
	v_add_f32_e32 v29, v21, v13
	v_rcp_f32_e32 v30, v29
	v_sub_f32_e32 v20, v21, v29
	v_add_f32_e32 v21, v22, v23
	v_add_f32_e32 v13, v13, v20
	v_mul_f32_e32 v32, v21, v30
	v_sub_f32_e32 v20, v22, v21
	v_mul_f32_e32 v22, v29, v32
	v_fma_f32 v24, v32, v29, -v22
	v_fmac_f32_e32 v24, v32, v13
	v_add_f32_e32 v31, v23, v20
	v_add_f32_e32 v20, v22, v24
	v_sub_f32_e32 v23, v21, v20
	v_pk_add_f32 v[26:27], v[20:21], v[22:23] neg_lo:[0,1] neg_hi:[0,1]
	v_mov_b32_e32 v25, v20
	v_pk_add_f32 v[20:21], v[26:27], v[24:25] neg_lo:[0,1] neg_hi:[0,1]
	v_cmp_eq_f32_e32 vcc, s79, v36
	v_add_f32_e32 v21, v31, v21
	v_add_f32_e32 v20, v20, v21
	v_add_f32_e32 v21, v23, v20
	v_mul_f32_e32 v31, v30, v21
	v_mul_f32_e32 v22, v29, v31
	v_fma_f32 v24, v31, v29, -v22
	v_fmac_f32_e32 v24, v31, v13
	v_sub_f32_e32 v13, v23, v21
	v_add_f32_e32 v13, v20, v13
	v_add_f32_e32 v20, v22, v24
	v_sub_f32_e32 v23, v21, v20
	v_pk_add_f32 v[26:27], v[20:21], v[22:23] neg_lo:[0,1] neg_hi:[0,1]
	v_mov_b32_e32 v25, v20
	v_pk_add_f32 v[20:21], v[26:27], v[24:25] neg_lo:[0,1] neg_hi:[0,1]
	s_or_b64 vcc, s[6:7], vcc
	v_add_f32_e32 v13, v13, v21
	v_add_f32_e32 v13, v20, v13
	;; [unrolled: 1-line block ×4, first 2 shown]
	v_sub_f32_e32 v20, v21, v32
	v_mul_f32_e32 v13, v30, v13
	v_sub_f32_e32 v20, v31, v20
	v_add_f32_e32 v22, v20, v13
	v_add_f32_e32 v24, v21, v22
	v_cvt_f32_i32_e32 v20, v28
	v_mul_f32_e32 v25, v24, v24
	v_sub_f32_e32 v21, v24, v21
	v_fmamk_f32 v13, v25, 0x3e9b6dac, v47
	v_sub_f32_e32 v21, v22, v21
	v_fmaak_f32 v13, v25, v13, 0x3f2aaada
	v_ldexp_f32 v26, v21, 1
	v_mul_f32_e32 v21, v24, v25
	v_ldexp_f32 v23, v24, 1
	v_pk_mul_f32 v[24:25], v[20:21], v[12:13]
	s_nop 0
	v_fma_f32 v22, v20, s81, -v24
	v_fmac_f32_e32 v22, 0xb102e308, v20
	v_pk_add_f32 v[20:21], v[24:25], v[22:23]
	s_nop 0
	v_sub_f32_e32 v13, v21, v23
	v_sub_f32_e32 v13, v25, v13
	v_add_f32_e32 v27, v26, v13
	v_mov_b32_e32 v26, v24
	v_pk_add_f32 v[24:25], v[20:21], v[24:25] neg_lo:[0,1] neg_hi:[0,1]
	v_pk_add_f32 v[28:29], v[20:21], v[26:27]
	v_mov_b32_e32 v23, v20
	v_mov_b32_e32 v25, v29
	v_pk_add_f32 v[30:31], v[22:23], v[24:25] neg_lo:[0,1] neg_hi:[0,1]
	v_pk_add_f32 v[22:23], v[22:23], v[24:25]
	v_mov_b32_e32 v26, v27
	v_mov_b32_e32 v24, v23
	v_pk_add_f32 v[32:33], v[24:25], v[20:21] neg_lo:[0,1] neg_hi:[0,1]
	v_mov_b32_e32 v22, v29
	v_mov_b32_e32 v13, v32
	v_pk_add_f32 v[34:35], v[28:29], v[12:13] neg_lo:[0,1] neg_hi:[0,1]
	v_mov_b32_e32 v28, v21
	v_mov_b32_e32 v29, v32
	v_mov_b32_e32 v31, v23
	v_pk_add_f32 v[22:23], v[22:23], v[28:29] neg_lo:[0,1] neg_hi:[0,1]
	v_mov_b32_e32 v27, v20
	v_pk_add_f32 v[20:21], v[26:27], v[22:23] neg_lo:[0,1] neg_hi:[0,1]
	v_mov_b32_e32 v34, v30
	v_pk_add_f32 v[22:23], v[34:35], v[20:21]
	s_nop 0
	v_mov_b32_e32 v26, v23
	v_pk_add_f32 v[26:27], v[22:23], v[26:27]
	s_nop 0
	v_pk_add_f32 v[24:25], v[24:25], v[26:27]
	v_mov_b32_e32 v21, v26
	v_mov_b32_e32 v23, v24
	v_pk_add_f32 v[28:29], v[22:23], v[30:31] neg_lo:[0,1] neg_hi:[0,1]
	s_nop 0
	v_sub_f32_e32 v13, v22, v28
	v_pk_add_f32 v[20:21], v[20:21], v[28:29] neg_lo:[0,1] neg_hi:[0,1]
	v_sub_f32_e32 v13, v30, v13
	v_add_f32_e32 v13, v20, v13
	v_add_f32_e32 v13, v13, v21
	;; [unrolled: 1-line block ×3, first 2 shown]
	v_cndmask_b32_e32 v57, v13, v36, vcc
.LBB33_16:                              ;   in Loop: Header=BB33_12 Depth=1
	s_or_b64 exec, exec, s[8:9]
	v_lshlrev_b32_e32 v13, 16, v53
	v_add_f32_e32 v58, s33, v13
	v_cmp_ge_f32_e32 vcc, s75, v58
	s_and_b64 s[6:7], s[52:53], vcc
	s_and_saveexec_b64 s[8:9], s[6:7]
	s_cbranch_execz .LBB33_18
; %bb.17:                               ;   in Loop: Header=BB33_12 Depth=1
	v_mul_f32_e32 v13, 0x3fb8aa3b, v58
	v_rndne_f32_e32 v20, v13
	v_sub_f32_e32 v21, v13, v20
	v_fma_f32 v13, v58, s76, -v13
	v_fmac_f32_e32 v13, 0x32a5705f, v58
	v_add_f32_e32 v13, v21, v13
	v_cvt_i32_f32_e32 v20, v20
	v_exp_f32_e32 v13, v13
	v_cmp_ngt_f32_e32 vcc, s77, v58
	v_ldexp_f32 v13, v13, v20
	s_nop 0
	v_cndmask_b32_e32 v13, 0, v13, vcc
	v_cmp_nlt_f32_e32 vcc, s78, v58
	s_nop 1
	v_cndmask_b32_e32 v36, v0, v13, vcc
	v_add_f32_e32 v13, 1.0, v36
	v_add_f32_e32 v20, -1.0, v13
	v_sub_f32_e32 v21, v20, v13
	v_add_f32_e32 v21, 1.0, v21
	v_sub_f32_e32 v20, v36, v20
	v_add_f32_e32 v22, v20, v21
	v_frexp_mant_f32_e32 v23, v13
	v_cvt_f64_f32_e32 v[20:21], v13
	v_frexp_exp_i32_f64_e32 v20, v[20:21]
	v_cmp_gt_f32_e32 vcc, s80, v23
	v_cmp_gt_f32_e64 s[6:7], s82, v36
	s_nop 0
	v_subbrev_co_u32_e32 v28, vcc, 0, v20, vcc
	v_sub_u32_e32 v20, 0, v28
	v_ldexp_f32 v13, v13, v20
	v_ldexp_f32 v20, v22, v20
	v_add_f32_e32 v22, -1.0, v13
	v_add_f32_e32 v21, 1.0, v22
	v_sub_f32_e32 v21, v13, v21
	v_add_f32_e32 v23, v20, v21
	v_add_f32_e32 v21, 1.0, v13
	v_add_f32_e32 v24, -1.0, v21
	v_sub_f32_e32 v13, v13, v24
	v_add_f32_e32 v13, v20, v13
	v_add_f32_e32 v29, v21, v13
	v_rcp_f32_e32 v30, v29
	v_sub_f32_e32 v20, v21, v29
	v_add_f32_e32 v21, v22, v23
	v_add_f32_e32 v13, v13, v20
	v_mul_f32_e32 v32, v21, v30
	v_sub_f32_e32 v20, v22, v21
	v_mul_f32_e32 v22, v29, v32
	v_fma_f32 v24, v32, v29, -v22
	v_fmac_f32_e32 v24, v32, v13
	v_add_f32_e32 v31, v23, v20
	v_add_f32_e32 v20, v22, v24
	v_sub_f32_e32 v23, v21, v20
	v_pk_add_f32 v[26:27], v[20:21], v[22:23] neg_lo:[0,1] neg_hi:[0,1]
	v_mov_b32_e32 v25, v20
	v_pk_add_f32 v[20:21], v[26:27], v[24:25] neg_lo:[0,1] neg_hi:[0,1]
	v_cmp_eq_f32_e32 vcc, s79, v36
	v_add_f32_e32 v21, v31, v21
	v_add_f32_e32 v20, v20, v21
	;; [unrolled: 1-line block ×3, first 2 shown]
	v_mul_f32_e32 v31, v30, v21
	v_mul_f32_e32 v22, v29, v31
	v_fma_f32 v24, v31, v29, -v22
	v_fmac_f32_e32 v24, v31, v13
	v_sub_f32_e32 v13, v23, v21
	v_add_f32_e32 v13, v20, v13
	v_add_f32_e32 v20, v22, v24
	v_sub_f32_e32 v23, v21, v20
	v_pk_add_f32 v[26:27], v[20:21], v[22:23] neg_lo:[0,1] neg_hi:[0,1]
	v_mov_b32_e32 v25, v20
	v_pk_add_f32 v[20:21], v[26:27], v[24:25] neg_lo:[0,1] neg_hi:[0,1]
	s_or_b64 vcc, s[6:7], vcc
	v_add_f32_e32 v13, v13, v21
	v_add_f32_e32 v13, v20, v13
	;; [unrolled: 1-line block ×4, first 2 shown]
	v_sub_f32_e32 v20, v21, v32
	v_mul_f32_e32 v13, v30, v13
	v_sub_f32_e32 v20, v31, v20
	v_add_f32_e32 v22, v20, v13
	v_add_f32_e32 v24, v21, v22
	v_cvt_f32_i32_e32 v20, v28
	v_mul_f32_e32 v25, v24, v24
	v_sub_f32_e32 v21, v24, v21
	v_fmamk_f32 v13, v25, 0x3e9b6dac, v47
	v_sub_f32_e32 v21, v22, v21
	v_fmaak_f32 v13, v25, v13, 0x3f2aaada
	v_ldexp_f32 v26, v21, 1
	v_mul_f32_e32 v21, v24, v25
	v_ldexp_f32 v23, v24, 1
	v_pk_mul_f32 v[24:25], v[20:21], v[12:13]
	s_nop 0
	v_fma_f32 v22, v20, s81, -v24
	v_fmac_f32_e32 v22, 0xb102e308, v20
	v_pk_add_f32 v[20:21], v[24:25], v[22:23]
	s_nop 0
	v_sub_f32_e32 v13, v21, v23
	v_sub_f32_e32 v13, v25, v13
	v_add_f32_e32 v27, v26, v13
	v_mov_b32_e32 v26, v24
	v_pk_add_f32 v[24:25], v[20:21], v[24:25] neg_lo:[0,1] neg_hi:[0,1]
	v_pk_add_f32 v[28:29], v[20:21], v[26:27]
	v_mov_b32_e32 v23, v20
	v_mov_b32_e32 v25, v29
	v_pk_add_f32 v[30:31], v[22:23], v[24:25] neg_lo:[0,1] neg_hi:[0,1]
	v_pk_add_f32 v[22:23], v[22:23], v[24:25]
	v_mov_b32_e32 v26, v27
	v_mov_b32_e32 v24, v23
	v_pk_add_f32 v[32:33], v[24:25], v[20:21] neg_lo:[0,1] neg_hi:[0,1]
	v_mov_b32_e32 v22, v29
	v_mov_b32_e32 v13, v32
	v_pk_add_f32 v[34:35], v[28:29], v[12:13] neg_lo:[0,1] neg_hi:[0,1]
	v_mov_b32_e32 v28, v21
	v_mov_b32_e32 v29, v32
	;; [unrolled: 1-line block ×3, first 2 shown]
	v_pk_add_f32 v[22:23], v[22:23], v[28:29] neg_lo:[0,1] neg_hi:[0,1]
	v_mov_b32_e32 v27, v20
	v_pk_add_f32 v[20:21], v[26:27], v[22:23] neg_lo:[0,1] neg_hi:[0,1]
	v_mov_b32_e32 v34, v30
	v_pk_add_f32 v[22:23], v[34:35], v[20:21]
	s_nop 0
	v_mov_b32_e32 v26, v23
	v_pk_add_f32 v[26:27], v[22:23], v[26:27]
	s_nop 0
	v_pk_add_f32 v[24:25], v[24:25], v[26:27]
	v_mov_b32_e32 v21, v26
	v_mov_b32_e32 v23, v24
	v_pk_add_f32 v[28:29], v[22:23], v[30:31] neg_lo:[0,1] neg_hi:[0,1]
	s_nop 0
	v_sub_f32_e32 v13, v22, v28
	v_pk_add_f32 v[20:21], v[20:21], v[28:29] neg_lo:[0,1] neg_hi:[0,1]
	v_sub_f32_e32 v13, v30, v13
	v_add_f32_e32 v13, v20, v13
	v_add_f32_e32 v13, v13, v21
	v_add_f32_e32 v13, v24, v13
	v_cndmask_b32_e32 v58, v13, v36, vcc
.LBB33_18:                              ;   in Loop: Header=BB33_12 Depth=1
	s_or_b64 exec, exec, s[8:9]
	v_lshlrev_b32_e32 v13, 16, v17
	v_add_f32_e32 v25, s33, v13
	v_cmp_ge_f32_e32 vcc, s75, v25
	s_and_b64 s[6:7], s[52:53], vcc
	s_and_saveexec_b64 s[8:9], s[6:7]
	s_cbranch_execz .LBB33_20
; %bb.19:                               ;   in Loop: Header=BB33_12 Depth=1
	v_mul_f32_e32 v13, 0x3fb8aa3b, v25
	v_rndne_f32_e32 v20, v13
	v_sub_f32_e32 v21, v13, v20
	v_fma_f32 v13, v25, s76, -v13
	v_fmac_f32_e32 v13, 0x32a5705f, v25
	v_add_f32_e32 v13, v21, v13
	v_cvt_i32_f32_e32 v20, v20
	v_exp_f32_e32 v13, v13
	v_cmp_ngt_f32_e32 vcc, s77, v25
	v_ldexp_f32 v13, v13, v20
	s_nop 0
	v_cndmask_b32_e32 v13, 0, v13, vcc
	v_cmp_nlt_f32_e32 vcc, s78, v25
	s_nop 1
	v_cndmask_b32_e32 v36, v0, v13, vcc
	v_add_f32_e32 v13, 1.0, v36
	v_add_f32_e32 v20, -1.0, v13
	v_sub_f32_e32 v21, v20, v13
	v_add_f32_e32 v21, 1.0, v21
	v_sub_f32_e32 v20, v36, v20
	v_add_f32_e32 v22, v20, v21
	v_frexp_mant_f32_e32 v23, v13
	v_cvt_f64_f32_e32 v[20:21], v13
	v_frexp_exp_i32_f64_e32 v20, v[20:21]
	v_cmp_gt_f32_e32 vcc, s80, v23
	v_cmp_gt_f32_e64 s[6:7], s82, v36
	s_nop 0
	v_subbrev_co_u32_e32 v28, vcc, 0, v20, vcc
	v_sub_u32_e32 v20, 0, v28
	v_ldexp_f32 v13, v13, v20
	v_ldexp_f32 v20, v22, v20
	v_add_f32_e32 v22, -1.0, v13
	v_add_f32_e32 v21, 1.0, v22
	v_sub_f32_e32 v21, v13, v21
	v_add_f32_e32 v23, v20, v21
	v_add_f32_e32 v21, 1.0, v13
	v_add_f32_e32 v24, -1.0, v21
	v_sub_f32_e32 v13, v13, v24
	v_add_f32_e32 v13, v20, v13
	v_add_f32_e32 v29, v21, v13
	v_rcp_f32_e32 v30, v29
	v_sub_f32_e32 v20, v21, v29
	v_add_f32_e32 v21, v22, v23
	v_add_f32_e32 v13, v13, v20
	v_mul_f32_e32 v32, v21, v30
	v_sub_f32_e32 v20, v22, v21
	v_mul_f32_e32 v22, v29, v32
	v_fma_f32 v24, v32, v29, -v22
	v_fmac_f32_e32 v24, v32, v13
	v_add_f32_e32 v31, v23, v20
	v_add_f32_e32 v20, v22, v24
	v_sub_f32_e32 v23, v21, v20
	v_pk_add_f32 v[26:27], v[20:21], v[22:23] neg_lo:[0,1] neg_hi:[0,1]
	v_mov_b32_e32 v25, v20
	v_pk_add_f32 v[20:21], v[26:27], v[24:25] neg_lo:[0,1] neg_hi:[0,1]
	v_cmp_eq_f32_e32 vcc, s79, v36
	v_add_f32_e32 v21, v31, v21
	v_add_f32_e32 v20, v20, v21
	;; [unrolled: 1-line block ×3, first 2 shown]
	v_mul_f32_e32 v31, v30, v21
	v_mul_f32_e32 v22, v29, v31
	v_fma_f32 v24, v31, v29, -v22
	v_fmac_f32_e32 v24, v31, v13
	v_sub_f32_e32 v13, v23, v21
	v_add_f32_e32 v13, v20, v13
	v_add_f32_e32 v20, v22, v24
	v_sub_f32_e32 v23, v21, v20
	v_pk_add_f32 v[26:27], v[20:21], v[22:23] neg_lo:[0,1] neg_hi:[0,1]
	v_mov_b32_e32 v25, v20
	v_pk_add_f32 v[20:21], v[26:27], v[24:25] neg_lo:[0,1] neg_hi:[0,1]
	s_or_b64 vcc, s[6:7], vcc
	v_add_f32_e32 v13, v13, v21
	v_add_f32_e32 v13, v20, v13
	;; [unrolled: 1-line block ×4, first 2 shown]
	v_sub_f32_e32 v20, v21, v32
	v_mul_f32_e32 v13, v30, v13
	v_sub_f32_e32 v20, v31, v20
	v_add_f32_e32 v22, v20, v13
	v_add_f32_e32 v24, v21, v22
	v_cvt_f32_i32_e32 v20, v28
	v_mul_f32_e32 v25, v24, v24
	v_sub_f32_e32 v21, v24, v21
	v_fmamk_f32 v13, v25, 0x3e9b6dac, v47
	v_sub_f32_e32 v21, v22, v21
	v_fmaak_f32 v13, v25, v13, 0x3f2aaada
	v_ldexp_f32 v26, v21, 1
	v_mul_f32_e32 v21, v24, v25
	v_ldexp_f32 v23, v24, 1
	v_pk_mul_f32 v[24:25], v[20:21], v[12:13]
	s_nop 0
	v_fma_f32 v22, v20, s81, -v24
	v_fmac_f32_e32 v22, 0xb102e308, v20
	v_pk_add_f32 v[20:21], v[24:25], v[22:23]
	s_nop 0
	v_sub_f32_e32 v13, v21, v23
	v_sub_f32_e32 v13, v25, v13
	v_add_f32_e32 v27, v26, v13
	v_mov_b32_e32 v26, v24
	v_pk_add_f32 v[24:25], v[20:21], v[24:25] neg_lo:[0,1] neg_hi:[0,1]
	v_pk_add_f32 v[28:29], v[20:21], v[26:27]
	v_mov_b32_e32 v23, v20
	v_mov_b32_e32 v25, v29
	v_pk_add_f32 v[30:31], v[22:23], v[24:25] neg_lo:[0,1] neg_hi:[0,1]
	v_pk_add_f32 v[22:23], v[22:23], v[24:25]
	v_mov_b32_e32 v26, v27
	v_mov_b32_e32 v24, v23
	v_pk_add_f32 v[32:33], v[24:25], v[20:21] neg_lo:[0,1] neg_hi:[0,1]
	v_mov_b32_e32 v22, v29
	v_mov_b32_e32 v13, v32
	v_pk_add_f32 v[34:35], v[28:29], v[12:13] neg_lo:[0,1] neg_hi:[0,1]
	v_mov_b32_e32 v28, v21
	v_mov_b32_e32 v29, v32
	;; [unrolled: 1-line block ×3, first 2 shown]
	v_pk_add_f32 v[22:23], v[22:23], v[28:29] neg_lo:[0,1] neg_hi:[0,1]
	v_mov_b32_e32 v27, v20
	v_pk_add_f32 v[20:21], v[26:27], v[22:23] neg_lo:[0,1] neg_hi:[0,1]
	v_mov_b32_e32 v34, v30
	v_pk_add_f32 v[22:23], v[34:35], v[20:21]
	s_nop 0
	v_mov_b32_e32 v26, v23
	v_pk_add_f32 v[26:27], v[22:23], v[26:27]
	s_nop 0
	v_pk_add_f32 v[24:25], v[24:25], v[26:27]
	v_mov_b32_e32 v21, v26
	v_mov_b32_e32 v23, v24
	v_pk_add_f32 v[28:29], v[22:23], v[30:31] neg_lo:[0,1] neg_hi:[0,1]
	s_nop 0
	v_sub_f32_e32 v13, v22, v28
	v_pk_add_f32 v[20:21], v[20:21], v[28:29] neg_lo:[0,1] neg_hi:[0,1]
	v_sub_f32_e32 v13, v30, v13
	v_add_f32_e32 v13, v20, v13
	v_add_f32_e32 v13, v13, v21
	;; [unrolled: 1-line block ×3, first 2 shown]
	v_cndmask_b32_e32 v25, v13, v36, vcc
.LBB33_20:                              ;   in Loop: Header=BB33_12 Depth=1
	s_or_b64 exec, exec, s[8:9]
	v_lshlrev_b32_e32 v13, 16, v55
	v_add_f32_e32 v24, s33, v13
	v_cmp_ge_f32_e32 vcc, s75, v24
	s_and_b64 s[6:7], s[52:53], vcc
	s_and_saveexec_b64 s[8:9], s[6:7]
	s_cbranch_execz .LBB33_22
; %bb.21:                               ;   in Loop: Header=BB33_12 Depth=1
	v_mul_f32_e32 v13, 0x3fb8aa3b, v24
	v_rndne_f32_e32 v20, v13
	v_sub_f32_e32 v21, v13, v20
	v_fma_f32 v13, v24, s76, -v13
	v_fmac_f32_e32 v13, 0x32a5705f, v24
	v_add_f32_e32 v13, v21, v13
	v_cvt_i32_f32_e32 v20, v20
	v_exp_f32_e32 v13, v13
	v_cmp_ngt_f32_e32 vcc, s77, v24
	v_ldexp_f32 v13, v13, v20
	s_nop 0
	v_cndmask_b32_e32 v13, 0, v13, vcc
	v_cmp_nlt_f32_e32 vcc, s78, v24
	s_nop 1
	v_cndmask_b32_e32 v36, v0, v13, vcc
	v_add_f32_e32 v13, 1.0, v36
	v_add_f32_e32 v20, -1.0, v13
	v_sub_f32_e32 v21, v20, v13
	v_add_f32_e32 v21, 1.0, v21
	v_sub_f32_e32 v20, v36, v20
	v_add_f32_e32 v22, v20, v21
	v_frexp_mant_f32_e32 v23, v13
	v_cvt_f64_f32_e32 v[20:21], v13
	v_frexp_exp_i32_f64_e32 v20, v[20:21]
	v_cmp_gt_f32_e32 vcc, s80, v23
	v_cmp_gt_f32_e64 s[6:7], s82, v36
	s_nop 0
	v_subbrev_co_u32_e32 v24, vcc, 0, v20, vcc
	v_sub_u32_e32 v20, 0, v24
	v_ldexp_f32 v13, v13, v20
	v_ldexp_f32 v20, v22, v20
	v_add_f32_e32 v22, -1.0, v13
	v_add_f32_e32 v21, 1.0, v22
	v_sub_f32_e32 v21, v13, v21
	v_add_f32_e32 v23, v20, v21
	v_add_f32_e32 v21, 1.0, v13
	v_add_f32_e32 v26, -1.0, v21
	v_sub_f32_e32 v13, v13, v26
	v_add_f32_e32 v13, v20, v13
	v_add_f32_e32 v30, v21, v13
	v_rcp_f32_e32 v31, v30
	v_sub_f32_e32 v20, v21, v30
	v_add_f32_e32 v21, v22, v23
	v_add_f32_e32 v13, v13, v20
	v_mul_f32_e32 v33, v21, v31
	v_sub_f32_e32 v20, v22, v21
	v_mul_f32_e32 v22, v30, v33
	v_fma_f32 v26, v33, v30, -v22
	v_fmac_f32_e32 v26, v33, v13
	v_add_f32_e32 v32, v23, v20
	v_add_f32_e32 v20, v22, v26
	v_sub_f32_e32 v23, v21, v20
	v_pk_add_f32 v[28:29], v[20:21], v[22:23] neg_lo:[0,1] neg_hi:[0,1]
	v_mov_b32_e32 v27, v20
	v_pk_add_f32 v[20:21], v[28:29], v[26:27] neg_lo:[0,1] neg_hi:[0,1]
	v_cmp_eq_f32_e32 vcc, s79, v36
	v_add_f32_e32 v21, v32, v21
	v_add_f32_e32 v20, v20, v21
	;; [unrolled: 1-line block ×3, first 2 shown]
	v_mul_f32_e32 v32, v31, v21
	v_mul_f32_e32 v22, v30, v32
	v_fma_f32 v26, v32, v30, -v22
	v_fmac_f32_e32 v26, v32, v13
	v_sub_f32_e32 v13, v23, v21
	v_add_f32_e32 v13, v20, v13
	v_add_f32_e32 v20, v22, v26
	v_sub_f32_e32 v23, v21, v20
	v_pk_add_f32 v[28:29], v[20:21], v[22:23] neg_lo:[0,1] neg_hi:[0,1]
	v_mov_b32_e32 v27, v20
	v_pk_add_f32 v[20:21], v[28:29], v[26:27] neg_lo:[0,1] neg_hi:[0,1]
	s_or_b64 vcc, s[6:7], vcc
	v_add_f32_e32 v13, v13, v21
	v_add_f32_e32 v13, v20, v13
	;; [unrolled: 1-line block ×4, first 2 shown]
	v_sub_f32_e32 v20, v21, v33
	v_mul_f32_e32 v13, v31, v13
	v_sub_f32_e32 v20, v32, v20
	v_add_f32_e32 v22, v20, v13
	v_add_f32_e32 v26, v21, v22
	v_cvt_f32_i32_e32 v20, v24
	v_mul_f32_e32 v27, v26, v26
	v_sub_f32_e32 v21, v26, v21
	v_fmamk_f32 v13, v27, 0x3e9b6dac, v47
	v_sub_f32_e32 v21, v22, v21
	v_fmaak_f32 v13, v27, v13, 0x3f2aaada
	v_ldexp_f32 v24, v21, 1
	v_mul_f32_e32 v21, v26, v27
	v_ldexp_f32 v23, v26, 1
	v_pk_mul_f32 v[26:27], v[20:21], v[12:13]
	s_nop 0
	v_fma_f32 v22, v20, s81, -v26
	v_fmac_f32_e32 v22, 0xb102e308, v20
	v_pk_add_f32 v[20:21], v[26:27], v[22:23]
	v_mov_b32_e32 v28, v26
	v_sub_f32_e32 v13, v21, v23
	v_sub_f32_e32 v13, v27, v13
	v_add_f32_e32 v29, v24, v13
	v_pk_add_f32 v[26:27], v[20:21], v[26:27] neg_lo:[0,1] neg_hi:[0,1]
	v_pk_add_f32 v[30:31], v[20:21], v[28:29]
	v_mov_b32_e32 v23, v20
	v_mov_b32_e32 v27, v31
	v_pk_add_f32 v[32:33], v[22:23], v[26:27] neg_lo:[0,1] neg_hi:[0,1]
	v_pk_add_f32 v[22:23], v[22:23], v[26:27]
	s_nop 0
	v_mov_b32_e32 v24, v23
	v_pk_add_f32 v[26:27], v[24:25], v[20:21] neg_lo:[0,1] neg_hi:[0,1]
	v_mov_b32_e32 v22, v31
	v_mov_b32_e32 v13, v26
	v_pk_add_f32 v[34:35], v[30:31], v[12:13] neg_lo:[0,1] neg_hi:[0,1]
	v_mov_b32_e32 v30, v21
	v_mov_b32_e32 v31, v26
	;; [unrolled: 1-line block ×3, first 2 shown]
	v_pk_add_f32 v[22:23], v[22:23], v[30:31] neg_lo:[0,1] neg_hi:[0,1]
	v_mov_b32_e32 v26, v29
	v_mov_b32_e32 v27, v20
	v_pk_add_f32 v[20:21], v[26:27], v[22:23] neg_lo:[0,1] neg_hi:[0,1]
	v_mov_b32_e32 v34, v32
	v_pk_add_f32 v[22:23], v[34:35], v[20:21]
	s_nop 0
	v_mov_b32_e32 v26, v23
	v_pk_add_f32 v[26:27], v[22:23], v[26:27]
	s_nop 0
	v_pk_add_f32 v[28:29], v[24:25], v[26:27]
	v_mov_b32_e32 v21, v26
	v_mov_b32_e32 v23, v28
	v_pk_add_f32 v[30:31], v[22:23], v[32:33] neg_lo:[0,1] neg_hi:[0,1]
	s_nop 0
	v_sub_f32_e32 v13, v22, v30
	v_pk_add_f32 v[20:21], v[20:21], v[30:31] neg_lo:[0,1] neg_hi:[0,1]
	v_sub_f32_e32 v13, v32, v13
	v_add_f32_e32 v13, v20, v13
	v_add_f32_e32 v13, v13, v21
	;; [unrolled: 1-line block ×3, first 2 shown]
	v_cndmask_b32_e32 v24, v13, v36, vcc
.LBB33_22:                              ;   in Loop: Header=BB33_12 Depth=1
	s_or_b64 exec, exec, s[8:9]
	v_lshlrev_b32_e32 v26, 16, v15
	v_lshlrev_b32_e32 v13, 16, v56
	;; [unrolled: 1-line block ×4, first 2 shown]
	v_mul_f32_e32 v22, s70, v26
	v_mul_f32_e32 v20, s70, v27
	;; [unrolled: 1-line block ×3, first 2 shown]
	s_lshl_b32 s56, s89, 8
	v_mul_f32_e32 v23, s70, v13
	s_and_b64 vcc, exec, s[54:55]
	s_waitcnt lgkmcnt(0)
	; wave barrier
	s_cbranch_vccz .LBB33_48
; %bb.23:                               ;   in Loop: Header=BB33_12 Depth=1
	v_and_b32_e32 v30, 15, v48
	v_cmp_eq_u32_e64 s[6:7], 0, v30
	v_cmp_lt_u32_e64 s[8:9], 1, v30
	v_cmp_lt_u32_e64 s[10:11], 3, v30
	;; [unrolled: 1-line block ×3, first 2 shown]
	v_and_b32_e32 v30, 16, v48
	s_sub_i32 s24, s30, s56
	v_cmp_ne_u32_e64 s[14:15], 0, v30
	v_add_u32_e32 v30, -1, v48
	v_and_b32_e32 v31, 64, v48
	s_cmp_lg_u32 s89, 0
	v_cmp_lt_i32_e32 vcc, v30, v31
	s_cselect_b64 s[58:59], -1, 0
	s_cmp_eq_u32 s89, s74
	v_cndmask_b32_e32 v30, v30, v48, vcc
	v_cmp_gt_u32_e32 vcc, s24, v11
	s_cselect_b64 s[60:61], -1, 0
	s_or_b64 s[18:19], s[50:51], vcc
	v_cmp_gt_u32_e32 vcc, s24, v10
	s_mov_b32 s34, 0
	v_cmp_gt_u32_e64 s[20:21], s24, v1
	s_or_b64 s[22:23], s[50:51], vcc
	v_cmp_gt_u32_e32 vcc, s24, v46
	v_mul_f32_e32 v13, v24, v13
	v_mul_f32_e32 v59, v25, v26
	;; [unrolled: 1-line block ×4, first 2 shown]
	v_lshl_add_u64 v[26:27], s[38:39], 0, v[2:3]
	v_lshl_add_u64 v[28:29], s[42:43], 0, v[2:3]
	v_cmp_lt_u32_e64 s[16:17], 31, v48
	v_lshlrev_b32_e32 v62, 2, v30
	s_or_b64 s[20:21], s[50:51], s[20:21]
	s_or_b64 s[24:25], s[50:51], vcc
	s_mov_b32 s62, s34
	s_mov_b32 s64, s34
	;; [unrolled: 1-line block ×5, first 2 shown]
	s_branch .LBB33_25
.LBB33_24:                              ;   in Loop: Header=BB33_25 Depth=2
	s_or_b64 exec, exec, s[26:27]
	v_mul_f32_e32 v32, v39, v38
	v_fma_f32 v33, v39, v41, v35
	v_cndmask_b32_e64 v35, v33, v35, s[4:5]
	v_cndmask_b32_e64 v32, v32, v39, s[4:5]
	s_waitcnt lgkmcnt(0)
	v_fmac_f32_e32 v35, v44, v32
	v_fmac_f32_e32 v34, v35, v37
	;; [unrolled: 1-line block ×4, first 2 shown]
	v_alignbit_b32 v32, v31, v30, 16
	v_and_b32_e32 v32, 0xffff0000, v32
	v_and_b32_e32 v38, 0xffff0000, v30
	;; [unrolled: 1-line block ×3, first 2 shown]
	v_lshlrev_b32_e32 v39, 16, v30
	v_mov_b32_e32 v37, v40
	s_add_i32 s90, s90, 8
	s_add_i32 s57, s57, -1
	s_add_i32 s66, s66, s71
	s_add_i32 s64, s64, s44
	;; [unrolled: 1-line block ×4, first 2 shown]
	v_pk_fma_f32 v[22:23], v[36:37], v[32:33], v[22:23]
	s_cmp_eq_u32 s57, 0
	v_pk_fma_f32 v[20:21], v[34:35], v[38:39], v[20:21]
	s_cbranch_scc1 .LBB33_48
.LBB33_25:                              ;   Parent Loop BB33_12 Depth=1
                                        ; =>  This Inner Loop Header: Depth=2
	s_lshl_b64 s[26:27], s[34:35], 2
	s_mov_b32 s63, s35
	s_add_u32 s26, s36, s26
	v_lshl_add_u64 v[30:31], s[62:63], 1, v[26:27]
	s_mov_b32 s65, s35
	s_addc_u32 s27, s72, s27
	global_load_dwordx2 v[34:35], v[30:31], off
	v_lshl_add_u64 v[30:31], s[64:65], 1, v[28:29]
	global_load_dword v36, v3, s[26:27]
	s_andn2_b64 vcc, exec, s[58:59]
	global_load_dwordx2 v[30:31], v[30:31], off
	s_cbranch_vccnz .LBB33_27
; %bb.26:                               ;   in Loop: Header=BB33_25 Depth=2
	v_mov_b32_e32 v32, s90
	ds_read_b64 v[32:33], v32
	s_cbranch_execz .LBB33_28
	s_branch .LBB33_31
.LBB33_27:                              ;   in Loop: Header=BB33_25 Depth=2
                                        ; implicit-def: $vgpr33
.LBB33_28:                              ;   in Loop: Header=BB33_25 Depth=2
	s_andn2_b64 vcc, exec, s[28:29]
	s_waitcnt lgkmcnt(0)
	v_mov_b32_e32 v33, 0
	s_cbranch_vccnz .LBB33_30
; %bb.29:                               ;   in Loop: Header=BB33_25 Depth=2
	s_mov_b32 s67, s35
	s_lshl_b64 s[26:27], s[66:67], 2
	s_add_u32 s26, s41, s26
	s_addc_u32 s27, s45, s27
	global_load_dword v33, v3, s[26:27]
.LBB33_30:                              ;   in Loop: Header=BB33_25 Depth=2
	v_mov_b32_e32 v32, 1.0
.LBB33_31:                              ;   in Loop: Header=BB33_25 Depth=2
	s_waitcnt vmcnt(1)
	v_mul_f32_e32 v38, 0x3fb8aa3b, v36
	v_mul_f32_e32 v39, v38, v57
	v_lshlrev_b32_e32 v37, 16, v34
	v_cmp_gt_f32_e32 vcc, s84, v39
	v_and_b32_e32 v36, 0xffff0000, v34
	v_alignbit_b32 v34, v35, v34, 16
	v_cndmask_b32_e32 v39, 0, v49, vcc
	v_and_b32_e32 v42, 0xffff0000, v35
	v_mul_f32_e32 v35, v61, v37
	v_mul_f32_e32 v37, v38, v58
	v_fmac_f32_e32 v39, v38, v57
	v_and_b32_e32 v40, 0xffff0000, v34
	v_cndmask_b32_e32 v34, 1.0, v50, vcc
	v_cmp_gt_f32_e32 vcc, s84, v37
	v_exp_f32_e32 v39, v39
	v_cndmask_b32_e64 v35, 0, v35, s[18:19]
	v_cndmask_b32_e32 v37, 0, v49, vcc
	v_fmac_f32_e32 v37, v38, v58
	v_exp_f32_e32 v37, v37
	v_mul_f32_e32 v34, v39, v34
	v_cndmask_b32_e64 v39, 1.0, v34, s[18:19]
	v_cndmask_b32_e32 v34, 1.0, v50, vcc
	v_mul_f32_e32 v37, v37, v34
	v_mul_f32_e32 v34, v60, v36
	;; [unrolled: 1-line block ×3, first 2 shown]
	v_pk_mul_f32 v[40:41], v[38:39], v[24:25] op_sel_hi:[0,1]
	v_cmp_gt_f32_e32 vcc, s84, v40
	v_cmp_gt_f32_e64 s[26:27], s84, v41
	v_cndmask_b32_e64 v34, 0, v34, s[20:21]
	v_cndmask_b32_e32 v38, 0, v49, vcc
	v_add_f32_e32 v38, v40, v38
	v_cndmask_b32_e64 v40, 0, v49, s[26:27]
	v_exp_f32_e32 v38, v38
	v_add_f32_e32 v40, v41, v40
	v_exp_f32_e32 v40, v40
	v_cndmask_b32_e32 v41, 1.0, v50, vcc
	v_mul_f32_e32 v38, v38, v41
	v_cndmask_b32_e64 v41, 1.0, v50, s[26:27]
	v_cndmask_b32_e64 v37, 1.0, v37, s[20:21]
	v_mul_f32_e32 v41, v40, v41
	v_mul_f32_e32 v40, v13, v42
	v_cndmask_b32_e64 v43, 1.0, v41, s[22:23]
	v_cndmask_b32_e64 v42, 1.0, v38, s[24:25]
	v_fma_f32 v38, v37, v35, v34
	v_cndmask_b32_e64 v36, 0, v36, s[22:23]
	v_mul_f32_e32 v38, v38, v43
	v_pk_add_f32 v[44:45], v[38:39], v[36:37]
	v_pk_mul_f32 v[64:65], v[38:39], v[36:37]
	v_cndmask_b32_e64 v40, 0, v40, s[24:25]
	v_mov_b32_e32 v45, v65
	v_pk_mul_f32 v[64:65], v[44:45], v[42:43]
	v_mov_b32_e32 v41, v42
	v_pk_fma_f32 v[66:67], v[44:45], v[42:43], v[40:41]
	v_pk_mul_f32 v[64:65], v[64:65], v[40:41]
	s_nop 0
	v_mov_b32_dpp v41, v66 row_shr:1 row_mask:0xf bank_mask:0xf
	v_mov_b32_dpp v38, v65 row_shr:1 row_mask:0xf bank_mask:0xf
	v_mul_f32_e32 v63, v65, v38
	v_fma_f32 v38, v65, v41, v66
	v_cndmask_b32_e64 v45, v38, v66, s[6:7]
	v_cndmask_b32_e64 v38, v38, v66, s[6:7]
	;; [unrolled: 1-line block ×4, first 2 shown]
	v_mov_b32_dpp v64, v38 row_shr:2 row_mask:0xf bank_mask:0xf
	v_mov_b32_dpp v63, v41 row_shr:2 row_mask:0xf bank_mask:0xf
	s_and_saveexec_b64 s[26:27], s[8:9]
; %bb.32:                               ;   in Loop: Header=BB33_25 Depth=2
	v_fmac_f32_e32 v38, v41, v64
	v_mul_f32_e32 v41, v41, v63
	v_mov_b32_e32 v44, v41
	v_mov_b32_e32 v45, v38
; %bb.33:                               ;   in Loop: Header=BB33_25 Depth=2
	s_or_b64 exec, exec, s[26:27]
	v_mov_b32_dpp v63, v41 row_shr:4 row_mask:0xf bank_mask:0xf
	v_mov_b32_dpp v64, v38 row_shr:4 row_mask:0xf bank_mask:0xf
	s_and_saveexec_b64 s[26:27], s[10:11]
; %bb.34:                               ;   in Loop: Header=BB33_25 Depth=2
	v_fmac_f32_e32 v38, v41, v64
	v_mul_f32_e32 v41, v41, v63
	v_mov_b32_e32 v44, v41
	v_mov_b32_e32 v45, v38
; %bb.35:                               ;   in Loop: Header=BB33_25 Depth=2
	s_or_b64 exec, exec, s[26:27]
	;; [unrolled: 10-line block ×3, first 2 shown]
	v_mov_b32_dpp v63, v41 row_bcast:15 row_mask:0xf bank_mask:0xf
	v_mov_b32_dpp v64, v38 row_bcast:15 row_mask:0xf bank_mask:0xf
	s_and_saveexec_b64 s[26:27], s[14:15]
; %bb.38:                               ;   in Loop: Header=BB33_25 Depth=2
	v_fmac_f32_e32 v38, v41, v64
	v_mul_f32_e32 v41, v41, v63
	v_mov_b32_e32 v44, v41
	v_mov_b32_e32 v45, v38
; %bb.39:                               ;   in Loop: Header=BB33_25 Depth=2
	s_or_b64 exec, exec, s[26:27]
	v_mov_b32_dpp v63, v41 row_bcast:31 row_mask:0xf bank_mask:0xf
	v_mov_b32_dpp v64, v38 row_bcast:31 row_mask:0xf bank_mask:0xf
	v_mul_f32_e32 v63, v41, v63
	v_fmac_f32_e32 v38, v41, v64
	v_cndmask_b32_e64 v44, v44, v63, s[16:17]
	v_cndmask_b32_e64 v45, v45, v38, s[16:17]
	s_and_saveexec_b64 s[26:27], s[2:3]
	s_cbranch_execz .LBB33_41
; %bb.40:                               ;   in Loop: Header=BB33_25 Depth=2
	ds_write_b64 v3, v[44:45] offset:1056
.LBB33_41:                              ;   in Loop: Header=BB33_25 Depth=2
	s_or_b64 exec, exec, s[26:27]
	ds_bpermute_b32 v38, v62, v44
	ds_bpermute_b32 v41, v62, v45
	s_waitcnt vmcnt(0) lgkmcnt(2)
	v_mov_b32_e32 v45, v33
	s_waitcnt lgkmcnt(0)
	; wave barrier
	s_waitcnt lgkmcnt(0)
	s_and_saveexec_b64 s[26:27], s[0:1]
	s_cbranch_execz .LBB33_45
; %bb.42:                               ;   in Loop: Header=BB33_25 Depth=2
	ds_read_b64 v[44:45], v3 offset:1056
	s_and_saveexec_b64 s[68:69], s[4:5]
	s_cbranch_execz .LBB33_44
; %bb.43:                               ;   in Loop: Header=BB33_25 Depth=2
	ds_write_b64 v3, v[32:33] offset:1056
.LBB33_44:                              ;   in Loop: Header=BB33_25 Depth=2
	s_or_b64 exec, exec, s[68:69]
	s_waitcnt lgkmcnt(0)
	v_fmac_f32_e32 v45, v33, v44
	v_mul_f32_e32 v32, v32, v44
	v_mov_b32_e32 v33, v45
.LBB33_45:                              ;   in Loop: Header=BB33_25 Depth=2
	s_or_b64 exec, exec, s[26:27]
	s_waitcnt lgkmcnt(0)
	; wave barrier
	ds_read_b32 v44, v3 offset:1060
	s_and_saveexec_b64 s[26:27], s[4:5]
	s_cbranch_execz .LBB33_24
; %bb.46:                               ;   in Loop: Header=BB33_25 Depth=2
	v_mov_b32_e32 v63, s90
	s_andn2_b64 vcc, exec, s[60:61]
	ds_write_b64 v63, v[32:33]
	s_cbranch_vccnz .LBB33_24
; %bb.47:                               ;   in Loop: Header=BB33_25 Depth=2
	s_mov_b32 s67, s35
	s_lshl_b64 s[68:69], s[66:67], 2
	s_add_u32 s68, s41, s68
	s_addc_u32 s69, s45, s69
	global_store_dword v3, v45, s[68:69]
	s_branch .LBB33_24
.LBB33_48:                              ;   in Loop: Header=BB33_12 Depth=1
	v_bfe_u32 v26, v23, 16, 1
	v_bfe_u32 v25, v22, 16, 1
	v_add3_u32 v26, v23, v26, s85
	v_bfe_u32 v24, v20, 16, 1
	v_add3_u32 v25, v22, v25, s85
	v_and_b32_e32 v26, 0xffff0000, v26
	v_cmp_o_f32_e32 vcc, v23, v23
	v_bfe_u32 v13, v21, 16, 1
	v_add3_u32 v24, v20, v24, s85
	v_lshrrev_b32_e32 v25, 16, v25
	v_cndmask_b32_e32 v26, v51, v26, vcc
	v_cmp_o_f32_e32 vcc, v22, v22
	v_add3_u32 v13, v21, v13, s85
	v_and_b32_e32 v24, 0xffff0000, v24
	v_cndmask_b32_e32 v25, v52, v25, vcc
	v_cmp_o_f32_e32 vcc, v20, v20
	v_lshrrev_b32_e32 v13, 16, v13
	s_mov_b32 s57, s35
	v_cndmask_b32_e32 v24, v51, v24, vcc
	v_cmp_o_f32_e32 vcc, v21, v21
	v_or3_b32 v25, 0, v25, v26
	v_lshl_add_u64 v[26:27], s[56:57], 1, v[4:5]
	v_cndmask_b32_e32 v13, v52, v13, vcc
	v_or_b32_e32 v13, v24, v13
	v_or3_b32 v24, v13, 0, 0
	s_waitcnt lgkmcnt(0)
	; wave barrier
	global_store_dwordx2 v[26:27], v[24:25], off
	s_waitcnt lgkmcnt(0)
	; wave barrier
	s_and_saveexec_b64 s[6:7], s[0:1]
	s_cbranch_execz .LBB33_11
; %bb.49:                               ;   in Loop: Header=BB33_12 Depth=1
	v_lshl_add_u64 v[18:19], s[56:57], 1, v[6:7]
	global_load_dwordx2 v[18:19], v[18:19], off
	s_waitcnt vmcnt(0)
	v_alignbit_b32 v18, v18, v18, 16
	s_branch .LBB33_11
.LBB33_50:
	s_endpgm
	.section	.rodata,"a",@progbits
	.p2align	6, 0x0
	.amdhsa_kernel _Z25selective_scan_fwd_kernelI32Selective_Scan_fwd_kernel_traitsILi64ELi4ELi1ELb1ELb1ELb1ELb1ELb0EN3c108BFloat16EffEEv13SSMParamsBase
		.amdhsa_group_segment_fixed_size 0
		.amdhsa_private_segment_fixed_size 0
		.amdhsa_kernarg_size 248
		.amdhsa_user_sgpr_count 2
		.amdhsa_user_sgpr_dispatch_ptr 0
		.amdhsa_user_sgpr_queue_ptr 0
		.amdhsa_user_sgpr_kernarg_segment_ptr 1
		.amdhsa_user_sgpr_dispatch_id 0
		.amdhsa_user_sgpr_kernarg_preload_length 0
		.amdhsa_user_sgpr_kernarg_preload_offset 0
		.amdhsa_user_sgpr_private_segment_size 0
		.amdhsa_uses_dynamic_stack 0
		.amdhsa_enable_private_segment 0
		.amdhsa_system_sgpr_workgroup_id_x 1
		.amdhsa_system_sgpr_workgroup_id_y 1
		.amdhsa_system_sgpr_workgroup_id_z 0
		.amdhsa_system_sgpr_workgroup_info 0
		.amdhsa_system_vgpr_workitem_id 0
		.amdhsa_next_free_vgpr 68
		.amdhsa_next_free_sgpr 91
		.amdhsa_accum_offset 68
		.amdhsa_reserve_vcc 1
		.amdhsa_float_round_mode_32 0
		.amdhsa_float_round_mode_16_64 0
		.amdhsa_float_denorm_mode_32 3
		.amdhsa_float_denorm_mode_16_64 3
		.amdhsa_dx10_clamp 1
		.amdhsa_ieee_mode 1
		.amdhsa_fp16_overflow 0
		.amdhsa_tg_split 0
		.amdhsa_exception_fp_ieee_invalid_op 0
		.amdhsa_exception_fp_denorm_src 0
		.amdhsa_exception_fp_ieee_div_zero 0
		.amdhsa_exception_fp_ieee_overflow 0
		.amdhsa_exception_fp_ieee_underflow 0
		.amdhsa_exception_fp_ieee_inexact 0
		.amdhsa_exception_int_div_zero 0
	.end_amdhsa_kernel
	.section	.text._Z25selective_scan_fwd_kernelI32Selective_Scan_fwd_kernel_traitsILi64ELi4ELi1ELb1ELb1ELb1ELb1ELb0EN3c108BFloat16EffEEv13SSMParamsBase,"axG",@progbits,_Z25selective_scan_fwd_kernelI32Selective_Scan_fwd_kernel_traitsILi64ELi4ELi1ELb1ELb1ELb1ELb1ELb0EN3c108BFloat16EffEEv13SSMParamsBase,comdat
.Lfunc_end33:
	.size	_Z25selective_scan_fwd_kernelI32Selective_Scan_fwd_kernel_traitsILi64ELi4ELi1ELb1ELb1ELb1ELb1ELb0EN3c108BFloat16EffEEv13SSMParamsBase, .Lfunc_end33-_Z25selective_scan_fwd_kernelI32Selective_Scan_fwd_kernel_traitsILi64ELi4ELi1ELb1ELb1ELb1ELb1ELb0EN3c108BFloat16EffEEv13SSMParamsBase
                                        ; -- End function
	.section	.AMDGPU.csdata,"",@progbits
; Kernel info:
; codeLenInByte = 6236
; NumSgprs: 97
; NumVgprs: 68
; NumAgprs: 0
; TotalNumVgprs: 68
; ScratchSize: 0
; MemoryBound: 0
; FloatMode: 240
; IeeeMode: 1
; LDSByteSize: 0 bytes/workgroup (compile time only)
; SGPRBlocks: 12
; VGPRBlocks: 8
; NumSGPRsForWavesPerEU: 97
; NumVGPRsForWavesPerEU: 68
; AccumOffset: 68
; Occupancy: 7
; WaveLimiterHint : 0
; COMPUTE_PGM_RSRC2:SCRATCH_EN: 0
; COMPUTE_PGM_RSRC2:USER_SGPR: 2
; COMPUTE_PGM_RSRC2:TRAP_HANDLER: 0
; COMPUTE_PGM_RSRC2:TGID_X_EN: 1
; COMPUTE_PGM_RSRC2:TGID_Y_EN: 1
; COMPUTE_PGM_RSRC2:TGID_Z_EN: 0
; COMPUTE_PGM_RSRC2:TIDIG_COMP_CNT: 0
; COMPUTE_PGM_RSRC3_GFX90A:ACCUM_OFFSET: 16
; COMPUTE_PGM_RSRC3_GFX90A:TG_SPLIT: 0
	.section	.text._Z25selective_scan_fwd_kernelI32Selective_Scan_fwd_kernel_traitsILi64ELi4ELi1ELb1ELb1ELb1ELb0ELb1EN3c108BFloat16EffEEv13SSMParamsBase,"axG",@progbits,_Z25selective_scan_fwd_kernelI32Selective_Scan_fwd_kernel_traitsILi64ELi4ELi1ELb1ELb1ELb1ELb0ELb1EN3c108BFloat16EffEEv13SSMParamsBase,comdat
	.protected	_Z25selective_scan_fwd_kernelI32Selective_Scan_fwd_kernel_traitsILi64ELi4ELi1ELb1ELb1ELb1ELb0ELb1EN3c108BFloat16EffEEv13SSMParamsBase ; -- Begin function _Z25selective_scan_fwd_kernelI32Selective_Scan_fwd_kernel_traitsILi64ELi4ELi1ELb1ELb1ELb1ELb0ELb1EN3c108BFloat16EffEEv13SSMParamsBase
	.globl	_Z25selective_scan_fwd_kernelI32Selective_Scan_fwd_kernel_traitsILi64ELi4ELi1ELb1ELb1ELb1ELb0ELb1EN3c108BFloat16EffEEv13SSMParamsBase
	.p2align	8
	.type	_Z25selective_scan_fwd_kernelI32Selective_Scan_fwd_kernel_traitsILi64ELi4ELi1ELb1ELb1ELb1ELb0ELb1EN3c108BFloat16EffEEv13SSMParamsBase,@function
_Z25selective_scan_fwd_kernelI32Selective_Scan_fwd_kernel_traitsILi64ELi4ELi1ELb1ELb1ELb1ELb0ELb1EN3c108BFloat16EffEEv13SSMParamsBase: ; @_Z25selective_scan_fwd_kernelI32Selective_Scan_fwd_kernel_traitsILi64ELi4ELi1ELb1ELb1ELb1ELb0ELb1EN3c108BFloat16EffEEv13SSMParamsBase
; %bb.0:
	s_load_dword s27, s[0:1], 0x18
	s_load_dwordx4 s[4:7], s[0:1], 0xe0
	s_load_dwordx2 s[10:11], s[0:1], 0xf0
	s_mov_b32 s20, s3
	s_ashr_i32 s3, s2, 31
	s_waitcnt lgkmcnt(0)
	s_abs_i32 s26, s27
	v_cvt_f32_u32_e32 v1, s26
	s_lshl_b64 s[8:9], s[2:3], 2
	s_add_u32 s24, s4, s8
	s_addc_u32 s25, s5, s9
	v_rcp_iflag_f32_e32 v1, v1
	s_cmp_eq_u64 s[10:11], 0
	v_mul_f32_e32 v1, 0x4f7ffffe, v1
	v_cvt_u32_f32_e32 v1, v1
	s_nop 0
	v_readfirstlane_b32 s28, v1
	s_cbranch_scc1 .LBB34_86
; %bb.1:
	s_add_u32 s4, s10, s2
	s_addc_u32 s5, s11, s3
	v_mov_b32_e32 v1, 0
	global_load_ubyte v1, v1, s[4:5]
	s_waitcnt vmcnt(0)
	v_and_b32_e32 v1, 1, v1
	v_cmp_eq_u32_e64 s[52:53], 1, v1
	s_load_dwordx2 s[4:5], s[0:1], 0x20
	s_cmp_eq_u64 s[6:7], 0
	s_cbranch_scc1 .LBB34_3
.LBB34_2:
	s_add_u32 s2, s6, s8
	s_addc_u32 s3, s7, s9
	s_load_dword s2, s[2:3], 0x0
	s_waitcnt lgkmcnt(0)
	s_ashr_i32 s3, s2, 31
.LBB34_3:
	s_waitcnt lgkmcnt(0)
	s_cmp_eq_u64 s[4:5], s[2:3]
	s_cbranch_scc1 .LBB34_85
; %bb.4:
	s_load_dwordx16 s[4:19], s[0:1], 0x88
	s_load_dwordx2 s[22:23], s[24:25], 0x0
	s_mov_b32 s33, 0
	s_mov_b32 s78, 0
	s_waitcnt lgkmcnt(0)
	s_cmp_eq_u64 s[10:11], 0
	s_cbranch_scc1 .LBB34_6
; %bb.5:
	s_ashr_i32 s21, s20, 31
	s_lshl_b64 s[24:25], s[20:21], 2
	s_add_u32 s10, s10, s24
	s_addc_u32 s11, s11, s25
	s_load_dword s78, s[10:11], 0x0
.LBB34_6:
	s_cmp_eq_u64 s[16:17], 0
	s_cbranch_scc1 .LBB34_8
; %bb.7:
	s_ashr_i32 s21, s20, 31
	s_lshl_b64 s[10:11], s[20:21], 2
	s_add_u32 s10, s16, s10
	s_addc_u32 s11, s17, s11
	s_load_dword s33, s[10:11], 0x0
.LBB34_8:
	s_sub_i32 s79, s23, s22
	s_cmp_lt_i32 s79, 1
	s_cbranch_scc1 .LBB34_85
; %bb.9:
	s_sub_i32 s3, 0, s26
	s_mul_i32 s3, s3, s28
	s_mul_hi_u32 s3, s28, s3
	s_load_dwordx8 s[40:47], s[0:1], 0x2c
	s_load_dwordx2 s[16:17], s[0:1], 0x5c
	s_load_dwordx4 s[48:51], s[0:1], 0x4c
	s_abs_i32 s21, s20
	s_add_i32 s28, s28, s3
	s_load_dwordx4 s[36:39], s[0:1], 0x7c
	s_load_dwordx2 s[10:11], s[0:1], 0x6c
	s_load_dwordx2 s[24:25], s[0:1], 0xc8
	s_mul_hi_u32 s3, s21, s28
	s_waitcnt lgkmcnt(0)
	s_load_dword s39, s[0:1], 0xc
	s_load_dword s23, s[0:1], 0x28
	s_ashr_i32 s0, s20, 31
	s_ashr_i32 s1, s27, 31
	s_xor_b32 s0, s0, s1
	s_mul_i32 s1, s3, s26
	s_sub_i32 s1, s21, s1
	s_add_i32 s21, s3, 1
	s_sub_i32 s27, s1, s26
	s_cmp_ge_u32 s1, s26
	s_cselect_b32 s3, s21, s3
	s_cselect_b32 s1, s27, s1
	s_add_i32 s21, s3, 1
	s_cmp_ge_u32 s1, s26
	s_cselect_b32 s1, s21, s3
	s_xor_b32 s1, s1, s0
	s_mul_i32 s54, s22, s50
	s_mov_b32 s55, 0
	s_sub_i32 s3, s1, s0
	s_lshl_b64 s[0:1], s[54:55], 1
	s_add_u32 s12, s12, s0
	s_mul_i32 s54, s51, s20
	s_addc_u32 s13, s13, s1
	s_lshl_b64 s[0:1], s[54:55], 1
	s_add_u32 s50, s12, s0
	s_mul_i32 s54, s22, s16
	s_addc_u32 s51, s13, s1
	;; [unrolled: 4-line block ×9, first 2 shown]
	s_lshl_b64 s[0:1], s[54:55], 2
	s_add_u32 s2, s24, s0
	s_mul_i32 s54, s37, s20
	v_mbcnt_lo_u32_b32 v2, -1, 0
	s_addc_u32 s3, s25, s1
	s_lshl_b64 s[0:1], s[54:55], 2
	v_mbcnt_hi_u32_b32 v2, -1, v2
	s_add_u32 s45, s2, s0
	v_lshrrev_b32_e32 v3, 5, v2
	s_addc_u32 s49, s3, s1
	s_add_i32 s0, s79, 0x7ff
	v_and_b32_e32 v3, 2, v3
	s_lshr_b32 s81, s0, 11
	v_add_u32_e32 v36, 64, v2
	v_or_b32_e32 v37, 0x80, v2
	v_add_u32_e32 v38, 0xc0, v2
	v_add_u32_e32 v3, v3, v2
	v_lshl_add_u32 v39, v3, 1, 0
	v_lshrrev_b32_e32 v3, 5, v36
	v_lshrrev_b32_e32 v4, 5, v37
	;; [unrolled: 1-line block ×3, first 2 shown]
	s_waitcnt lgkmcnt(0)
	s_bitcmp1_b32 s23, 0
	v_and_b32_e32 v3, 6, v3
	v_and_b32_e32 v4, 6, v4
	;; [unrolled: 1-line block ×3, first 2 shown]
	s_cselect_b64 s[58:59], -1, 0
	s_cmp_gt_i32 s39, 0
	v_add_lshl_u32 v3, v3, v2, 1
	v_add_lshl_u32 v4, v4, v2, 1
	;; [unrolled: 1-line block ×3, first 2 shown]
	s_cselect_b64 s[60:61], -1, 0
	s_add_i32 s0, 0, 0x210
	s_mul_i32 s54, s22, s10
	v_add_u32_e32 v44, s0, v3
	v_add_u32_e32 v45, s0, v4
	v_add_u32_e32 v46, s0, v5
	s_and_b32 s2, s79, 0xff
	s_add_i32 s82, s81, -1
	s_lshl_b64 s[0:1], s[54:55], 1
	s_add_u32 s3, s18, s0
	s_mul_i32 s54, s11, s20
	s_addc_u32 s4, s19, s1
	s_lshl_b64 s[0:1], s[54:55], 1
	s_add_u32 s18, s3, s0
	v_add_u32_e32 v40, 0, v3
	s_addc_u32 s19, s4, s1
	v_and_b32_e32 v3, 15, v2
	s_cmp_eq_u32 s2, 0
	v_cmp_eq_u32_e64 s[0:1], 0, v3
	v_cmp_lt_u32_e64 s[2:3], 1, v3
	v_cmp_lt_u32_e64 s[4:5], 3, v3
	;; [unrolled: 1-line block ×3, first 2 shown]
	v_and_b32_e32 v3, 16, v2
	v_add_u32_e32 v41, 0, v4
	v_lshrrev_b32_e32 v6, 3, v2
	v_cmp_ne_u32_e64 s[8:9], 0, v3
	v_add_u32_e32 v3, -1, v2
	v_and_b32_e32 v4, 64, v2
	v_and_b32_e32 v6, 14, v6
	v_cmp_lt_i32_e32 vcc, v3, v4
	v_mov_b32_e32 v1, 0
	v_lshlrev_b32_e32 v7, 2, v0
	v_lshl_add_u32 v6, v2, 2, v6
	v_cmp_eq_u32_e64 s[12:13], 63, v0
	v_cndmask_b32_e32 v3, v3, v2, vcc
	v_cmp_gt_u32_e64 s[14:15], 64, v0
	v_cmp_eq_u32_e64 s[16:17], 0, v0
	v_lshlrev_b32_e32 v0, 1, v2
                                        ; implicit-def: $vgpr8
	v_add_u32_e32 v42, 0, v5
	v_lshl_add_u32 v43, v6, 1, 0
	s_cselect_b64 s[62:63], -1, 0
	v_cmp_lt_u32_e64 s[10:11], 31, v2
	v_lshlrev_b32_e32 v47, 2, v3
	v_lshl_add_u64 v[4:5], s[18:19], 0, v[0:1]
	v_or_b32_e32 v3, 1, v7
	v_or_b32_e32 v6, 2, v7
	;; [unrolled: 1-line block ×3, first 2 shown]
	v_lshlrev_b32_e32 v0, 1, v2
	s_mov_b32 s83, 0x41a00000
	s_mov_b32 s84, 0x3fb8aa3b
	;; [unrolled: 1-line block ×6, first 2 shown]
	v_mov_b32_e32 v49, 0x3ecc95a3
	s_mov_b32 s89, 0x3f317218
	s_mov_b32 s90, 0x33800000
	s_add_i32 s91, 0, 0x428
	s_mov_b32 s92, 0xc2fc0000
	s_movk_i32 s93, 0x7fff
	s_mov_b32 s94, 0x5040100
	v_mov_b32_e32 v50, 0x7f800000
	v_mov_b32_e32 v8, 0x3f317218
	;; [unrolled: 1-line block ×5, first 2 shown]
	s_mov_b32 s95, 0
	s_branch .LBB34_11
.LBB34_10:                              ;   in Loop: Header=BB34_11 Depth=1
	s_or_b64 exec, exec, s[18:19]
	s_add_u32 s56, s56, 0x200
	s_addc_u32 s57, s57, 0
	s_add_u32 s50, s50, 0x200
	s_addc_u32 s51, s51, 0
	;; [unrolled: 2-line block ×4, first 2 shown]
	s_add_i32 s95, s95, 1
	s_cmp_eq_u32 s95, s81
	s_cbranch_scc1 .LBB34_85
.LBB34_11:                              ; =>This Loop Header: Depth=1
                                        ;     Child Loop BB34_36 Depth 2
	s_lshl_b32 s64, s95, 8
	s_sub_i32 s34, s79, s64
	v_lshl_add_u64 v[10:11], s[50:51], 0, v[0:1]
	v_cmp_gt_u32_e64 s[18:19], s34, v2
	s_waitcnt lgkmcnt(1)
	v_mov_b32_e32 v12, 0
	s_waitcnt lgkmcnt(0)
	; wave barrier
	s_and_saveexec_b64 s[20:21], s[18:19]
	s_cbranch_execz .LBB34_13
; %bb.12:                               ;   in Loop: Header=BB34_11 Depth=1
	global_load_ushort v12, v[10:11], off
.LBB34_13:                              ;   in Loop: Header=BB34_11 Depth=1
	s_or_b64 exec, exec, s[20:21]
	v_cmp_gt_u32_e64 s[20:21], s34, v36
	v_mov_b32_e32 v13, 0
	v_mov_b32_e32 v14, 0
	s_and_saveexec_b64 s[22:23], s[20:21]
	s_cbranch_execz .LBB34_15
; %bb.14:                               ;   in Loop: Header=BB34_11 Depth=1
	global_load_ushort v14, v[10:11], off offset:128
.LBB34_15:                              ;   in Loop: Header=BB34_11 Depth=1
	s_or_b64 exec, exec, s[22:23]
	v_cmp_gt_u32_e64 s[22:23], s34, v37
	s_and_saveexec_b64 s[24:25], s[22:23]
	s_cbranch_execz .LBB34_17
; %bb.16:                               ;   in Loop: Header=BB34_11 Depth=1
	global_load_ushort v13, v[10:11], off offset:256
.LBB34_17:                              ;   in Loop: Header=BB34_11 Depth=1
	s_or_b64 exec, exec, s[24:25]
	v_cmp_gt_u32_e64 s[24:25], s34, v38
	s_waitcnt lgkmcnt(0)
	v_mov_b32_e32 v9, 0
	v_mov_b32_e32 v15, 0
	s_and_saveexec_b64 s[26:27], s[24:25]
	s_cbranch_execz .LBB34_19
; %bb.18:                               ;   in Loop: Header=BB34_11 Depth=1
	global_load_ushort v15, v[10:11], off offset:384
.LBB34_19:                              ;   in Loop: Header=BB34_11 Depth=1
	s_or_b64 exec, exec, s[26:27]
	s_waitcnt vmcnt(0)
	ds_write_b16 v39, v12
	ds_write_b16 v40, v14 offset:128
	ds_write_b16 v41, v13 offset:256
	;; [unrolled: 1-line block ×3, first 2 shown]
	; wave barrier
	ds_read_b64 v[12:13], v43
	v_lshl_add_u64 v[10:11], s[56:57], 0, v[0:1]
	s_waitcnt lgkmcnt(0)
	; wave barrier
	s_waitcnt lgkmcnt(0)
	s_and_saveexec_b64 s[26:27], s[18:19]
	s_cbranch_execz .LBB34_21
; %bb.20:                               ;   in Loop: Header=BB34_11 Depth=1
	global_load_ushort v9, v[10:11], off
.LBB34_21:                              ;   in Loop: Header=BB34_11 Depth=1
	s_or_b64 exec, exec, s[26:27]
	v_mov_b32_e32 v14, 0
	v_mov_b32_e32 v15, 0
	s_and_saveexec_b64 s[26:27], s[20:21]
	s_cbranch_execnz .LBB34_79
; %bb.22:                               ;   in Loop: Header=BB34_11 Depth=1
	s_or_b64 exec, exec, s[26:27]
	s_and_saveexec_b64 s[26:27], s[22:23]
	s_cbranch_execnz .LBB34_80
.LBB34_23:                              ;   in Loop: Header=BB34_11 Depth=1
	s_or_b64 exec, exec, s[26:27]
	v_mov_b32_e32 v16, 0
	s_and_saveexec_b64 s[26:27], s[24:25]
	s_cbranch_execz .LBB34_25
.LBB34_24:                              ;   in Loop: Header=BB34_11 Depth=1
	global_load_ushort v16, v[10:11], off offset:384
.LBB34_25:                              ;   in Loop: Header=BB34_11 Depth=1
	s_or_b64 exec, exec, s[26:27]
	s_waitcnt vmcnt(0)
	ds_write_b16 v39, v9
	ds_write_b16 v40, v15 offset:128
	ds_write_b16 v41, v14 offset:256
	;; [unrolled: 1-line block ×3, first 2 shown]
	; wave barrier
	ds_read_b64 v[14:15], v43
	s_waitcnt lgkmcnt(0)
	v_lshlrev_b32_e32 v9, 16, v14
	v_add_f32_e32 v54, s33, v9
	v_cmp_ge_f32_e32 vcc, s83, v54
	s_and_b64 s[26:27], s[58:59], vcc
	s_and_saveexec_b64 s[28:29], s[26:27]
	s_cbranch_execz .LBB34_27
; %bb.26:                               ;   in Loop: Header=BB34_11 Depth=1
	v_mul_f32_e32 v9, 0x3fb8aa3b, v54
	v_rndne_f32_e32 v10, v9
	v_sub_f32_e32 v11, v9, v10
	v_fma_f32 v9, v54, s84, -v9
	v_fmac_f32_e32 v9, 0x32a5705f, v54
	v_add_f32_e32 v9, v11, v9
	v_cvt_i32_f32_e32 v10, v10
	v_exp_f32_e32 v9, v9
	v_cmp_ngt_f32_e32 vcc, s85, v54
	v_ldexp_f32 v9, v9, v10
	s_nop 0
	v_cndmask_b32_e32 v9, 0, v9, vcc
	v_cmp_nlt_f32_e32 vcc, s86, v54
	s_nop 1
	v_cndmask_b32_e32 v30, v50, v9, vcc
	v_add_f32_e32 v9, 1.0, v30
	v_add_f32_e32 v10, -1.0, v9
	v_sub_f32_e32 v11, v10, v9
	v_add_f32_e32 v11, 1.0, v11
	v_sub_f32_e32 v10, v30, v10
	v_add_f32_e32 v16, v10, v11
	v_frexp_mant_f32_e32 v17, v9
	v_cvt_f64_f32_e32 v[10:11], v9
	v_frexp_exp_i32_f64_e32 v10, v[10:11]
	v_cmp_gt_f32_e32 vcc, s88, v17
	v_cmp_gt_f32_e64 s[26:27], s90, v30
	s_nop 0
	v_subbrev_co_u32_e32 v22, vcc, 0, v10, vcc
	v_sub_u32_e32 v10, 0, v22
	v_ldexp_f32 v9, v9, v10
	v_ldexp_f32 v10, v16, v10
	v_add_f32_e32 v16, -1.0, v9
	v_add_f32_e32 v11, 1.0, v16
	v_sub_f32_e32 v11, v9, v11
	v_add_f32_e32 v17, v10, v11
	v_add_f32_e32 v11, 1.0, v9
	v_add_f32_e32 v18, -1.0, v11
	v_sub_f32_e32 v9, v9, v18
	v_add_f32_e32 v9, v10, v9
	v_add_f32_e32 v23, v11, v9
	v_rcp_f32_e32 v24, v23
	v_sub_f32_e32 v10, v11, v23
	v_add_f32_e32 v11, v16, v17
	v_add_f32_e32 v9, v9, v10
	v_mul_f32_e32 v26, v11, v24
	v_sub_f32_e32 v10, v16, v11
	v_mul_f32_e32 v16, v23, v26
	v_fma_f32 v18, v26, v23, -v16
	v_fmac_f32_e32 v18, v26, v9
	v_add_f32_e32 v25, v17, v10
	v_add_f32_e32 v10, v16, v18
	v_sub_f32_e32 v17, v11, v10
	v_pk_add_f32 v[20:21], v[10:11], v[16:17] neg_lo:[0,1] neg_hi:[0,1]
	v_mov_b32_e32 v19, v10
	v_pk_add_f32 v[10:11], v[20:21], v[18:19] neg_lo:[0,1] neg_hi:[0,1]
	v_cmp_eq_f32_e32 vcc, s87, v30
	v_add_f32_e32 v11, v25, v11
	v_add_f32_e32 v10, v10, v11
	v_add_f32_e32 v11, v17, v10
	v_mul_f32_e32 v25, v24, v11
	v_mul_f32_e32 v16, v23, v25
	v_fma_f32 v18, v25, v23, -v16
	v_fmac_f32_e32 v18, v25, v9
	v_sub_f32_e32 v9, v17, v11
	v_add_f32_e32 v9, v10, v9
	v_add_f32_e32 v10, v16, v18
	v_sub_f32_e32 v17, v11, v10
	v_pk_add_f32 v[20:21], v[10:11], v[16:17] neg_lo:[0,1] neg_hi:[0,1]
	v_mov_b32_e32 v19, v10
	v_pk_add_f32 v[10:11], v[20:21], v[18:19] neg_lo:[0,1] neg_hi:[0,1]
	s_or_b64 vcc, s[26:27], vcc
	v_add_f32_e32 v9, v9, v11
	v_add_f32_e32 v9, v10, v9
	;; [unrolled: 1-line block ×4, first 2 shown]
	v_sub_f32_e32 v10, v11, v26
	v_mul_f32_e32 v9, v24, v9
	v_sub_f32_e32 v10, v25, v10
	v_add_f32_e32 v16, v10, v9
	v_add_f32_e32 v18, v11, v16
	v_cvt_f32_i32_e32 v10, v22
	v_mul_f32_e32 v19, v18, v18
	v_sub_f32_e32 v11, v18, v11
	v_fmamk_f32 v9, v19, 0x3e9b6dac, v49
	v_sub_f32_e32 v11, v16, v11
	v_fmaak_f32 v9, v19, v9, 0x3f2aaada
	v_ldexp_f32 v20, v11, 1
	v_mul_f32_e32 v11, v18, v19
	v_ldexp_f32 v17, v18, 1
	v_pk_mul_f32 v[18:19], v[10:11], v[8:9]
	s_nop 0
	v_fma_f32 v16, v10, s89, -v18
	v_fmac_f32_e32 v16, 0xb102e308, v10
	v_pk_add_f32 v[10:11], v[18:19], v[16:17]
	s_nop 0
	v_sub_f32_e32 v9, v11, v17
	v_sub_f32_e32 v9, v19, v9
	v_add_f32_e32 v21, v20, v9
	v_mov_b32_e32 v20, v18
	v_pk_add_f32 v[18:19], v[10:11], v[18:19] neg_lo:[0,1] neg_hi:[0,1]
	v_pk_add_f32 v[22:23], v[10:11], v[20:21]
	v_mov_b32_e32 v17, v10
	v_mov_b32_e32 v19, v23
	v_pk_add_f32 v[24:25], v[16:17], v[18:19] neg_lo:[0,1] neg_hi:[0,1]
	v_pk_add_f32 v[16:17], v[16:17], v[18:19]
	v_mov_b32_e32 v20, v21
	v_mov_b32_e32 v18, v17
	v_pk_add_f32 v[26:27], v[18:19], v[10:11] neg_lo:[0,1] neg_hi:[0,1]
	v_mov_b32_e32 v16, v23
	v_mov_b32_e32 v9, v26
	v_pk_add_f32 v[28:29], v[22:23], v[8:9] neg_lo:[0,1] neg_hi:[0,1]
	v_mov_b32_e32 v22, v11
	v_mov_b32_e32 v23, v26
	;; [unrolled: 1-line block ×3, first 2 shown]
	v_pk_add_f32 v[16:17], v[16:17], v[22:23] neg_lo:[0,1] neg_hi:[0,1]
	v_mov_b32_e32 v21, v10
	v_pk_add_f32 v[10:11], v[20:21], v[16:17] neg_lo:[0,1] neg_hi:[0,1]
	v_mov_b32_e32 v28, v24
	v_pk_add_f32 v[16:17], v[28:29], v[10:11]
	s_nop 0
	v_mov_b32_e32 v20, v17
	v_pk_add_f32 v[20:21], v[16:17], v[20:21]
	s_nop 0
	v_pk_add_f32 v[18:19], v[18:19], v[20:21]
	v_mov_b32_e32 v11, v20
	v_mov_b32_e32 v17, v18
	v_pk_add_f32 v[22:23], v[16:17], v[24:25] neg_lo:[0,1] neg_hi:[0,1]
	s_nop 0
	v_sub_f32_e32 v9, v16, v22
	v_pk_add_f32 v[10:11], v[10:11], v[22:23] neg_lo:[0,1] neg_hi:[0,1]
	v_sub_f32_e32 v9, v24, v9
	v_add_f32_e32 v9, v10, v9
	v_add_f32_e32 v9, v9, v11
	;; [unrolled: 1-line block ×3, first 2 shown]
	v_cndmask_b32_e32 v54, v9, v30, vcc
.LBB34_27:                              ;   in Loop: Header=BB34_11 Depth=1
	s_or_b64 exec, exec, s[28:29]
	v_and_b32_e32 v9, 0xffff0000, v14
	v_add_f32_e32 v55, s33, v9
	v_cmp_ge_f32_e32 vcc, s83, v55
	s_and_b64 s[26:27], s[58:59], vcc
	s_and_saveexec_b64 s[28:29], s[26:27]
	s_cbranch_execz .LBB34_29
; %bb.28:                               ;   in Loop: Header=BB34_11 Depth=1
	v_mul_f32_e32 v9, 0x3fb8aa3b, v55
	v_rndne_f32_e32 v10, v9
	v_sub_f32_e32 v11, v9, v10
	v_fma_f32 v9, v55, s84, -v9
	v_fmac_f32_e32 v9, 0x32a5705f, v55
	v_add_f32_e32 v9, v11, v9
	v_cvt_i32_f32_e32 v10, v10
	v_exp_f32_e32 v9, v9
	v_cmp_ngt_f32_e32 vcc, s85, v55
	v_ldexp_f32 v9, v9, v10
	s_nop 0
	v_cndmask_b32_e32 v9, 0, v9, vcc
	v_cmp_nlt_f32_e32 vcc, s86, v55
	s_nop 1
	v_cndmask_b32_e32 v28, v50, v9, vcc
	v_add_f32_e32 v9, 1.0, v28
	v_add_f32_e32 v10, -1.0, v9
	v_sub_f32_e32 v11, v10, v9
	v_add_f32_e32 v11, 1.0, v11
	v_sub_f32_e32 v10, v28, v10
	v_add_f32_e32 v14, v10, v11
	v_frexp_mant_f32_e32 v16, v9
	v_cvt_f64_f32_e32 v[10:11], v9
	v_frexp_exp_i32_f64_e32 v10, v[10:11]
	v_cmp_gt_f32_e32 vcc, s88, v16
	v_cmp_gt_f32_e64 s[26:27], s90, v28
	s_nop 0
	v_subbrev_co_u32_e32 v22, vcc, 0, v10, vcc
	v_sub_u32_e32 v10, 0, v22
	v_ldexp_f32 v9, v9, v10
	v_ldexp_f32 v10, v14, v10
	v_add_f32_e32 v14, -1.0, v9
	v_add_f32_e32 v11, 1.0, v14
	v_sub_f32_e32 v11, v9, v11
	v_add_f32_e32 v16, v10, v11
	v_add_f32_e32 v11, 1.0, v9
	v_add_f32_e32 v17, -1.0, v11
	v_sub_f32_e32 v9, v9, v17
	v_add_f32_e32 v9, v10, v9
	v_add_f32_e32 v23, v11, v9
	v_rcp_f32_e32 v24, v23
	v_sub_f32_e32 v10, v11, v23
	v_add_f32_e32 v11, v14, v16
	v_add_f32_e32 v9, v9, v10
	v_sub_f32_e32 v10, v14, v11
	v_mul_f32_e32 v25, v11, v24
	v_add_f32_e32 v14, v16, v10
	v_mul_f32_e32 v16, v23, v25
	v_fma_f32 v18, v25, v23, -v16
	v_fmac_f32_e32 v18, v25, v9
	v_add_f32_e32 v10, v16, v18
	v_sub_f32_e32 v17, v11, v10
	v_pk_add_f32 v[20:21], v[10:11], v[16:17] neg_lo:[0,1] neg_hi:[0,1]
	v_mov_b32_e32 v19, v10
	v_pk_add_f32 v[10:11], v[20:21], v[18:19] neg_lo:[0,1] neg_hi:[0,1]
	v_cmp_eq_f32_e32 vcc, s87, v28
	v_add_f32_e32 v11, v14, v11
	v_add_f32_e32 v10, v10, v11
	;; [unrolled: 1-line block ×3, first 2 shown]
	v_mul_f32_e32 v14, v24, v11
	v_mul_f32_e32 v16, v23, v14
	v_fma_f32 v18, v14, v23, -v16
	v_fmac_f32_e32 v18, v14, v9
	v_sub_f32_e32 v9, v17, v11
	v_add_f32_e32 v9, v10, v9
	v_add_f32_e32 v10, v16, v18
	v_sub_f32_e32 v17, v11, v10
	v_pk_add_f32 v[20:21], v[10:11], v[16:17] neg_lo:[0,1] neg_hi:[0,1]
	v_mov_b32_e32 v19, v10
	v_pk_add_f32 v[10:11], v[20:21], v[18:19] neg_lo:[0,1] neg_hi:[0,1]
	s_or_b64 vcc, s[26:27], vcc
	v_add_f32_e32 v9, v9, v11
	v_add_f32_e32 v9, v10, v9
	;; [unrolled: 1-line block ×4, first 2 shown]
	v_sub_f32_e32 v10, v11, v25
	v_mul_f32_e32 v9, v24, v9
	v_sub_f32_e32 v10, v14, v10
	v_add_f32_e32 v14, v10, v9
	v_add_f32_e32 v16, v11, v14
	v_cvt_f32_i32_e32 v10, v22
	v_mul_f32_e32 v18, v16, v16
	v_sub_f32_e32 v11, v16, v11
	v_fmamk_f32 v9, v18, 0x3e9b6dac, v49
	v_sub_f32_e32 v11, v14, v11
	v_fmaak_f32 v9, v18, v9, 0x3f2aaada
	v_ldexp_f32 v14, v11, 1
	v_mul_f32_e32 v11, v16, v18
	v_pk_mul_f32 v[18:19], v[10:11], v[8:9]
	v_ldexp_f32 v17, v16, 1
	v_fma_f32 v16, v10, s89, -v18
	v_fmac_f32_e32 v16, 0xb102e308, v10
	v_pk_add_f32 v[10:11], v[18:19], v[16:17]
	v_mov_b32_e32 v20, v18
	v_sub_f32_e32 v9, v11, v17
	v_sub_f32_e32 v9, v19, v9
	v_add_f32_e32 v21, v14, v9
	v_pk_add_f32 v[18:19], v[10:11], v[18:19] neg_lo:[0,1] neg_hi:[0,1]
	v_pk_add_f32 v[22:23], v[10:11], v[20:21]
	v_mov_b32_e32 v17, v10
	v_mov_b32_e32 v19, v23
	v_pk_add_f32 v[24:25], v[16:17], v[18:19] neg_lo:[0,1] neg_hi:[0,1]
	v_pk_add_f32 v[16:17], v[16:17], v[18:19]
	s_nop 0
	v_mov_b32_e32 v14, v17
	v_pk_add_f32 v[18:19], v[14:15], v[10:11] neg_lo:[0,1] neg_hi:[0,1]
	v_mov_b32_e32 v16, v23
	v_mov_b32_e32 v9, v18
	v_pk_add_f32 v[26:27], v[22:23], v[8:9] neg_lo:[0,1] neg_hi:[0,1]
	v_mov_b32_e32 v22, v11
	v_mov_b32_e32 v23, v18
	;; [unrolled: 1-line block ×3, first 2 shown]
	v_pk_add_f32 v[16:17], v[16:17], v[22:23] neg_lo:[0,1] neg_hi:[0,1]
	v_mov_b32_e32 v18, v21
	v_mov_b32_e32 v19, v10
	v_pk_add_f32 v[10:11], v[18:19], v[16:17] neg_lo:[0,1] neg_hi:[0,1]
	v_mov_b32_e32 v26, v24
	v_pk_add_f32 v[16:17], v[26:27], v[10:11]
	s_nop 0
	v_mov_b32_e32 v18, v17
	v_pk_add_f32 v[18:19], v[16:17], v[18:19]
	s_nop 0
	v_pk_add_f32 v[20:21], v[14:15], v[18:19]
	v_mov_b32_e32 v11, v18
	v_mov_b32_e32 v17, v20
	v_pk_add_f32 v[22:23], v[16:17], v[24:25] neg_lo:[0,1] neg_hi:[0,1]
	s_nop 0
	v_sub_f32_e32 v9, v16, v22
	v_pk_add_f32 v[10:11], v[10:11], v[22:23] neg_lo:[0,1] neg_hi:[0,1]
	v_sub_f32_e32 v9, v24, v9
	v_add_f32_e32 v9, v10, v9
	v_add_f32_e32 v9, v9, v11
	;; [unrolled: 1-line block ×3, first 2 shown]
	v_cndmask_b32_e32 v55, v9, v28, vcc
.LBB34_29:                              ;   in Loop: Header=BB34_11 Depth=1
	s_or_b64 exec, exec, s[28:29]
	v_lshlrev_b32_e32 v9, 16, v15
	v_add_f32_e32 v11, s33, v9
	v_cmp_ge_f32_e32 vcc, s83, v11
	s_and_b64 s[26:27], s[58:59], vcc
	s_and_saveexec_b64 s[28:29], s[26:27]
	s_cbranch_execz .LBB34_31
; %bb.30:                               ;   in Loop: Header=BB34_11 Depth=1
	v_mul_f32_e32 v9, 0x3fb8aa3b, v11
	v_rndne_f32_e32 v10, v9
	v_sub_f32_e32 v14, v9, v10
	v_fma_f32 v9, v11, s84, -v9
	v_fmac_f32_e32 v9, 0x32a5705f, v11
	v_add_f32_e32 v9, v14, v9
	v_cvt_i32_f32_e32 v10, v10
	v_exp_f32_e32 v9, v9
	v_cmp_ngt_f32_e32 vcc, s85, v11
	v_ldexp_f32 v9, v9, v10
	s_nop 0
	v_cndmask_b32_e32 v9, 0, v9, vcc
	v_cmp_nlt_f32_e32 vcc, s86, v11
	s_nop 1
	v_cndmask_b32_e32 v28, v50, v9, vcc
	v_add_f32_e32 v9, 1.0, v28
	v_add_f32_e32 v10, -1.0, v9
	v_sub_f32_e32 v11, v10, v9
	v_add_f32_e32 v11, 1.0, v11
	v_sub_f32_e32 v10, v28, v10
	v_add_f32_e32 v14, v10, v11
	v_frexp_mant_f32_e32 v16, v9
	v_cvt_f64_f32_e32 v[10:11], v9
	v_frexp_exp_i32_f64_e32 v10, v[10:11]
	v_cmp_gt_f32_e32 vcc, s88, v16
	v_cmp_gt_f32_e64 s[26:27], s90, v28
	s_nop 0
	v_subbrev_co_u32_e32 v22, vcc, 0, v10, vcc
	v_sub_u32_e32 v10, 0, v22
	v_ldexp_f32 v9, v9, v10
	v_ldexp_f32 v10, v14, v10
	v_add_f32_e32 v14, -1.0, v9
	v_add_f32_e32 v11, 1.0, v14
	v_sub_f32_e32 v11, v9, v11
	v_add_f32_e32 v16, v10, v11
	v_add_f32_e32 v11, 1.0, v9
	v_add_f32_e32 v17, -1.0, v11
	v_sub_f32_e32 v9, v9, v17
	v_add_f32_e32 v9, v10, v9
	v_add_f32_e32 v23, v11, v9
	v_rcp_f32_e32 v24, v23
	v_sub_f32_e32 v10, v11, v23
	v_add_f32_e32 v11, v14, v16
	v_add_f32_e32 v9, v9, v10
	v_sub_f32_e32 v10, v14, v11
	v_mul_f32_e32 v25, v11, v24
	v_add_f32_e32 v14, v16, v10
	v_mul_f32_e32 v16, v23, v25
	v_fma_f32 v18, v25, v23, -v16
	v_fmac_f32_e32 v18, v25, v9
	v_add_f32_e32 v10, v16, v18
	v_sub_f32_e32 v17, v11, v10
	v_pk_add_f32 v[20:21], v[10:11], v[16:17] neg_lo:[0,1] neg_hi:[0,1]
	v_mov_b32_e32 v19, v10
	v_pk_add_f32 v[10:11], v[20:21], v[18:19] neg_lo:[0,1] neg_hi:[0,1]
	v_cmp_eq_f32_e32 vcc, s87, v28
	v_add_f32_e32 v11, v14, v11
	v_add_f32_e32 v10, v10, v11
	;; [unrolled: 1-line block ×3, first 2 shown]
	v_mul_f32_e32 v14, v24, v11
	v_mul_f32_e32 v16, v23, v14
	v_fma_f32 v18, v14, v23, -v16
	v_fmac_f32_e32 v18, v14, v9
	v_sub_f32_e32 v9, v17, v11
	v_add_f32_e32 v9, v10, v9
	v_add_f32_e32 v10, v16, v18
	v_sub_f32_e32 v17, v11, v10
	v_pk_add_f32 v[20:21], v[10:11], v[16:17] neg_lo:[0,1] neg_hi:[0,1]
	v_mov_b32_e32 v19, v10
	v_pk_add_f32 v[10:11], v[20:21], v[18:19] neg_lo:[0,1] neg_hi:[0,1]
	s_or_b64 vcc, s[26:27], vcc
	v_add_f32_e32 v9, v9, v11
	v_add_f32_e32 v9, v10, v9
	;; [unrolled: 1-line block ×4, first 2 shown]
	v_sub_f32_e32 v10, v11, v25
	v_mul_f32_e32 v9, v24, v9
	v_sub_f32_e32 v10, v14, v10
	v_add_f32_e32 v14, v10, v9
	v_add_f32_e32 v16, v11, v14
	v_cvt_f32_i32_e32 v10, v22
	v_mul_f32_e32 v18, v16, v16
	v_sub_f32_e32 v11, v16, v11
	v_fmamk_f32 v9, v18, 0x3e9b6dac, v49
	v_sub_f32_e32 v11, v14, v11
	v_fmaak_f32 v9, v18, v9, 0x3f2aaada
	v_ldexp_f32 v14, v11, 1
	v_mul_f32_e32 v11, v16, v18
	v_pk_mul_f32 v[18:19], v[10:11], v[8:9]
	v_ldexp_f32 v17, v16, 1
	v_fma_f32 v16, v10, s89, -v18
	v_fmac_f32_e32 v16, 0xb102e308, v10
	v_pk_add_f32 v[10:11], v[18:19], v[16:17]
	v_mov_b32_e32 v20, v18
	v_sub_f32_e32 v9, v11, v17
	v_sub_f32_e32 v9, v19, v9
	v_add_f32_e32 v21, v14, v9
	v_pk_add_f32 v[18:19], v[10:11], v[18:19] neg_lo:[0,1] neg_hi:[0,1]
	v_pk_add_f32 v[22:23], v[10:11], v[20:21]
	v_mov_b32_e32 v17, v10
	v_mov_b32_e32 v19, v23
	v_pk_add_f32 v[24:25], v[16:17], v[18:19] neg_lo:[0,1] neg_hi:[0,1]
	v_pk_add_f32 v[16:17], v[16:17], v[18:19]
	s_nop 0
	v_mov_b32_e32 v14, v17
	v_pk_add_f32 v[18:19], v[14:15], v[10:11] neg_lo:[0,1] neg_hi:[0,1]
	v_mov_b32_e32 v16, v23
	v_mov_b32_e32 v9, v18
	v_pk_add_f32 v[26:27], v[22:23], v[8:9] neg_lo:[0,1] neg_hi:[0,1]
	v_mov_b32_e32 v22, v11
	v_mov_b32_e32 v23, v18
	;; [unrolled: 1-line block ×3, first 2 shown]
	v_pk_add_f32 v[16:17], v[16:17], v[22:23] neg_lo:[0,1] neg_hi:[0,1]
	v_mov_b32_e32 v18, v21
	v_mov_b32_e32 v19, v10
	v_pk_add_f32 v[10:11], v[18:19], v[16:17] neg_lo:[0,1] neg_hi:[0,1]
	v_mov_b32_e32 v26, v24
	v_pk_add_f32 v[16:17], v[26:27], v[10:11]
	s_nop 0
	v_mov_b32_e32 v18, v17
	v_pk_add_f32 v[18:19], v[16:17], v[18:19]
	s_nop 0
	v_pk_add_f32 v[20:21], v[14:15], v[18:19]
	v_mov_b32_e32 v11, v18
	v_mov_b32_e32 v17, v20
	v_pk_add_f32 v[22:23], v[16:17], v[24:25] neg_lo:[0,1] neg_hi:[0,1]
	s_nop 0
	v_sub_f32_e32 v9, v16, v22
	v_pk_add_f32 v[10:11], v[10:11], v[22:23] neg_lo:[0,1] neg_hi:[0,1]
	v_sub_f32_e32 v9, v24, v9
	v_add_f32_e32 v9, v10, v9
	v_add_f32_e32 v9, v9, v11
	;; [unrolled: 1-line block ×3, first 2 shown]
	v_cndmask_b32_e32 v11, v9, v28, vcc
.LBB34_31:                              ;   in Loop: Header=BB34_11 Depth=1
	s_or_b64 exec, exec, s[28:29]
	v_and_b32_e32 v9, 0xffff0000, v15
	v_add_f32_e32 v10, s33, v9
	v_cmp_ge_f32_e32 vcc, s83, v10
	s_and_b64 s[26:27], s[58:59], vcc
	s_and_saveexec_b64 s[28:29], s[26:27]
	s_cbranch_execz .LBB34_33
; %bb.32:                               ;   in Loop: Header=BB34_11 Depth=1
	v_mul_f32_e32 v9, 0x3fb8aa3b, v10
	v_rndne_f32_e32 v14, v9
	v_sub_f32_e32 v15, v9, v14
	v_fma_f32 v9, v10, s84, -v9
	v_fmac_f32_e32 v9, 0x32a5705f, v10
	v_add_f32_e32 v9, v15, v9
	v_cvt_i32_f32_e32 v14, v14
	v_exp_f32_e32 v9, v9
	v_cmp_ngt_f32_e32 vcc, s85, v10
	v_ldexp_f32 v9, v9, v14
	s_nop 0
	v_cndmask_b32_e32 v9, 0, v9, vcc
	v_cmp_nlt_f32_e32 vcc, s86, v10
	s_nop 1
	v_cndmask_b32_e32 v28, v50, v9, vcc
	v_add_f32_e32 v9, 1.0, v28
	v_add_f32_e32 v10, -1.0, v9
	v_sub_f32_e32 v14, v10, v9
	v_add_f32_e32 v14, 1.0, v14
	v_sub_f32_e32 v10, v28, v10
	v_add_f32_e32 v10, v10, v14
	v_frexp_mant_f32_e32 v16, v9
	v_cvt_f64_f32_e32 v[14:15], v9
	v_frexp_exp_i32_f64_e32 v14, v[14:15]
	v_cmp_gt_f32_e32 vcc, s88, v16
	v_cmp_gt_f32_e64 s[26:27], s90, v28
	s_nop 0
	v_subbrev_co_u32_e32 v22, vcc, 0, v14, vcc
	v_sub_u32_e32 v14, 0, v22
	v_ldexp_f32 v9, v9, v14
	v_ldexp_f32 v10, v10, v14
	v_add_f32_e32 v14, -1.0, v9
	v_add_f32_e32 v15, 1.0, v14
	v_sub_f32_e32 v15, v9, v15
	v_add_f32_e32 v16, v10, v15
	v_add_f32_e32 v15, 1.0, v9
	v_add_f32_e32 v17, -1.0, v15
	v_sub_f32_e32 v9, v9, v17
	v_add_f32_e32 v9, v10, v9
	v_add_f32_e32 v10, v15, v9
	v_rcp_f32_e32 v23, v10
	v_sub_f32_e32 v15, v15, v10
	v_add_f32_e32 v9, v9, v15
	v_add_f32_e32 v15, v14, v16
	v_sub_f32_e32 v14, v14, v15
	v_mul_f32_e32 v25, v15, v23
	v_add_f32_e32 v24, v16, v14
	v_mul_f32_e32 v16, v10, v25
	v_fma_f32 v18, v25, v10, -v16
	v_fmac_f32_e32 v18, v25, v9
	v_add_f32_e32 v14, v16, v18
	v_sub_f32_e32 v17, v15, v14
	v_pk_add_f32 v[20:21], v[14:15], v[16:17] neg_lo:[0,1] neg_hi:[0,1]
	v_mov_b32_e32 v19, v14
	v_pk_add_f32 v[14:15], v[20:21], v[18:19] neg_lo:[0,1] neg_hi:[0,1]
	v_cmp_eq_f32_e32 vcc, s87, v28
	v_add_f32_e32 v15, v24, v15
	v_add_f32_e32 v14, v14, v15
	;; [unrolled: 1-line block ×3, first 2 shown]
	v_mul_f32_e32 v24, v23, v15
	v_mul_f32_e32 v16, v10, v24
	v_fma_f32 v18, v24, v10, -v16
	v_fmac_f32_e32 v18, v24, v9
	v_sub_f32_e32 v9, v17, v15
	v_add_f32_e32 v9, v14, v9
	v_add_f32_e32 v14, v16, v18
	v_sub_f32_e32 v17, v15, v14
	v_pk_add_f32 v[20:21], v[14:15], v[16:17] neg_lo:[0,1] neg_hi:[0,1]
	v_mov_b32_e32 v19, v14
	v_pk_add_f32 v[14:15], v[20:21], v[18:19] neg_lo:[0,1] neg_hi:[0,1]
	v_add_f32_e32 v10, v25, v24
	v_add_f32_e32 v9, v9, v15
	;; [unrolled: 1-line block ×4, first 2 shown]
	v_sub_f32_e32 v14, v10, v25
	v_mul_f32_e32 v9, v23, v9
	v_sub_f32_e32 v14, v24, v14
	v_add_f32_e32 v15, v14, v9
	v_add_f32_e32 v16, v10, v15
	v_cvt_f32_i32_e32 v14, v22
	v_mul_f32_e32 v18, v16, v16
	v_fmamk_f32 v9, v18, 0x3e9b6dac, v49
	v_sub_f32_e32 v10, v16, v10
	v_fmaak_f32 v9, v18, v9, 0x3f2aaada
	v_sub_f32_e32 v10, v15, v10
	v_mul_f32_e32 v15, v16, v18
	v_pk_mul_f32 v[18:19], v[14:15], v[8:9]
	v_ldexp_f32 v17, v16, 1
	v_fma_f32 v16, v14, s89, -v18
	v_fmac_f32_e32 v16, 0xb102e308, v14
	v_pk_add_f32 v[14:15], v[18:19], v[16:17]
	v_ldexp_f32 v10, v10, 1
	v_sub_f32_e32 v9, v15, v17
	v_sub_f32_e32 v9, v19, v9
	v_add_f32_e32 v21, v10, v9
	v_mov_b32_e32 v20, v18
	v_pk_add_f32 v[18:19], v[14:15], v[18:19] neg_lo:[0,1] neg_hi:[0,1]
	v_pk_add_f32 v[22:23], v[14:15], v[20:21]
	v_mov_b32_e32 v17, v14
	v_mov_b32_e32 v19, v23
	v_pk_add_f32 v[24:25], v[16:17], v[18:19] neg_lo:[0,1] neg_hi:[0,1]
	v_pk_add_f32 v[16:17], v[16:17], v[18:19]
	s_or_b64 vcc, s[26:27], vcc
	v_mov_b32_e32 v10, v17
	v_pk_add_f32 v[18:19], v[10:11], v[14:15] neg_lo:[0,1] neg_hi:[0,1]
	v_mov_b32_e32 v16, v23
	v_mov_b32_e32 v9, v18
	v_pk_add_f32 v[26:27], v[22:23], v[8:9] neg_lo:[0,1] neg_hi:[0,1]
	v_mov_b32_e32 v22, v15
	v_mov_b32_e32 v23, v18
	;; [unrolled: 1-line block ×3, first 2 shown]
	v_pk_add_f32 v[16:17], v[16:17], v[22:23] neg_lo:[0,1] neg_hi:[0,1]
	v_mov_b32_e32 v18, v21
	v_mov_b32_e32 v19, v14
	v_pk_add_f32 v[14:15], v[18:19], v[16:17] neg_lo:[0,1] neg_hi:[0,1]
	v_mov_b32_e32 v26, v24
	v_pk_add_f32 v[16:17], v[26:27], v[14:15]
	s_nop 0
	v_mov_b32_e32 v18, v17
	v_pk_add_f32 v[18:19], v[16:17], v[18:19]
	s_nop 0
	v_pk_add_f32 v[20:21], v[10:11], v[18:19]
	v_mov_b32_e32 v15, v18
	v_mov_b32_e32 v17, v20
	v_pk_add_f32 v[22:23], v[16:17], v[24:25] neg_lo:[0,1] neg_hi:[0,1]
	s_nop 0
	v_sub_f32_e32 v9, v16, v22
	v_pk_add_f32 v[14:15], v[14:15], v[22:23] neg_lo:[0,1] neg_hi:[0,1]
	v_sub_f32_e32 v9, v24, v9
	v_add_f32_e32 v9, v14, v9
	v_add_f32_e32 v9, v9, v15
	;; [unrolled: 1-line block ×3, first 2 shown]
	v_cndmask_b32_e32 v10, v9, v28, vcc
.LBB34_33:                              ;   in Loop: Header=BB34_11 Depth=1
	s_or_b64 exec, exec, s[28:29]
	v_lshlrev_b32_e32 v20, 16, v13
	v_and_b32_e32 v9, 0xffff0000, v13
	v_and_b32_e32 v21, 0xffff0000, v12
	v_lshlrev_b32_e32 v22, 16, v12
	v_mul_f32_e32 v14, s78, v20
	v_mul_f32_e32 v13, s78, v21
	;; [unrolled: 1-line block ×4, first 2 shown]
	s_and_b64 vcc, exec, s[60:61]
	s_waitcnt lgkmcnt(0)
	; wave barrier
	s_cbranch_vccz .LBB34_75
; %bb.34:                               ;   in Loop: Header=BB34_11 Depth=1
	s_cmp_lg_u32 s95, 0
	s_cselect_b64 s[66:67], -1, 0
	s_cmp_eq_u32 s95, s82
	v_cmp_gt_u32_e32 vcc, s34, v7
	s_cselect_b64 s[68:69], -1, 0
	s_or_b64 s[26:27], s[62:63], vcc
	v_cmp_gt_u32_e32 vcc, s34, v6
	s_mov_b32 s54, 0
	v_cmp_gt_u32_e64 s[28:29], s34, v3
	s_or_b64 s[30:31], s[62:63], vcc
	v_cmp_gt_u32_e32 vcc, s34, v48
	v_mul_f32_e32 v9, v10, v9
	v_lshl_add_u64 v[16:17], s[42:43], 0, v[0:1]
	v_lshl_add_u64 v[18:19], s[46:47], 0, v[0:1]
	v_mul_f32_e32 v56, v11, v20
	v_mul_f32_e32 v57, v55, v21
	;; [unrolled: 1-line block ×3, first 2 shown]
	s_or_b64 s[28:29], s[62:63], s[28:29]
	s_or_b64 s[34:35], s[62:63], vcc
	s_mov_b32 s70, s54
	s_mov_b32 s72, s54
	;; [unrolled: 1-line block ×5, first 2 shown]
	s_branch .LBB34_36
.LBB34_35:                              ;   in Loop: Header=BB34_36 Depth=2
	s_or_b64 exec, exec, s[36:37]
	v_mul_f32_e32 v22, v29, v28
	v_fma_f32 v23, v29, v31, v24
	v_cndmask_b32_e64 v24, v23, v24, s[16:17]
	v_cndmask_b32_e64 v22, v22, v29, s[16:17]
	s_waitcnt lgkmcnt(0)
	v_fmac_f32_e32 v24, v34, v22
	v_fmac_f32_e32 v25, v24, v27
	;; [unrolled: 1-line block ×4, first 2 shown]
	v_and_b32_e32 v23, 0xffff0000, v20
	v_and_b32_e32 v29, 0xffff0000, v21
	v_lshlrev_b32_e32 v22, 16, v20
	v_lshlrev_b32_e32 v28, 16, v21
	v_mov_b32_e32 v27, v30
	s_add_i32 s96, s96, 8
	s_add_i32 s65, s65, -1
	s_add_i32 s74, s74, s38
	s_add_i32 s72, s72, s48
	;; [unrolled: 1-line block ×4, first 2 shown]
	v_pk_fma_f32 v[14:15], v[26:27], v[28:29], v[14:15]
	s_cmp_eq_u32 s65, 0
	v_pk_fma_f32 v[12:13], v[24:25], v[22:23], v[12:13]
	s_cbranch_scc1 .LBB34_75
.LBB34_36:                              ;   Parent Loop BB34_11 Depth=1
                                        ; =>  This Inner Loop Header: Depth=2
	s_lshl_b64 s[36:37], s[54:55], 2
	s_add_u32 s36, s40, s36
	s_addc_u32 s37, s80, s37
	global_load_dword v26, v1, s[36:37]
	s_mov_b32 s71, s55
	v_lshl_add_u64 v[20:21], s[70:71], 1, v[16:17]
	v_mov_b32_e32 v22, 0
	v_mov_b32_e32 v23, 0
	s_and_saveexec_b64 s[36:37], s[18:19]
	s_cbranch_execz .LBB34_38
; %bb.37:                               ;   in Loop: Header=BB34_36 Depth=2
	global_load_ushort v23, v[20:21], off
.LBB34_38:                              ;   in Loop: Header=BB34_36 Depth=2
	s_or_b64 exec, exec, s[36:37]
	s_and_saveexec_b64 s[36:37], s[20:21]
	s_cbranch_execz .LBB34_40
; %bb.39:                               ;   in Loop: Header=BB34_36 Depth=2
	global_load_ushort v22, v[20:21], off offset:128
.LBB34_40:                              ;   in Loop: Header=BB34_36 Depth=2
	s_or_b64 exec, exec, s[36:37]
	v_mov_b32_e32 v24, 0
	v_mov_b32_e32 v25, 0
	s_and_saveexec_b64 s[36:37], s[22:23]
	s_cbranch_execz .LBB34_42
; %bb.41:                               ;   in Loop: Header=BB34_36 Depth=2
	global_load_ushort v25, v[20:21], off offset:256
.LBB34_42:                              ;   in Loop: Header=BB34_36 Depth=2
	s_or_b64 exec, exec, s[36:37]
	s_and_saveexec_b64 s[36:37], s[24:25]
	s_cbranch_execz .LBB34_44
; %bb.43:                               ;   in Loop: Header=BB34_36 Depth=2
	global_load_ushort v24, v[20:21], off offset:384
.LBB34_44:                              ;   in Loop: Header=BB34_36 Depth=2
	s_or_b64 exec, exec, s[36:37]
	s_waitcnt vmcnt(0)
	ds_write_b16 v39, v23
	ds_write_b16 v40, v22 offset:128
	ds_write_b16 v41, v25 offset:256
	;; [unrolled: 1-line block ×3, first 2 shown]
	; wave barrier
	ds_read_b64 v[24:25], v43
	s_mov_b32 s73, s55
	v_lshl_add_u64 v[20:21], s[72:73], 1, v[18:19]
	v_mov_b32_e32 v22, 0
	v_mov_b32_e32 v23, 0
	s_and_saveexec_b64 s[36:37], s[18:19]
	s_cbranch_execz .LBB34_46
; %bb.45:                               ;   in Loop: Header=BB34_36 Depth=2
	global_load_ushort v23, v[20:21], off
.LBB34_46:                              ;   in Loop: Header=BB34_36 Depth=2
	s_or_b64 exec, exec, s[36:37]
	s_and_saveexec_b64 s[36:37], s[20:21]
	s_cbranch_execz .LBB34_48
; %bb.47:                               ;   in Loop: Header=BB34_36 Depth=2
	global_load_ushort v22, v[20:21], off offset:128
.LBB34_48:                              ;   in Loop: Header=BB34_36 Depth=2
	s_or_b64 exec, exec, s[36:37]
	v_mov_b32_e32 v27, 0
	v_mov_b32_e32 v28, 0
	s_and_saveexec_b64 s[36:37], s[22:23]
	s_cbranch_execz .LBB34_50
; %bb.49:                               ;   in Loop: Header=BB34_36 Depth=2
	global_load_ushort v28, v[20:21], off offset:256
.LBB34_50:                              ;   in Loop: Header=BB34_36 Depth=2
	s_or_b64 exec, exec, s[36:37]
	s_and_saveexec_b64 s[36:37], s[24:25]
	s_cbranch_execz .LBB34_52
; %bb.51:                               ;   in Loop: Header=BB34_36 Depth=2
	global_load_ushort v27, v[20:21], off offset:384
.LBB34_52:                              ;   in Loop: Header=BB34_36 Depth=2
	s_or_b64 exec, exec, s[36:37]
	s_waitcnt vmcnt(0)
	ds_write_b16 v39, v23 offset:528
	ds_write_b16 v44, v22 offset:128
	;; [unrolled: 1-line block ×4, first 2 shown]
	; wave barrier
	ds_read_b64 v[20:21], v43 offset:528
	s_andn2_b64 vcc, exec, s[66:67]
	s_cbranch_vccnz .LBB34_54
; %bb.53:                               ;   in Loop: Header=BB34_36 Depth=2
	v_mov_b32_e32 v22, s96
	ds_read_b64 v[22:23], v22
	s_cbranch_execz .LBB34_55
	s_branch .LBB34_58
.LBB34_54:                              ;   in Loop: Header=BB34_36 Depth=2
                                        ; implicit-def: $vgpr23
.LBB34_55:                              ;   in Loop: Header=BB34_36 Depth=2
	s_andn2_b64 vcc, exec, s[52:53]
	s_waitcnt lgkmcnt(0)
	v_mov_b32_e32 v23, 0
	s_cbranch_vccnz .LBB34_57
; %bb.56:                               ;   in Loop: Header=BB34_36 Depth=2
	s_mov_b32 s75, s55
	s_lshl_b64 s[36:37], s[74:75], 2
	s_add_u32 s36, s45, s36
	s_addc_u32 s37, s49, s37
	global_load_dword v23, v1, s[36:37]
.LBB34_57:                              ;   in Loop: Header=BB34_36 Depth=2
	v_mov_b32_e32 v22, 1.0
.LBB34_58:                              ;   in Loop: Header=BB34_36 Depth=2
	v_mul_f32_e32 v26, 0x3fb8aa3b, v26
	s_waitcnt lgkmcnt(5)
	v_lshlrev_b32_e32 v27, 16, v24
	v_and_b32_e32 v28, 0xffff0000, v24
	v_mul_f32_e32 v24, v26, v54
	v_cmp_gt_f32_e32 vcc, s92, v24
	v_lshlrev_b32_e32 v32, 16, v25
	v_and_b32_e32 v33, 0xffff0000, v25
	v_cndmask_b32_e32 v24, 0, v51, vcc
	v_fmac_f32_e32 v24, v26, v54
	v_exp_f32_e32 v24, v24
	v_cndmask_b32_e32 v25, 1.0, v52, vcc
	v_mul_f32_e32 v25, v24, v25
	v_mul_f32_e32 v24, v58, v27
	;; [unrolled: 1-line block ×3, first 2 shown]
	v_cmp_gt_f32_e32 vcc, s92, v27
	v_cndmask_b32_e64 v29, 1.0, v25, s[26:27]
	v_cndmask_b32_e64 v24, 0, v24, s[26:27]
	v_cndmask_b32_e32 v27, 0, v51, vcc
	v_fmac_f32_e32 v27, v26, v55
	v_exp_f32_e32 v27, v27
	v_cndmask_b32_e32 v25, 1.0, v52, vcc
	v_mul_f32_e32 v27, v27, v25
	v_pk_mul_f32 v[30:31], v[26:27], v[10:11] op_sel_hi:[0,1]
	v_cmp_gt_f32_e32 vcc, s92, v30
	v_mul_f32_e32 v25, v57, v28
	v_cmp_gt_f32_e64 s[36:37], s92, v31
	v_cndmask_b32_e32 v28, 0, v51, vcc
	v_add_f32_e32 v28, v30, v28
	v_cndmask_b32_e64 v30, 0, v51, s[36:37]
	v_exp_f32_e32 v28, v28
	v_add_f32_e32 v30, v31, v30
	v_exp_f32_e32 v30, v30
	v_cndmask_b32_e32 v31, 1.0, v52, vcc
	v_mul_f32_e32 v28, v28, v31
	v_cndmask_b32_e64 v31, 1.0, v52, s[36:37]
	v_cndmask_b32_e64 v25, 0, v25, s[28:29]
	v_cndmask_b32_e64 v27, 1.0, v27, s[28:29]
	v_mul_f32_e32 v31, v30, v31
	v_mul_f32_e32 v26, v56, v32
	;; [unrolled: 1-line block ×3, first 2 shown]
	v_cndmask_b32_e64 v33, 1.0, v31, s[30:31]
	v_cndmask_b32_e64 v32, 1.0, v28, s[34:35]
	v_fma_f32 v28, v27, v24, v25
	v_cndmask_b32_e64 v26, 0, v26, s[30:31]
	v_mul_f32_e32 v28, v28, v33
	v_pk_add_f32 v[34:35], v[28:29], v[26:27]
	v_pk_mul_f32 v[60:61], v[28:29], v[26:27]
	v_cndmask_b32_e64 v30, 0, v30, s[34:35]
	v_mov_b32_e32 v35, v61
	v_pk_mul_f32 v[60:61], v[34:35], v[32:33]
	v_mov_b32_e32 v31, v32
	v_pk_fma_f32 v[62:63], v[34:35], v[32:33], v[30:31]
	v_pk_mul_f32 v[60:61], v[60:61], v[30:31]
	s_nop 0
	v_mov_b32_dpp v31, v62 row_shr:1 row_mask:0xf bank_mask:0xf
	v_mov_b32_dpp v28, v61 row_shr:1 row_mask:0xf bank_mask:0xf
	v_mul_f32_e32 v59, v61, v28
	v_fma_f32 v28, v61, v31, v62
	v_cndmask_b32_e64 v35, v28, v62, s[0:1]
	v_cndmask_b32_e64 v28, v28, v62, s[0:1]
	;; [unrolled: 1-line block ×4, first 2 shown]
	v_mov_b32_dpp v60, v28 row_shr:2 row_mask:0xf bank_mask:0xf
	v_mov_b32_dpp v59, v31 row_shr:2 row_mask:0xf bank_mask:0xf
	s_and_saveexec_b64 s[36:37], s[2:3]
; %bb.59:                               ;   in Loop: Header=BB34_36 Depth=2
	v_fmac_f32_e32 v28, v31, v60
	v_mul_f32_e32 v31, v31, v59
	v_mov_b32_e32 v34, v31
	v_mov_b32_e32 v35, v28
; %bb.60:                               ;   in Loop: Header=BB34_36 Depth=2
	s_or_b64 exec, exec, s[36:37]
	v_mov_b32_dpp v59, v31 row_shr:4 row_mask:0xf bank_mask:0xf
	v_mov_b32_dpp v60, v28 row_shr:4 row_mask:0xf bank_mask:0xf
	s_and_saveexec_b64 s[36:37], s[4:5]
; %bb.61:                               ;   in Loop: Header=BB34_36 Depth=2
	v_fmac_f32_e32 v28, v31, v60
	v_mul_f32_e32 v31, v31, v59
	v_mov_b32_e32 v34, v31
	v_mov_b32_e32 v35, v28
; %bb.62:                               ;   in Loop: Header=BB34_36 Depth=2
	s_or_b64 exec, exec, s[36:37]
	;; [unrolled: 10-line block ×3, first 2 shown]
	v_mov_b32_dpp v59, v31 row_bcast:15 row_mask:0xf bank_mask:0xf
	v_mov_b32_dpp v60, v28 row_bcast:15 row_mask:0xf bank_mask:0xf
	s_and_saveexec_b64 s[36:37], s[8:9]
; %bb.65:                               ;   in Loop: Header=BB34_36 Depth=2
	v_fmac_f32_e32 v28, v31, v60
	v_mul_f32_e32 v31, v31, v59
	v_mov_b32_e32 v34, v31
	v_mov_b32_e32 v35, v28
; %bb.66:                               ;   in Loop: Header=BB34_36 Depth=2
	s_or_b64 exec, exec, s[36:37]
	v_mov_b32_dpp v59, v31 row_bcast:31 row_mask:0xf bank_mask:0xf
	v_mov_b32_dpp v60, v28 row_bcast:31 row_mask:0xf bank_mask:0xf
	v_mul_f32_e32 v59, v31, v59
	v_fmac_f32_e32 v28, v31, v60
	v_cndmask_b32_e64 v34, v34, v59, s[10:11]
	v_cndmask_b32_e64 v35, v35, v28, s[10:11]
	s_and_saveexec_b64 s[36:37], s[12:13]
	s_cbranch_execz .LBB34_68
; %bb.67:                               ;   in Loop: Header=BB34_36 Depth=2
	ds_write_b64 v1, v[34:35] offset:1056
.LBB34_68:                              ;   in Loop: Header=BB34_36 Depth=2
	s_or_b64 exec, exec, s[36:37]
	ds_bpermute_b32 v28, v47, v34
	ds_bpermute_b32 v31, v47, v35
	s_waitcnt vmcnt(0) lgkmcnt(2)
	v_mov_b32_e32 v35, v23
	s_waitcnt lgkmcnt(0)
	; wave barrier
	s_waitcnt lgkmcnt(0)
	s_and_saveexec_b64 s[36:37], s[14:15]
	s_cbranch_execz .LBB34_72
; %bb.69:                               ;   in Loop: Header=BB34_36 Depth=2
	ds_read_b64 v[34:35], v1 offset:1056
	s_and_saveexec_b64 s[76:77], s[16:17]
	s_cbranch_execz .LBB34_71
; %bb.70:                               ;   in Loop: Header=BB34_36 Depth=2
	ds_write_b64 v1, v[22:23] offset:1056
.LBB34_71:                              ;   in Loop: Header=BB34_36 Depth=2
	s_or_b64 exec, exec, s[76:77]
	s_waitcnt lgkmcnt(0)
	v_fmac_f32_e32 v35, v23, v34
	v_mul_f32_e32 v22, v22, v34
	v_mov_b32_e32 v23, v35
.LBB34_72:                              ;   in Loop: Header=BB34_36 Depth=2
	s_or_b64 exec, exec, s[36:37]
	s_waitcnt lgkmcnt(0)
	; wave barrier
	ds_read_b32 v34, v1 offset:1060
	s_and_saveexec_b64 s[36:37], s[16:17]
	s_cbranch_execz .LBB34_35
; %bb.73:                               ;   in Loop: Header=BB34_36 Depth=2
	v_mov_b32_e32 v59, s96
	s_andn2_b64 vcc, exec, s[68:69]
	ds_write_b64 v59, v[22:23]
	s_cbranch_vccnz .LBB34_35
; %bb.74:                               ;   in Loop: Header=BB34_36 Depth=2
	s_mov_b32 s75, s55
	s_lshl_b64 s[76:77], s[74:75], 2
	s_add_u32 s76, s45, s76
	s_addc_u32 s77, s49, s77
	global_store_dword v1, v35, s[76:77]
	s_branch .LBB34_35
.LBB34_75:                              ;   in Loop: Header=BB34_11 Depth=1
	v_bfe_u32 v9, v14, 16, 1
	v_bfe_u32 v10, v15, 16, 1
	v_add3_u32 v9, v14, v9, s93
	v_bfe_u32 v11, v12, 16, 1
	v_add3_u32 v10, v15, v10, s93
	v_lshrrev_b32_e32 v9, 16, v9
	v_cmp_o_f32_e32 vcc, v14, v14
	v_bfe_u32 v16, v13, 16, 1
	v_add3_u32 v11, v12, v11, s93
	v_lshrrev_b32_e32 v10, 16, v10
	v_cndmask_b32_e32 v9, v53, v9, vcc
	v_cmp_o_f32_e32 vcc, v15, v15
	v_add3_u32 v16, v13, v16, s93
	v_lshrrev_b32_e32 v17, 16, v11
	v_cndmask_b32_e32 v10, v53, v10, vcc
	v_cmp_o_f32_e32 vcc, v12, v12
	v_lshrrev_b32_e32 v16, 16, v16
	v_perm_b32 v11, v10, v9, s94
	v_cndmask_b32_e32 v9, v53, v17, vcc
	v_cmp_o_f32_e32 vcc, v13, v13
	s_waitcnt lgkmcnt(0)
	; wave barrier
	s_nop 0
	v_cndmask_b32_e32 v10, v53, v16, vcc
	v_perm_b32 v10, v10, v9, s94
	ds_write_b64 v43, v[10:11]
	; wave barrier
	ds_read_u16 v13, v40 offset:128
	ds_read_u16 v12, v41 offset:256
	;; [unrolled: 1-line block ×3, first 2 shown]
	s_mov_b32 s65, s55
	v_lshl_add_u64 v[10:11], s[64:65], 1, v[4:5]
	s_and_saveexec_b64 s[26:27], s[18:19]
	s_cbranch_execnz .LBB34_81
; %bb.76:                               ;   in Loop: Header=BB34_11 Depth=1
	s_or_b64 exec, exec, s[26:27]
	s_and_saveexec_b64 s[18:19], s[20:21]
	s_cbranch_execnz .LBB34_82
.LBB34_77:                              ;   in Loop: Header=BB34_11 Depth=1
	s_or_b64 exec, exec, s[18:19]
	s_and_saveexec_b64 s[18:19], s[22:23]
	s_cbranch_execnz .LBB34_83
.LBB34_78:                              ;   in Loop: Header=BB34_11 Depth=1
	s_or_b64 exec, exec, s[18:19]
	s_and_saveexec_b64 s[18:19], s[24:25]
	s_cbranch_execz .LBB34_10
	s_branch .LBB34_84
.LBB34_79:                              ;   in Loop: Header=BB34_11 Depth=1
	global_load_ushort v15, v[10:11], off offset:128
	s_or_b64 exec, exec, s[26:27]
	s_and_saveexec_b64 s[26:27], s[22:23]
	s_cbranch_execz .LBB34_23
.LBB34_80:                              ;   in Loop: Header=BB34_11 Depth=1
	global_load_ushort v14, v[10:11], off offset:256
	s_or_b64 exec, exec, s[26:27]
	v_mov_b32_e32 v16, 0
	s_and_saveexec_b64 s[26:27], s[24:25]
	s_cbranch_execnz .LBB34_24
	s_branch .LBB34_25
.LBB34_81:                              ;   in Loop: Header=BB34_11 Depth=1
	ds_read_u16 v14, v39
	s_waitcnt lgkmcnt(0)
	global_store_short v[10:11], v14, off
	s_or_b64 exec, exec, s[26:27]
	s_and_saveexec_b64 s[18:19], s[20:21]
	s_cbranch_execz .LBB34_77
.LBB34_82:                              ;   in Loop: Header=BB34_11 Depth=1
	s_waitcnt lgkmcnt(2)
	global_store_short v[10:11], v13, off offset:128
	s_or_b64 exec, exec, s[18:19]
	s_and_saveexec_b64 s[18:19], s[22:23]
	s_cbranch_execz .LBB34_78
.LBB34_83:                              ;   in Loop: Header=BB34_11 Depth=1
	s_waitcnt lgkmcnt(1)
	global_store_short v[10:11], v12, off offset:256
	s_or_b64 exec, exec, s[18:19]
	s_and_saveexec_b64 s[18:19], s[24:25]
	s_cbranch_execz .LBB34_10
.LBB34_84:                              ;   in Loop: Header=BB34_11 Depth=1
	s_waitcnt lgkmcnt(0)
	global_store_short v[10:11], v9, off offset:384
	s_branch .LBB34_10
.LBB34_85:
	s_endpgm
.LBB34_86:
	s_mov_b64 s[52:53], 0
	s_load_dwordx2 s[4:5], s[0:1], 0x20
	s_cmp_eq_u64 s[6:7], 0
	s_cbranch_scc0 .LBB34_2
	s_branch .LBB34_3
	.section	.rodata,"a",@progbits
	.p2align	6, 0x0
	.amdhsa_kernel _Z25selective_scan_fwd_kernelI32Selective_Scan_fwd_kernel_traitsILi64ELi4ELi1ELb1ELb1ELb1ELb0ELb1EN3c108BFloat16EffEEv13SSMParamsBase
		.amdhsa_group_segment_fixed_size 0
		.amdhsa_private_segment_fixed_size 0
		.amdhsa_kernarg_size 248
		.amdhsa_user_sgpr_count 2
		.amdhsa_user_sgpr_dispatch_ptr 0
		.amdhsa_user_sgpr_queue_ptr 0
		.amdhsa_user_sgpr_kernarg_segment_ptr 1
		.amdhsa_user_sgpr_dispatch_id 0
		.amdhsa_user_sgpr_kernarg_preload_length 0
		.amdhsa_user_sgpr_kernarg_preload_offset 0
		.amdhsa_user_sgpr_private_segment_size 0
		.amdhsa_uses_dynamic_stack 0
		.amdhsa_enable_private_segment 0
		.amdhsa_system_sgpr_workgroup_id_x 1
		.amdhsa_system_sgpr_workgroup_id_y 1
		.amdhsa_system_sgpr_workgroup_id_z 0
		.amdhsa_system_sgpr_workgroup_info 0
		.amdhsa_system_vgpr_workitem_id 0
		.amdhsa_next_free_vgpr 64
		.amdhsa_next_free_sgpr 97
		.amdhsa_accum_offset 64
		.amdhsa_reserve_vcc 1
		.amdhsa_float_round_mode_32 0
		.amdhsa_float_round_mode_16_64 0
		.amdhsa_float_denorm_mode_32 3
		.amdhsa_float_denorm_mode_16_64 3
		.amdhsa_dx10_clamp 1
		.amdhsa_ieee_mode 1
		.amdhsa_fp16_overflow 0
		.amdhsa_tg_split 0
		.amdhsa_exception_fp_ieee_invalid_op 0
		.amdhsa_exception_fp_denorm_src 0
		.amdhsa_exception_fp_ieee_div_zero 0
		.amdhsa_exception_fp_ieee_overflow 0
		.amdhsa_exception_fp_ieee_underflow 0
		.amdhsa_exception_fp_ieee_inexact 0
		.amdhsa_exception_int_div_zero 0
	.end_amdhsa_kernel
	.section	.text._Z25selective_scan_fwd_kernelI32Selective_Scan_fwd_kernel_traitsILi64ELi4ELi1ELb1ELb1ELb1ELb0ELb1EN3c108BFloat16EffEEv13SSMParamsBase,"axG",@progbits,_Z25selective_scan_fwd_kernelI32Selective_Scan_fwd_kernel_traitsILi64ELi4ELi1ELb1ELb1ELb1ELb0ELb1EN3c108BFloat16EffEEv13SSMParamsBase,comdat
.Lfunc_end34:
	.size	_Z25selective_scan_fwd_kernelI32Selective_Scan_fwd_kernel_traitsILi64ELi4ELi1ELb1ELb1ELb1ELb0ELb1EN3c108BFloat16EffEEv13SSMParamsBase, .Lfunc_end34-_Z25selective_scan_fwd_kernelI32Selective_Scan_fwd_kernel_traitsILi64ELi4ELi1ELb1ELb1ELb1ELb0ELb1EN3c108BFloat16EffEEv13SSMParamsBase
                                        ; -- End function
	.section	.AMDGPU.csdata,"",@progbits
; Kernel info:
; codeLenInByte = 6184
; NumSgprs: 103
; NumVgprs: 64
; NumAgprs: 0
; TotalNumVgprs: 64
; ScratchSize: 0
; MemoryBound: 0
; FloatMode: 240
; IeeeMode: 1
; LDSByteSize: 0 bytes/workgroup (compile time only)
; SGPRBlocks: 12
; VGPRBlocks: 7
; NumSGPRsForWavesPerEU: 103
; NumVGPRsForWavesPerEU: 64
; AccumOffset: 64
; Occupancy: 7
; WaveLimiterHint : 1
; COMPUTE_PGM_RSRC2:SCRATCH_EN: 0
; COMPUTE_PGM_RSRC2:USER_SGPR: 2
; COMPUTE_PGM_RSRC2:TRAP_HANDLER: 0
; COMPUTE_PGM_RSRC2:TGID_X_EN: 1
; COMPUTE_PGM_RSRC2:TGID_Y_EN: 1
; COMPUTE_PGM_RSRC2:TGID_Z_EN: 0
; COMPUTE_PGM_RSRC2:TIDIG_COMP_CNT: 0
; COMPUTE_PGM_RSRC3_GFX90A:ACCUM_OFFSET: 15
; COMPUTE_PGM_RSRC3_GFX90A:TG_SPLIT: 0
	.section	.text._Z25selective_scan_fwd_kernelI32Selective_Scan_fwd_kernel_traitsILi64ELi4ELi1ELb1ELb1ELb1ELb0ELb0EN3c108BFloat16EffEEv13SSMParamsBase,"axG",@progbits,_Z25selective_scan_fwd_kernelI32Selective_Scan_fwd_kernel_traitsILi64ELi4ELi1ELb1ELb1ELb1ELb0ELb0EN3c108BFloat16EffEEv13SSMParamsBase,comdat
	.protected	_Z25selective_scan_fwd_kernelI32Selective_Scan_fwd_kernel_traitsILi64ELi4ELi1ELb1ELb1ELb1ELb0ELb0EN3c108BFloat16EffEEv13SSMParamsBase ; -- Begin function _Z25selective_scan_fwd_kernelI32Selective_Scan_fwd_kernel_traitsILi64ELi4ELi1ELb1ELb1ELb1ELb0ELb0EN3c108BFloat16EffEEv13SSMParamsBase
	.globl	_Z25selective_scan_fwd_kernelI32Selective_Scan_fwd_kernel_traitsILi64ELi4ELi1ELb1ELb1ELb1ELb0ELb0EN3c108BFloat16EffEEv13SSMParamsBase
	.p2align	8
	.type	_Z25selective_scan_fwd_kernelI32Selective_Scan_fwd_kernel_traitsILi64ELi4ELi1ELb1ELb1ELb1ELb0ELb0EN3c108BFloat16EffEEv13SSMParamsBase,@function
_Z25selective_scan_fwd_kernelI32Selective_Scan_fwd_kernel_traitsILi64ELi4ELi1ELb1ELb1ELb1ELb0ELb0EN3c108BFloat16EffEEv13SSMParamsBase: ; @_Z25selective_scan_fwd_kernelI32Selective_Scan_fwd_kernel_traitsILi64ELi4ELi1ELb1ELb1ELb1ELb0ELb0EN3c108BFloat16EffEEv13SSMParamsBase
; %bb.0:
	s_load_dword s25, s[0:1], 0x18
	s_load_dwordx4 s[4:7], s[0:1], 0xe8
	s_mov_b32 s20, s3
	s_waitcnt lgkmcnt(0)
	s_abs_i32 s24, s25
	v_cvt_f32_u32_e32 v1, s24
	s_cmp_eq_u64 s[6:7], 0
	v_rcp_iflag_f32_e32 v1, v1
	s_nop 0
	v_mul_f32_e32 v1, 0x4f7ffffe, v1
	v_cvt_u32_f32_e32 v1, v1
	s_nop 0
	v_readfirstlane_b32 s26, v1
	s_cbranch_scc1 .LBB35_3
; %bb.1:
	s_ashr_i32 s3, s2, 31
	s_add_u32 s6, s6, s2
	s_addc_u32 s7, s7, s3
	v_mov_b32_e32 v1, 0
	global_load_ubyte v1, v1, s[6:7]
	s_waitcnt vmcnt(0)
	v_and_b32_e32 v1, 1, v1
	v_cmp_eq_u32_e64 s[34:35], 1, v1
	s_load_dwordx2 s[6:7], s[0:1], 0x20
	s_cmp_eq_u64 s[4:5], 0
	s_cbranch_scc1 .LBB35_4
.LBB35_2:
	s_ashr_i32 s3, s2, 31
	s_lshl_b64 s[8:9], s[2:3], 2
	s_add_u32 s4, s4, s8
	s_addc_u32 s5, s5, s9
	s_load_dword s22, s[4:5], 0x0
	s_waitcnt lgkmcnt(0)
	s_ashr_i32 s23, s22, 31
	s_cmp_eq_u64 s[6:7], s[22:23]
	s_cbranch_scc0 .LBB35_5
	s_branch .LBB35_48
.LBB35_3:
	s_mov_b64 s[34:35], 0
	s_load_dwordx2 s[6:7], s[0:1], 0x20
	s_cmp_eq_u64 s[4:5], 0
	s_cbranch_scc0 .LBB35_2
.LBB35_4:
	s_mov_b32 s22, s2
	s_ashr_i32 s23, s22, 31
	s_waitcnt lgkmcnt(0)
	s_cmp_eq_u64 s[6:7], s[22:23]
	s_cbranch_scc1 .LBB35_48
.LBB35_5:
	s_load_dwordx16 s[4:19], s[0:1], 0x88
	s_load_dwordx2 s[48:49], s[0:1], 0x8
	s_mov_b32 s33, 0
	s_mov_b32 s72, 0
	s_waitcnt lgkmcnt(0)
	s_cmp_eq_u64 s[10:11], 0
	s_cbranch_scc1 .LBB35_7
; %bb.6:
	s_ashr_i32 s21, s20, 31
	s_lshl_b64 s[28:29], s[20:21], 2
	s_add_u32 s10, s10, s28
	s_addc_u32 s11, s11, s29
	s_load_dword s72, s[10:11], 0x0
.LBB35_7:
	s_cmp_eq_u64 s[16:17], 0
	s_cbranch_scc1 .LBB35_9
; %bb.8:
	s_ashr_i32 s21, s20, 31
	s_lshl_b64 s[10:11], s[20:21], 2
	s_add_u32 s10, s16, s10
	s_addc_u32 s11, s17, s11
	s_load_dword s33, s[10:11], 0x0
.LBB35_9:
	s_cmp_lt_i32 s48, 1
	s_cbranch_scc1 .LBB35_48
; %bb.10:
	s_sub_i32 s3, 0, s24
	s_mul_i32 s3, s3, s26
	s_mul_hi_u32 s3, s26, s3
	s_abs_i32 s21, s20
	s_add_i32 s3, s26, s3
	s_load_dwordx8 s[36:43], s[0:1], 0x2c
	s_load_dwordx2 s[16:17], s[0:1], 0x5c
	s_load_dwordx4 s[28:31], s[0:1], 0x4c
	s_load_dwordx4 s[44:47], s[0:1], 0x7c
	s_load_dwordx2 s[10:11], s[0:1], 0x6c
	s_load_dwordx2 s[26:27], s[0:1], 0xc8
	s_mul_hi_u32 s3, s21, s3
	s_load_dword s23, s[0:1], 0x28
	s_ashr_i32 s0, s20, 31
	s_ashr_i32 s1, s25, 31
	s_xor_b32 s0, s0, s1
	s_mul_i32 s1, s3, s24
	s_sub_i32 s1, s21, s1
	s_add_i32 s21, s3, 1
	s_sub_i32 s25, s1, s24
	s_cmp_ge_u32 s1, s24
	s_cselect_b32 s3, s21, s3
	s_cselect_b32 s1, s25, s1
	s_add_i32 s21, s3, 1
	s_cmp_ge_u32 s1, s24
	s_cselect_b32 s1, s21, s3
	s_xor_b32 s1, s1, s0
	s_waitcnt lgkmcnt(0)
	s_mul_i32 s50, s30, s2
	s_mov_b32 s51, 0
	s_sub_i32 s3, s1, s0
	s_lshl_b64 s[0:1], s[50:51], 1
	s_add_u32 s12, s12, s0
	s_mul_i32 s50, s31, s20
	s_addc_u32 s13, s13, s1
	s_lshl_b64 s[0:1], s[50:51], 1
	s_add_u32 s30, s12, s0
	s_mul_i32 s50, s16, s2
	s_addc_u32 s31, s13, s1
	;; [unrolled: 4-line block ×10, first 2 shown]
	s_lshl_b64 s[0:1], s[50:51], 2
	s_add_u32 s29, s3, s0
	s_addc_u32 s41, s4, s1
	s_add_i32 s0, s48, 0x7ff
	s_lshr_b32 s73, s0, 11
	s_bitcmp1_b32 s23, 0
	s_cselect_b64 s[44:45], -1, 0
	s_cmp_gt_i32 s49, 0
	s_mul_i32 s50, s10, s2
	s_cselect_b64 s[54:55], -1, 0
	s_and_b32 s4, s48, 0xff
	s_add_i32 s74, s73, -1
	s_lshl_b64 s[2:3], s[50:51], 1
	s_add_u32 s5, s18, s2
	s_mul_i32 s50, s11, s20
	s_addc_u32 s7, s19, s3
	s_lshl_b64 s[2:3], s[50:51], 1
	s_add_u32 s6, s5, s2
	v_mov_b32_e32 v3, 0
	s_addc_u32 s7, s7, s3
	v_lshlrev_b32_e32 v2, 3, v0
	s_cmp_eq_u32 s4, 0
	v_lshlrev_b32_e32 v7, 2, v0
	v_lshl_add_u64 v[4:5], s[6:7], 0, v[2:3]
                                        ; implicit-def: $vgpr2
	v_mbcnt_lo_u32_b32 v9, -1, 0
	v_cmp_gt_u32_e64 s[0:1], 64, v0
	s_cselect_b64 s[56:57], -1, 0
	v_cmp_eq_u32_e64 s[2:3], 63, v0
	v_cmp_eq_u32_e64 s[4:5], 0, v0
	v_or_b32_e32 v1, 1, v7
	v_or_b32_e32 v6, 2, v7
	;; [unrolled: 1-line block ×3, first 2 shown]
	s_mov_b32 s75, 0x41a00000
	s_mov_b32 s76, 0x3fb8aa3b
	;; [unrolled: 1-line block ×6, first 2 shown]
	v_mov_b32_e32 v41, 0x3ecc95a3
	s_mov_b32 s81, 0x3f317218
	s_mov_b32 s82, 0x33800000
	s_add_i32 s83, 0, 0x428
	s_mov_b32 s84, 0xc2fc0000
	s_movk_i32 s85, 0x7fff
	v_lshlrev_b32_e32 v2, 3, v0
	v_mov_b32_e32 v0, 0x7f800000
	v_mov_b32_e32 v8, 0x3f317218
	v_mbcnt_hi_u32_b32 v42, -1, v9
	v_mov_b32_e32 v43, 0x42800000
	v_mov_b32_e32 v44, 0x1f800000
	;; [unrolled: 1-line block ×4, first 2 shown]
	s_mov_b32 s86, 0
                                        ; implicit-def: $vgpr49
                                        ; implicit-def: $vgpr13
                                        ; implicit-def: $vgpr47
                                        ; implicit-def: $vgpr10
                                        ; implicit-def: $vgpr48
                                        ; implicit-def: $vgpr50
	s_branch .LBB35_12
.LBB35_11:                              ;   in Loop: Header=BB35_12 Depth=1
	s_add_u32 s52, s52, 0x200
	v_bfe_u32 v20, v19, 16, 1
	s_addc_u32 s53, s53, 0
	v_bfe_u32 v15, v18, 16, 1
	v_add3_u32 v20, v19, v20, s85
	s_add_u32 s30, s30, 0x200
	v_bfe_u32 v14, v17, 16, 1
	v_add3_u32 v15, v18, v15, s85
	v_and_b32_e32 v20, 0xffff0000, v20
	v_cmp_o_f32_e32 vcc, v19, v19
	s_addc_u32 s31, s31, 0
	v_bfe_u32 v9, v16, 16, 1
	v_add3_u32 v14, v17, v14, s85
	v_lshrrev_b32_e32 v15, 16, v15
	v_cndmask_b32_e32 v19, v45, v20, vcc
	v_cmp_o_f32_e32 vcc, v18, v18
	v_add3_u32 v9, v16, v9, s85
	v_and_b32_e32 v14, 0xffff0000, v14
	v_cndmask_b32_e32 v15, v46, v15, vcc
	v_cmp_o_f32_e32 vcc, v17, v17
	s_add_u32 s38, s38, 0x200
	v_lshrrev_b32_e32 v9, 16, v9
	v_cndmask_b32_e32 v14, v45, v14, vcc
	v_cmp_o_f32_e32 vcc, v16, v16
	s_addc_u32 s39, s39, 0
	s_add_u32 s42, s42, 0x200
	v_cndmask_b32_e32 v9, v46, v9, vcc
	s_mov_b32 s59, s51
	v_or_b32_e32 v9, v14, v9
	s_addc_u32 s43, s43, 0
	s_add_i32 s86, s86, 1
	v_or3_b32 v15, 0, v15, v19
	v_or3_b32 v14, v9, 0, 0
	v_lshl_add_u64 v[16:17], s[58:59], 1, v[4:5]
	s_cmp_eq_u32 s86, s73
	s_waitcnt lgkmcnt(0)
	; wave barrier
	global_store_dwordx2 v[16:17], v[14:15], off
	s_cbranch_scc1 .LBB35_48
.LBB35_12:                              ; =>This Loop Header: Depth=1
                                        ;     Child Loop BB35_25 Depth 2
	s_waitcnt lgkmcnt(0)
	; wave barrier
	s_and_saveexec_b64 s[6:7], s[0:1]
	s_cbranch_execz .LBB35_14
; %bb.13:                               ;   in Loop: Header=BB35_12 Depth=1
	global_load_dwordx2 v[10:11], v2, s[30:31]
	global_load_dwordx2 v[12:13], v2, s[52:53]
	s_waitcnt vmcnt(1)
	v_lshrrev_b32_e32 v48, 16, v10
	v_lshrrev_b32_e32 v50, 16, v11
	s_waitcnt vmcnt(0)
	v_lshrrev_b32_e32 v47, 16, v12
	v_lshrrev_b32_e32 v49, 16, v13
.LBB35_14:                              ;   in Loop: Header=BB35_12 Depth=1
	s_or_b64 exec, exec, s[6:7]
	v_lshlrev_b32_e32 v9, 16, v12
	v_add_f32_e32 v51, s33, v9
	v_cmp_ge_f32_e32 vcc, s75, v51
	s_and_b64 s[6:7], s[44:45], vcc
	s_and_saveexec_b64 s[8:9], s[6:7]
	s_cbranch_execz .LBB35_16
; %bb.15:                               ;   in Loop: Header=BB35_12 Depth=1
	v_mul_f32_e32 v9, 0x3fb8aa3b, v51
	v_rndne_f32_e32 v14, v9
	v_sub_f32_e32 v15, v9, v14
	v_fma_f32 v9, v51, s76, -v9
	v_fmac_f32_e32 v9, 0x32a5705f, v51
	v_add_f32_e32 v9, v15, v9
	v_cvt_i32_f32_e32 v14, v14
	v_exp_f32_e32 v9, v9
	v_cmp_ngt_f32_e32 vcc, s77, v51
	v_ldexp_f32 v9, v9, v14
	s_nop 0
	v_cndmask_b32_e32 v9, 0, v9, vcc
	v_cmp_nlt_f32_e32 vcc, s78, v51
	s_nop 1
	v_cndmask_b32_e32 v30, v0, v9, vcc
	v_add_f32_e32 v9, 1.0, v30
	v_add_f32_e32 v14, -1.0, v9
	v_sub_f32_e32 v15, v14, v9
	v_add_f32_e32 v15, 1.0, v15
	v_sub_f32_e32 v14, v30, v14
	v_add_f32_e32 v16, v14, v15
	v_frexp_mant_f32_e32 v17, v9
	v_cvt_f64_f32_e32 v[14:15], v9
	v_frexp_exp_i32_f64_e32 v14, v[14:15]
	v_cmp_gt_f32_e32 vcc, s80, v17
	v_cmp_gt_f32_e64 s[6:7], s82, v30
	s_nop 0
	v_subbrev_co_u32_e32 v22, vcc, 0, v14, vcc
	v_sub_u32_e32 v14, 0, v22
	v_ldexp_f32 v9, v9, v14
	v_ldexp_f32 v14, v16, v14
	v_add_f32_e32 v16, -1.0, v9
	v_add_f32_e32 v15, 1.0, v16
	v_sub_f32_e32 v15, v9, v15
	v_add_f32_e32 v17, v14, v15
	v_add_f32_e32 v15, 1.0, v9
	v_add_f32_e32 v18, -1.0, v15
	v_sub_f32_e32 v9, v9, v18
	v_add_f32_e32 v9, v14, v9
	v_add_f32_e32 v23, v15, v9
	v_rcp_f32_e32 v24, v23
	v_sub_f32_e32 v14, v15, v23
	v_add_f32_e32 v15, v16, v17
	v_add_f32_e32 v9, v9, v14
	v_mul_f32_e32 v26, v15, v24
	v_sub_f32_e32 v14, v16, v15
	v_mul_f32_e32 v16, v23, v26
	v_fma_f32 v18, v26, v23, -v16
	v_fmac_f32_e32 v18, v26, v9
	v_add_f32_e32 v25, v17, v14
	v_add_f32_e32 v14, v16, v18
	v_sub_f32_e32 v17, v15, v14
	v_pk_add_f32 v[20:21], v[14:15], v[16:17] neg_lo:[0,1] neg_hi:[0,1]
	v_mov_b32_e32 v19, v14
	v_pk_add_f32 v[14:15], v[20:21], v[18:19] neg_lo:[0,1] neg_hi:[0,1]
	v_cmp_eq_f32_e32 vcc, s79, v30
	v_add_f32_e32 v15, v25, v15
	v_add_f32_e32 v14, v14, v15
	;; [unrolled: 1-line block ×3, first 2 shown]
	v_mul_f32_e32 v25, v24, v15
	v_mul_f32_e32 v16, v23, v25
	v_fma_f32 v18, v25, v23, -v16
	v_fmac_f32_e32 v18, v25, v9
	v_sub_f32_e32 v9, v17, v15
	v_add_f32_e32 v9, v14, v9
	v_add_f32_e32 v14, v16, v18
	v_sub_f32_e32 v17, v15, v14
	v_pk_add_f32 v[20:21], v[14:15], v[16:17] neg_lo:[0,1] neg_hi:[0,1]
	v_mov_b32_e32 v19, v14
	v_pk_add_f32 v[14:15], v[20:21], v[18:19] neg_lo:[0,1] neg_hi:[0,1]
	s_or_b64 vcc, s[6:7], vcc
	v_add_f32_e32 v9, v9, v15
	v_add_f32_e32 v9, v14, v9
	;; [unrolled: 1-line block ×4, first 2 shown]
	v_sub_f32_e32 v14, v15, v26
	v_mul_f32_e32 v9, v24, v9
	v_sub_f32_e32 v14, v25, v14
	v_add_f32_e32 v16, v14, v9
	v_add_f32_e32 v18, v15, v16
	v_cvt_f32_i32_e32 v14, v22
	v_mul_f32_e32 v19, v18, v18
	v_sub_f32_e32 v15, v18, v15
	v_fmamk_f32 v9, v19, 0x3e9b6dac, v41
	v_sub_f32_e32 v15, v16, v15
	v_fmaak_f32 v9, v19, v9, 0x3f2aaada
	v_ldexp_f32 v20, v15, 1
	v_mul_f32_e32 v15, v18, v19
	v_ldexp_f32 v17, v18, 1
	v_pk_mul_f32 v[18:19], v[14:15], v[8:9]
	s_nop 0
	v_fma_f32 v16, v14, s81, -v18
	v_fmac_f32_e32 v16, 0xb102e308, v14
	v_pk_add_f32 v[14:15], v[18:19], v[16:17]
	s_nop 0
	v_sub_f32_e32 v9, v15, v17
	v_sub_f32_e32 v9, v19, v9
	v_add_f32_e32 v21, v20, v9
	v_mov_b32_e32 v20, v18
	v_pk_add_f32 v[18:19], v[14:15], v[18:19] neg_lo:[0,1] neg_hi:[0,1]
	v_pk_add_f32 v[22:23], v[14:15], v[20:21]
	v_mov_b32_e32 v17, v14
	v_mov_b32_e32 v19, v23
	v_pk_add_f32 v[24:25], v[16:17], v[18:19] neg_lo:[0,1] neg_hi:[0,1]
	v_pk_add_f32 v[16:17], v[16:17], v[18:19]
	v_mov_b32_e32 v20, v21
	v_mov_b32_e32 v18, v17
	v_pk_add_f32 v[26:27], v[18:19], v[14:15] neg_lo:[0,1] neg_hi:[0,1]
	v_mov_b32_e32 v16, v23
	v_mov_b32_e32 v9, v26
	v_pk_add_f32 v[28:29], v[22:23], v[8:9] neg_lo:[0,1] neg_hi:[0,1]
	v_mov_b32_e32 v22, v15
	v_mov_b32_e32 v23, v26
	;; [unrolled: 1-line block ×3, first 2 shown]
	v_pk_add_f32 v[16:17], v[16:17], v[22:23] neg_lo:[0,1] neg_hi:[0,1]
	v_mov_b32_e32 v21, v14
	v_pk_add_f32 v[14:15], v[20:21], v[16:17] neg_lo:[0,1] neg_hi:[0,1]
	v_mov_b32_e32 v28, v24
	v_pk_add_f32 v[16:17], v[28:29], v[14:15]
	s_nop 0
	v_mov_b32_e32 v20, v17
	v_pk_add_f32 v[20:21], v[16:17], v[20:21]
	s_nop 0
	v_pk_add_f32 v[18:19], v[18:19], v[20:21]
	v_mov_b32_e32 v15, v20
	v_mov_b32_e32 v17, v18
	v_pk_add_f32 v[22:23], v[16:17], v[24:25] neg_lo:[0,1] neg_hi:[0,1]
	s_nop 0
	v_sub_f32_e32 v9, v16, v22
	v_pk_add_f32 v[14:15], v[14:15], v[22:23] neg_lo:[0,1] neg_hi:[0,1]
	v_sub_f32_e32 v9, v24, v9
	v_add_f32_e32 v9, v14, v9
	v_add_f32_e32 v9, v9, v15
	;; [unrolled: 1-line block ×3, first 2 shown]
	v_cndmask_b32_e32 v51, v9, v30, vcc
.LBB35_16:                              ;   in Loop: Header=BB35_12 Depth=1
	s_or_b64 exec, exec, s[8:9]
	v_lshlrev_b32_e32 v9, 16, v47
	v_add_f32_e32 v52, s33, v9
	v_cmp_ge_f32_e32 vcc, s75, v52
	s_and_b64 s[6:7], s[44:45], vcc
	s_and_saveexec_b64 s[8:9], s[6:7]
	s_cbranch_execz .LBB35_18
; %bb.17:                               ;   in Loop: Header=BB35_12 Depth=1
	v_mul_f32_e32 v9, 0x3fb8aa3b, v52
	v_rndne_f32_e32 v14, v9
	v_sub_f32_e32 v15, v9, v14
	v_fma_f32 v9, v52, s76, -v9
	v_fmac_f32_e32 v9, 0x32a5705f, v52
	v_add_f32_e32 v9, v15, v9
	v_cvt_i32_f32_e32 v14, v14
	v_exp_f32_e32 v9, v9
	v_cmp_ngt_f32_e32 vcc, s77, v52
	v_ldexp_f32 v9, v9, v14
	s_nop 0
	v_cndmask_b32_e32 v9, 0, v9, vcc
	v_cmp_nlt_f32_e32 vcc, s78, v52
	s_nop 1
	v_cndmask_b32_e32 v30, v0, v9, vcc
	v_add_f32_e32 v9, 1.0, v30
	v_add_f32_e32 v14, -1.0, v9
	v_sub_f32_e32 v15, v14, v9
	v_add_f32_e32 v15, 1.0, v15
	v_sub_f32_e32 v14, v30, v14
	v_add_f32_e32 v16, v14, v15
	v_frexp_mant_f32_e32 v17, v9
	v_cvt_f64_f32_e32 v[14:15], v9
	v_frexp_exp_i32_f64_e32 v14, v[14:15]
	v_cmp_gt_f32_e32 vcc, s80, v17
	v_cmp_gt_f32_e64 s[6:7], s82, v30
	s_nop 0
	v_subbrev_co_u32_e32 v22, vcc, 0, v14, vcc
	v_sub_u32_e32 v14, 0, v22
	v_ldexp_f32 v9, v9, v14
	v_ldexp_f32 v14, v16, v14
	v_add_f32_e32 v16, -1.0, v9
	v_add_f32_e32 v15, 1.0, v16
	v_sub_f32_e32 v15, v9, v15
	v_add_f32_e32 v17, v14, v15
	v_add_f32_e32 v15, 1.0, v9
	v_add_f32_e32 v18, -1.0, v15
	v_sub_f32_e32 v9, v9, v18
	v_add_f32_e32 v9, v14, v9
	v_add_f32_e32 v23, v15, v9
	v_rcp_f32_e32 v24, v23
	v_sub_f32_e32 v14, v15, v23
	v_add_f32_e32 v15, v16, v17
	v_add_f32_e32 v9, v9, v14
	v_mul_f32_e32 v26, v15, v24
	v_sub_f32_e32 v14, v16, v15
	v_mul_f32_e32 v16, v23, v26
	v_fma_f32 v18, v26, v23, -v16
	v_fmac_f32_e32 v18, v26, v9
	v_add_f32_e32 v25, v17, v14
	v_add_f32_e32 v14, v16, v18
	v_sub_f32_e32 v17, v15, v14
	v_pk_add_f32 v[20:21], v[14:15], v[16:17] neg_lo:[0,1] neg_hi:[0,1]
	v_mov_b32_e32 v19, v14
	v_pk_add_f32 v[14:15], v[20:21], v[18:19] neg_lo:[0,1] neg_hi:[0,1]
	v_cmp_eq_f32_e32 vcc, s79, v30
	v_add_f32_e32 v15, v25, v15
	v_add_f32_e32 v14, v14, v15
	;; [unrolled: 1-line block ×3, first 2 shown]
	v_mul_f32_e32 v25, v24, v15
	v_mul_f32_e32 v16, v23, v25
	v_fma_f32 v18, v25, v23, -v16
	v_fmac_f32_e32 v18, v25, v9
	v_sub_f32_e32 v9, v17, v15
	v_add_f32_e32 v9, v14, v9
	v_add_f32_e32 v14, v16, v18
	v_sub_f32_e32 v17, v15, v14
	v_pk_add_f32 v[20:21], v[14:15], v[16:17] neg_lo:[0,1] neg_hi:[0,1]
	v_mov_b32_e32 v19, v14
	v_pk_add_f32 v[14:15], v[20:21], v[18:19] neg_lo:[0,1] neg_hi:[0,1]
	s_or_b64 vcc, s[6:7], vcc
	v_add_f32_e32 v9, v9, v15
	v_add_f32_e32 v9, v14, v9
	;; [unrolled: 1-line block ×4, first 2 shown]
	v_sub_f32_e32 v14, v15, v26
	v_mul_f32_e32 v9, v24, v9
	v_sub_f32_e32 v14, v25, v14
	v_add_f32_e32 v16, v14, v9
	v_add_f32_e32 v18, v15, v16
	v_cvt_f32_i32_e32 v14, v22
	v_mul_f32_e32 v19, v18, v18
	v_sub_f32_e32 v15, v18, v15
	v_fmamk_f32 v9, v19, 0x3e9b6dac, v41
	v_sub_f32_e32 v15, v16, v15
	v_fmaak_f32 v9, v19, v9, 0x3f2aaada
	v_ldexp_f32 v20, v15, 1
	v_mul_f32_e32 v15, v18, v19
	v_ldexp_f32 v17, v18, 1
	v_pk_mul_f32 v[18:19], v[14:15], v[8:9]
	s_nop 0
	v_fma_f32 v16, v14, s81, -v18
	v_fmac_f32_e32 v16, 0xb102e308, v14
	v_pk_add_f32 v[14:15], v[18:19], v[16:17]
	s_nop 0
	v_sub_f32_e32 v9, v15, v17
	v_sub_f32_e32 v9, v19, v9
	v_add_f32_e32 v21, v20, v9
	v_mov_b32_e32 v20, v18
	v_pk_add_f32 v[18:19], v[14:15], v[18:19] neg_lo:[0,1] neg_hi:[0,1]
	v_pk_add_f32 v[22:23], v[14:15], v[20:21]
	v_mov_b32_e32 v17, v14
	v_mov_b32_e32 v19, v23
	v_pk_add_f32 v[24:25], v[16:17], v[18:19] neg_lo:[0,1] neg_hi:[0,1]
	v_pk_add_f32 v[16:17], v[16:17], v[18:19]
	v_mov_b32_e32 v20, v21
	v_mov_b32_e32 v18, v17
	v_pk_add_f32 v[26:27], v[18:19], v[14:15] neg_lo:[0,1] neg_hi:[0,1]
	v_mov_b32_e32 v16, v23
	v_mov_b32_e32 v9, v26
	v_pk_add_f32 v[28:29], v[22:23], v[8:9] neg_lo:[0,1] neg_hi:[0,1]
	v_mov_b32_e32 v22, v15
	v_mov_b32_e32 v23, v26
	;; [unrolled: 1-line block ×3, first 2 shown]
	v_pk_add_f32 v[16:17], v[16:17], v[22:23] neg_lo:[0,1] neg_hi:[0,1]
	v_mov_b32_e32 v21, v14
	v_pk_add_f32 v[14:15], v[20:21], v[16:17] neg_lo:[0,1] neg_hi:[0,1]
	v_mov_b32_e32 v28, v24
	v_pk_add_f32 v[16:17], v[28:29], v[14:15]
	s_nop 0
	v_mov_b32_e32 v20, v17
	v_pk_add_f32 v[20:21], v[16:17], v[20:21]
	s_nop 0
	v_pk_add_f32 v[18:19], v[18:19], v[20:21]
	v_mov_b32_e32 v15, v20
	v_mov_b32_e32 v17, v18
	v_pk_add_f32 v[22:23], v[16:17], v[24:25] neg_lo:[0,1] neg_hi:[0,1]
	s_nop 0
	v_sub_f32_e32 v9, v16, v22
	v_pk_add_f32 v[14:15], v[14:15], v[22:23] neg_lo:[0,1] neg_hi:[0,1]
	v_sub_f32_e32 v9, v24, v9
	v_add_f32_e32 v9, v14, v9
	v_add_f32_e32 v9, v9, v15
	;; [unrolled: 1-line block ×3, first 2 shown]
	v_cndmask_b32_e32 v52, v9, v30, vcc
.LBB35_18:                              ;   in Loop: Header=BB35_12 Depth=1
	s_or_b64 exec, exec, s[8:9]
	v_lshlrev_b32_e32 v9, 16, v13
	v_add_f32_e32 v15, s33, v9
	v_cmp_ge_f32_e32 vcc, s75, v15
	s_and_b64 s[6:7], s[44:45], vcc
	s_and_saveexec_b64 s[8:9], s[6:7]
	s_cbranch_execz .LBB35_20
; %bb.19:                               ;   in Loop: Header=BB35_12 Depth=1
	v_mul_f32_e32 v9, 0x3fb8aa3b, v15
	v_rndne_f32_e32 v14, v9
	v_sub_f32_e32 v16, v9, v14
	v_fma_f32 v9, v15, s76, -v9
	v_fmac_f32_e32 v9, 0x32a5705f, v15
	v_add_f32_e32 v9, v16, v9
	v_cvt_i32_f32_e32 v14, v14
	v_exp_f32_e32 v9, v9
	v_cmp_ngt_f32_e32 vcc, s77, v15
	v_ldexp_f32 v9, v9, v14
	s_nop 0
	v_cndmask_b32_e32 v9, 0, v9, vcc
	v_cmp_nlt_f32_e32 vcc, s78, v15
	s_nop 1
	v_cndmask_b32_e32 v30, v0, v9, vcc
	v_add_f32_e32 v9, 1.0, v30
	v_add_f32_e32 v14, -1.0, v9
	v_sub_f32_e32 v15, v14, v9
	v_add_f32_e32 v15, 1.0, v15
	v_sub_f32_e32 v14, v30, v14
	v_add_f32_e32 v16, v14, v15
	v_frexp_mant_f32_e32 v17, v9
	v_cvt_f64_f32_e32 v[14:15], v9
	v_frexp_exp_i32_f64_e32 v14, v[14:15]
	v_cmp_gt_f32_e32 vcc, s80, v17
	v_cmp_gt_f32_e64 s[6:7], s82, v30
	s_nop 0
	v_subbrev_co_u32_e32 v22, vcc, 0, v14, vcc
	v_sub_u32_e32 v14, 0, v22
	v_ldexp_f32 v9, v9, v14
	v_ldexp_f32 v14, v16, v14
	v_add_f32_e32 v16, -1.0, v9
	v_add_f32_e32 v15, 1.0, v16
	v_sub_f32_e32 v15, v9, v15
	v_add_f32_e32 v17, v14, v15
	v_add_f32_e32 v15, 1.0, v9
	v_add_f32_e32 v18, -1.0, v15
	v_sub_f32_e32 v9, v9, v18
	v_add_f32_e32 v9, v14, v9
	v_add_f32_e32 v23, v15, v9
	v_rcp_f32_e32 v24, v23
	v_sub_f32_e32 v14, v15, v23
	v_add_f32_e32 v15, v16, v17
	v_add_f32_e32 v9, v9, v14
	v_mul_f32_e32 v26, v15, v24
	v_sub_f32_e32 v14, v16, v15
	v_mul_f32_e32 v16, v23, v26
	v_fma_f32 v18, v26, v23, -v16
	v_fmac_f32_e32 v18, v26, v9
	v_add_f32_e32 v25, v17, v14
	v_add_f32_e32 v14, v16, v18
	v_sub_f32_e32 v17, v15, v14
	v_pk_add_f32 v[20:21], v[14:15], v[16:17] neg_lo:[0,1] neg_hi:[0,1]
	v_mov_b32_e32 v19, v14
	v_pk_add_f32 v[14:15], v[20:21], v[18:19] neg_lo:[0,1] neg_hi:[0,1]
	v_cmp_eq_f32_e32 vcc, s79, v30
	v_add_f32_e32 v15, v25, v15
	v_add_f32_e32 v14, v14, v15
	;; [unrolled: 1-line block ×3, first 2 shown]
	v_mul_f32_e32 v25, v24, v15
	v_mul_f32_e32 v16, v23, v25
	v_fma_f32 v18, v25, v23, -v16
	v_fmac_f32_e32 v18, v25, v9
	v_sub_f32_e32 v9, v17, v15
	v_add_f32_e32 v9, v14, v9
	v_add_f32_e32 v14, v16, v18
	v_sub_f32_e32 v17, v15, v14
	v_pk_add_f32 v[20:21], v[14:15], v[16:17] neg_lo:[0,1] neg_hi:[0,1]
	v_mov_b32_e32 v19, v14
	v_pk_add_f32 v[14:15], v[20:21], v[18:19] neg_lo:[0,1] neg_hi:[0,1]
	s_or_b64 vcc, s[6:7], vcc
	v_add_f32_e32 v9, v9, v15
	v_add_f32_e32 v9, v14, v9
	;; [unrolled: 1-line block ×4, first 2 shown]
	v_sub_f32_e32 v14, v15, v26
	v_mul_f32_e32 v9, v24, v9
	v_sub_f32_e32 v14, v25, v14
	v_add_f32_e32 v16, v14, v9
	v_add_f32_e32 v18, v15, v16
	v_cvt_f32_i32_e32 v14, v22
	v_mul_f32_e32 v19, v18, v18
	v_sub_f32_e32 v15, v18, v15
	v_fmamk_f32 v9, v19, 0x3e9b6dac, v41
	v_sub_f32_e32 v15, v16, v15
	v_fmaak_f32 v9, v19, v9, 0x3f2aaada
	v_ldexp_f32 v20, v15, 1
	v_mul_f32_e32 v15, v18, v19
	v_ldexp_f32 v17, v18, 1
	v_pk_mul_f32 v[18:19], v[14:15], v[8:9]
	s_nop 0
	v_fma_f32 v16, v14, s81, -v18
	v_fmac_f32_e32 v16, 0xb102e308, v14
	v_pk_add_f32 v[14:15], v[18:19], v[16:17]
	s_nop 0
	v_sub_f32_e32 v9, v15, v17
	v_sub_f32_e32 v9, v19, v9
	v_add_f32_e32 v21, v20, v9
	v_mov_b32_e32 v20, v18
	v_pk_add_f32 v[18:19], v[14:15], v[18:19] neg_lo:[0,1] neg_hi:[0,1]
	v_pk_add_f32 v[22:23], v[14:15], v[20:21]
	v_mov_b32_e32 v17, v14
	v_mov_b32_e32 v19, v23
	v_pk_add_f32 v[24:25], v[16:17], v[18:19] neg_lo:[0,1] neg_hi:[0,1]
	v_pk_add_f32 v[16:17], v[16:17], v[18:19]
	v_mov_b32_e32 v20, v21
	v_mov_b32_e32 v18, v17
	v_pk_add_f32 v[26:27], v[18:19], v[14:15] neg_lo:[0,1] neg_hi:[0,1]
	v_mov_b32_e32 v16, v23
	v_mov_b32_e32 v9, v26
	v_pk_add_f32 v[28:29], v[22:23], v[8:9] neg_lo:[0,1] neg_hi:[0,1]
	v_mov_b32_e32 v22, v15
	v_mov_b32_e32 v23, v26
	;; [unrolled: 1-line block ×3, first 2 shown]
	v_pk_add_f32 v[16:17], v[16:17], v[22:23] neg_lo:[0,1] neg_hi:[0,1]
	v_mov_b32_e32 v21, v14
	v_pk_add_f32 v[14:15], v[20:21], v[16:17] neg_lo:[0,1] neg_hi:[0,1]
	v_mov_b32_e32 v28, v24
	v_pk_add_f32 v[16:17], v[28:29], v[14:15]
	s_nop 0
	v_mov_b32_e32 v20, v17
	v_pk_add_f32 v[20:21], v[16:17], v[20:21]
	s_nop 0
	v_pk_add_f32 v[18:19], v[18:19], v[20:21]
	v_mov_b32_e32 v15, v20
	v_mov_b32_e32 v17, v18
	v_pk_add_f32 v[22:23], v[16:17], v[24:25] neg_lo:[0,1] neg_hi:[0,1]
	s_nop 0
	v_sub_f32_e32 v9, v16, v22
	v_pk_add_f32 v[14:15], v[14:15], v[22:23] neg_lo:[0,1] neg_hi:[0,1]
	v_sub_f32_e32 v9, v24, v9
	v_add_f32_e32 v9, v14, v9
	v_add_f32_e32 v9, v9, v15
	;; [unrolled: 1-line block ×3, first 2 shown]
	v_cndmask_b32_e32 v15, v9, v30, vcc
.LBB35_20:                              ;   in Loop: Header=BB35_12 Depth=1
	s_or_b64 exec, exec, s[8:9]
	v_lshlrev_b32_e32 v9, 16, v49
	v_add_f32_e32 v14, s33, v9
	v_cmp_ge_f32_e32 vcc, s75, v14
	s_and_b64 s[6:7], s[44:45], vcc
	s_and_saveexec_b64 s[8:9], s[6:7]
	s_cbranch_execz .LBB35_22
; %bb.21:                               ;   in Loop: Header=BB35_12 Depth=1
	v_mul_f32_e32 v9, 0x3fb8aa3b, v14
	v_rndne_f32_e32 v16, v9
	v_sub_f32_e32 v17, v9, v16
	v_fma_f32 v9, v14, s76, -v9
	v_fmac_f32_e32 v9, 0x32a5705f, v14
	v_add_f32_e32 v9, v17, v9
	v_cvt_i32_f32_e32 v16, v16
	v_exp_f32_e32 v9, v9
	v_cmp_ngt_f32_e32 vcc, s77, v14
	v_ldexp_f32 v9, v9, v16
	s_nop 0
	v_cndmask_b32_e32 v9, 0, v9, vcc
	v_cmp_nlt_f32_e32 vcc, s78, v14
	s_nop 1
	v_cndmask_b32_e32 v30, v0, v9, vcc
	v_add_f32_e32 v9, 1.0, v30
	v_add_f32_e32 v14, -1.0, v9
	v_sub_f32_e32 v16, v14, v9
	v_add_f32_e32 v16, 1.0, v16
	v_sub_f32_e32 v14, v30, v14
	v_add_f32_e32 v14, v14, v16
	v_frexp_mant_f32_e32 v18, v9
	v_cvt_f64_f32_e32 v[16:17], v9
	v_frexp_exp_i32_f64_e32 v16, v[16:17]
	v_cmp_gt_f32_e32 vcc, s80, v18
	v_cmp_gt_f32_e64 s[6:7], s82, v30
	s_nop 0
	v_subbrev_co_u32_e32 v24, vcc, 0, v16, vcc
	v_sub_u32_e32 v16, 0, v24
	v_ldexp_f32 v9, v9, v16
	v_ldexp_f32 v14, v14, v16
	v_add_f32_e32 v16, -1.0, v9
	v_add_f32_e32 v17, 1.0, v16
	v_sub_f32_e32 v17, v9, v17
	v_add_f32_e32 v18, v14, v17
	v_add_f32_e32 v17, 1.0, v9
	v_add_f32_e32 v19, -1.0, v17
	v_sub_f32_e32 v9, v9, v19
	v_add_f32_e32 v9, v14, v9
	v_add_f32_e32 v14, v17, v9
	v_rcp_f32_e32 v25, v14
	v_sub_f32_e32 v17, v17, v14
	v_add_f32_e32 v9, v9, v17
	v_add_f32_e32 v17, v16, v18
	v_sub_f32_e32 v16, v16, v17
	v_mul_f32_e32 v27, v17, v25
	v_add_f32_e32 v26, v18, v16
	v_mul_f32_e32 v18, v14, v27
	v_fma_f32 v20, v27, v14, -v18
	v_fmac_f32_e32 v20, v27, v9
	v_add_f32_e32 v16, v18, v20
	v_sub_f32_e32 v19, v17, v16
	v_pk_add_f32 v[22:23], v[16:17], v[18:19] neg_lo:[0,1] neg_hi:[0,1]
	v_mov_b32_e32 v21, v16
	v_pk_add_f32 v[16:17], v[22:23], v[20:21] neg_lo:[0,1] neg_hi:[0,1]
	v_cmp_eq_f32_e32 vcc, s79, v30
	v_add_f32_e32 v17, v26, v17
	v_add_f32_e32 v16, v16, v17
	;; [unrolled: 1-line block ×3, first 2 shown]
	v_mul_f32_e32 v26, v25, v17
	v_mul_f32_e32 v18, v14, v26
	v_fma_f32 v20, v26, v14, -v18
	v_fmac_f32_e32 v20, v26, v9
	v_sub_f32_e32 v9, v19, v17
	v_add_f32_e32 v9, v16, v9
	v_add_f32_e32 v16, v18, v20
	v_sub_f32_e32 v19, v17, v16
	v_pk_add_f32 v[22:23], v[16:17], v[18:19] neg_lo:[0,1] neg_hi:[0,1]
	v_mov_b32_e32 v21, v16
	v_pk_add_f32 v[16:17], v[22:23], v[20:21] neg_lo:[0,1] neg_hi:[0,1]
	v_add_f32_e32 v14, v27, v26
	v_add_f32_e32 v9, v9, v17
	;; [unrolled: 1-line block ×4, first 2 shown]
	v_sub_f32_e32 v16, v14, v27
	v_mul_f32_e32 v9, v25, v9
	v_sub_f32_e32 v16, v26, v16
	v_add_f32_e32 v17, v16, v9
	v_add_f32_e32 v18, v14, v17
	v_cvt_f32_i32_e32 v16, v24
	v_mul_f32_e32 v20, v18, v18
	v_fmamk_f32 v9, v20, 0x3e9b6dac, v41
	v_sub_f32_e32 v14, v18, v14
	v_fmaak_f32 v9, v20, v9, 0x3f2aaada
	v_sub_f32_e32 v14, v17, v14
	v_mul_f32_e32 v17, v18, v20
	v_pk_mul_f32 v[20:21], v[16:17], v[8:9]
	v_ldexp_f32 v19, v18, 1
	v_fma_f32 v18, v16, s81, -v20
	v_fmac_f32_e32 v18, 0xb102e308, v16
	v_pk_add_f32 v[16:17], v[20:21], v[18:19]
	v_ldexp_f32 v14, v14, 1
	v_sub_f32_e32 v9, v17, v19
	v_sub_f32_e32 v9, v21, v9
	v_add_f32_e32 v23, v14, v9
	v_mov_b32_e32 v22, v20
	v_pk_add_f32 v[20:21], v[16:17], v[20:21] neg_lo:[0,1] neg_hi:[0,1]
	v_pk_add_f32 v[24:25], v[16:17], v[22:23]
	v_mov_b32_e32 v19, v16
	v_mov_b32_e32 v21, v25
	v_pk_add_f32 v[26:27], v[18:19], v[20:21] neg_lo:[0,1] neg_hi:[0,1]
	v_pk_add_f32 v[18:19], v[18:19], v[20:21]
	s_or_b64 vcc, s[6:7], vcc
	v_mov_b32_e32 v14, v19
	v_pk_add_f32 v[20:21], v[14:15], v[16:17] neg_lo:[0,1] neg_hi:[0,1]
	v_mov_b32_e32 v18, v25
	v_mov_b32_e32 v9, v20
	v_pk_add_f32 v[28:29], v[24:25], v[8:9] neg_lo:[0,1] neg_hi:[0,1]
	v_mov_b32_e32 v24, v17
	v_mov_b32_e32 v25, v20
	;; [unrolled: 1-line block ×3, first 2 shown]
	v_pk_add_f32 v[18:19], v[18:19], v[24:25] neg_lo:[0,1] neg_hi:[0,1]
	v_mov_b32_e32 v20, v23
	v_mov_b32_e32 v21, v16
	v_pk_add_f32 v[16:17], v[20:21], v[18:19] neg_lo:[0,1] neg_hi:[0,1]
	v_mov_b32_e32 v28, v26
	v_pk_add_f32 v[18:19], v[28:29], v[16:17]
	s_nop 0
	v_mov_b32_e32 v20, v19
	v_pk_add_f32 v[20:21], v[18:19], v[20:21]
	s_nop 0
	v_pk_add_f32 v[22:23], v[14:15], v[20:21]
	v_mov_b32_e32 v17, v20
	v_mov_b32_e32 v19, v22
	v_pk_add_f32 v[24:25], v[18:19], v[26:27] neg_lo:[0,1] neg_hi:[0,1]
	s_nop 0
	v_sub_f32_e32 v9, v18, v24
	v_pk_add_f32 v[16:17], v[16:17], v[24:25] neg_lo:[0,1] neg_hi:[0,1]
	v_sub_f32_e32 v9, v26, v9
	v_add_f32_e32 v9, v16, v9
	v_add_f32_e32 v9, v9, v17
	;; [unrolled: 1-line block ×3, first 2 shown]
	v_cndmask_b32_e32 v14, v9, v30, vcc
.LBB35_22:                              ;   in Loop: Header=BB35_12 Depth=1
	s_or_b64 exec, exec, s[8:9]
	v_lshlrev_b32_e32 v20, 16, v11
	v_lshlrev_b32_e32 v9, 16, v50
	;; [unrolled: 1-line block ×4, first 2 shown]
	v_mul_f32_e32 v18, s72, v20
	v_mul_f32_e32 v17, s72, v21
	;; [unrolled: 1-line block ×3, first 2 shown]
	s_lshl_b32 s58, s86, 8
	v_mul_f32_e32 v19, s72, v9
	s_and_b64 vcc, exec, s[54:55]
	s_waitcnt lgkmcnt(0)
	; wave barrier
	s_cbranch_vccz .LBB35_11
; %bb.23:                               ;   in Loop: Header=BB35_12 Depth=1
	v_and_b32_e32 v24, 15, v42
	v_cmp_eq_u32_e64 s[6:7], 0, v24
	v_cmp_lt_u32_e64 s[8:9], 1, v24
	v_cmp_lt_u32_e64 s[10:11], 3, v24
	;; [unrolled: 1-line block ×3, first 2 shown]
	v_and_b32_e32 v24, 16, v42
	s_sub_i32 s24, s48, s58
	v_cmp_ne_u32_e64 s[14:15], 0, v24
	v_add_u32_e32 v24, -1, v42
	v_and_b32_e32 v25, 64, v42
	s_cmp_lg_u32 s86, 0
	v_cmp_lt_i32_e32 vcc, v24, v25
	s_cselect_b64 s[60:61], -1, 0
	s_cmp_eq_u32 s86, s74
	v_cndmask_b32_e32 v24, v24, v42, vcc
	v_cmp_gt_u32_e32 vcc, s24, v7
	s_cselect_b64 s[62:63], -1, 0
	s_or_b64 s[18:19], s[56:57], vcc
	v_cmp_gt_u32_e32 vcc, s24, v6
	s_mov_b32 s50, 0
	v_cmp_gt_u32_e64 s[20:21], s24, v1
	s_or_b64 s[22:23], s[56:57], vcc
	v_cmp_gt_u32_e32 vcc, s24, v40
	v_mul_f32_e32 v9, v14, v9
	v_mul_f32_e32 v53, v15, v20
	;; [unrolled: 1-line block ×4, first 2 shown]
	v_lshl_add_u64 v[20:21], s[38:39], 0, v[2:3]
	v_lshl_add_u64 v[22:23], s[42:43], 0, v[2:3]
	v_cmp_lt_u32_e64 s[16:17], 31, v42
	v_lshlrev_b32_e32 v56, 2, v24
	s_or_b64 s[20:21], s[56:57], s[20:21]
	s_or_b64 s[24:25], s[56:57], vcc
	s_mov_b32 s64, s50
	s_mov_b32 s66, s50
	;; [unrolled: 1-line block ×5, first 2 shown]
	s_branch .LBB35_25
.LBB35_24:                              ;   in Loop: Header=BB35_25 Depth=2
	s_or_b64 exec, exec, s[26:27]
	v_mul_f32_e32 v26, v33, v32
	v_fma_f32 v27, v33, v35, v30
	v_cndmask_b32_e64 v30, v27, v30, s[4:5]
	v_cndmask_b32_e64 v26, v26, v33, s[4:5]
	s_waitcnt lgkmcnt(0)
	v_fmac_f32_e32 v30, v38, v26
	v_fmac_f32_e32 v31, v30, v29
	;; [unrolled: 1-line block ×4, first 2 shown]
	v_and_b32_e32 v27, 0xffff0000, v24
	v_lshlrev_b32_e32 v26, 16, v24
	v_alignbit_b32 v24, v25, v24, 16
	v_and_b32_e32 v24, 0xffff0000, v24
	v_and_b32_e32 v25, 0xffff0000, v25
	v_mov_b32_e32 v29, v34
	s_add_i32 s87, s87, 8
	s_add_i32 s59, s59, -1
	s_add_i32 s68, s68, s46
	s_add_i32 s66, s66, s28
	s_add_i32 s64, s64, s40
	s_add_i32 s50, s50, s37
	v_pk_fma_f32 v[16:17], v[30:31], v[26:27], v[16:17]
	s_cmp_eq_u32 s59, 0
	v_pk_fma_f32 v[18:19], v[28:29], v[24:25], v[18:19]
	s_cbranch_scc1 .LBB35_11
.LBB35_25:                              ;   Parent Loop BB35_12 Depth=1
                                        ; =>  This Inner Loop Header: Depth=2
	s_lshl_b64 s[26:27], s[50:51], 2
	s_mov_b32 s65, s51
	s_add_u32 s26, s36, s26
	v_lshl_add_u64 v[24:25], s[64:65], 1, v[20:21]
	s_mov_b32 s67, s51
	s_addc_u32 s27, s47, s27
	global_load_dwordx2 v[28:29], v[24:25], off
	v_lshl_add_u64 v[24:25], s[66:67], 1, v[22:23]
	global_load_dword v30, v3, s[26:27]
	s_andn2_b64 vcc, exec, s[60:61]
	global_load_dwordx2 v[24:25], v[24:25], off
	s_cbranch_vccnz .LBB35_27
; %bb.26:                               ;   in Loop: Header=BB35_25 Depth=2
	v_mov_b32_e32 v26, s87
	ds_read_b64 v[26:27], v26
	s_cbranch_execz .LBB35_28
	s_branch .LBB35_31
.LBB35_27:                              ;   in Loop: Header=BB35_25 Depth=2
                                        ; implicit-def: $vgpr27
.LBB35_28:                              ;   in Loop: Header=BB35_25 Depth=2
	s_andn2_b64 vcc, exec, s[34:35]
	s_waitcnt lgkmcnt(0)
	v_mov_b32_e32 v27, 0
	s_cbranch_vccnz .LBB35_30
; %bb.29:                               ;   in Loop: Header=BB35_25 Depth=2
	s_mov_b32 s69, s51
	s_lshl_b64 s[26:27], s[68:69], 2
	s_add_u32 s26, s29, s26
	s_addc_u32 s27, s41, s27
	global_load_dword v27, v3, s[26:27]
.LBB35_30:                              ;   in Loop: Header=BB35_25 Depth=2
	v_mov_b32_e32 v26, 1.0
.LBB35_31:                              ;   in Loop: Header=BB35_25 Depth=2
	s_waitcnt vmcnt(1)
	v_mul_f32_e32 v32, 0x3fb8aa3b, v30
	v_mul_f32_e32 v33, v32, v51
	v_cmp_gt_f32_e32 vcc, s84, v33
	v_and_b32_e32 v31, 0xffff0000, v28
	v_lshlrev_b32_e32 v30, 16, v28
	v_cndmask_b32_e32 v33, 0, v43, vcc
	v_fmac_f32_e32 v33, v32, v51
	v_exp_f32_e32 v33, v33
	v_alignbit_b32 v28, v29, v28, 16
	v_and_b32_e32 v36, 0xffff0000, v29
	v_cndmask_b32_e32 v29, 1.0, v44, vcc
	v_mul_f32_e32 v29, v33, v29
	v_mul_f32_e32 v33, v32, v52
	v_cmp_gt_f32_e32 vcc, s84, v33
	v_mul_f32_e32 v30, v55, v30
	v_mul_f32_e32 v31, v54, v31
	v_cndmask_b32_e32 v33, 0, v43, vcc
	v_fmac_f32_e32 v33, v32, v52
	v_exp_f32_e32 v34, v33
	v_cndmask_b32_e64 v33, 1.0, v29, s[18:19]
	v_cndmask_b32_e32 v29, 1.0, v44, vcc
	v_and_b32_e32 v28, 0xffff0000, v28
	v_mul_f32_e32 v29, v34, v29
	v_pk_mul_f32 v[34:35], v[32:33], v[14:15] op_sel_hi:[0,1]
	v_cmp_gt_f32_e32 vcc, s84, v34
	v_cmp_gt_f32_e64 s[26:27], s84, v35
	v_cndmask_b32_e64 v30, 0, v30, s[18:19]
	v_cndmask_b32_e32 v32, 0, v43, vcc
	v_add_f32_e32 v32, v34, v32
	v_cndmask_b32_e64 v34, 0, v43, s[26:27]
	v_exp_f32_e32 v32, v32
	v_add_f32_e32 v34, v35, v34
	v_exp_f32_e32 v34, v34
	v_cndmask_b32_e32 v35, 1.0, v44, vcc
	v_mul_f32_e32 v32, v32, v35
	v_cndmask_b32_e64 v35, 1.0, v44, s[26:27]
	v_cndmask_b32_e64 v31, 0, v31, s[20:21]
	v_cndmask_b32_e64 v29, 1.0, v29, s[20:21]
	v_mul_f32_e32 v35, v34, v35
	v_mul_f32_e32 v28, v53, v28
	v_mul_f32_e32 v34, v9, v36
	v_cndmask_b32_e64 v37, 1.0, v35, s[22:23]
	v_cndmask_b32_e64 v36, 1.0, v32, s[24:25]
	v_fma_f32 v32, v29, v30, v31
	v_cndmask_b32_e64 v28, 0, v28, s[22:23]
	v_mul_f32_e32 v32, v32, v37
	v_pk_add_f32 v[38:39], v[32:33], v[28:29]
	v_pk_mul_f32 v[58:59], v[32:33], v[28:29]
	v_cndmask_b32_e64 v34, 0, v34, s[24:25]
	v_mov_b32_e32 v39, v59
	v_pk_mul_f32 v[58:59], v[38:39], v[36:37]
	v_mov_b32_e32 v35, v36
	v_pk_fma_f32 v[60:61], v[38:39], v[36:37], v[34:35]
	v_pk_mul_f32 v[58:59], v[58:59], v[34:35]
	s_nop 0
	v_mov_b32_dpp v35, v60 row_shr:1 row_mask:0xf bank_mask:0xf
	v_mov_b32_dpp v32, v59 row_shr:1 row_mask:0xf bank_mask:0xf
	v_mul_f32_e32 v57, v59, v32
	v_fma_f32 v32, v59, v35, v60
	v_cndmask_b32_e64 v39, v32, v60, s[6:7]
	v_cndmask_b32_e64 v32, v32, v60, s[6:7]
	v_cndmask_b32_e64 v35, v57, v59, s[6:7]
	v_cndmask_b32_e64 v38, v57, v59, s[6:7]
	v_mov_b32_dpp v58, v32 row_shr:2 row_mask:0xf bank_mask:0xf
	v_mov_b32_dpp v57, v35 row_shr:2 row_mask:0xf bank_mask:0xf
	s_and_saveexec_b64 s[26:27], s[8:9]
; %bb.32:                               ;   in Loop: Header=BB35_25 Depth=2
	v_fmac_f32_e32 v32, v35, v58
	v_mul_f32_e32 v35, v35, v57
	v_mov_b32_e32 v38, v35
	v_mov_b32_e32 v39, v32
; %bb.33:                               ;   in Loop: Header=BB35_25 Depth=2
	s_or_b64 exec, exec, s[26:27]
	v_mov_b32_dpp v57, v35 row_shr:4 row_mask:0xf bank_mask:0xf
	v_mov_b32_dpp v58, v32 row_shr:4 row_mask:0xf bank_mask:0xf
	s_and_saveexec_b64 s[26:27], s[10:11]
; %bb.34:                               ;   in Loop: Header=BB35_25 Depth=2
	v_fmac_f32_e32 v32, v35, v58
	v_mul_f32_e32 v35, v35, v57
	v_mov_b32_e32 v38, v35
	v_mov_b32_e32 v39, v32
; %bb.35:                               ;   in Loop: Header=BB35_25 Depth=2
	s_or_b64 exec, exec, s[26:27]
	;; [unrolled: 10-line block ×3, first 2 shown]
	v_mov_b32_dpp v57, v35 row_bcast:15 row_mask:0xf bank_mask:0xf
	v_mov_b32_dpp v58, v32 row_bcast:15 row_mask:0xf bank_mask:0xf
	s_and_saveexec_b64 s[26:27], s[14:15]
; %bb.38:                               ;   in Loop: Header=BB35_25 Depth=2
	v_fmac_f32_e32 v32, v35, v58
	v_mul_f32_e32 v35, v35, v57
	v_mov_b32_e32 v38, v35
	v_mov_b32_e32 v39, v32
; %bb.39:                               ;   in Loop: Header=BB35_25 Depth=2
	s_or_b64 exec, exec, s[26:27]
	v_mov_b32_dpp v57, v35 row_bcast:31 row_mask:0xf bank_mask:0xf
	v_mov_b32_dpp v58, v32 row_bcast:31 row_mask:0xf bank_mask:0xf
	v_mul_f32_e32 v57, v35, v57
	v_fmac_f32_e32 v32, v35, v58
	v_cndmask_b32_e64 v38, v38, v57, s[16:17]
	v_cndmask_b32_e64 v39, v39, v32, s[16:17]
	s_and_saveexec_b64 s[26:27], s[2:3]
	s_cbranch_execz .LBB35_41
; %bb.40:                               ;   in Loop: Header=BB35_25 Depth=2
	ds_write_b64 v3, v[38:39] offset:1056
.LBB35_41:                              ;   in Loop: Header=BB35_25 Depth=2
	s_or_b64 exec, exec, s[26:27]
	ds_bpermute_b32 v32, v56, v38
	ds_bpermute_b32 v35, v56, v39
	s_waitcnt vmcnt(0) lgkmcnt(2)
	v_mov_b32_e32 v39, v27
	s_waitcnt lgkmcnt(0)
	; wave barrier
	s_waitcnt lgkmcnt(0)
	s_and_saveexec_b64 s[26:27], s[0:1]
	s_cbranch_execz .LBB35_45
; %bb.42:                               ;   in Loop: Header=BB35_25 Depth=2
	ds_read_b64 v[38:39], v3 offset:1056
	s_and_saveexec_b64 s[70:71], s[4:5]
	s_cbranch_execz .LBB35_44
; %bb.43:                               ;   in Loop: Header=BB35_25 Depth=2
	ds_write_b64 v3, v[26:27] offset:1056
.LBB35_44:                              ;   in Loop: Header=BB35_25 Depth=2
	s_or_b64 exec, exec, s[70:71]
	s_waitcnt lgkmcnt(0)
	v_fmac_f32_e32 v39, v27, v38
	v_mul_f32_e32 v26, v26, v38
	v_mov_b32_e32 v27, v39
.LBB35_45:                              ;   in Loop: Header=BB35_25 Depth=2
	s_or_b64 exec, exec, s[26:27]
	s_waitcnt lgkmcnt(0)
	; wave barrier
	ds_read_b32 v38, v3 offset:1060
	s_and_saveexec_b64 s[26:27], s[4:5]
	s_cbranch_execz .LBB35_24
; %bb.46:                               ;   in Loop: Header=BB35_25 Depth=2
	v_mov_b32_e32 v57, s87
	s_andn2_b64 vcc, exec, s[62:63]
	ds_write_b64 v57, v[26:27]
	s_cbranch_vccnz .LBB35_24
; %bb.47:                               ;   in Loop: Header=BB35_25 Depth=2
	s_mov_b32 s69, s51
	s_lshl_b64 s[70:71], s[68:69], 2
	s_add_u32 s70, s29, s70
	s_addc_u32 s71, s41, s71
	global_store_dword v3, v39, s[70:71]
	s_branch .LBB35_24
.LBB35_48:
	s_endpgm
	.section	.rodata,"a",@progbits
	.p2align	6, 0x0
	.amdhsa_kernel _Z25selective_scan_fwd_kernelI32Selective_Scan_fwd_kernel_traitsILi64ELi4ELi1ELb1ELb1ELb1ELb0ELb0EN3c108BFloat16EffEEv13SSMParamsBase
		.amdhsa_group_segment_fixed_size 0
		.amdhsa_private_segment_fixed_size 0
		.amdhsa_kernarg_size 248
		.amdhsa_user_sgpr_count 2
		.amdhsa_user_sgpr_dispatch_ptr 0
		.amdhsa_user_sgpr_queue_ptr 0
		.amdhsa_user_sgpr_kernarg_segment_ptr 1
		.amdhsa_user_sgpr_dispatch_id 0
		.amdhsa_user_sgpr_kernarg_preload_length 0
		.amdhsa_user_sgpr_kernarg_preload_offset 0
		.amdhsa_user_sgpr_private_segment_size 0
		.amdhsa_uses_dynamic_stack 0
		.amdhsa_enable_private_segment 0
		.amdhsa_system_sgpr_workgroup_id_x 1
		.amdhsa_system_sgpr_workgroup_id_y 1
		.amdhsa_system_sgpr_workgroup_id_z 0
		.amdhsa_system_sgpr_workgroup_info 0
		.amdhsa_system_vgpr_workitem_id 0
		.amdhsa_next_free_vgpr 62
		.amdhsa_next_free_sgpr 88
		.amdhsa_accum_offset 64
		.amdhsa_reserve_vcc 1
		.amdhsa_float_round_mode_32 0
		.amdhsa_float_round_mode_16_64 0
		.amdhsa_float_denorm_mode_32 3
		.amdhsa_float_denorm_mode_16_64 3
		.amdhsa_dx10_clamp 1
		.amdhsa_ieee_mode 1
		.amdhsa_fp16_overflow 0
		.amdhsa_tg_split 0
		.amdhsa_exception_fp_ieee_invalid_op 0
		.amdhsa_exception_fp_denorm_src 0
		.amdhsa_exception_fp_ieee_div_zero 0
		.amdhsa_exception_fp_ieee_overflow 0
		.amdhsa_exception_fp_ieee_underflow 0
		.amdhsa_exception_fp_ieee_inexact 0
		.amdhsa_exception_int_div_zero 0
	.end_amdhsa_kernel
	.section	.text._Z25selective_scan_fwd_kernelI32Selective_Scan_fwd_kernel_traitsILi64ELi4ELi1ELb1ELb1ELb1ELb0ELb0EN3c108BFloat16EffEEv13SSMParamsBase,"axG",@progbits,_Z25selective_scan_fwd_kernelI32Selective_Scan_fwd_kernel_traitsILi64ELi4ELi1ELb1ELb1ELb1ELb0ELb0EN3c108BFloat16EffEEv13SSMParamsBase,comdat
.Lfunc_end35:
	.size	_Z25selective_scan_fwd_kernelI32Selective_Scan_fwd_kernel_traitsILi64ELi4ELi1ELb1ELb1ELb1ELb0ELb0EN3c108BFloat16EffEEv13SSMParamsBase, .Lfunc_end35-_Z25selective_scan_fwd_kernelI32Selective_Scan_fwd_kernel_traitsILi64ELi4ELi1ELb1ELb1ELb1ELb0ELb0EN3c108BFloat16EffEEv13SSMParamsBase
                                        ; -- End function
	.section	.AMDGPU.csdata,"",@progbits
; Kernel info:
; codeLenInByte = 5292
; NumSgprs: 94
; NumVgprs: 62
; NumAgprs: 0
; TotalNumVgprs: 62
; ScratchSize: 0
; MemoryBound: 0
; FloatMode: 240
; IeeeMode: 1
; LDSByteSize: 0 bytes/workgroup (compile time only)
; SGPRBlocks: 11
; VGPRBlocks: 7
; NumSGPRsForWavesPerEU: 94
; NumVGPRsForWavesPerEU: 62
; AccumOffset: 64
; Occupancy: 8
; WaveLimiterHint : 0
; COMPUTE_PGM_RSRC2:SCRATCH_EN: 0
; COMPUTE_PGM_RSRC2:USER_SGPR: 2
; COMPUTE_PGM_RSRC2:TRAP_HANDLER: 0
; COMPUTE_PGM_RSRC2:TGID_X_EN: 1
; COMPUTE_PGM_RSRC2:TGID_Y_EN: 1
; COMPUTE_PGM_RSRC2:TGID_Z_EN: 0
; COMPUTE_PGM_RSRC2:TIDIG_COMP_CNT: 0
; COMPUTE_PGM_RSRC3_GFX90A:ACCUM_OFFSET: 15
; COMPUTE_PGM_RSRC3_GFX90A:TG_SPLIT: 0
	.section	.text._Z25selective_scan_fwd_kernelI32Selective_Scan_fwd_kernel_traitsILi64ELi4ELi1ELb0ELb1ELb1ELb1ELb1EN3c108BFloat16EffEEv13SSMParamsBase,"axG",@progbits,_Z25selective_scan_fwd_kernelI32Selective_Scan_fwd_kernel_traitsILi64ELi4ELi1ELb0ELb1ELb1ELb1ELb1EN3c108BFloat16EffEEv13SSMParamsBase,comdat
	.protected	_Z25selective_scan_fwd_kernelI32Selective_Scan_fwd_kernel_traitsILi64ELi4ELi1ELb0ELb1ELb1ELb1ELb1EN3c108BFloat16EffEEv13SSMParamsBase ; -- Begin function _Z25selective_scan_fwd_kernelI32Selective_Scan_fwd_kernel_traitsILi64ELi4ELi1ELb0ELb1ELb1ELb1ELb1EN3c108BFloat16EffEEv13SSMParamsBase
	.globl	_Z25selective_scan_fwd_kernelI32Selective_Scan_fwd_kernel_traitsILi64ELi4ELi1ELb0ELb1ELb1ELb1ELb1EN3c108BFloat16EffEEv13SSMParamsBase
	.p2align	8
	.type	_Z25selective_scan_fwd_kernelI32Selective_Scan_fwd_kernel_traitsILi64ELi4ELi1ELb0ELb1ELb1ELb1ELb1EN3c108BFloat16EffEEv13SSMParamsBase,@function
_Z25selective_scan_fwd_kernelI32Selective_Scan_fwd_kernel_traitsILi64ELi4ELi1ELb0ELb1ELb1ELb1ELb1EN3c108BFloat16EffEEv13SSMParamsBase: ; @_Z25selective_scan_fwd_kernelI32Selective_Scan_fwd_kernel_traitsILi64ELi4ELi1ELb0ELb1ELb1ELb1ELb1EN3c108BFloat16EffEEv13SSMParamsBase
; %bb.0:
	s_load_dword s37, s[0:1], 0x18
	s_load_dwordx4 s[4:7], s[0:1], 0xe8
	s_load_dwordx8 s[20:27], s[0:1], 0xc8
	s_mov_b32 s34, s3
	s_ashr_i32 s3, s2, 31
	s_lshl_b64 s[8:9], s[2:3], 2
	s_waitcnt lgkmcnt(0)
	s_abs_i32 s36, s37
	v_cvt_f32_u32_e32 v1, s36
	s_add_u32 s28, s26, s8
	s_addc_u32 s29, s27, s9
	s_cmp_eq_u64 s[6:7], 0
	v_rcp_iflag_f32_e32 v1, v1
	s_nop 0
	v_mul_f32_e32 v1, 0x4f7ffffe, v1
	v_cvt_u32_f32_e32 v1, v1
	s_nop 0
	v_readfirstlane_b32 s56, v1
	s_cbranch_scc1 .LBB36_102
; %bb.1:
	s_add_u32 s6, s6, s2
	s_addc_u32 s7, s7, s3
	v_mov_b32_e32 v1, 0
	global_load_ubyte v1, v1, s[6:7]
	s_waitcnt vmcnt(0)
	v_and_b32_e32 v1, 1, v1
	v_cmp_eq_u32_e64 s[38:39], 1, v1
	s_load_dwordx2 s[6:7], s[0:1], 0x20
	s_cmp_eq_u64 s[4:5], 0
	s_cbranch_scc1 .LBB36_3
.LBB36_2:
	s_add_u32 s2, s4, s8
	s_addc_u32 s3, s5, s9
	s_load_dword s2, s[2:3], 0x0
	s_waitcnt lgkmcnt(0)
	s_ashr_i32 s3, s2, 31
.LBB36_3:
	s_waitcnt lgkmcnt(0)
	s_cmp_eq_u64 s[6:7], s[2:3]
	s_cbranch_scc1 .LBB36_101
; %bb.4:
	s_load_dwordx16 s[4:19], s[0:1], 0x88
	s_load_dwordx2 s[26:27], s[28:29], 0x0
	s_mov_b32 s33, 0
	s_mov_b32 s76, 0
	s_waitcnt lgkmcnt(0)
	s_cmp_eq_u64 s[10:11], 0
	s_cbranch_scc1 .LBB36_6
; %bb.5:
	s_ashr_i32 s35, s34, 31
	s_lshl_b64 s[28:29], s[34:35], 2
	s_add_u32 s10, s10, s28
	s_addc_u32 s11, s11, s29
	s_load_dword s76, s[10:11], 0x0
.LBB36_6:
	s_cmp_eq_u64 s[16:17], 0
	s_cbranch_scc1 .LBB36_8
; %bb.7:
	s_ashr_i32 s35, s34, 31
	s_lshl_b64 s[10:11], s[34:35], 2
	s_add_u32 s10, s16, s10
	s_addc_u32 s11, s17, s11
	s_load_dword s33, s[10:11], 0x0
.LBB36_8:
	s_sub_i32 s77, s27, s26
	s_cmp_lt_i32 s77, 1
	s_cbranch_scc1 .LBB36_101
; %bb.9:
	s_sub_i32 s3, 0, s36
	s_mul_i32 s3, s3, s56
	s_mul_hi_u32 s3, s56, s3
	s_abs_i32 s16, s34
	s_add_i32 s56, s56, s3
	s_load_dwordx8 s[40:47], s[0:1], 0x2c
	s_load_dwordx2 s[10:11], s[0:1], 0x7c
	s_load_dwordx4 s[28:31], s[0:1], 0x6c
	s_load_dwordx8 s[48:55], s[0:1], 0x4c
	s_load_dword s78, s[0:1], 0x84
	s_mul_hi_u32 s3, s16, s56
	s_load_dword s79, s[0:1], 0xc
	s_load_dword s17, s[0:1], 0x28
	s_ashr_i32 s0, s34, 31
	s_ashr_i32 s1, s37, 31
	s_xor_b32 s0, s0, s1
	s_mul_i32 s1, s3, s36
	s_sub_i32 s1, s16, s1
	s_add_i32 s16, s3, 1
	s_sub_i32 s27, s1, s36
	s_cmp_ge_u32 s1, s36
	s_cselect_b32 s3, s16, s3
	s_cselect_b32 s1, s27, s1
	s_add_i32 s16, s3, 1
	s_cmp_ge_u32 s1, s36
	s_cselect_b32 s1, s16, s3
	s_xor_b32 s1, s1, s0
	s_waitcnt lgkmcnt(0)
	s_mul_i32 s56, s26, s50
	s_mov_b32 s57, 0
	s_sub_i32 s3, s1, s0
	s_lshl_b64 s[0:1], s[56:57], 1
	s_add_u32 s12, s12, s0
	s_mul_i32 s56, s51, s34
	s_addc_u32 s13, s13, s1
	s_lshl_b64 s[0:1], s[56:57], 1
	s_add_u32 s50, s12, s0
	s_mul_i32 s56, s26, s52
	s_addc_u32 s51, s13, s1
	;; [unrolled: 4-line block ×9, first 2 shown]
	s_lshl_b64 s[0:1], s[56:57], 2
	s_add_u32 s2, s20, s0
	s_mul_i32 s56, s11, s34
	v_mbcnt_lo_u32_b32 v2, -1, 0
	s_addc_u32 s3, s21, s1
	s_lshl_b64 s[0:1], s[56:57], 2
	v_mbcnt_hi_u32_b32 v2, -1, v2
	s_add_u32 s45, s2, s0
	v_lshrrev_b32_e32 v3, 5, v2
	s_addc_u32 s49, s3, s1
	s_add_i32 s0, s77, 0x7ff
	v_and_b32_e32 v3, 2, v3
	s_lshr_b32 s81, s0, 11
	v_add_u32_e32 v40, 64, v2
	v_or_b32_e32 v41, 0x80, v2
	v_add_u32_e32 v42, 0xc0, v2
	v_add_u32_e32 v3, v3, v2
	v_lshl_add_u32 v43, v3, 1, 0
	v_lshrrev_b32_e32 v3, 5, v40
	v_lshrrev_b32_e32 v4, 5, v41
	;; [unrolled: 1-line block ×3, first 2 shown]
	s_bitcmp1_b32 s17, 0
	v_and_b32_e32 v3, 6, v3
	v_and_b32_e32 v4, 6, v4
	;; [unrolled: 1-line block ×3, first 2 shown]
	s_cselect_b64 s[58:59], -1, 0
	s_cmp_gt_i32 s79, 0
	v_add_lshl_u32 v3, v3, v2, 1
	v_add_lshl_u32 v4, v4, v2, 1
	;; [unrolled: 1-line block ×3, first 2 shown]
	s_cselect_b64 s[60:61], -1, 0
	s_add_i32 s0, 0, 0x210
	s_mul_i32 s56, s26, s28
	v_add_u32_e32 v48, s0, v3
	v_add_u32_e32 v49, s0, v4
	;; [unrolled: 1-line block ×3, first 2 shown]
	s_and_b32 s2, s77, 0xff
	s_add_i32 s82, s81, -1
	s_lshl_b64 s[0:1], s[56:57], 1
	s_add_u32 s3, s18, s0
	s_mul_i32 s56, s29, s34
	s_addc_u32 s4, s19, s1
	s_lshl_b64 s[0:1], s[56:57], 1
	s_add_u32 s18, s3, s0
	s_mul_i32 s56, s26, s54
	s_addc_u32 s19, s4, s1
	;; [unrolled: 4-line block ×5, first 2 shown]
	s_lshl_b64 s[0:1], s[56:57], 1
	s_add_u32 s22, s3, s0
	v_add_u32_e32 v44, 0, v3
	s_addc_u32 s23, s4, s1
	v_and_b32_e32 v3, 15, v2
	s_cmp_eq_u32 s2, 0
	v_cmp_eq_u32_e64 s[0:1], 0, v3
	v_cmp_lt_u32_e64 s[2:3], 1, v3
	v_cmp_lt_u32_e64 s[4:5], 3, v3
	;; [unrolled: 1-line block ×3, first 2 shown]
	v_and_b32_e32 v3, 16, v2
	v_add_u32_e32 v45, 0, v4
	v_lshrrev_b32_e32 v6, 3, v2
	v_cmp_ne_u32_e64 s[8:9], 0, v3
	v_add_u32_e32 v3, -1, v2
	v_and_b32_e32 v4, 64, v2
	v_and_b32_e32 v6, 14, v6
	v_cmp_lt_i32_e32 vcc, v3, v4
	v_mov_b32_e32 v1, 0
	v_lshlrev_b32_e32 v11, 2, v0
	v_lshl_add_u32 v6, v2, 2, v6
	v_cmp_eq_u32_e64 s[12:13], 63, v0
	v_cndmask_b32_e32 v3, v3, v2, vcc
	v_cmp_gt_u32_e64 s[14:15], 64, v0
	v_cmp_eq_u32_e64 s[16:17], 0, v0
	v_lshlrev_b32_e32 v0, 1, v2
                                        ; implicit-def: $vgpr12
	v_add_u32_e32 v46, 0, v5
	v_lshl_add_u32 v47, v6, 1, 0
	s_cselect_b64 s[54:55], -1, 0
	v_cmp_lt_u32_e64 s[10:11], 31, v2
	v_lshlrev_b32_e32 v51, 2, v3
	v_lshl_add_u64 v[4:5], s[18:19], 0, v[0:1]
	v_lshl_add_u64 v[6:7], s[20:21], 0, v[0:1]
	;; [unrolled: 1-line block ×3, first 2 shown]
	v_or_b32_e32 v3, 1, v11
	v_or_b32_e32 v10, 2, v11
	v_or_b32_e32 v52, 3, v11
	v_lshlrev_b32_e32 v0, 1, v2
	s_mov_b32 s83, 0x41a00000
	s_mov_b32 s84, 0x3fb8aa3b
	;; [unrolled: 1-line block ×6, first 2 shown]
	v_mov_b32_e32 v53, 0x3ecc95a3
	s_mov_b32 s89, 0x3f317218
	s_mov_b32 s90, 0x33800000
	s_add_i32 s91, 0, 0x428
	s_mov_b32 s92, 0xc2fc0000
	s_movk_i32 s93, 0x7fff
	s_mov_b32 s94, 0x5040100
	s_mov_b32 s95, 0xbfb8aa3b
	;; [unrolled: 1-line block ×4, first 2 shown]
	v_mov_b32_e32 v54, 0x7f800000
	v_mov_b32_e32 v12, 0x3f317218
	;; [unrolled: 1-line block ×5, first 2 shown]
	s_mov_b32 s98, 0
	s_branch .LBB36_11
.LBB36_10:                              ;   in Loop: Header=BB36_11 Depth=1
	s_or_b64 exec, exec, s[18:19]
	s_add_u32 s52, s52, 0x200
	s_addc_u32 s53, s53, 0
	s_add_u32 s50, s50, 0x200
	s_addc_u32 s51, s51, 0
	;; [unrolled: 2-line block ×4, first 2 shown]
	s_add_i32 s98, s98, 1
	s_cmp_lg_u32 s98, s81
	s_cbranch_scc0 .LBB36_101
.LBB36_11:                              ; =>This Loop Header: Depth=1
                                        ;     Child Loop BB36_36 Depth 2
	s_lshl_b32 s62, s98, 8
	s_sub_i32 s34, s77, s62
	v_lshl_add_u64 v[14:15], s[50:51], 0, v[0:1]
	v_cmp_gt_u32_e64 s[18:19], s34, v2
	s_waitcnt lgkmcnt(1)
	v_mov_b32_e32 v16, 0
	s_waitcnt lgkmcnt(0)
	; wave barrier
	s_and_saveexec_b64 s[20:21], s[18:19]
	s_cbranch_execz .LBB36_13
; %bb.12:                               ;   in Loop: Header=BB36_11 Depth=1
	global_load_ushort v16, v[14:15], off
.LBB36_13:                              ;   in Loop: Header=BB36_11 Depth=1
	s_or_b64 exec, exec, s[20:21]
	v_cmp_gt_u32_e64 s[20:21], s34, v40
	v_mov_b32_e32 v17, 0
	v_mov_b32_e32 v18, 0
	s_and_saveexec_b64 s[22:23], s[20:21]
	s_cbranch_execz .LBB36_15
; %bb.14:                               ;   in Loop: Header=BB36_11 Depth=1
	global_load_ushort v18, v[14:15], off offset:128
.LBB36_15:                              ;   in Loop: Header=BB36_11 Depth=1
	s_or_b64 exec, exec, s[22:23]
	v_cmp_gt_u32_e64 s[22:23], s34, v41
	s_and_saveexec_b64 s[24:25], s[22:23]
	s_cbranch_execz .LBB36_17
; %bb.16:                               ;   in Loop: Header=BB36_11 Depth=1
	global_load_ushort v17, v[14:15], off offset:256
.LBB36_17:                              ;   in Loop: Header=BB36_11 Depth=1
	s_or_b64 exec, exec, s[24:25]
	v_cmp_gt_u32_e64 s[24:25], s34, v42
	s_waitcnt lgkmcnt(0)
	v_mov_b32_e32 v13, 0
	v_mov_b32_e32 v19, 0
	s_and_saveexec_b64 s[26:27], s[24:25]
	s_cbranch_execz .LBB36_19
; %bb.18:                               ;   in Loop: Header=BB36_11 Depth=1
	global_load_ushort v19, v[14:15], off offset:384
.LBB36_19:                              ;   in Loop: Header=BB36_11 Depth=1
	s_or_b64 exec, exec, s[26:27]
	s_waitcnt vmcnt(0)
	ds_write_b16 v43, v16
	ds_write_b16 v44, v18 offset:128
	ds_write_b16 v45, v17 offset:256
	;; [unrolled: 1-line block ×3, first 2 shown]
	; wave barrier
	ds_read_b64 v[16:17], v47
	v_lshl_add_u64 v[14:15], s[52:53], 0, v[0:1]
	s_waitcnt lgkmcnt(0)
	; wave barrier
	s_waitcnt lgkmcnt(0)
	s_and_saveexec_b64 s[26:27], s[18:19]
	s_cbranch_execz .LBB36_21
; %bb.20:                               ;   in Loop: Header=BB36_11 Depth=1
	global_load_ushort v13, v[14:15], off
.LBB36_21:                              ;   in Loop: Header=BB36_11 Depth=1
	s_or_b64 exec, exec, s[26:27]
	v_mov_b32_e32 v18, 0
	v_mov_b32_e32 v19, 0
	s_and_saveexec_b64 s[26:27], s[20:21]
	s_cbranch_execnz .LBB36_92
; %bb.22:                               ;   in Loop: Header=BB36_11 Depth=1
	s_or_b64 exec, exec, s[26:27]
	s_and_saveexec_b64 s[26:27], s[22:23]
	s_cbranch_execnz .LBB36_93
.LBB36_23:                              ;   in Loop: Header=BB36_11 Depth=1
	s_or_b64 exec, exec, s[26:27]
	v_mov_b32_e32 v20, 0
	s_and_saveexec_b64 s[26:27], s[24:25]
	s_cbranch_execz .LBB36_25
.LBB36_24:                              ;   in Loop: Header=BB36_11 Depth=1
	global_load_ushort v20, v[14:15], off offset:384
.LBB36_25:                              ;   in Loop: Header=BB36_11 Depth=1
	s_or_b64 exec, exec, s[26:27]
	s_waitcnt vmcnt(0)
	ds_write_b16 v43, v13
	ds_write_b16 v44, v19 offset:128
	ds_write_b16 v45, v18 offset:256
	;; [unrolled: 1-line block ×3, first 2 shown]
	; wave barrier
	ds_read_b64 v[14:15], v47
	s_waitcnt lgkmcnt(0)
	v_lshlrev_b32_e32 v13, 16, v14
	v_add_f32_e32 v58, s33, v13
	v_cmp_ge_f32_e32 vcc, s83, v58
	s_and_b64 s[26:27], s[58:59], vcc
	s_and_saveexec_b64 s[28:29], s[26:27]
	s_cbranch_execz .LBB36_27
; %bb.26:                               ;   in Loop: Header=BB36_11 Depth=1
	v_mul_f32_e32 v13, 0x3fb8aa3b, v58
	v_rndne_f32_e32 v18, v13
	v_sub_f32_e32 v19, v13, v18
	v_fma_f32 v13, v58, s84, -v13
	v_fmac_f32_e32 v13, 0x32a5705f, v58
	v_add_f32_e32 v13, v19, v13
	v_cvt_i32_f32_e32 v18, v18
	v_exp_f32_e32 v13, v13
	v_cmp_ngt_f32_e32 vcc, s85, v58
	v_ldexp_f32 v13, v13, v18
	s_nop 0
	v_cndmask_b32_e32 v13, 0, v13, vcc
	v_cmp_nlt_f32_e32 vcc, s86, v58
	s_nop 1
	v_cndmask_b32_e32 v34, v54, v13, vcc
	v_add_f32_e32 v13, 1.0, v34
	v_add_f32_e32 v18, -1.0, v13
	v_sub_f32_e32 v19, v18, v13
	v_add_f32_e32 v19, 1.0, v19
	v_sub_f32_e32 v18, v34, v18
	v_add_f32_e32 v20, v18, v19
	v_frexp_mant_f32_e32 v21, v13
	v_cvt_f64_f32_e32 v[18:19], v13
	v_frexp_exp_i32_f64_e32 v18, v[18:19]
	v_cmp_gt_f32_e32 vcc, s88, v21
	v_cmp_gt_f32_e64 s[26:27], s90, v34
	s_nop 0
	v_subbrev_co_u32_e32 v26, vcc, 0, v18, vcc
	v_sub_u32_e32 v18, 0, v26
	v_ldexp_f32 v13, v13, v18
	v_ldexp_f32 v18, v20, v18
	v_add_f32_e32 v20, -1.0, v13
	v_add_f32_e32 v19, 1.0, v20
	v_sub_f32_e32 v19, v13, v19
	v_add_f32_e32 v21, v18, v19
	v_add_f32_e32 v19, 1.0, v13
	v_add_f32_e32 v22, -1.0, v19
	v_sub_f32_e32 v13, v13, v22
	v_add_f32_e32 v13, v18, v13
	v_add_f32_e32 v27, v19, v13
	v_rcp_f32_e32 v28, v27
	v_sub_f32_e32 v18, v19, v27
	v_add_f32_e32 v19, v20, v21
	v_add_f32_e32 v13, v13, v18
	v_mul_f32_e32 v30, v19, v28
	v_sub_f32_e32 v18, v20, v19
	v_mul_f32_e32 v20, v27, v30
	v_fma_f32 v22, v30, v27, -v20
	v_fmac_f32_e32 v22, v30, v13
	v_add_f32_e32 v29, v21, v18
	v_add_f32_e32 v18, v20, v22
	v_sub_f32_e32 v21, v19, v18
	v_pk_add_f32 v[24:25], v[18:19], v[20:21] neg_lo:[0,1] neg_hi:[0,1]
	v_mov_b32_e32 v23, v18
	v_pk_add_f32 v[18:19], v[24:25], v[22:23] neg_lo:[0,1] neg_hi:[0,1]
	v_cmp_eq_f32_e32 vcc, s87, v34
	v_add_f32_e32 v19, v29, v19
	v_add_f32_e32 v18, v18, v19
	;; [unrolled: 1-line block ×3, first 2 shown]
	v_mul_f32_e32 v29, v28, v19
	v_mul_f32_e32 v20, v27, v29
	v_fma_f32 v22, v29, v27, -v20
	v_fmac_f32_e32 v22, v29, v13
	v_sub_f32_e32 v13, v21, v19
	v_add_f32_e32 v13, v18, v13
	v_add_f32_e32 v18, v20, v22
	v_sub_f32_e32 v21, v19, v18
	v_pk_add_f32 v[24:25], v[18:19], v[20:21] neg_lo:[0,1] neg_hi:[0,1]
	v_mov_b32_e32 v23, v18
	v_pk_add_f32 v[18:19], v[24:25], v[22:23] neg_lo:[0,1] neg_hi:[0,1]
	s_or_b64 vcc, s[26:27], vcc
	v_add_f32_e32 v13, v13, v19
	v_add_f32_e32 v13, v18, v13
	;; [unrolled: 1-line block ×4, first 2 shown]
	v_sub_f32_e32 v18, v19, v30
	v_mul_f32_e32 v13, v28, v13
	v_sub_f32_e32 v18, v29, v18
	v_add_f32_e32 v20, v18, v13
	v_add_f32_e32 v22, v19, v20
	v_cvt_f32_i32_e32 v18, v26
	v_mul_f32_e32 v23, v22, v22
	v_sub_f32_e32 v19, v22, v19
	v_fmamk_f32 v13, v23, 0x3e9b6dac, v53
	v_sub_f32_e32 v19, v20, v19
	v_fmaak_f32 v13, v23, v13, 0x3f2aaada
	v_ldexp_f32 v24, v19, 1
	v_mul_f32_e32 v19, v22, v23
	v_ldexp_f32 v21, v22, 1
	v_pk_mul_f32 v[22:23], v[18:19], v[12:13]
	s_nop 0
	v_fma_f32 v20, v18, s89, -v22
	v_fmac_f32_e32 v20, 0xb102e308, v18
	v_pk_add_f32 v[18:19], v[22:23], v[20:21]
	s_nop 0
	v_sub_f32_e32 v13, v19, v21
	v_sub_f32_e32 v13, v23, v13
	v_add_f32_e32 v25, v24, v13
	v_mov_b32_e32 v24, v22
	v_pk_add_f32 v[22:23], v[18:19], v[22:23] neg_lo:[0,1] neg_hi:[0,1]
	v_pk_add_f32 v[26:27], v[18:19], v[24:25]
	v_mov_b32_e32 v21, v18
	v_mov_b32_e32 v23, v27
	v_pk_add_f32 v[28:29], v[20:21], v[22:23] neg_lo:[0,1] neg_hi:[0,1]
	v_pk_add_f32 v[20:21], v[20:21], v[22:23]
	v_mov_b32_e32 v24, v25
	v_mov_b32_e32 v22, v21
	v_pk_add_f32 v[30:31], v[22:23], v[18:19] neg_lo:[0,1] neg_hi:[0,1]
	v_mov_b32_e32 v20, v27
	v_mov_b32_e32 v13, v30
	v_pk_add_f32 v[32:33], v[26:27], v[12:13] neg_lo:[0,1] neg_hi:[0,1]
	v_mov_b32_e32 v26, v19
	v_mov_b32_e32 v27, v30
	v_mov_b32_e32 v29, v21
	v_pk_add_f32 v[20:21], v[20:21], v[26:27] neg_lo:[0,1] neg_hi:[0,1]
	v_mov_b32_e32 v25, v18
	v_pk_add_f32 v[18:19], v[24:25], v[20:21] neg_lo:[0,1] neg_hi:[0,1]
	v_mov_b32_e32 v32, v28
	v_pk_add_f32 v[20:21], v[32:33], v[18:19]
	s_nop 0
	v_mov_b32_e32 v24, v21
	v_pk_add_f32 v[24:25], v[20:21], v[24:25]
	s_nop 0
	v_pk_add_f32 v[22:23], v[22:23], v[24:25]
	v_mov_b32_e32 v19, v24
	v_mov_b32_e32 v21, v22
	v_pk_add_f32 v[26:27], v[20:21], v[28:29] neg_lo:[0,1] neg_hi:[0,1]
	s_nop 0
	v_sub_f32_e32 v13, v20, v26
	v_pk_add_f32 v[18:19], v[18:19], v[26:27] neg_lo:[0,1] neg_hi:[0,1]
	v_sub_f32_e32 v13, v28, v13
	v_add_f32_e32 v13, v18, v13
	v_add_f32_e32 v13, v13, v19
	;; [unrolled: 1-line block ×3, first 2 shown]
	v_cndmask_b32_e32 v58, v13, v34, vcc
.LBB36_27:                              ;   in Loop: Header=BB36_11 Depth=1
	s_or_b64 exec, exec, s[28:29]
	v_and_b32_e32 v13, 0xffff0000, v14
	v_add_f32_e32 v59, s33, v13
	v_cmp_ge_f32_e32 vcc, s83, v59
	s_and_b64 s[26:27], s[58:59], vcc
	s_and_saveexec_b64 s[28:29], s[26:27]
	s_cbranch_execz .LBB36_29
; %bb.28:                               ;   in Loop: Header=BB36_11 Depth=1
	v_mul_f32_e32 v13, 0x3fb8aa3b, v59
	v_rndne_f32_e32 v14, v13
	v_sub_f32_e32 v18, v13, v14
	v_fma_f32 v13, v59, s84, -v13
	v_fmac_f32_e32 v13, 0x32a5705f, v59
	v_add_f32_e32 v13, v18, v13
	v_cvt_i32_f32_e32 v14, v14
	v_exp_f32_e32 v13, v13
	v_cmp_ngt_f32_e32 vcc, s85, v59
	v_ldexp_f32 v13, v13, v14
	s_nop 0
	v_cndmask_b32_e32 v13, 0, v13, vcc
	v_cmp_nlt_f32_e32 vcc, s86, v59
	s_nop 1
	v_cndmask_b32_e32 v32, v54, v13, vcc
	v_add_f32_e32 v13, 1.0, v32
	v_add_f32_e32 v14, -1.0, v13
	v_sub_f32_e32 v18, v14, v13
	v_add_f32_e32 v18, 1.0, v18
	v_sub_f32_e32 v14, v32, v14
	v_add_f32_e32 v14, v14, v18
	v_frexp_mant_f32_e32 v20, v13
	v_cvt_f64_f32_e32 v[18:19], v13
	v_frexp_exp_i32_f64_e32 v18, v[18:19]
	v_cmp_gt_f32_e32 vcc, s88, v20
	v_cmp_gt_f32_e64 s[26:27], s90, v32
	s_nop 0
	v_subbrev_co_u32_e32 v26, vcc, 0, v18, vcc
	v_sub_u32_e32 v18, 0, v26
	v_ldexp_f32 v13, v13, v18
	v_ldexp_f32 v14, v14, v18
	v_add_f32_e32 v18, -1.0, v13
	v_add_f32_e32 v19, 1.0, v18
	v_sub_f32_e32 v19, v13, v19
	v_add_f32_e32 v20, v14, v19
	v_add_f32_e32 v19, 1.0, v13
	v_add_f32_e32 v21, -1.0, v19
	v_sub_f32_e32 v13, v13, v21
	v_add_f32_e32 v13, v14, v13
	v_add_f32_e32 v14, v19, v13
	v_rcp_f32_e32 v27, v14
	v_sub_f32_e32 v19, v19, v14
	v_add_f32_e32 v13, v13, v19
	v_add_f32_e32 v19, v18, v20
	v_sub_f32_e32 v18, v18, v19
	v_mul_f32_e32 v29, v19, v27
	v_add_f32_e32 v28, v20, v18
	v_mul_f32_e32 v20, v14, v29
	v_fma_f32 v22, v29, v14, -v20
	v_fmac_f32_e32 v22, v29, v13
	v_add_f32_e32 v18, v20, v22
	v_sub_f32_e32 v21, v19, v18
	v_pk_add_f32 v[24:25], v[18:19], v[20:21] neg_lo:[0,1] neg_hi:[0,1]
	v_mov_b32_e32 v23, v18
	v_pk_add_f32 v[18:19], v[24:25], v[22:23] neg_lo:[0,1] neg_hi:[0,1]
	v_cmp_eq_f32_e32 vcc, s87, v32
	v_add_f32_e32 v19, v28, v19
	v_add_f32_e32 v18, v18, v19
	;; [unrolled: 1-line block ×3, first 2 shown]
	v_mul_f32_e32 v28, v27, v19
	v_mul_f32_e32 v20, v14, v28
	v_fma_f32 v22, v28, v14, -v20
	v_fmac_f32_e32 v22, v28, v13
	v_sub_f32_e32 v13, v21, v19
	v_add_f32_e32 v13, v18, v13
	v_add_f32_e32 v18, v20, v22
	v_sub_f32_e32 v21, v19, v18
	v_pk_add_f32 v[24:25], v[18:19], v[20:21] neg_lo:[0,1] neg_hi:[0,1]
	v_mov_b32_e32 v23, v18
	v_pk_add_f32 v[18:19], v[24:25], v[22:23] neg_lo:[0,1] neg_hi:[0,1]
	v_add_f32_e32 v14, v29, v28
	v_add_f32_e32 v13, v13, v19
	;; [unrolled: 1-line block ×4, first 2 shown]
	v_sub_f32_e32 v18, v14, v29
	v_mul_f32_e32 v13, v27, v13
	v_sub_f32_e32 v18, v28, v18
	v_add_f32_e32 v19, v18, v13
	v_add_f32_e32 v20, v14, v19
	v_cvt_f32_i32_e32 v18, v26
	v_mul_f32_e32 v22, v20, v20
	v_fmamk_f32 v13, v22, 0x3e9b6dac, v53
	v_sub_f32_e32 v14, v20, v14
	v_fmaak_f32 v13, v22, v13, 0x3f2aaada
	v_sub_f32_e32 v14, v19, v14
	v_mul_f32_e32 v19, v20, v22
	v_pk_mul_f32 v[22:23], v[18:19], v[12:13]
	v_ldexp_f32 v21, v20, 1
	v_fma_f32 v20, v18, s89, -v22
	v_fmac_f32_e32 v20, 0xb102e308, v18
	v_pk_add_f32 v[18:19], v[22:23], v[20:21]
	v_ldexp_f32 v14, v14, 1
	v_sub_f32_e32 v13, v19, v21
	v_sub_f32_e32 v13, v23, v13
	v_add_f32_e32 v25, v14, v13
	v_mov_b32_e32 v24, v22
	v_pk_add_f32 v[22:23], v[18:19], v[22:23] neg_lo:[0,1] neg_hi:[0,1]
	v_pk_add_f32 v[26:27], v[18:19], v[24:25]
	v_mov_b32_e32 v21, v18
	v_mov_b32_e32 v23, v27
	v_pk_add_f32 v[28:29], v[20:21], v[22:23] neg_lo:[0,1] neg_hi:[0,1]
	v_pk_add_f32 v[20:21], v[20:21], v[22:23]
	s_or_b64 vcc, s[26:27], vcc
	v_mov_b32_e32 v14, v21
	v_pk_add_f32 v[22:23], v[14:15], v[18:19] neg_lo:[0,1] neg_hi:[0,1]
	v_mov_b32_e32 v20, v27
	v_mov_b32_e32 v13, v22
	v_pk_add_f32 v[30:31], v[26:27], v[12:13] neg_lo:[0,1] neg_hi:[0,1]
	v_mov_b32_e32 v26, v19
	v_mov_b32_e32 v27, v22
	;; [unrolled: 1-line block ×3, first 2 shown]
	v_pk_add_f32 v[20:21], v[20:21], v[26:27] neg_lo:[0,1] neg_hi:[0,1]
	v_mov_b32_e32 v22, v25
	v_mov_b32_e32 v23, v18
	v_pk_add_f32 v[18:19], v[22:23], v[20:21] neg_lo:[0,1] neg_hi:[0,1]
	v_mov_b32_e32 v30, v28
	v_pk_add_f32 v[20:21], v[30:31], v[18:19]
	s_nop 0
	v_mov_b32_e32 v22, v21
	v_pk_add_f32 v[22:23], v[20:21], v[22:23]
	s_nop 0
	v_pk_add_f32 v[24:25], v[14:15], v[22:23]
	v_mov_b32_e32 v19, v22
	v_mov_b32_e32 v21, v24
	v_pk_add_f32 v[26:27], v[20:21], v[28:29] neg_lo:[0,1] neg_hi:[0,1]
	s_nop 0
	v_sub_f32_e32 v13, v20, v26
	v_pk_add_f32 v[18:19], v[18:19], v[26:27] neg_lo:[0,1] neg_hi:[0,1]
	v_sub_f32_e32 v13, v28, v13
	v_add_f32_e32 v13, v18, v13
	v_add_f32_e32 v13, v13, v19
	;; [unrolled: 1-line block ×3, first 2 shown]
	v_cndmask_b32_e32 v59, v13, v32, vcc
.LBB36_29:                              ;   in Loop: Header=BB36_11 Depth=1
	s_or_b64 exec, exec, s[28:29]
	v_lshlrev_b32_e32 v13, 16, v15
	v_add_f32_e32 v19, s33, v13
	v_cmp_ge_f32_e32 vcc, s83, v19
	s_and_b64 s[26:27], s[58:59], vcc
	s_and_saveexec_b64 s[28:29], s[26:27]
	s_cbranch_execz .LBB36_31
; %bb.30:                               ;   in Loop: Header=BB36_11 Depth=1
	v_mul_f32_e32 v13, 0x3fb8aa3b, v19
	v_rndne_f32_e32 v14, v13
	v_sub_f32_e32 v18, v13, v14
	v_fma_f32 v13, v19, s84, -v13
	v_fmac_f32_e32 v13, 0x32a5705f, v19
	v_add_f32_e32 v13, v18, v13
	v_cvt_i32_f32_e32 v14, v14
	v_exp_f32_e32 v13, v13
	v_cmp_ngt_f32_e32 vcc, s85, v19
	v_ldexp_f32 v13, v13, v14
	s_nop 0
	v_cndmask_b32_e32 v13, 0, v13, vcc
	v_cmp_nlt_f32_e32 vcc, s86, v19
	s_nop 1
	v_cndmask_b32_e32 v32, v54, v13, vcc
	v_add_f32_e32 v13, 1.0, v32
	v_add_f32_e32 v14, -1.0, v13
	v_sub_f32_e32 v18, v14, v13
	v_add_f32_e32 v18, 1.0, v18
	v_sub_f32_e32 v14, v32, v14
	v_add_f32_e32 v14, v14, v18
	v_frexp_mant_f32_e32 v20, v13
	v_cvt_f64_f32_e32 v[18:19], v13
	v_frexp_exp_i32_f64_e32 v18, v[18:19]
	v_cmp_gt_f32_e32 vcc, s88, v20
	v_cmp_gt_f32_e64 s[26:27], s90, v32
	s_nop 0
	v_subbrev_co_u32_e32 v26, vcc, 0, v18, vcc
	v_sub_u32_e32 v18, 0, v26
	v_ldexp_f32 v13, v13, v18
	v_ldexp_f32 v14, v14, v18
	v_add_f32_e32 v18, -1.0, v13
	v_add_f32_e32 v19, 1.0, v18
	v_sub_f32_e32 v19, v13, v19
	v_add_f32_e32 v20, v14, v19
	v_add_f32_e32 v19, 1.0, v13
	v_add_f32_e32 v21, -1.0, v19
	v_sub_f32_e32 v13, v13, v21
	v_add_f32_e32 v13, v14, v13
	v_add_f32_e32 v14, v19, v13
	v_rcp_f32_e32 v27, v14
	v_sub_f32_e32 v19, v19, v14
	v_add_f32_e32 v13, v13, v19
	v_add_f32_e32 v19, v18, v20
	v_sub_f32_e32 v18, v18, v19
	v_mul_f32_e32 v29, v19, v27
	v_add_f32_e32 v28, v20, v18
	v_mul_f32_e32 v20, v14, v29
	v_fma_f32 v22, v29, v14, -v20
	v_fmac_f32_e32 v22, v29, v13
	v_add_f32_e32 v18, v20, v22
	v_sub_f32_e32 v21, v19, v18
	v_pk_add_f32 v[24:25], v[18:19], v[20:21] neg_lo:[0,1] neg_hi:[0,1]
	v_mov_b32_e32 v23, v18
	v_pk_add_f32 v[18:19], v[24:25], v[22:23] neg_lo:[0,1] neg_hi:[0,1]
	v_cmp_eq_f32_e32 vcc, s87, v32
	v_add_f32_e32 v19, v28, v19
	v_add_f32_e32 v18, v18, v19
	;; [unrolled: 1-line block ×3, first 2 shown]
	v_mul_f32_e32 v28, v27, v19
	v_mul_f32_e32 v20, v14, v28
	v_fma_f32 v22, v28, v14, -v20
	v_fmac_f32_e32 v22, v28, v13
	v_sub_f32_e32 v13, v21, v19
	v_add_f32_e32 v13, v18, v13
	v_add_f32_e32 v18, v20, v22
	v_sub_f32_e32 v21, v19, v18
	v_pk_add_f32 v[24:25], v[18:19], v[20:21] neg_lo:[0,1] neg_hi:[0,1]
	v_mov_b32_e32 v23, v18
	v_pk_add_f32 v[18:19], v[24:25], v[22:23] neg_lo:[0,1] neg_hi:[0,1]
	v_add_f32_e32 v14, v29, v28
	v_add_f32_e32 v13, v13, v19
	v_add_f32_e32 v13, v18, v13
	v_add_f32_e32 v13, v21, v13
	v_sub_f32_e32 v18, v14, v29
	v_mul_f32_e32 v13, v27, v13
	v_sub_f32_e32 v18, v28, v18
	v_add_f32_e32 v19, v18, v13
	v_add_f32_e32 v20, v14, v19
	v_cvt_f32_i32_e32 v18, v26
	v_mul_f32_e32 v22, v20, v20
	v_fmamk_f32 v13, v22, 0x3e9b6dac, v53
	v_sub_f32_e32 v14, v20, v14
	v_fmaak_f32 v13, v22, v13, 0x3f2aaada
	v_sub_f32_e32 v14, v19, v14
	v_mul_f32_e32 v19, v20, v22
	v_pk_mul_f32 v[22:23], v[18:19], v[12:13]
	v_ldexp_f32 v21, v20, 1
	v_fma_f32 v20, v18, s89, -v22
	v_fmac_f32_e32 v20, 0xb102e308, v18
	v_pk_add_f32 v[18:19], v[22:23], v[20:21]
	v_ldexp_f32 v14, v14, 1
	v_sub_f32_e32 v13, v19, v21
	v_sub_f32_e32 v13, v23, v13
	v_add_f32_e32 v25, v14, v13
	v_mov_b32_e32 v24, v22
	v_pk_add_f32 v[22:23], v[18:19], v[22:23] neg_lo:[0,1] neg_hi:[0,1]
	v_pk_add_f32 v[26:27], v[18:19], v[24:25]
	v_mov_b32_e32 v21, v18
	v_mov_b32_e32 v23, v27
	v_pk_add_f32 v[28:29], v[20:21], v[22:23] neg_lo:[0,1] neg_hi:[0,1]
	v_pk_add_f32 v[20:21], v[20:21], v[22:23]
	s_or_b64 vcc, s[26:27], vcc
	v_mov_b32_e32 v14, v21
	v_pk_add_f32 v[22:23], v[14:15], v[18:19] neg_lo:[0,1] neg_hi:[0,1]
	v_mov_b32_e32 v20, v27
	v_mov_b32_e32 v13, v22
	v_pk_add_f32 v[30:31], v[26:27], v[12:13] neg_lo:[0,1] neg_hi:[0,1]
	v_mov_b32_e32 v26, v19
	v_mov_b32_e32 v27, v22
	;; [unrolled: 1-line block ×3, first 2 shown]
	v_pk_add_f32 v[20:21], v[20:21], v[26:27] neg_lo:[0,1] neg_hi:[0,1]
	v_mov_b32_e32 v22, v25
	v_mov_b32_e32 v23, v18
	v_pk_add_f32 v[18:19], v[22:23], v[20:21] neg_lo:[0,1] neg_hi:[0,1]
	v_mov_b32_e32 v30, v28
	v_pk_add_f32 v[20:21], v[30:31], v[18:19]
	s_nop 0
	v_mov_b32_e32 v22, v21
	v_pk_add_f32 v[22:23], v[20:21], v[22:23]
	s_nop 0
	v_pk_add_f32 v[24:25], v[14:15], v[22:23]
	v_mov_b32_e32 v19, v22
	v_mov_b32_e32 v21, v24
	v_pk_add_f32 v[26:27], v[20:21], v[28:29] neg_lo:[0,1] neg_hi:[0,1]
	s_nop 0
	v_sub_f32_e32 v13, v20, v26
	v_pk_add_f32 v[18:19], v[18:19], v[26:27] neg_lo:[0,1] neg_hi:[0,1]
	v_sub_f32_e32 v13, v28, v13
	v_add_f32_e32 v13, v18, v13
	v_add_f32_e32 v13, v13, v19
	v_add_f32_e32 v13, v24, v13
	v_cndmask_b32_e32 v19, v13, v32, vcc
.LBB36_31:                              ;   in Loop: Header=BB36_11 Depth=1
	s_or_b64 exec, exec, s[28:29]
	v_and_b32_e32 v13, 0xffff0000, v15
	v_add_f32_e32 v18, s33, v13
	v_cmp_ge_f32_e32 vcc, s83, v18
	s_and_b64 s[26:27], s[58:59], vcc
	s_and_saveexec_b64 s[28:29], s[26:27]
	s_cbranch_execz .LBB36_33
; %bb.32:                               ;   in Loop: Header=BB36_11 Depth=1
	v_mul_f32_e32 v13, 0x3fb8aa3b, v18
	v_rndne_f32_e32 v14, v13
	v_sub_f32_e32 v15, v13, v14
	v_fma_f32 v13, v18, s84, -v13
	v_fmac_f32_e32 v13, 0x32a5705f, v18
	v_add_f32_e32 v13, v15, v13
	v_cvt_i32_f32_e32 v14, v14
	v_exp_f32_e32 v13, v13
	v_cmp_ngt_f32_e32 vcc, s85, v18
	v_ldexp_f32 v13, v13, v14
	s_nop 0
	v_cndmask_b32_e32 v13, 0, v13, vcc
	v_cmp_nlt_f32_e32 vcc, s86, v18
	s_nop 1
	v_cndmask_b32_e32 v32, v54, v13, vcc
	v_add_f32_e32 v13, 1.0, v32
	v_add_f32_e32 v14, -1.0, v13
	v_sub_f32_e32 v15, v14, v13
	v_add_f32_e32 v15, 1.0, v15
	v_sub_f32_e32 v14, v32, v14
	v_add_f32_e32 v18, v14, v15
	v_frexp_mant_f32_e32 v20, v13
	v_cvt_f64_f32_e32 v[14:15], v13
	v_frexp_exp_i32_f64_e32 v14, v[14:15]
	v_cmp_gt_f32_e32 vcc, s88, v20
	v_cmp_gt_f32_e64 s[26:27], s90, v32
	s_nop 0
	v_subbrev_co_u32_e32 v26, vcc, 0, v14, vcc
	v_sub_u32_e32 v14, 0, v26
	v_ldexp_f32 v13, v13, v14
	v_ldexp_f32 v14, v18, v14
	v_add_f32_e32 v18, -1.0, v13
	v_add_f32_e32 v15, 1.0, v18
	v_sub_f32_e32 v15, v13, v15
	v_add_f32_e32 v20, v14, v15
	v_add_f32_e32 v15, 1.0, v13
	v_add_f32_e32 v21, -1.0, v15
	v_sub_f32_e32 v13, v13, v21
	v_add_f32_e32 v13, v14, v13
	v_add_f32_e32 v27, v15, v13
	v_rcp_f32_e32 v28, v27
	v_sub_f32_e32 v14, v15, v27
	v_add_f32_e32 v15, v18, v20
	v_add_f32_e32 v13, v13, v14
	v_sub_f32_e32 v14, v18, v15
	v_mul_f32_e32 v29, v15, v28
	v_add_f32_e32 v18, v20, v14
	v_mul_f32_e32 v20, v27, v29
	v_fma_f32 v22, v29, v27, -v20
	v_fmac_f32_e32 v22, v29, v13
	v_add_f32_e32 v14, v20, v22
	v_sub_f32_e32 v21, v15, v14
	v_pk_add_f32 v[24:25], v[14:15], v[20:21] neg_lo:[0,1] neg_hi:[0,1]
	v_mov_b32_e32 v23, v14
	v_pk_add_f32 v[14:15], v[24:25], v[22:23] neg_lo:[0,1] neg_hi:[0,1]
	v_cmp_eq_f32_e32 vcc, s87, v32
	v_add_f32_e32 v15, v18, v15
	v_add_f32_e32 v14, v14, v15
	;; [unrolled: 1-line block ×3, first 2 shown]
	v_mul_f32_e32 v18, v28, v15
	v_mul_f32_e32 v20, v27, v18
	v_fma_f32 v22, v18, v27, -v20
	v_fmac_f32_e32 v22, v18, v13
	v_sub_f32_e32 v13, v21, v15
	v_add_f32_e32 v13, v14, v13
	v_add_f32_e32 v14, v20, v22
	v_sub_f32_e32 v21, v15, v14
	v_pk_add_f32 v[24:25], v[14:15], v[20:21] neg_lo:[0,1] neg_hi:[0,1]
	v_mov_b32_e32 v23, v14
	v_pk_add_f32 v[14:15], v[24:25], v[22:23] neg_lo:[0,1] neg_hi:[0,1]
	s_or_b64 vcc, s[26:27], vcc
	v_add_f32_e32 v13, v13, v15
	v_add_f32_e32 v13, v14, v13
	;; [unrolled: 1-line block ×4, first 2 shown]
	v_sub_f32_e32 v14, v15, v29
	v_mul_f32_e32 v13, v28, v13
	v_sub_f32_e32 v14, v18, v14
	v_add_f32_e32 v18, v14, v13
	v_add_f32_e32 v20, v15, v18
	v_cvt_f32_i32_e32 v14, v26
	v_mul_f32_e32 v22, v20, v20
	v_sub_f32_e32 v15, v20, v15
	v_fmamk_f32 v13, v22, 0x3e9b6dac, v53
	v_sub_f32_e32 v15, v18, v15
	v_fmaak_f32 v13, v22, v13, 0x3f2aaada
	v_ldexp_f32 v18, v15, 1
	v_mul_f32_e32 v15, v20, v22
	v_pk_mul_f32 v[22:23], v[14:15], v[12:13]
	v_ldexp_f32 v21, v20, 1
	v_fma_f32 v20, v14, s89, -v22
	v_fmac_f32_e32 v20, 0xb102e308, v14
	v_pk_add_f32 v[14:15], v[22:23], v[20:21]
	v_mov_b32_e32 v24, v22
	v_sub_f32_e32 v13, v15, v21
	v_sub_f32_e32 v13, v23, v13
	v_add_f32_e32 v25, v18, v13
	v_pk_add_f32 v[22:23], v[14:15], v[22:23] neg_lo:[0,1] neg_hi:[0,1]
	v_pk_add_f32 v[26:27], v[14:15], v[24:25]
	v_mov_b32_e32 v21, v14
	v_mov_b32_e32 v23, v27
	v_pk_add_f32 v[28:29], v[20:21], v[22:23] neg_lo:[0,1] neg_hi:[0,1]
	v_pk_add_f32 v[20:21], v[20:21], v[22:23]
	s_nop 0
	v_mov_b32_e32 v18, v21
	v_pk_add_f32 v[22:23], v[18:19], v[14:15] neg_lo:[0,1] neg_hi:[0,1]
	v_mov_b32_e32 v20, v27
	v_mov_b32_e32 v13, v22
	v_pk_add_f32 v[30:31], v[26:27], v[12:13] neg_lo:[0,1] neg_hi:[0,1]
	v_mov_b32_e32 v26, v15
	v_mov_b32_e32 v27, v22
	;; [unrolled: 1-line block ×3, first 2 shown]
	v_pk_add_f32 v[20:21], v[20:21], v[26:27] neg_lo:[0,1] neg_hi:[0,1]
	v_mov_b32_e32 v22, v25
	v_mov_b32_e32 v23, v14
	v_pk_add_f32 v[14:15], v[22:23], v[20:21] neg_lo:[0,1] neg_hi:[0,1]
	v_mov_b32_e32 v30, v28
	v_pk_add_f32 v[20:21], v[30:31], v[14:15]
	s_nop 0
	v_mov_b32_e32 v22, v21
	v_pk_add_f32 v[22:23], v[20:21], v[22:23]
	s_nop 0
	v_pk_add_f32 v[24:25], v[18:19], v[22:23]
	v_mov_b32_e32 v15, v22
	v_mov_b32_e32 v21, v24
	v_pk_add_f32 v[26:27], v[20:21], v[28:29] neg_lo:[0,1] neg_hi:[0,1]
	s_nop 0
	v_sub_f32_e32 v13, v20, v26
	v_pk_add_f32 v[14:15], v[14:15], v[26:27] neg_lo:[0,1] neg_hi:[0,1]
	v_sub_f32_e32 v13, v28, v13
	v_add_f32_e32 v13, v14, v13
	v_add_f32_e32 v13, v13, v15
	;; [unrolled: 1-line block ×3, first 2 shown]
	v_cndmask_b32_e32 v18, v13, v32, vcc
.LBB36_33:                              ;   in Loop: Header=BB36_11 Depth=1
	s_or_b64 exec, exec, s[28:29]
	v_lshlrev_b32_e32 v24, 16, v17
	v_and_b32_e32 v13, 0xffff0000, v17
	v_and_b32_e32 v25, 0xffff0000, v16
	v_lshlrev_b32_e32 v26, 16, v16
	v_mul_f32_e32 v14, s76, v24
	v_mul_f32_e32 v17, s76, v25
	v_mul_f32_e32 v16, s76, v26
	v_mul_f32_e32 v15, s76, v13
	s_and_b64 vcc, exec, s[60:61]
	s_waitcnt lgkmcnt(0)
	; wave barrier
	s_cbranch_vccz .LBB36_75
; %bb.34:                               ;   in Loop: Header=BB36_11 Depth=1
	s_cmp_lg_u32 s98, 0
	s_cselect_b64 s[64:65], -1, 0
	s_cmp_eq_u32 s98, s82
	v_cmp_gt_u32_e32 vcc, s34, v11
	s_cselect_b64 s[66:67], -1, 0
	s_or_b64 s[26:27], s[54:55], vcc
	v_cmp_gt_u32_e32 vcc, s34, v10
	s_mov_b32 s56, 0
	v_cmp_gt_u32_e64 s[28:29], s34, v3
	s_or_b64 s[30:31], s[54:55], vcc
	v_cmp_gt_u32_e32 vcc, s34, v52
	v_mul_f32_e32 v13, v18, v13
	v_lshl_add_u64 v[20:21], s[42:43], 0, v[0:1]
	v_lshl_add_u64 v[22:23], s[46:47], 0, v[0:1]
	v_mul_f32_e32 v60, v19, v24
	v_mul_f32_e32 v61, v59, v25
	;; [unrolled: 1-line block ×3, first 2 shown]
	s_or_b64 s[28:29], s[54:55], s[28:29]
	s_or_b64 s[34:35], s[54:55], vcc
	s_mov_b32 s68, s56
	s_mov_b32 s70, s56
	;; [unrolled: 1-line block ×5, first 2 shown]
	s_branch .LBB36_36
.LBB36_35:                              ;   in Loop: Header=BB36_36 Depth=2
	s_or_b64 exec, exec, s[36:37]
	v_mul_f32_e32 v26, v33, v32
	v_fma_f32 v27, v33, v35, v28
	v_cndmask_b32_e64 v28, v27, v28, s[16:17]
	v_cndmask_b32_e64 v26, v26, v33, s[16:17]
	s_waitcnt lgkmcnt(0)
	v_fmac_f32_e32 v28, v38, v26
	v_fmac_f32_e32 v29, v28, v31
	;; [unrolled: 1-line block ×4, first 2 shown]
	v_and_b32_e32 v27, 0xffff0000, v24
	v_and_b32_e32 v33, 0xffff0000, v25
	v_lshlrev_b32_e32 v26, 16, v24
	v_lshlrev_b32_e32 v32, 16, v25
	v_mov_b32_e32 v31, v34
	s_add_i32 s99, s99, 8
	s_add_i32 s63, s63, -1
	s_add_i32 s72, s72, s78
	s_add_i32 s70, s70, s48
	;; [unrolled: 1-line block ×4, first 2 shown]
	v_pk_fma_f32 v[14:15], v[30:31], v[32:33], v[14:15]
	s_cmp_eq_u32 s63, 0
	v_pk_fma_f32 v[16:17], v[28:29], v[26:27], v[16:17]
	s_cbranch_scc1 .LBB36_75
.LBB36_36:                              ;   Parent Loop BB36_11 Depth=1
                                        ; =>  This Inner Loop Header: Depth=2
	s_lshl_b64 s[36:37], s[56:57], 2
	s_add_u32 s36, s40, s36
	s_addc_u32 s37, s80, s37
	global_load_dword v30, v1, s[36:37]
	s_mov_b32 s69, s57
	v_lshl_add_u64 v[24:25], s[68:69], 1, v[20:21]
	v_mov_b32_e32 v26, 0
	v_mov_b32_e32 v27, 0
	s_and_saveexec_b64 s[36:37], s[18:19]
	s_cbranch_execz .LBB36_38
; %bb.37:                               ;   in Loop: Header=BB36_36 Depth=2
	global_load_ushort v27, v[24:25], off
.LBB36_38:                              ;   in Loop: Header=BB36_36 Depth=2
	s_or_b64 exec, exec, s[36:37]
	s_and_saveexec_b64 s[36:37], s[20:21]
	s_cbranch_execz .LBB36_40
; %bb.39:                               ;   in Loop: Header=BB36_36 Depth=2
	global_load_ushort v26, v[24:25], off offset:128
.LBB36_40:                              ;   in Loop: Header=BB36_36 Depth=2
	s_or_b64 exec, exec, s[36:37]
	v_mov_b32_e32 v28, 0
	v_mov_b32_e32 v29, 0
	s_and_saveexec_b64 s[36:37], s[22:23]
	s_cbranch_execz .LBB36_42
; %bb.41:                               ;   in Loop: Header=BB36_36 Depth=2
	global_load_ushort v29, v[24:25], off offset:256
.LBB36_42:                              ;   in Loop: Header=BB36_36 Depth=2
	s_or_b64 exec, exec, s[36:37]
	s_and_saveexec_b64 s[36:37], s[24:25]
	s_cbranch_execz .LBB36_44
; %bb.43:                               ;   in Loop: Header=BB36_36 Depth=2
	global_load_ushort v28, v[24:25], off offset:384
.LBB36_44:                              ;   in Loop: Header=BB36_36 Depth=2
	s_or_b64 exec, exec, s[36:37]
	s_waitcnt vmcnt(0)
	ds_write_b16 v43, v27
	ds_write_b16 v44, v26 offset:128
	ds_write_b16 v45, v29 offset:256
	;; [unrolled: 1-line block ×3, first 2 shown]
	; wave barrier
	ds_read_b64 v[28:29], v47
	s_mov_b32 s71, s57
	v_lshl_add_u64 v[24:25], s[70:71], 1, v[22:23]
	v_mov_b32_e32 v26, 0
	v_mov_b32_e32 v27, 0
	s_and_saveexec_b64 s[36:37], s[18:19]
	s_cbranch_execz .LBB36_46
; %bb.45:                               ;   in Loop: Header=BB36_36 Depth=2
	global_load_ushort v27, v[24:25], off
.LBB36_46:                              ;   in Loop: Header=BB36_36 Depth=2
	s_or_b64 exec, exec, s[36:37]
	s_and_saveexec_b64 s[36:37], s[20:21]
	s_cbranch_execz .LBB36_48
; %bb.47:                               ;   in Loop: Header=BB36_36 Depth=2
	global_load_ushort v26, v[24:25], off offset:128
.LBB36_48:                              ;   in Loop: Header=BB36_36 Depth=2
	s_or_b64 exec, exec, s[36:37]
	v_mov_b32_e32 v31, 0
	v_mov_b32_e32 v32, 0
	s_and_saveexec_b64 s[36:37], s[22:23]
	s_cbranch_execz .LBB36_50
; %bb.49:                               ;   in Loop: Header=BB36_36 Depth=2
	global_load_ushort v32, v[24:25], off offset:256
.LBB36_50:                              ;   in Loop: Header=BB36_36 Depth=2
	s_or_b64 exec, exec, s[36:37]
	s_and_saveexec_b64 s[36:37], s[24:25]
	s_cbranch_execz .LBB36_52
; %bb.51:                               ;   in Loop: Header=BB36_36 Depth=2
	global_load_ushort v31, v[24:25], off offset:384
.LBB36_52:                              ;   in Loop: Header=BB36_36 Depth=2
	s_or_b64 exec, exec, s[36:37]
	s_waitcnt vmcnt(0)
	ds_write_b16 v43, v27 offset:528
	ds_write_b16 v48, v26 offset:128
	ds_write_b16 v49, v32 offset:256
	ds_write_b16 v50, v31 offset:384
	; wave barrier
	ds_read_b64 v[24:25], v47 offset:528
	s_andn2_b64 vcc, exec, s[64:65]
	s_cbranch_vccnz .LBB36_54
; %bb.53:                               ;   in Loop: Header=BB36_36 Depth=2
	v_mov_b32_e32 v26, s99
	ds_read_b64 v[26:27], v26
	s_cbranch_execz .LBB36_55
	s_branch .LBB36_58
.LBB36_54:                              ;   in Loop: Header=BB36_36 Depth=2
                                        ; implicit-def: $vgpr27
.LBB36_55:                              ;   in Loop: Header=BB36_36 Depth=2
	s_andn2_b64 vcc, exec, s[38:39]
	s_waitcnt lgkmcnt(0)
	v_mov_b32_e32 v27, 0
	s_cbranch_vccnz .LBB36_57
; %bb.56:                               ;   in Loop: Header=BB36_36 Depth=2
	s_mov_b32 s73, s57
	s_lshl_b64 s[36:37], s[72:73], 2
	s_add_u32 s36, s45, s36
	s_addc_u32 s37, s49, s37
	global_load_dword v27, v1, s[36:37]
.LBB36_57:                              ;   in Loop: Header=BB36_36 Depth=2
	v_mov_b32_e32 v26, 1.0
.LBB36_58:                              ;   in Loop: Header=BB36_36 Depth=2
	v_mul_f32_e32 v30, 0x3fb8aa3b, v30
	s_waitcnt lgkmcnt(5)
	v_lshlrev_b32_e32 v31, 16, v28
	v_and_b32_e32 v32, 0xffff0000, v28
	v_mul_f32_e32 v28, v30, v58
	v_cmp_gt_f32_e32 vcc, s92, v28
	v_lshlrev_b32_e32 v36, 16, v29
	v_and_b32_e32 v37, 0xffff0000, v29
	v_cndmask_b32_e32 v28, 0, v55, vcc
	v_fmac_f32_e32 v28, v30, v58
	v_exp_f32_e32 v28, v28
	v_cndmask_b32_e32 v29, 1.0, v56, vcc
	v_mul_f32_e32 v29, v28, v29
	v_mul_f32_e32 v28, v62, v31
	;; [unrolled: 1-line block ×3, first 2 shown]
	v_cmp_gt_f32_e32 vcc, s92, v31
	v_cndmask_b32_e64 v33, 1.0, v29, s[26:27]
	v_cndmask_b32_e64 v28, 0, v28, s[26:27]
	v_cndmask_b32_e32 v31, 0, v55, vcc
	v_fmac_f32_e32 v31, v30, v59
	v_exp_f32_e32 v31, v31
	v_cndmask_b32_e32 v29, 1.0, v56, vcc
	v_mul_f32_e32 v31, v31, v29
	v_pk_mul_f32 v[34:35], v[30:31], v[18:19] op_sel_hi:[0,1]
	v_cmp_gt_f32_e32 vcc, s92, v34
	v_mul_f32_e32 v29, v61, v32
	v_cmp_gt_f32_e64 s[36:37], s92, v35
	v_cndmask_b32_e32 v32, 0, v55, vcc
	v_add_f32_e32 v32, v34, v32
	v_cndmask_b32_e64 v34, 0, v55, s[36:37]
	v_exp_f32_e32 v32, v32
	v_add_f32_e32 v34, v35, v34
	v_exp_f32_e32 v34, v34
	v_cndmask_b32_e32 v35, 1.0, v56, vcc
	v_mul_f32_e32 v32, v32, v35
	v_cndmask_b32_e64 v35, 1.0, v56, s[36:37]
	v_cndmask_b32_e64 v29, 0, v29, s[28:29]
	v_cndmask_b32_e64 v31, 1.0, v31, s[28:29]
	v_mul_f32_e32 v35, v34, v35
	v_mul_f32_e32 v30, v60, v36
	;; [unrolled: 1-line block ×3, first 2 shown]
	v_cndmask_b32_e64 v37, 1.0, v35, s[30:31]
	v_cndmask_b32_e64 v36, 1.0, v32, s[34:35]
	v_fma_f32 v32, v31, v28, v29
	v_cndmask_b32_e64 v30, 0, v30, s[30:31]
	v_mul_f32_e32 v32, v32, v37
	v_pk_add_f32 v[38:39], v[32:33], v[30:31]
	v_pk_mul_f32 v[64:65], v[32:33], v[30:31]
	v_cndmask_b32_e64 v34, 0, v34, s[34:35]
	v_mov_b32_e32 v39, v65
	v_pk_mul_f32 v[64:65], v[38:39], v[36:37]
	v_mov_b32_e32 v35, v36
	v_pk_fma_f32 v[66:67], v[38:39], v[36:37], v[34:35]
	v_pk_mul_f32 v[64:65], v[64:65], v[34:35]
	s_nop 0
	v_mov_b32_dpp v35, v66 row_shr:1 row_mask:0xf bank_mask:0xf
	v_mov_b32_dpp v32, v65 row_shr:1 row_mask:0xf bank_mask:0xf
	v_mul_f32_e32 v63, v65, v32
	v_fma_f32 v32, v65, v35, v66
	v_cndmask_b32_e64 v39, v32, v66, s[0:1]
	v_cndmask_b32_e64 v32, v32, v66, s[0:1]
	;; [unrolled: 1-line block ×4, first 2 shown]
	v_mov_b32_dpp v64, v32 row_shr:2 row_mask:0xf bank_mask:0xf
	v_mov_b32_dpp v63, v35 row_shr:2 row_mask:0xf bank_mask:0xf
	s_and_saveexec_b64 s[36:37], s[2:3]
; %bb.59:                               ;   in Loop: Header=BB36_36 Depth=2
	v_fmac_f32_e32 v32, v35, v64
	v_mul_f32_e32 v35, v35, v63
	v_mov_b32_e32 v38, v35
	v_mov_b32_e32 v39, v32
; %bb.60:                               ;   in Loop: Header=BB36_36 Depth=2
	s_or_b64 exec, exec, s[36:37]
	v_mov_b32_dpp v63, v35 row_shr:4 row_mask:0xf bank_mask:0xf
	v_mov_b32_dpp v64, v32 row_shr:4 row_mask:0xf bank_mask:0xf
	s_and_saveexec_b64 s[36:37], s[4:5]
; %bb.61:                               ;   in Loop: Header=BB36_36 Depth=2
	v_fmac_f32_e32 v32, v35, v64
	v_mul_f32_e32 v35, v35, v63
	v_mov_b32_e32 v38, v35
	v_mov_b32_e32 v39, v32
; %bb.62:                               ;   in Loop: Header=BB36_36 Depth=2
	s_or_b64 exec, exec, s[36:37]
	;; [unrolled: 10-line block ×3, first 2 shown]
	v_mov_b32_dpp v63, v35 row_bcast:15 row_mask:0xf bank_mask:0xf
	v_mov_b32_dpp v64, v32 row_bcast:15 row_mask:0xf bank_mask:0xf
	s_and_saveexec_b64 s[36:37], s[8:9]
; %bb.65:                               ;   in Loop: Header=BB36_36 Depth=2
	v_fmac_f32_e32 v32, v35, v64
	v_mul_f32_e32 v35, v35, v63
	v_mov_b32_e32 v38, v35
	v_mov_b32_e32 v39, v32
; %bb.66:                               ;   in Loop: Header=BB36_36 Depth=2
	s_or_b64 exec, exec, s[36:37]
	v_mov_b32_dpp v63, v35 row_bcast:31 row_mask:0xf bank_mask:0xf
	v_mov_b32_dpp v64, v32 row_bcast:31 row_mask:0xf bank_mask:0xf
	v_mul_f32_e32 v63, v35, v63
	v_fmac_f32_e32 v32, v35, v64
	v_cndmask_b32_e64 v38, v38, v63, s[10:11]
	v_cndmask_b32_e64 v39, v39, v32, s[10:11]
	s_and_saveexec_b64 s[36:37], s[12:13]
	s_cbranch_execz .LBB36_68
; %bb.67:                               ;   in Loop: Header=BB36_36 Depth=2
	ds_write_b64 v1, v[38:39] offset:1056
.LBB36_68:                              ;   in Loop: Header=BB36_36 Depth=2
	s_or_b64 exec, exec, s[36:37]
	ds_bpermute_b32 v32, v51, v38
	ds_bpermute_b32 v35, v51, v39
	s_waitcnt vmcnt(0) lgkmcnt(2)
	v_mov_b32_e32 v39, v27
	s_waitcnt lgkmcnt(0)
	; wave barrier
	s_waitcnt lgkmcnt(0)
	s_and_saveexec_b64 s[36:37], s[14:15]
	s_cbranch_execz .LBB36_72
; %bb.69:                               ;   in Loop: Header=BB36_36 Depth=2
	ds_read_b64 v[38:39], v1 offset:1056
	s_and_saveexec_b64 s[74:75], s[16:17]
	s_cbranch_execz .LBB36_71
; %bb.70:                               ;   in Loop: Header=BB36_36 Depth=2
	ds_write_b64 v1, v[26:27] offset:1056
.LBB36_71:                              ;   in Loop: Header=BB36_36 Depth=2
	s_or_b64 exec, exec, s[74:75]
	s_waitcnt lgkmcnt(0)
	v_fmac_f32_e32 v39, v27, v38
	v_mul_f32_e32 v26, v26, v38
	v_mov_b32_e32 v27, v39
.LBB36_72:                              ;   in Loop: Header=BB36_36 Depth=2
	s_or_b64 exec, exec, s[36:37]
	s_waitcnt lgkmcnt(0)
	; wave barrier
	ds_read_b32 v38, v1 offset:1060
	s_and_saveexec_b64 s[36:37], s[16:17]
	s_cbranch_execz .LBB36_35
; %bb.73:                               ;   in Loop: Header=BB36_36 Depth=2
	v_mov_b32_e32 v63, s99
	s_andn2_b64 vcc, exec, s[66:67]
	ds_write_b64 v63, v[26:27]
	s_cbranch_vccnz .LBB36_35
; %bb.74:                               ;   in Loop: Header=BB36_36 Depth=2
	s_mov_b32 s73, s57
	s_lshl_b64 s[74:75], s[72:73], 2
	s_add_u32 s74, s45, s74
	s_addc_u32 s75, s49, s75
	global_store_dword v1, v39, s[74:75]
	s_branch .LBB36_35
.LBB36_75:                              ;   in Loop: Header=BB36_11 Depth=1
	v_bfe_u32 v13, v14, 16, 1
	v_bfe_u32 v18, v15, 16, 1
	v_add3_u32 v13, v14, v13, s93
	v_bfe_u32 v19, v16, 16, 1
	v_add3_u32 v18, v15, v18, s93
	v_lshrrev_b32_e32 v13, 16, v13
	v_cmp_o_f32_e32 vcc, v14, v14
	v_bfe_u32 v20, v17, 16, 1
	v_add3_u32 v19, v16, v19, s93
	v_lshrrev_b32_e32 v18, 16, v18
	v_cndmask_b32_e32 v13, v57, v13, vcc
	v_cmp_o_f32_e32 vcc, v15, v15
	v_add3_u32 v20, v17, v20, s93
	v_lshrrev_b32_e32 v21, 16, v19
	v_cndmask_b32_e32 v18, v57, v18, vcc
	v_cmp_o_f32_e32 vcc, v16, v16
	v_lshrrev_b32_e32 v20, 16, v20
	v_perm_b32 v19, v18, v13, s94
	v_cndmask_b32_e32 v13, v57, v21, vcc
	v_cmp_o_f32_e32 vcc, v17, v17
	s_waitcnt lgkmcnt(0)
	; wave barrier
	s_nop 0
	v_cndmask_b32_e32 v18, v57, v20, vcc
	v_perm_b32 v18, v18, v13, s94
	ds_write_b64 v47, v[18:19]
	; wave barrier
	ds_read_u16 v21, v44 offset:128
	ds_read_u16 v20, v45 offset:256
	;; [unrolled: 1-line block ×3, first 2 shown]
	s_mov_b32 s63, s57
	v_lshl_add_u64 v[18:19], s[62:63], 1, v[4:5]
	s_and_saveexec_b64 s[26:27], s[18:19]
	s_cbranch_execnz .LBB36_94
; %bb.76:                               ;   in Loop: Header=BB36_11 Depth=1
	s_or_b64 exec, exec, s[26:27]
	s_and_saveexec_b64 s[26:27], s[20:21]
	s_cbranch_execnz .LBB36_95
.LBB36_77:                              ;   in Loop: Header=BB36_11 Depth=1
	s_or_b64 exec, exec, s[26:27]
	s_and_saveexec_b64 s[26:27], s[22:23]
	s_cbranch_execnz .LBB36_96
.LBB36_78:                              ;   in Loop: Header=BB36_11 Depth=1
	s_or_b64 exec, exec, s[26:27]
	s_and_saveexec_b64 s[26:27], s[24:25]
	s_cbranch_execz .LBB36_80
.LBB36_79:                              ;   in Loop: Header=BB36_11 Depth=1
	s_waitcnt lgkmcnt(0)
	global_store_short v[18:19], v13, off offset:384
.LBB36_80:                              ;   in Loop: Header=BB36_11 Depth=1
	s_or_b64 exec, exec, s[26:27]
	v_lshl_add_u64 v[18:19], s[62:63], 1, v[6:7]
	s_waitcnt lgkmcnt(0)
	v_mov_b32_e32 v13, 0
	v_mov_b32_e32 v20, 0
	s_waitcnt lgkmcnt(0)
	; wave barrier
	s_and_saveexec_b64 s[26:27], s[18:19]
	s_cbranch_execz .LBB36_82
; %bb.81:                               ;   in Loop: Header=BB36_11 Depth=1
	global_load_ushort v20, v[18:19], off
.LBB36_82:                              ;   in Loop: Header=BB36_11 Depth=1
	s_or_b64 exec, exec, s[26:27]
	s_and_saveexec_b64 s[26:27], s[20:21]
	s_cbranch_execz .LBB36_84
; %bb.83:                               ;   in Loop: Header=BB36_11 Depth=1
	global_load_ushort v13, v[18:19], off offset:128
.LBB36_84:                              ;   in Loop: Header=BB36_11 Depth=1
	s_or_b64 exec, exec, s[26:27]
	v_mov_b32_e32 v21, 0
	v_mov_b32_e32 v22, 0
	s_and_saveexec_b64 s[26:27], s[22:23]
	s_cbranch_execz .LBB36_86
; %bb.85:                               ;   in Loop: Header=BB36_11 Depth=1
	global_load_ushort v22, v[18:19], off offset:256
.LBB36_86:                              ;   in Loop: Header=BB36_11 Depth=1
	s_or_b64 exec, exec, s[26:27]
	s_and_saveexec_b64 s[26:27], s[24:25]
	s_cbranch_execz .LBB36_88
; %bb.87:                               ;   in Loop: Header=BB36_11 Depth=1
	global_load_ushort v21, v[18:19], off offset:384
.LBB36_88:                              ;   in Loop: Header=BB36_11 Depth=1
	s_or_b64 exec, exec, s[26:27]
	s_waitcnt vmcnt(0)
	ds_write_b16 v43, v20
	ds_write_b16 v44, v13 offset:128
	ds_write_b16 v45, v22 offset:256
	;; [unrolled: 1-line block ×3, first 2 shown]
	; wave barrier
	ds_read_b64 v[18:19], v47
	s_waitcnt lgkmcnt(0)
	; wave barrier
	s_waitcnt lgkmcnt(0)
	v_and_b32_e32 v13, 0xffff0000, v19
	v_mul_f32_e32 v20, 0xbfb8aa3b, v13
	v_fma_f32 v21, v13, s95, -v20
	v_rndne_f32_e32 v22, v20
	v_fmac_f32_e32 v21, 0xb2a5705f, v13
	v_sub_f32_e32 v20, v20, v22
	v_add_f32_e32 v20, v20, v21
	v_exp_f32_e32 v20, v20
	v_cvt_i32_f32_e32 v21, v22
	v_and_b32_e32 v22, 0xffff0000, v18
	v_lshlrev_b32_e32 v24, 16, v19
	v_mul_f32_e32 v19, 0xbfb8aa3b, v22
	v_lshlrev_b32_e32 v23, 16, v18
	v_ldexp_f32 v18, v20, v21
	v_fma_f32 v20, v22, s95, -v19
	v_rndne_f32_e32 v21, v19
	v_fmac_f32_e32 v20, 0xb2a5705f, v22
	v_sub_f32_e32 v19, v19, v21
	v_add_f32_e32 v19, v19, v20
	v_exp_f32_e32 v20, v19
	v_cvt_i32_f32_e32 v21, v21
	v_cmp_nlt_f32_e32 vcc, s96, v13
	s_nop 1
	v_cndmask_b32_e32 v18, 0, v18, vcc
	v_cmp_ngt_f32_e32 vcc, s97, v13
	s_nop 1
	v_cndmask_b32_e32 v19, v54, v18, vcc
	v_ldexp_f32 v18, v20, v21
	v_mul_f32_e32 v20, 0xbfb8aa3b, v24
	v_rndne_f32_e32 v21, v20
	v_sub_f32_e32 v25, v20, v21
	v_fma_f32 v20, v24, s95, -v20
	v_fmac_f32_e32 v20, 0xb2a5705f, v24
	v_add_f32_e32 v20, v25, v20
	v_exp_f32_e32 v20, v20
	v_cvt_i32_f32_e32 v25, v21
	v_cmp_nlt_f32_e32 vcc, s96, v22
	s_nop 1
	v_cndmask_b32_e32 v18, 0, v18, vcc
	v_cmp_ngt_f32_e32 vcc, s97, v22
	s_nop 1
	v_cndmask_b32_e32 v21, v54, v18, vcc
	v_ldexp_f32 v18, v20, v25
	v_mul_f32_e32 v20, 0xbfb8aa3b, v23
	v_rndne_f32_e32 v25, v20
	v_sub_f32_e32 v26, v20, v25
	v_fma_f32 v20, v23, s95, -v20
	v_fmac_f32_e32 v20, 0xb2a5705f, v23
	v_add_f32_e32 v20, v26, v20
	v_exp_f32_e32 v20, v20
	v_cvt_i32_f32_e32 v25, v25
	v_cmp_nlt_f32_e32 vcc, s96, v24
	v_ldexp_f32 v20, v20, v25
	s_nop 0
	v_cndmask_b32_e32 v18, 0, v18, vcc
	v_cmp_ngt_f32_e32 vcc, s97, v24
	s_nop 1
	v_cndmask_b32_e32 v18, v54, v18, vcc
	v_pk_add_f32 v[18:19], v[18:19], 1.0 op_sel_hi:[1,0]
	v_cmp_nlt_f32_e32 vcc, s96, v23
	v_div_scale_f32 v25, s[26:27], v19, v19, v13
	v_rcp_f32_e32 v26, v25
	v_cndmask_b32_e32 v20, 0, v20, vcc
	v_cmp_ngt_f32_e32 vcc, s97, v23
	v_fma_f32 v27, -v25, v26, 1.0
	s_nop 0
	v_cndmask_b32_e32 v20, v54, v20, vcc
	v_fmac_f32_e32 v26, v27, v26
	v_div_scale_f32 v27, vcc, v13, v19, v13
	v_mul_f32_e32 v28, v27, v26
	v_fma_f32 v29, -v25, v28, v27
	v_fmac_f32_e32 v28, v29, v26
	v_fma_f32 v25, -v25, v28, v27
	v_div_scale_f32 v27, s[26:27], v18, v18, v24
	v_rcp_f32_e32 v29, v27
	v_div_fmas_f32 v25, v25, v26, v28
	v_div_fixup_f32 v19, v25, v19, v13
	v_pk_add_f32 v[20:21], v[20:21], 1.0 op_sel_hi:[1,0]
	v_fma_f32 v13, -v27, v29, 1.0
	v_fmac_f32_e32 v29, v13, v29
	v_div_scale_f32 v13, vcc, v24, v18, v24
	v_mul_f32_e32 v25, v13, v29
	v_fma_f32 v26, -v27, v25, v13
	v_fmac_f32_e32 v25, v26, v29
	v_div_scale_f32 v26, s[26:27], v21, v21, v22
	v_fma_f32 v13, -v27, v25, v13
	v_rcp_f32_e32 v27, v26
	v_div_fmas_f32 v13, v13, v29, v25
	v_div_fixup_f32 v18, v13, v18, v24
	v_pk_mul_f32 v[14:15], v[14:15], v[18:19]
	v_fma_f32 v13, -v26, v27, 1.0
	v_fmac_f32_e32 v27, v13, v27
	v_div_scale_f32 v13, vcc, v22, v21, v22
	v_mul_f32_e32 v24, v13, v27
	v_fma_f32 v25, -v26, v24, v13
	v_fmac_f32_e32 v24, v25, v27
	v_div_scale_f32 v25, s[26:27], v20, v20, v23
	v_fma_f32 v13, -v26, v24, v13
	v_rcp_f32_e32 v26, v25
	v_div_fmas_f32 v13, v13, v27, v24
	v_div_fixup_f32 v21, v13, v21, v22
	v_bfe_u32 v19, v14, 16, 1
	v_fma_f32 v13, -v25, v26, 1.0
	v_fmac_f32_e32 v26, v13, v26
	v_div_scale_f32 v13, vcc, v23, v20, v23
	v_mul_f32_e32 v22, v13, v26
	v_fma_f32 v24, -v25, v22, v13
	v_fmac_f32_e32 v22, v24, v26
	v_fma_f32 v13, -v25, v22, v13
	v_div_fmas_f32 v13, v13, v26, v22
	v_div_fixup_f32 v20, v13, v20, v23
	v_pk_mul_f32 v[16:17], v[16:17], v[20:21]
	v_bfe_u32 v20, v15, 16, 1
	v_bfe_u32 v13, v16, 16, 1
	;; [unrolled: 1-line block ×3, first 2 shown]
	v_add3_u32 v13, v16, v13, s93
	v_add3_u32 v18, v17, v18, s93
	v_lshrrev_b32_e32 v13, 16, v13
	v_cmp_o_f32_e32 vcc, v16, v16
	v_add3_u32 v19, v14, v19, s93
	v_lshrrev_b32_e32 v18, 16, v18
	v_cndmask_b32_e32 v13, v57, v13, vcc
	v_cmp_o_f32_e32 vcc, v17, v17
	v_add3_u32 v20, v15, v20, s93
	v_lshrrev_b32_e32 v19, 16, v19
	v_cndmask_b32_e32 v16, v57, v18, vcc
	v_cmp_o_f32_e32 vcc, v14, v14
	v_lshrrev_b32_e32 v20, 16, v20
	v_perm_b32 v16, v16, v13, s94
	v_cndmask_b32_e32 v13, v57, v19, vcc
	v_cmp_o_f32_e32 vcc, v15, v15
	s_nop 1
	v_cndmask_b32_e32 v14, v57, v20, vcc
	v_perm_b32 v17, v14, v13, s94
	ds_write_b64 v47, v[16:17]
	; wave barrier
	ds_read_u16 v17, v44 offset:128
	ds_read_u16 v16, v45 offset:256
	;; [unrolled: 1-line block ×3, first 2 shown]
	v_lshl_add_u64 v[14:15], s[62:63], 1, v[8:9]
	s_and_saveexec_b64 s[26:27], s[18:19]
	s_cbranch_execnz .LBB36_97
; %bb.89:                               ;   in Loop: Header=BB36_11 Depth=1
	s_or_b64 exec, exec, s[26:27]
	s_and_saveexec_b64 s[18:19], s[20:21]
	s_cbranch_execnz .LBB36_98
.LBB36_90:                              ;   in Loop: Header=BB36_11 Depth=1
	s_or_b64 exec, exec, s[18:19]
	s_and_saveexec_b64 s[18:19], s[22:23]
	s_cbranch_execnz .LBB36_99
.LBB36_91:                              ;   in Loop: Header=BB36_11 Depth=1
	s_or_b64 exec, exec, s[18:19]
	s_and_saveexec_b64 s[18:19], s[24:25]
	s_cbranch_execz .LBB36_10
	s_branch .LBB36_100
.LBB36_92:                              ;   in Loop: Header=BB36_11 Depth=1
	global_load_ushort v19, v[14:15], off offset:128
	s_or_b64 exec, exec, s[26:27]
	s_and_saveexec_b64 s[26:27], s[22:23]
	s_cbranch_execz .LBB36_23
.LBB36_93:                              ;   in Loop: Header=BB36_11 Depth=1
	global_load_ushort v18, v[14:15], off offset:256
	s_or_b64 exec, exec, s[26:27]
	v_mov_b32_e32 v20, 0
	s_and_saveexec_b64 s[26:27], s[24:25]
	s_cbranch_execnz .LBB36_24
	s_branch .LBB36_25
.LBB36_94:                              ;   in Loop: Header=BB36_11 Depth=1
	ds_read_u16 v22, v43
	s_waitcnt lgkmcnt(0)
	global_store_short v[18:19], v22, off
	s_or_b64 exec, exec, s[26:27]
	s_and_saveexec_b64 s[26:27], s[20:21]
	s_cbranch_execz .LBB36_77
.LBB36_95:                              ;   in Loop: Header=BB36_11 Depth=1
	s_waitcnt lgkmcnt(2)
	global_store_short v[18:19], v21, off offset:128
	s_or_b64 exec, exec, s[26:27]
	s_and_saveexec_b64 s[26:27], s[22:23]
	s_cbranch_execz .LBB36_78
.LBB36_96:                              ;   in Loop: Header=BB36_11 Depth=1
	s_waitcnt lgkmcnt(1)
	global_store_short v[18:19], v20, off offset:256
	s_or_b64 exec, exec, s[26:27]
	s_and_saveexec_b64 s[26:27], s[24:25]
	s_cbranch_execnz .LBB36_79
	s_branch .LBB36_80
.LBB36_97:                              ;   in Loop: Header=BB36_11 Depth=1
	ds_read_u16 v18, v43
	s_waitcnt lgkmcnt(0)
	global_store_short v[14:15], v18, off
	s_or_b64 exec, exec, s[26:27]
	s_and_saveexec_b64 s[18:19], s[20:21]
	s_cbranch_execz .LBB36_90
.LBB36_98:                              ;   in Loop: Header=BB36_11 Depth=1
	s_waitcnt lgkmcnt(2)
	global_store_short v[14:15], v17, off offset:128
	s_or_b64 exec, exec, s[18:19]
	s_and_saveexec_b64 s[18:19], s[22:23]
	s_cbranch_execz .LBB36_91
.LBB36_99:                              ;   in Loop: Header=BB36_11 Depth=1
	s_waitcnt lgkmcnt(1)
	global_store_short v[14:15], v16, off offset:256
	s_or_b64 exec, exec, s[18:19]
	s_and_saveexec_b64 s[18:19], s[24:25]
	s_cbranch_execz .LBB36_10
.LBB36_100:                             ;   in Loop: Header=BB36_11 Depth=1
	s_waitcnt lgkmcnt(0)
	global_store_short v[14:15], v13, off offset:384
	s_branch .LBB36_10
.LBB36_101:
	s_endpgm
.LBB36_102:
	s_mov_b64 s[38:39], 0
	s_load_dwordx2 s[6:7], s[0:1], 0x20
	s_cmp_eq_u64 s[4:5], 0
	s_cbranch_scc0 .LBB36_2
	s_branch .LBB36_3
	.section	.rodata,"a",@progbits
	.p2align	6, 0x0
	.amdhsa_kernel _Z25selective_scan_fwd_kernelI32Selective_Scan_fwd_kernel_traitsILi64ELi4ELi1ELb0ELb1ELb1ELb1ELb1EN3c108BFloat16EffEEv13SSMParamsBase
		.amdhsa_group_segment_fixed_size 0
		.amdhsa_private_segment_fixed_size 0
		.amdhsa_kernarg_size 248
		.amdhsa_user_sgpr_count 2
		.amdhsa_user_sgpr_dispatch_ptr 0
		.amdhsa_user_sgpr_queue_ptr 0
		.amdhsa_user_sgpr_kernarg_segment_ptr 1
		.amdhsa_user_sgpr_dispatch_id 0
		.amdhsa_user_sgpr_kernarg_preload_length 0
		.amdhsa_user_sgpr_kernarg_preload_offset 0
		.amdhsa_user_sgpr_private_segment_size 0
		.amdhsa_uses_dynamic_stack 0
		.amdhsa_enable_private_segment 0
		.amdhsa_system_sgpr_workgroup_id_x 1
		.amdhsa_system_sgpr_workgroup_id_y 1
		.amdhsa_system_sgpr_workgroup_id_z 0
		.amdhsa_system_sgpr_workgroup_info 0
		.amdhsa_system_vgpr_workitem_id 0
		.amdhsa_next_free_vgpr 68
		.amdhsa_next_free_sgpr 100
		.amdhsa_accum_offset 68
		.amdhsa_reserve_vcc 1
		.amdhsa_float_round_mode_32 0
		.amdhsa_float_round_mode_16_64 0
		.amdhsa_float_denorm_mode_32 3
		.amdhsa_float_denorm_mode_16_64 3
		.amdhsa_dx10_clamp 1
		.amdhsa_ieee_mode 1
		.amdhsa_fp16_overflow 0
		.amdhsa_tg_split 0
		.amdhsa_exception_fp_ieee_invalid_op 0
		.amdhsa_exception_fp_denorm_src 0
		.amdhsa_exception_fp_ieee_div_zero 0
		.amdhsa_exception_fp_ieee_overflow 0
		.amdhsa_exception_fp_ieee_underflow 0
		.amdhsa_exception_fp_ieee_inexact 0
		.amdhsa_exception_int_div_zero 0
	.end_amdhsa_kernel
	.section	.text._Z25selective_scan_fwd_kernelI32Selective_Scan_fwd_kernel_traitsILi64ELi4ELi1ELb0ELb1ELb1ELb1ELb1EN3c108BFloat16EffEEv13SSMParamsBase,"axG",@progbits,_Z25selective_scan_fwd_kernelI32Selective_Scan_fwd_kernel_traitsILi64ELi4ELi1ELb0ELb1ELb1ELb1ELb1EN3c108BFloat16EffEEv13SSMParamsBase,comdat
.Lfunc_end36:
	.size	_Z25selective_scan_fwd_kernelI32Selective_Scan_fwd_kernel_traitsILi64ELi4ELi1ELb0ELb1ELb1ELb1ELb1EN3c108BFloat16EffEEv13SSMParamsBase, .Lfunc_end36-_Z25selective_scan_fwd_kernelI32Selective_Scan_fwd_kernel_traitsILi64ELi4ELi1ELb0ELb1ELb1ELb1ELb1EN3c108BFloat16EffEEv13SSMParamsBase
                                        ; -- End function
	.section	.AMDGPU.csdata,"",@progbits
; Kernel info:
; codeLenInByte = 7400
; NumSgprs: 106
; NumVgprs: 68
; NumAgprs: 0
; TotalNumVgprs: 68
; ScratchSize: 0
; MemoryBound: 0
; FloatMode: 240
; IeeeMode: 1
; LDSByteSize: 0 bytes/workgroup (compile time only)
; SGPRBlocks: 13
; VGPRBlocks: 8
; NumSGPRsForWavesPerEU: 106
; NumVGPRsForWavesPerEU: 68
; AccumOffset: 68
; Occupancy: 7
; WaveLimiterHint : 1
; COMPUTE_PGM_RSRC2:SCRATCH_EN: 0
; COMPUTE_PGM_RSRC2:USER_SGPR: 2
; COMPUTE_PGM_RSRC2:TRAP_HANDLER: 0
; COMPUTE_PGM_RSRC2:TGID_X_EN: 1
; COMPUTE_PGM_RSRC2:TGID_Y_EN: 1
; COMPUTE_PGM_RSRC2:TGID_Z_EN: 0
; COMPUTE_PGM_RSRC2:TIDIG_COMP_CNT: 0
; COMPUTE_PGM_RSRC3_GFX90A:ACCUM_OFFSET: 16
; COMPUTE_PGM_RSRC3_GFX90A:TG_SPLIT: 0
	.section	.text._Z25selective_scan_fwd_kernelI32Selective_Scan_fwd_kernel_traitsILi64ELi4ELi1ELb0ELb1ELb1ELb1ELb0EN3c108BFloat16EffEEv13SSMParamsBase,"axG",@progbits,_Z25selective_scan_fwd_kernelI32Selective_Scan_fwd_kernel_traitsILi64ELi4ELi1ELb0ELb1ELb1ELb1ELb0EN3c108BFloat16EffEEv13SSMParamsBase,comdat
	.protected	_Z25selective_scan_fwd_kernelI32Selective_Scan_fwd_kernel_traitsILi64ELi4ELi1ELb0ELb1ELb1ELb1ELb0EN3c108BFloat16EffEEv13SSMParamsBase ; -- Begin function _Z25selective_scan_fwd_kernelI32Selective_Scan_fwd_kernel_traitsILi64ELi4ELi1ELb0ELb1ELb1ELb1ELb0EN3c108BFloat16EffEEv13SSMParamsBase
	.globl	_Z25selective_scan_fwd_kernelI32Selective_Scan_fwd_kernel_traitsILi64ELi4ELi1ELb0ELb1ELb1ELb1ELb0EN3c108BFloat16EffEEv13SSMParamsBase
	.p2align	8
	.type	_Z25selective_scan_fwd_kernelI32Selective_Scan_fwd_kernel_traitsILi64ELi4ELi1ELb0ELb1ELb1ELb1ELb0EN3c108BFloat16EffEEv13SSMParamsBase,@function
_Z25selective_scan_fwd_kernelI32Selective_Scan_fwd_kernel_traitsILi64ELi4ELi1ELb0ELb1ELb1ELb1ELb0EN3c108BFloat16EffEEv13SSMParamsBase: ; @_Z25selective_scan_fwd_kernelI32Selective_Scan_fwd_kernel_traitsILi64ELi4ELi1ELb0ELb1ELb1ELb1ELb0EN3c108BFloat16EffEEv13SSMParamsBase
; %bb.0:
	s_load_dword s35, s[0:1], 0x18
	s_load_dwordx4 s[4:7], s[0:1], 0xe8
	s_mov_b32 s28, s3
	s_waitcnt lgkmcnt(0)
	s_abs_i32 s34, s35
	v_cvt_f32_u32_e32 v1, s34
	s_cmp_eq_u64 s[6:7], 0
	v_rcp_iflag_f32_e32 v1, v1
	s_nop 0
	v_mul_f32_e32 v1, 0x4f7ffffe, v1
	v_cvt_u32_f32_e32 v1, v1
	s_nop 0
	v_readfirstlane_b32 s24, v1
	s_cbranch_scc1 .LBB37_3
; %bb.1:
	s_ashr_i32 s3, s2, 31
	s_add_u32 s6, s6, s2
	s_addc_u32 s7, s7, s3
	v_mov_b32_e32 v1, 0
	global_load_ubyte v1, v1, s[6:7]
	s_waitcnt vmcnt(0)
	v_and_b32_e32 v1, 1, v1
	v_cmp_eq_u32_e64 s[38:39], 1, v1
	s_load_dwordx2 s[6:7], s[0:1], 0x20
	s_cmp_eq_u64 s[4:5], 0
	s_cbranch_scc1 .LBB37_4
.LBB37_2:
	s_ashr_i32 s3, s2, 31
	s_lshl_b64 s[8:9], s[2:3], 2
	s_add_u32 s4, s4, s8
	s_addc_u32 s5, s5, s9
	s_load_dword s30, s[4:5], 0x0
	s_waitcnt lgkmcnt(0)
	s_ashr_i32 s31, s30, 31
	s_cmp_eq_u64 s[6:7], s[30:31]
	s_cbranch_scc0 .LBB37_5
	s_branch .LBB37_102
.LBB37_3:
	s_mov_b64 s[38:39], 0
	s_load_dwordx2 s[6:7], s[0:1], 0x20
	s_cmp_eq_u64 s[4:5], 0
	s_cbranch_scc0 .LBB37_2
.LBB37_4:
	s_mov_b32 s30, s2
	s_ashr_i32 s31, s30, 31
	s_waitcnt lgkmcnt(0)
	s_cmp_eq_u64 s[6:7], s[30:31]
	s_cbranch_scc1 .LBB37_102
.LBB37_5:
	s_load_dwordx16 s[4:19], s[0:1], 0x88
	s_load_dwordx2 s[56:57], s[0:1], 0x8
	s_mov_b32 s33, 0
	s_mov_b32 s78, 0
	s_waitcnt lgkmcnt(0)
	s_cmp_eq_u64 s[10:11], 0
	s_cbranch_scc1 .LBB37_7
; %bb.6:
	s_ashr_i32 s29, s28, 31
	s_lshl_b64 s[20:21], s[28:29], 2
	s_add_u32 s10, s10, s20
	s_addc_u32 s11, s11, s21
	s_load_dword s78, s[10:11], 0x0
.LBB37_7:
	s_cmp_eq_u64 s[16:17], 0
	s_cbranch_scc1 .LBB37_9
; %bb.8:
	s_ashr_i32 s29, s28, 31
	s_lshl_b64 s[10:11], s[28:29], 2
	s_add_u32 s10, s16, s10
	s_addc_u32 s11, s17, s11
	s_load_dword s33, s[10:11], 0x0
.LBB37_9:
	s_cmp_lt_i32 s56, 1
	s_cbranch_scc1 .LBB37_102
; %bb.10:
	s_sub_i32 s3, 0, s34
	s_mul_i32 s3, s3, s24
	s_mul_hi_u32 s3, s24, s3
	s_abs_i32 s29, s28
	s_add_i32 s3, s24, s3
	s_load_dwordx8 s[40:47], s[0:1], 0x2c
	s_load_dwordx2 s[16:17], s[0:1], 0x7c
	s_load_dwordx4 s[20:23], s[0:1], 0x6c
	s_load_dwordx8 s[48:55], s[0:1], 0x4c
	s_load_dwordx2 s[10:11], s[0:1], 0xd8
	s_load_dwordx4 s[24:27], s[0:1], 0xc8
	s_load_dword s79, s[0:1], 0x84
	s_mul_hi_u32 s3, s29, s3
	s_load_dword s31, s[0:1], 0x28
	s_ashr_i32 s0, s28, 31
	s_ashr_i32 s1, s35, 31
	s_xor_b32 s0, s0, s1
	s_mul_i32 s1, s3, s34
	s_sub_i32 s1, s29, s1
	s_add_i32 s29, s3, 1
	s_sub_i32 s35, s1, s34
	s_cmp_ge_u32 s1, s34
	s_cselect_b32 s3, s29, s3
	s_cselect_b32 s1, s35, s1
	s_add_i32 s29, s3, 1
	s_cmp_ge_u32 s1, s34
	s_cselect_b32 s1, s29, s3
	s_xor_b32 s1, s1, s0
	s_waitcnt lgkmcnt(0)
	s_mul_i32 s58, s50, s2
	s_mov_b32 s59, 0
	s_sub_i32 s3, s1, s0
	s_lshl_b64 s[0:1], s[58:59], 1
	s_add_u32 s12, s12, s0
	s_mul_i32 s58, s51, s28
	s_addc_u32 s13, s13, s1
	s_lshl_b64 s[0:1], s[58:59], 1
	s_add_u32 s50, s12, s0
	s_mul_i32 s58, s52, s2
	s_addc_u32 s51, s13, s1
	s_lshl_b64 s[0:1], s[58:59], 1
	s_add_u32 s12, s14, s0
	s_mul_i32 s58, s53, s28
	s_addc_u32 s13, s15, s1
	s_lshl_b64 s[0:1], s[58:59], 1
	s_add_u32 s52, s12, s0
	s_mul_i32 s58, s40, s28
	s_addc_u32 s53, s13, s1
	s_lshl_b64 s[0:1], s[58:59], 2
	s_add_u32 s40, s4, s0
	s_mul_i32 s58, s42, s2
	s_addc_u32 s80, s5, s1
	s_lshl_b64 s[0:1], s[58:59], 1
	s_add_u32 s4, s6, s0
	s_mul_i32 s58, s3, s45
	s_addc_u32 s5, s7, s1
	s_lshl_b64 s[0:1], s[58:59], 1
	s_add_u32 s42, s4, s0
	s_mul_i32 s58, s46, s2
	s_addc_u32 s43, s5, s1
	s_lshl_b64 s[0:1], s[58:59], 1
	s_add_u32 s4, s8, s0
	s_mul_i32 s58, s3, s49
	s_addc_u32 s5, s9, s1
	s_lshl_b64 s[0:1], s[58:59], 1
	s_add_u32 s46, s4, s0
	s_mul_i32 s58, s30, s16
	s_addc_u32 s47, s5, s1
	s_lshl_b64 s[0:1], s[58:59], 2
	s_add_u32 s3, s24, s0
	s_mul_i32 s58, s17, s28
	v_mbcnt_lo_u32_b32 v2, -1, 0
	s_addc_u32 s4, s25, s1
	s_lshl_b64 s[0:1], s[58:59], 2
	v_mbcnt_hi_u32_b32 v2, -1, v2
	s_add_u32 s45, s3, s0
	v_lshrrev_b32_e32 v3, 5, v2
	s_addc_u32 s49, s4, s1
	s_add_i32 s0, s56, 0x7ff
	v_and_b32_e32 v3, 2, v3
	s_lshr_b32 s81, s0, 11
	v_add_u32_e32 v40, 64, v2
	v_or_b32_e32 v41, 0x80, v2
	v_add_u32_e32 v42, 0xc0, v2
	v_add_u32_e32 v3, v3, v2
	v_lshl_add_u32 v43, v3, 1, 0
	v_lshrrev_b32_e32 v3, 5, v40
	v_lshrrev_b32_e32 v4, 5, v41
	;; [unrolled: 1-line block ×3, first 2 shown]
	s_bitcmp1_b32 s31, 0
	v_and_b32_e32 v3, 6, v3
	v_and_b32_e32 v4, 6, v4
	v_and_b32_e32 v5, 14, v5
	s_cselect_b64 s[60:61], -1, 0
	s_cmp_gt_i32 s57, 0
	v_add_lshl_u32 v3, v3, v2, 1
	v_add_lshl_u32 v4, v4, v2, 1
	;; [unrolled: 1-line block ×3, first 2 shown]
	s_cselect_b64 s[62:63], -1, 0
	s_add_i32 s0, 0, 0x210
	s_mul_i32 s58, s20, s2
	v_add_u32_e32 v48, s0, v3
	v_add_u32_e32 v49, s0, v4
	;; [unrolled: 1-line block ×3, first 2 shown]
	s_and_b32 s3, s56, 0xff
	s_add_i32 s82, s81, -1
	s_lshl_b64 s[0:1], s[58:59], 1
	s_add_u32 s4, s18, s0
	s_mul_i32 s58, s21, s28
	s_addc_u32 s5, s19, s1
	s_lshl_b64 s[0:1], s[58:59], 1
	s_add_u32 s18, s4, s0
	s_mul_i32 s58, s54, s2
	s_addc_u32 s19, s5, s1
	;; [unrolled: 4-line block ×5, first 2 shown]
	s_lshl_b64 s[0:1], s[58:59], 1
	s_add_u32 s22, s2, s0
	v_add_u32_e32 v44, 0, v3
	s_addc_u32 s23, s4, s1
	v_and_b32_e32 v3, 15, v2
	s_cmp_eq_u32 s3, 0
	v_cmp_eq_u32_e64 s[0:1], 0, v3
	v_cmp_lt_u32_e64 s[2:3], 1, v3
	v_cmp_lt_u32_e64 s[4:5], 3, v3
	;; [unrolled: 1-line block ×3, first 2 shown]
	v_and_b32_e32 v3, 16, v2
	v_add_u32_e32 v45, 0, v4
	v_lshrrev_b32_e32 v6, 3, v2
	v_cmp_ne_u32_e64 s[8:9], 0, v3
	v_add_u32_e32 v3, -1, v2
	v_and_b32_e32 v4, 64, v2
	v_and_b32_e32 v6, 14, v6
	v_cmp_lt_i32_e32 vcc, v3, v4
	v_mov_b32_e32 v1, 0
	v_lshlrev_b32_e32 v11, 2, v0
	v_lshl_add_u32 v6, v2, 2, v6
	v_cmp_eq_u32_e64 s[12:13], 63, v0
	v_cndmask_b32_e32 v3, v3, v2, vcc
	v_cmp_gt_u32_e64 s[14:15], 64, v0
	v_cmp_eq_u32_e64 s[16:17], 0, v0
	v_lshlrev_b32_e32 v0, 1, v2
                                        ; implicit-def: $vgpr12
	v_add_u32_e32 v46, 0, v5
	v_lshl_add_u32 v47, v6, 1, 0
	s_cselect_b64 s[54:55], -1, 0
	v_cmp_lt_u32_e64 s[10:11], 31, v2
	v_lshlrev_b32_e32 v51, 2, v3
	v_lshl_add_u64 v[4:5], s[18:19], 0, v[0:1]
	v_lshl_add_u64 v[6:7], s[20:21], 0, v[0:1]
	;; [unrolled: 1-line block ×3, first 2 shown]
	v_or_b32_e32 v3, 1, v11
	v_or_b32_e32 v10, 2, v11
	;; [unrolled: 1-line block ×3, first 2 shown]
	v_lshlrev_b32_e32 v0, 1, v2
	s_mov_b32 s83, 0x41a00000
	s_mov_b32 s84, 0x3fb8aa3b
	;; [unrolled: 1-line block ×6, first 2 shown]
	v_mov_b32_e32 v53, 0x3ecc95a3
	s_mov_b32 s89, 0x3f317218
	s_mov_b32 s90, 0x33800000
	s_add_i32 s91, 0, 0x428
	s_mov_b32 s92, 0xc2fc0000
	s_movk_i32 s93, 0x7fff
	s_mov_b32 s94, 0x5040100
	s_mov_b32 s95, 0xbfb8aa3b
	;; [unrolled: 1-line block ×4, first 2 shown]
	v_mov_b32_e32 v54, 0x7f800000
	v_mov_b32_e32 v12, 0x3f317218
	;; [unrolled: 1-line block ×5, first 2 shown]
	s_mov_b32 s98, 0
	s_branch .LBB37_12
.LBB37_11:                              ;   in Loop: Header=BB37_12 Depth=1
	s_or_b64 exec, exec, s[18:19]
	s_add_u32 s52, s52, 0x200
	s_addc_u32 s53, s53, 0
	s_add_u32 s50, s50, 0x200
	s_addc_u32 s51, s51, 0
	;; [unrolled: 2-line block ×4, first 2 shown]
	s_add_i32 s98, s98, 1
	s_cmp_lg_u32 s98, s81
	s_cbranch_scc0 .LBB37_102
.LBB37_12:                              ; =>This Loop Header: Depth=1
                                        ;     Child Loop BB37_37 Depth 2
	s_lshl_b32 s64, s98, 8
	s_sub_i32 s34, s56, s64
	v_lshl_add_u64 v[14:15], s[50:51], 0, v[0:1]
	v_cmp_gt_u32_e64 s[18:19], s34, v2
	s_waitcnt lgkmcnt(1)
	v_mov_b32_e32 v16, 0
	s_waitcnt lgkmcnt(0)
	; wave barrier
	s_and_saveexec_b64 s[20:21], s[18:19]
	s_cbranch_execz .LBB37_14
; %bb.13:                               ;   in Loop: Header=BB37_12 Depth=1
	global_load_ushort v16, v[14:15], off
.LBB37_14:                              ;   in Loop: Header=BB37_12 Depth=1
	s_or_b64 exec, exec, s[20:21]
	v_cmp_gt_u32_e64 s[20:21], s34, v40
	v_mov_b32_e32 v17, 0
	v_mov_b32_e32 v18, 0
	s_and_saveexec_b64 s[22:23], s[20:21]
	s_cbranch_execz .LBB37_16
; %bb.15:                               ;   in Loop: Header=BB37_12 Depth=1
	global_load_ushort v18, v[14:15], off offset:128
.LBB37_16:                              ;   in Loop: Header=BB37_12 Depth=1
	s_or_b64 exec, exec, s[22:23]
	v_cmp_gt_u32_e64 s[22:23], s34, v41
	s_and_saveexec_b64 s[24:25], s[22:23]
	s_cbranch_execz .LBB37_18
; %bb.17:                               ;   in Loop: Header=BB37_12 Depth=1
	global_load_ushort v17, v[14:15], off offset:256
.LBB37_18:                              ;   in Loop: Header=BB37_12 Depth=1
	s_or_b64 exec, exec, s[24:25]
	v_cmp_gt_u32_e64 s[24:25], s34, v42
	s_waitcnt lgkmcnt(0)
	v_mov_b32_e32 v13, 0
	v_mov_b32_e32 v19, 0
	s_and_saveexec_b64 s[26:27], s[24:25]
	s_cbranch_execz .LBB37_20
; %bb.19:                               ;   in Loop: Header=BB37_12 Depth=1
	global_load_ushort v19, v[14:15], off offset:384
.LBB37_20:                              ;   in Loop: Header=BB37_12 Depth=1
	s_or_b64 exec, exec, s[26:27]
	s_waitcnt vmcnt(0)
	ds_write_b16 v43, v16
	ds_write_b16 v44, v18 offset:128
	ds_write_b16 v45, v17 offset:256
	;; [unrolled: 1-line block ×3, first 2 shown]
	; wave barrier
	ds_read_b64 v[16:17], v47
	v_lshl_add_u64 v[14:15], s[52:53], 0, v[0:1]
	s_waitcnt lgkmcnt(0)
	; wave barrier
	s_waitcnt lgkmcnt(0)
	s_and_saveexec_b64 s[26:27], s[18:19]
	s_cbranch_execz .LBB37_22
; %bb.21:                               ;   in Loop: Header=BB37_12 Depth=1
	global_load_ushort v13, v[14:15], off
.LBB37_22:                              ;   in Loop: Header=BB37_12 Depth=1
	s_or_b64 exec, exec, s[26:27]
	v_mov_b32_e32 v18, 0
	v_mov_b32_e32 v19, 0
	s_and_saveexec_b64 s[26:27], s[20:21]
	s_cbranch_execnz .LBB37_93
; %bb.23:                               ;   in Loop: Header=BB37_12 Depth=1
	s_or_b64 exec, exec, s[26:27]
	s_and_saveexec_b64 s[26:27], s[22:23]
	s_cbranch_execnz .LBB37_94
.LBB37_24:                              ;   in Loop: Header=BB37_12 Depth=1
	s_or_b64 exec, exec, s[26:27]
	v_mov_b32_e32 v20, 0
	s_and_saveexec_b64 s[26:27], s[24:25]
	s_cbranch_execz .LBB37_26
.LBB37_25:                              ;   in Loop: Header=BB37_12 Depth=1
	global_load_ushort v20, v[14:15], off offset:384
.LBB37_26:                              ;   in Loop: Header=BB37_12 Depth=1
	s_or_b64 exec, exec, s[26:27]
	s_waitcnt vmcnt(0)
	ds_write_b16 v43, v13
	ds_write_b16 v44, v19 offset:128
	ds_write_b16 v45, v18 offset:256
	;; [unrolled: 1-line block ×3, first 2 shown]
	; wave barrier
	ds_read_b64 v[14:15], v47
	s_waitcnt lgkmcnt(0)
	v_lshlrev_b32_e32 v13, 16, v14
	v_add_f32_e32 v58, s33, v13
	v_cmp_ge_f32_e32 vcc, s83, v58
	s_and_b64 s[26:27], s[60:61], vcc
	s_and_saveexec_b64 s[28:29], s[26:27]
	s_cbranch_execz .LBB37_28
; %bb.27:                               ;   in Loop: Header=BB37_12 Depth=1
	v_mul_f32_e32 v13, 0x3fb8aa3b, v58
	v_rndne_f32_e32 v18, v13
	v_sub_f32_e32 v19, v13, v18
	v_fma_f32 v13, v58, s84, -v13
	v_fmac_f32_e32 v13, 0x32a5705f, v58
	v_add_f32_e32 v13, v19, v13
	v_cvt_i32_f32_e32 v18, v18
	v_exp_f32_e32 v13, v13
	v_cmp_ngt_f32_e32 vcc, s85, v58
	v_ldexp_f32 v13, v13, v18
	s_nop 0
	v_cndmask_b32_e32 v13, 0, v13, vcc
	v_cmp_nlt_f32_e32 vcc, s86, v58
	s_nop 1
	v_cndmask_b32_e32 v34, v54, v13, vcc
	v_add_f32_e32 v13, 1.0, v34
	v_add_f32_e32 v18, -1.0, v13
	v_sub_f32_e32 v19, v18, v13
	v_add_f32_e32 v19, 1.0, v19
	v_sub_f32_e32 v18, v34, v18
	v_add_f32_e32 v20, v18, v19
	v_frexp_mant_f32_e32 v21, v13
	v_cvt_f64_f32_e32 v[18:19], v13
	v_frexp_exp_i32_f64_e32 v18, v[18:19]
	v_cmp_gt_f32_e32 vcc, s88, v21
	v_cmp_gt_f32_e64 s[26:27], s90, v34
	s_nop 0
	v_subbrev_co_u32_e32 v26, vcc, 0, v18, vcc
	v_sub_u32_e32 v18, 0, v26
	v_ldexp_f32 v13, v13, v18
	v_ldexp_f32 v18, v20, v18
	v_add_f32_e32 v20, -1.0, v13
	v_add_f32_e32 v19, 1.0, v20
	v_sub_f32_e32 v19, v13, v19
	v_add_f32_e32 v21, v18, v19
	v_add_f32_e32 v19, 1.0, v13
	v_add_f32_e32 v22, -1.0, v19
	v_sub_f32_e32 v13, v13, v22
	v_add_f32_e32 v13, v18, v13
	v_add_f32_e32 v27, v19, v13
	v_rcp_f32_e32 v28, v27
	v_sub_f32_e32 v18, v19, v27
	v_add_f32_e32 v19, v20, v21
	v_add_f32_e32 v13, v13, v18
	v_mul_f32_e32 v30, v19, v28
	v_sub_f32_e32 v18, v20, v19
	v_mul_f32_e32 v20, v27, v30
	v_fma_f32 v22, v30, v27, -v20
	v_fmac_f32_e32 v22, v30, v13
	v_add_f32_e32 v29, v21, v18
	v_add_f32_e32 v18, v20, v22
	v_sub_f32_e32 v21, v19, v18
	v_pk_add_f32 v[24:25], v[18:19], v[20:21] neg_lo:[0,1] neg_hi:[0,1]
	v_mov_b32_e32 v23, v18
	v_pk_add_f32 v[18:19], v[24:25], v[22:23] neg_lo:[0,1] neg_hi:[0,1]
	v_cmp_eq_f32_e32 vcc, s87, v34
	v_add_f32_e32 v19, v29, v19
	v_add_f32_e32 v18, v18, v19
	;; [unrolled: 1-line block ×3, first 2 shown]
	v_mul_f32_e32 v29, v28, v19
	v_mul_f32_e32 v20, v27, v29
	v_fma_f32 v22, v29, v27, -v20
	v_fmac_f32_e32 v22, v29, v13
	v_sub_f32_e32 v13, v21, v19
	v_add_f32_e32 v13, v18, v13
	v_add_f32_e32 v18, v20, v22
	v_sub_f32_e32 v21, v19, v18
	v_pk_add_f32 v[24:25], v[18:19], v[20:21] neg_lo:[0,1] neg_hi:[0,1]
	v_mov_b32_e32 v23, v18
	v_pk_add_f32 v[18:19], v[24:25], v[22:23] neg_lo:[0,1] neg_hi:[0,1]
	s_or_b64 vcc, s[26:27], vcc
	v_add_f32_e32 v13, v13, v19
	v_add_f32_e32 v13, v18, v13
	v_add_f32_e32 v19, v30, v29
	v_add_f32_e32 v13, v21, v13
	v_sub_f32_e32 v18, v19, v30
	v_mul_f32_e32 v13, v28, v13
	v_sub_f32_e32 v18, v29, v18
	v_add_f32_e32 v20, v18, v13
	v_add_f32_e32 v22, v19, v20
	v_cvt_f32_i32_e32 v18, v26
	v_mul_f32_e32 v23, v22, v22
	v_sub_f32_e32 v19, v22, v19
	v_fmamk_f32 v13, v23, 0x3e9b6dac, v53
	v_sub_f32_e32 v19, v20, v19
	v_fmaak_f32 v13, v23, v13, 0x3f2aaada
	v_ldexp_f32 v24, v19, 1
	v_mul_f32_e32 v19, v22, v23
	v_ldexp_f32 v21, v22, 1
	v_pk_mul_f32 v[22:23], v[18:19], v[12:13]
	s_nop 0
	v_fma_f32 v20, v18, s89, -v22
	v_fmac_f32_e32 v20, 0xb102e308, v18
	v_pk_add_f32 v[18:19], v[22:23], v[20:21]
	s_nop 0
	v_sub_f32_e32 v13, v19, v21
	v_sub_f32_e32 v13, v23, v13
	v_add_f32_e32 v25, v24, v13
	v_mov_b32_e32 v24, v22
	v_pk_add_f32 v[22:23], v[18:19], v[22:23] neg_lo:[0,1] neg_hi:[0,1]
	v_pk_add_f32 v[26:27], v[18:19], v[24:25]
	v_mov_b32_e32 v21, v18
	v_mov_b32_e32 v23, v27
	v_pk_add_f32 v[28:29], v[20:21], v[22:23] neg_lo:[0,1] neg_hi:[0,1]
	v_pk_add_f32 v[20:21], v[20:21], v[22:23]
	v_mov_b32_e32 v24, v25
	v_mov_b32_e32 v22, v21
	v_pk_add_f32 v[30:31], v[22:23], v[18:19] neg_lo:[0,1] neg_hi:[0,1]
	v_mov_b32_e32 v20, v27
	v_mov_b32_e32 v13, v30
	v_pk_add_f32 v[32:33], v[26:27], v[12:13] neg_lo:[0,1] neg_hi:[0,1]
	v_mov_b32_e32 v26, v19
	v_mov_b32_e32 v27, v30
	;; [unrolled: 1-line block ×3, first 2 shown]
	v_pk_add_f32 v[20:21], v[20:21], v[26:27] neg_lo:[0,1] neg_hi:[0,1]
	v_mov_b32_e32 v25, v18
	v_pk_add_f32 v[18:19], v[24:25], v[20:21] neg_lo:[0,1] neg_hi:[0,1]
	v_mov_b32_e32 v32, v28
	v_pk_add_f32 v[20:21], v[32:33], v[18:19]
	s_nop 0
	v_mov_b32_e32 v24, v21
	v_pk_add_f32 v[24:25], v[20:21], v[24:25]
	s_nop 0
	v_pk_add_f32 v[22:23], v[22:23], v[24:25]
	v_mov_b32_e32 v19, v24
	v_mov_b32_e32 v21, v22
	v_pk_add_f32 v[26:27], v[20:21], v[28:29] neg_lo:[0,1] neg_hi:[0,1]
	s_nop 0
	v_sub_f32_e32 v13, v20, v26
	v_pk_add_f32 v[18:19], v[18:19], v[26:27] neg_lo:[0,1] neg_hi:[0,1]
	v_sub_f32_e32 v13, v28, v13
	v_add_f32_e32 v13, v18, v13
	v_add_f32_e32 v13, v13, v19
	;; [unrolled: 1-line block ×3, first 2 shown]
	v_cndmask_b32_e32 v58, v13, v34, vcc
.LBB37_28:                              ;   in Loop: Header=BB37_12 Depth=1
	s_or_b64 exec, exec, s[28:29]
	v_and_b32_e32 v13, 0xffff0000, v14
	v_add_f32_e32 v59, s33, v13
	v_cmp_ge_f32_e32 vcc, s83, v59
	s_and_b64 s[26:27], s[60:61], vcc
	s_and_saveexec_b64 s[28:29], s[26:27]
	s_cbranch_execz .LBB37_30
; %bb.29:                               ;   in Loop: Header=BB37_12 Depth=1
	v_mul_f32_e32 v13, 0x3fb8aa3b, v59
	v_rndne_f32_e32 v14, v13
	v_sub_f32_e32 v18, v13, v14
	v_fma_f32 v13, v59, s84, -v13
	v_fmac_f32_e32 v13, 0x32a5705f, v59
	v_add_f32_e32 v13, v18, v13
	v_cvt_i32_f32_e32 v14, v14
	v_exp_f32_e32 v13, v13
	v_cmp_ngt_f32_e32 vcc, s85, v59
	v_ldexp_f32 v13, v13, v14
	s_nop 0
	v_cndmask_b32_e32 v13, 0, v13, vcc
	v_cmp_nlt_f32_e32 vcc, s86, v59
	s_nop 1
	v_cndmask_b32_e32 v32, v54, v13, vcc
	v_add_f32_e32 v13, 1.0, v32
	v_add_f32_e32 v14, -1.0, v13
	v_sub_f32_e32 v18, v14, v13
	v_add_f32_e32 v18, 1.0, v18
	v_sub_f32_e32 v14, v32, v14
	v_add_f32_e32 v14, v14, v18
	v_frexp_mant_f32_e32 v20, v13
	v_cvt_f64_f32_e32 v[18:19], v13
	v_frexp_exp_i32_f64_e32 v18, v[18:19]
	v_cmp_gt_f32_e32 vcc, s88, v20
	v_cmp_gt_f32_e64 s[26:27], s90, v32
	s_nop 0
	v_subbrev_co_u32_e32 v26, vcc, 0, v18, vcc
	v_sub_u32_e32 v18, 0, v26
	v_ldexp_f32 v13, v13, v18
	v_ldexp_f32 v14, v14, v18
	v_add_f32_e32 v18, -1.0, v13
	v_add_f32_e32 v19, 1.0, v18
	v_sub_f32_e32 v19, v13, v19
	v_add_f32_e32 v20, v14, v19
	v_add_f32_e32 v19, 1.0, v13
	v_add_f32_e32 v21, -1.0, v19
	v_sub_f32_e32 v13, v13, v21
	v_add_f32_e32 v13, v14, v13
	v_add_f32_e32 v14, v19, v13
	v_rcp_f32_e32 v27, v14
	v_sub_f32_e32 v19, v19, v14
	v_add_f32_e32 v13, v13, v19
	v_add_f32_e32 v19, v18, v20
	v_sub_f32_e32 v18, v18, v19
	v_mul_f32_e32 v29, v19, v27
	v_add_f32_e32 v28, v20, v18
	v_mul_f32_e32 v20, v14, v29
	v_fma_f32 v22, v29, v14, -v20
	v_fmac_f32_e32 v22, v29, v13
	v_add_f32_e32 v18, v20, v22
	v_sub_f32_e32 v21, v19, v18
	v_pk_add_f32 v[24:25], v[18:19], v[20:21] neg_lo:[0,1] neg_hi:[0,1]
	v_mov_b32_e32 v23, v18
	v_pk_add_f32 v[18:19], v[24:25], v[22:23] neg_lo:[0,1] neg_hi:[0,1]
	v_cmp_eq_f32_e32 vcc, s87, v32
	v_add_f32_e32 v19, v28, v19
	v_add_f32_e32 v18, v18, v19
	;; [unrolled: 1-line block ×3, first 2 shown]
	v_mul_f32_e32 v28, v27, v19
	v_mul_f32_e32 v20, v14, v28
	v_fma_f32 v22, v28, v14, -v20
	v_fmac_f32_e32 v22, v28, v13
	v_sub_f32_e32 v13, v21, v19
	v_add_f32_e32 v13, v18, v13
	v_add_f32_e32 v18, v20, v22
	v_sub_f32_e32 v21, v19, v18
	v_pk_add_f32 v[24:25], v[18:19], v[20:21] neg_lo:[0,1] neg_hi:[0,1]
	v_mov_b32_e32 v23, v18
	v_pk_add_f32 v[18:19], v[24:25], v[22:23] neg_lo:[0,1] neg_hi:[0,1]
	v_add_f32_e32 v14, v29, v28
	v_add_f32_e32 v13, v13, v19
	;; [unrolled: 1-line block ×4, first 2 shown]
	v_sub_f32_e32 v18, v14, v29
	v_mul_f32_e32 v13, v27, v13
	v_sub_f32_e32 v18, v28, v18
	v_add_f32_e32 v19, v18, v13
	v_add_f32_e32 v20, v14, v19
	v_cvt_f32_i32_e32 v18, v26
	v_mul_f32_e32 v22, v20, v20
	v_fmamk_f32 v13, v22, 0x3e9b6dac, v53
	v_sub_f32_e32 v14, v20, v14
	v_fmaak_f32 v13, v22, v13, 0x3f2aaada
	v_sub_f32_e32 v14, v19, v14
	v_mul_f32_e32 v19, v20, v22
	v_pk_mul_f32 v[22:23], v[18:19], v[12:13]
	v_ldexp_f32 v21, v20, 1
	v_fma_f32 v20, v18, s89, -v22
	v_fmac_f32_e32 v20, 0xb102e308, v18
	v_pk_add_f32 v[18:19], v[22:23], v[20:21]
	v_ldexp_f32 v14, v14, 1
	v_sub_f32_e32 v13, v19, v21
	v_sub_f32_e32 v13, v23, v13
	v_add_f32_e32 v25, v14, v13
	v_mov_b32_e32 v24, v22
	v_pk_add_f32 v[22:23], v[18:19], v[22:23] neg_lo:[0,1] neg_hi:[0,1]
	v_pk_add_f32 v[26:27], v[18:19], v[24:25]
	v_mov_b32_e32 v21, v18
	v_mov_b32_e32 v23, v27
	v_pk_add_f32 v[28:29], v[20:21], v[22:23] neg_lo:[0,1] neg_hi:[0,1]
	v_pk_add_f32 v[20:21], v[20:21], v[22:23]
	s_or_b64 vcc, s[26:27], vcc
	v_mov_b32_e32 v14, v21
	v_pk_add_f32 v[22:23], v[14:15], v[18:19] neg_lo:[0,1] neg_hi:[0,1]
	v_mov_b32_e32 v20, v27
	v_mov_b32_e32 v13, v22
	v_pk_add_f32 v[30:31], v[26:27], v[12:13] neg_lo:[0,1] neg_hi:[0,1]
	v_mov_b32_e32 v26, v19
	v_mov_b32_e32 v27, v22
	;; [unrolled: 1-line block ×3, first 2 shown]
	v_pk_add_f32 v[20:21], v[20:21], v[26:27] neg_lo:[0,1] neg_hi:[0,1]
	v_mov_b32_e32 v22, v25
	v_mov_b32_e32 v23, v18
	v_pk_add_f32 v[18:19], v[22:23], v[20:21] neg_lo:[0,1] neg_hi:[0,1]
	v_mov_b32_e32 v30, v28
	v_pk_add_f32 v[20:21], v[30:31], v[18:19]
	s_nop 0
	v_mov_b32_e32 v22, v21
	v_pk_add_f32 v[22:23], v[20:21], v[22:23]
	s_nop 0
	v_pk_add_f32 v[24:25], v[14:15], v[22:23]
	v_mov_b32_e32 v19, v22
	v_mov_b32_e32 v21, v24
	v_pk_add_f32 v[26:27], v[20:21], v[28:29] neg_lo:[0,1] neg_hi:[0,1]
	s_nop 0
	v_sub_f32_e32 v13, v20, v26
	v_pk_add_f32 v[18:19], v[18:19], v[26:27] neg_lo:[0,1] neg_hi:[0,1]
	v_sub_f32_e32 v13, v28, v13
	v_add_f32_e32 v13, v18, v13
	v_add_f32_e32 v13, v13, v19
	;; [unrolled: 1-line block ×3, first 2 shown]
	v_cndmask_b32_e32 v59, v13, v32, vcc
.LBB37_30:                              ;   in Loop: Header=BB37_12 Depth=1
	s_or_b64 exec, exec, s[28:29]
	v_lshlrev_b32_e32 v13, 16, v15
	v_add_f32_e32 v19, s33, v13
	v_cmp_ge_f32_e32 vcc, s83, v19
	s_and_b64 s[26:27], s[60:61], vcc
	s_and_saveexec_b64 s[28:29], s[26:27]
	s_cbranch_execz .LBB37_32
; %bb.31:                               ;   in Loop: Header=BB37_12 Depth=1
	v_mul_f32_e32 v13, 0x3fb8aa3b, v19
	v_rndne_f32_e32 v14, v13
	v_sub_f32_e32 v18, v13, v14
	v_fma_f32 v13, v19, s84, -v13
	v_fmac_f32_e32 v13, 0x32a5705f, v19
	v_add_f32_e32 v13, v18, v13
	v_cvt_i32_f32_e32 v14, v14
	v_exp_f32_e32 v13, v13
	v_cmp_ngt_f32_e32 vcc, s85, v19
	v_ldexp_f32 v13, v13, v14
	s_nop 0
	v_cndmask_b32_e32 v13, 0, v13, vcc
	v_cmp_nlt_f32_e32 vcc, s86, v19
	s_nop 1
	v_cndmask_b32_e32 v32, v54, v13, vcc
	v_add_f32_e32 v13, 1.0, v32
	v_add_f32_e32 v14, -1.0, v13
	v_sub_f32_e32 v18, v14, v13
	v_add_f32_e32 v18, 1.0, v18
	v_sub_f32_e32 v14, v32, v14
	v_add_f32_e32 v14, v14, v18
	v_frexp_mant_f32_e32 v20, v13
	v_cvt_f64_f32_e32 v[18:19], v13
	v_frexp_exp_i32_f64_e32 v18, v[18:19]
	v_cmp_gt_f32_e32 vcc, s88, v20
	v_cmp_gt_f32_e64 s[26:27], s90, v32
	s_nop 0
	v_subbrev_co_u32_e32 v26, vcc, 0, v18, vcc
	v_sub_u32_e32 v18, 0, v26
	v_ldexp_f32 v13, v13, v18
	v_ldexp_f32 v14, v14, v18
	v_add_f32_e32 v18, -1.0, v13
	v_add_f32_e32 v19, 1.0, v18
	v_sub_f32_e32 v19, v13, v19
	v_add_f32_e32 v20, v14, v19
	v_add_f32_e32 v19, 1.0, v13
	v_add_f32_e32 v21, -1.0, v19
	v_sub_f32_e32 v13, v13, v21
	v_add_f32_e32 v13, v14, v13
	v_add_f32_e32 v14, v19, v13
	v_rcp_f32_e32 v27, v14
	v_sub_f32_e32 v19, v19, v14
	v_add_f32_e32 v13, v13, v19
	v_add_f32_e32 v19, v18, v20
	v_sub_f32_e32 v18, v18, v19
	v_mul_f32_e32 v29, v19, v27
	v_add_f32_e32 v28, v20, v18
	v_mul_f32_e32 v20, v14, v29
	v_fma_f32 v22, v29, v14, -v20
	v_fmac_f32_e32 v22, v29, v13
	v_add_f32_e32 v18, v20, v22
	v_sub_f32_e32 v21, v19, v18
	v_pk_add_f32 v[24:25], v[18:19], v[20:21] neg_lo:[0,1] neg_hi:[0,1]
	v_mov_b32_e32 v23, v18
	v_pk_add_f32 v[18:19], v[24:25], v[22:23] neg_lo:[0,1] neg_hi:[0,1]
	v_cmp_eq_f32_e32 vcc, s87, v32
	v_add_f32_e32 v19, v28, v19
	v_add_f32_e32 v18, v18, v19
	v_add_f32_e32 v19, v21, v18
	v_mul_f32_e32 v28, v27, v19
	v_mul_f32_e32 v20, v14, v28
	v_fma_f32 v22, v28, v14, -v20
	v_fmac_f32_e32 v22, v28, v13
	v_sub_f32_e32 v13, v21, v19
	v_add_f32_e32 v13, v18, v13
	v_add_f32_e32 v18, v20, v22
	v_sub_f32_e32 v21, v19, v18
	v_pk_add_f32 v[24:25], v[18:19], v[20:21] neg_lo:[0,1] neg_hi:[0,1]
	v_mov_b32_e32 v23, v18
	v_pk_add_f32 v[18:19], v[24:25], v[22:23] neg_lo:[0,1] neg_hi:[0,1]
	v_add_f32_e32 v14, v29, v28
	v_add_f32_e32 v13, v13, v19
	;; [unrolled: 1-line block ×4, first 2 shown]
	v_sub_f32_e32 v18, v14, v29
	v_mul_f32_e32 v13, v27, v13
	v_sub_f32_e32 v18, v28, v18
	v_add_f32_e32 v19, v18, v13
	v_add_f32_e32 v20, v14, v19
	v_cvt_f32_i32_e32 v18, v26
	v_mul_f32_e32 v22, v20, v20
	v_fmamk_f32 v13, v22, 0x3e9b6dac, v53
	v_sub_f32_e32 v14, v20, v14
	v_fmaak_f32 v13, v22, v13, 0x3f2aaada
	v_sub_f32_e32 v14, v19, v14
	v_mul_f32_e32 v19, v20, v22
	v_pk_mul_f32 v[22:23], v[18:19], v[12:13]
	v_ldexp_f32 v21, v20, 1
	v_fma_f32 v20, v18, s89, -v22
	v_fmac_f32_e32 v20, 0xb102e308, v18
	v_pk_add_f32 v[18:19], v[22:23], v[20:21]
	v_ldexp_f32 v14, v14, 1
	v_sub_f32_e32 v13, v19, v21
	v_sub_f32_e32 v13, v23, v13
	v_add_f32_e32 v25, v14, v13
	v_mov_b32_e32 v24, v22
	v_pk_add_f32 v[22:23], v[18:19], v[22:23] neg_lo:[0,1] neg_hi:[0,1]
	v_pk_add_f32 v[26:27], v[18:19], v[24:25]
	v_mov_b32_e32 v21, v18
	v_mov_b32_e32 v23, v27
	v_pk_add_f32 v[28:29], v[20:21], v[22:23] neg_lo:[0,1] neg_hi:[0,1]
	v_pk_add_f32 v[20:21], v[20:21], v[22:23]
	s_or_b64 vcc, s[26:27], vcc
	v_mov_b32_e32 v14, v21
	v_pk_add_f32 v[22:23], v[14:15], v[18:19] neg_lo:[0,1] neg_hi:[0,1]
	v_mov_b32_e32 v20, v27
	v_mov_b32_e32 v13, v22
	v_pk_add_f32 v[30:31], v[26:27], v[12:13] neg_lo:[0,1] neg_hi:[0,1]
	v_mov_b32_e32 v26, v19
	v_mov_b32_e32 v27, v22
	;; [unrolled: 1-line block ×3, first 2 shown]
	v_pk_add_f32 v[20:21], v[20:21], v[26:27] neg_lo:[0,1] neg_hi:[0,1]
	v_mov_b32_e32 v22, v25
	v_mov_b32_e32 v23, v18
	v_pk_add_f32 v[18:19], v[22:23], v[20:21] neg_lo:[0,1] neg_hi:[0,1]
	v_mov_b32_e32 v30, v28
	v_pk_add_f32 v[20:21], v[30:31], v[18:19]
	s_nop 0
	v_mov_b32_e32 v22, v21
	v_pk_add_f32 v[22:23], v[20:21], v[22:23]
	s_nop 0
	v_pk_add_f32 v[24:25], v[14:15], v[22:23]
	v_mov_b32_e32 v19, v22
	v_mov_b32_e32 v21, v24
	v_pk_add_f32 v[26:27], v[20:21], v[28:29] neg_lo:[0,1] neg_hi:[0,1]
	s_nop 0
	v_sub_f32_e32 v13, v20, v26
	v_pk_add_f32 v[18:19], v[18:19], v[26:27] neg_lo:[0,1] neg_hi:[0,1]
	v_sub_f32_e32 v13, v28, v13
	v_add_f32_e32 v13, v18, v13
	v_add_f32_e32 v13, v13, v19
	;; [unrolled: 1-line block ×3, first 2 shown]
	v_cndmask_b32_e32 v19, v13, v32, vcc
.LBB37_32:                              ;   in Loop: Header=BB37_12 Depth=1
	s_or_b64 exec, exec, s[28:29]
	v_and_b32_e32 v13, 0xffff0000, v15
	v_add_f32_e32 v18, s33, v13
	v_cmp_ge_f32_e32 vcc, s83, v18
	s_and_b64 s[26:27], s[60:61], vcc
	s_and_saveexec_b64 s[28:29], s[26:27]
	s_cbranch_execz .LBB37_34
; %bb.33:                               ;   in Loop: Header=BB37_12 Depth=1
	v_mul_f32_e32 v13, 0x3fb8aa3b, v18
	v_rndne_f32_e32 v14, v13
	v_sub_f32_e32 v15, v13, v14
	v_fma_f32 v13, v18, s84, -v13
	v_fmac_f32_e32 v13, 0x32a5705f, v18
	v_add_f32_e32 v13, v15, v13
	v_cvt_i32_f32_e32 v14, v14
	v_exp_f32_e32 v13, v13
	v_cmp_ngt_f32_e32 vcc, s85, v18
	v_ldexp_f32 v13, v13, v14
	s_nop 0
	v_cndmask_b32_e32 v13, 0, v13, vcc
	v_cmp_nlt_f32_e32 vcc, s86, v18
	s_nop 1
	v_cndmask_b32_e32 v32, v54, v13, vcc
	v_add_f32_e32 v13, 1.0, v32
	v_add_f32_e32 v14, -1.0, v13
	v_sub_f32_e32 v15, v14, v13
	v_add_f32_e32 v15, 1.0, v15
	v_sub_f32_e32 v14, v32, v14
	v_add_f32_e32 v18, v14, v15
	v_frexp_mant_f32_e32 v20, v13
	v_cvt_f64_f32_e32 v[14:15], v13
	v_frexp_exp_i32_f64_e32 v14, v[14:15]
	v_cmp_gt_f32_e32 vcc, s88, v20
	v_cmp_gt_f32_e64 s[26:27], s90, v32
	s_nop 0
	v_subbrev_co_u32_e32 v26, vcc, 0, v14, vcc
	v_sub_u32_e32 v14, 0, v26
	v_ldexp_f32 v13, v13, v14
	v_ldexp_f32 v14, v18, v14
	v_add_f32_e32 v18, -1.0, v13
	v_add_f32_e32 v15, 1.0, v18
	v_sub_f32_e32 v15, v13, v15
	v_add_f32_e32 v20, v14, v15
	v_add_f32_e32 v15, 1.0, v13
	v_add_f32_e32 v21, -1.0, v15
	v_sub_f32_e32 v13, v13, v21
	v_add_f32_e32 v13, v14, v13
	v_add_f32_e32 v27, v15, v13
	v_rcp_f32_e32 v28, v27
	v_sub_f32_e32 v14, v15, v27
	v_add_f32_e32 v15, v18, v20
	v_add_f32_e32 v13, v13, v14
	v_sub_f32_e32 v14, v18, v15
	v_mul_f32_e32 v29, v15, v28
	v_add_f32_e32 v18, v20, v14
	v_mul_f32_e32 v20, v27, v29
	v_fma_f32 v22, v29, v27, -v20
	v_fmac_f32_e32 v22, v29, v13
	v_add_f32_e32 v14, v20, v22
	v_sub_f32_e32 v21, v15, v14
	v_pk_add_f32 v[24:25], v[14:15], v[20:21] neg_lo:[0,1] neg_hi:[0,1]
	v_mov_b32_e32 v23, v14
	v_pk_add_f32 v[14:15], v[24:25], v[22:23] neg_lo:[0,1] neg_hi:[0,1]
	v_cmp_eq_f32_e32 vcc, s87, v32
	v_add_f32_e32 v15, v18, v15
	v_add_f32_e32 v14, v14, v15
	;; [unrolled: 1-line block ×3, first 2 shown]
	v_mul_f32_e32 v18, v28, v15
	v_mul_f32_e32 v20, v27, v18
	v_fma_f32 v22, v18, v27, -v20
	v_fmac_f32_e32 v22, v18, v13
	v_sub_f32_e32 v13, v21, v15
	v_add_f32_e32 v13, v14, v13
	v_add_f32_e32 v14, v20, v22
	v_sub_f32_e32 v21, v15, v14
	v_pk_add_f32 v[24:25], v[14:15], v[20:21] neg_lo:[0,1] neg_hi:[0,1]
	v_mov_b32_e32 v23, v14
	v_pk_add_f32 v[14:15], v[24:25], v[22:23] neg_lo:[0,1] neg_hi:[0,1]
	s_or_b64 vcc, s[26:27], vcc
	v_add_f32_e32 v13, v13, v15
	v_add_f32_e32 v13, v14, v13
	;; [unrolled: 1-line block ×4, first 2 shown]
	v_sub_f32_e32 v14, v15, v29
	v_mul_f32_e32 v13, v28, v13
	v_sub_f32_e32 v14, v18, v14
	v_add_f32_e32 v18, v14, v13
	v_add_f32_e32 v20, v15, v18
	v_cvt_f32_i32_e32 v14, v26
	v_mul_f32_e32 v22, v20, v20
	v_sub_f32_e32 v15, v20, v15
	v_fmamk_f32 v13, v22, 0x3e9b6dac, v53
	v_sub_f32_e32 v15, v18, v15
	v_fmaak_f32 v13, v22, v13, 0x3f2aaada
	v_ldexp_f32 v18, v15, 1
	v_mul_f32_e32 v15, v20, v22
	v_pk_mul_f32 v[22:23], v[14:15], v[12:13]
	v_ldexp_f32 v21, v20, 1
	v_fma_f32 v20, v14, s89, -v22
	v_fmac_f32_e32 v20, 0xb102e308, v14
	v_pk_add_f32 v[14:15], v[22:23], v[20:21]
	v_mov_b32_e32 v24, v22
	v_sub_f32_e32 v13, v15, v21
	v_sub_f32_e32 v13, v23, v13
	v_add_f32_e32 v25, v18, v13
	v_pk_add_f32 v[22:23], v[14:15], v[22:23] neg_lo:[0,1] neg_hi:[0,1]
	v_pk_add_f32 v[26:27], v[14:15], v[24:25]
	v_mov_b32_e32 v21, v14
	v_mov_b32_e32 v23, v27
	v_pk_add_f32 v[28:29], v[20:21], v[22:23] neg_lo:[0,1] neg_hi:[0,1]
	v_pk_add_f32 v[20:21], v[20:21], v[22:23]
	s_nop 0
	v_mov_b32_e32 v18, v21
	v_pk_add_f32 v[22:23], v[18:19], v[14:15] neg_lo:[0,1] neg_hi:[0,1]
	v_mov_b32_e32 v20, v27
	v_mov_b32_e32 v13, v22
	v_pk_add_f32 v[30:31], v[26:27], v[12:13] neg_lo:[0,1] neg_hi:[0,1]
	v_mov_b32_e32 v26, v15
	v_mov_b32_e32 v27, v22
	;; [unrolled: 1-line block ×3, first 2 shown]
	v_pk_add_f32 v[20:21], v[20:21], v[26:27] neg_lo:[0,1] neg_hi:[0,1]
	v_mov_b32_e32 v22, v25
	v_mov_b32_e32 v23, v14
	v_pk_add_f32 v[14:15], v[22:23], v[20:21] neg_lo:[0,1] neg_hi:[0,1]
	v_mov_b32_e32 v30, v28
	v_pk_add_f32 v[20:21], v[30:31], v[14:15]
	s_nop 0
	v_mov_b32_e32 v22, v21
	v_pk_add_f32 v[22:23], v[20:21], v[22:23]
	s_nop 0
	v_pk_add_f32 v[24:25], v[18:19], v[22:23]
	v_mov_b32_e32 v15, v22
	v_mov_b32_e32 v21, v24
	v_pk_add_f32 v[26:27], v[20:21], v[28:29] neg_lo:[0,1] neg_hi:[0,1]
	s_nop 0
	v_sub_f32_e32 v13, v20, v26
	v_pk_add_f32 v[14:15], v[14:15], v[26:27] neg_lo:[0,1] neg_hi:[0,1]
	v_sub_f32_e32 v13, v28, v13
	v_add_f32_e32 v13, v14, v13
	v_add_f32_e32 v13, v13, v15
	;; [unrolled: 1-line block ×3, first 2 shown]
	v_cndmask_b32_e32 v18, v13, v32, vcc
.LBB37_34:                              ;   in Loop: Header=BB37_12 Depth=1
	s_or_b64 exec, exec, s[28:29]
	v_lshlrev_b32_e32 v24, 16, v17
	v_and_b32_e32 v13, 0xffff0000, v17
	v_and_b32_e32 v25, 0xffff0000, v16
	v_lshlrev_b32_e32 v26, 16, v16
	v_mul_f32_e32 v14, s78, v24
	v_mul_f32_e32 v17, s78, v25
	;; [unrolled: 1-line block ×4, first 2 shown]
	s_and_b64 vcc, exec, s[62:63]
	s_waitcnt lgkmcnt(0)
	; wave barrier
	s_cbranch_vccz .LBB37_76
; %bb.35:                               ;   in Loop: Header=BB37_12 Depth=1
	s_cmp_lg_u32 s98, 0
	s_cselect_b64 s[66:67], -1, 0
	s_cmp_eq_u32 s98, s82
	v_cmp_gt_u32_e32 vcc, s34, v11
	s_cselect_b64 s[68:69], -1, 0
	s_or_b64 s[26:27], s[54:55], vcc
	v_cmp_gt_u32_e32 vcc, s34, v10
	s_mov_b32 s58, 0
	v_cmp_gt_u32_e64 s[28:29], s34, v3
	s_or_b64 s[30:31], s[54:55], vcc
	v_cmp_gt_u32_e32 vcc, s34, v52
	v_mul_f32_e32 v13, v18, v13
	v_lshl_add_u64 v[20:21], s[42:43], 0, v[0:1]
	v_lshl_add_u64 v[22:23], s[46:47], 0, v[0:1]
	v_mul_f32_e32 v60, v19, v24
	v_mul_f32_e32 v61, v59, v25
	;; [unrolled: 1-line block ×3, first 2 shown]
	s_or_b64 s[28:29], s[54:55], s[28:29]
	s_or_b64 s[34:35], s[54:55], vcc
	s_mov_b32 s70, s58
	s_mov_b32 s72, s58
	;; [unrolled: 1-line block ×5, first 2 shown]
	s_branch .LBB37_37
.LBB37_36:                              ;   in Loop: Header=BB37_37 Depth=2
	s_or_b64 exec, exec, s[36:37]
	v_mul_f32_e32 v26, v33, v32
	v_fma_f32 v27, v33, v35, v28
	v_cndmask_b32_e64 v28, v27, v28, s[16:17]
	v_cndmask_b32_e64 v26, v26, v33, s[16:17]
	s_waitcnt lgkmcnt(0)
	v_fmac_f32_e32 v28, v38, v26
	v_fmac_f32_e32 v29, v28, v31
	;; [unrolled: 1-line block ×4, first 2 shown]
	v_and_b32_e32 v27, 0xffff0000, v24
	v_and_b32_e32 v33, 0xffff0000, v25
	v_lshlrev_b32_e32 v26, 16, v24
	v_lshlrev_b32_e32 v32, 16, v25
	v_mov_b32_e32 v31, v34
	s_add_i32 s99, s99, 8
	s_add_i32 s65, s65, -1
	s_add_i32 s74, s74, s79
	s_add_i32 s72, s72, s48
	;; [unrolled: 1-line block ×4, first 2 shown]
	v_pk_fma_f32 v[14:15], v[30:31], v[32:33], v[14:15]
	s_cmp_eq_u32 s65, 0
	v_pk_fma_f32 v[16:17], v[28:29], v[26:27], v[16:17]
	s_cbranch_scc1 .LBB37_76
.LBB37_37:                              ;   Parent Loop BB37_12 Depth=1
                                        ; =>  This Inner Loop Header: Depth=2
	s_lshl_b64 s[36:37], s[58:59], 2
	s_add_u32 s36, s40, s36
	s_addc_u32 s37, s80, s37
	global_load_dword v30, v1, s[36:37]
	s_mov_b32 s71, s59
	v_lshl_add_u64 v[24:25], s[70:71], 1, v[20:21]
	v_mov_b32_e32 v26, 0
	v_mov_b32_e32 v27, 0
	s_and_saveexec_b64 s[36:37], s[18:19]
	s_cbranch_execz .LBB37_39
; %bb.38:                               ;   in Loop: Header=BB37_37 Depth=2
	global_load_ushort v27, v[24:25], off
.LBB37_39:                              ;   in Loop: Header=BB37_37 Depth=2
	s_or_b64 exec, exec, s[36:37]
	s_and_saveexec_b64 s[36:37], s[20:21]
	s_cbranch_execz .LBB37_41
; %bb.40:                               ;   in Loop: Header=BB37_37 Depth=2
	global_load_ushort v26, v[24:25], off offset:128
.LBB37_41:                              ;   in Loop: Header=BB37_37 Depth=2
	s_or_b64 exec, exec, s[36:37]
	v_mov_b32_e32 v28, 0
	v_mov_b32_e32 v29, 0
	s_and_saveexec_b64 s[36:37], s[22:23]
	s_cbranch_execz .LBB37_43
; %bb.42:                               ;   in Loop: Header=BB37_37 Depth=2
	global_load_ushort v29, v[24:25], off offset:256
.LBB37_43:                              ;   in Loop: Header=BB37_37 Depth=2
	s_or_b64 exec, exec, s[36:37]
	s_and_saveexec_b64 s[36:37], s[24:25]
	s_cbranch_execz .LBB37_45
; %bb.44:                               ;   in Loop: Header=BB37_37 Depth=2
	global_load_ushort v28, v[24:25], off offset:384
.LBB37_45:                              ;   in Loop: Header=BB37_37 Depth=2
	s_or_b64 exec, exec, s[36:37]
	s_waitcnt vmcnt(0)
	ds_write_b16 v43, v27
	ds_write_b16 v44, v26 offset:128
	ds_write_b16 v45, v29 offset:256
	;; [unrolled: 1-line block ×3, first 2 shown]
	; wave barrier
	ds_read_b64 v[28:29], v47
	s_mov_b32 s73, s59
	v_lshl_add_u64 v[24:25], s[72:73], 1, v[22:23]
	v_mov_b32_e32 v26, 0
	v_mov_b32_e32 v27, 0
	s_and_saveexec_b64 s[36:37], s[18:19]
	s_cbranch_execz .LBB37_47
; %bb.46:                               ;   in Loop: Header=BB37_37 Depth=2
	global_load_ushort v27, v[24:25], off
.LBB37_47:                              ;   in Loop: Header=BB37_37 Depth=2
	s_or_b64 exec, exec, s[36:37]
	s_and_saveexec_b64 s[36:37], s[20:21]
	s_cbranch_execz .LBB37_49
; %bb.48:                               ;   in Loop: Header=BB37_37 Depth=2
	global_load_ushort v26, v[24:25], off offset:128
.LBB37_49:                              ;   in Loop: Header=BB37_37 Depth=2
	s_or_b64 exec, exec, s[36:37]
	v_mov_b32_e32 v31, 0
	v_mov_b32_e32 v32, 0
	s_and_saveexec_b64 s[36:37], s[22:23]
	s_cbranch_execz .LBB37_51
; %bb.50:                               ;   in Loop: Header=BB37_37 Depth=2
	global_load_ushort v32, v[24:25], off offset:256
.LBB37_51:                              ;   in Loop: Header=BB37_37 Depth=2
	s_or_b64 exec, exec, s[36:37]
	s_and_saveexec_b64 s[36:37], s[24:25]
	s_cbranch_execz .LBB37_53
; %bb.52:                               ;   in Loop: Header=BB37_37 Depth=2
	global_load_ushort v31, v[24:25], off offset:384
.LBB37_53:                              ;   in Loop: Header=BB37_37 Depth=2
	s_or_b64 exec, exec, s[36:37]
	s_waitcnt vmcnt(0)
	ds_write_b16 v43, v27 offset:528
	ds_write_b16 v48, v26 offset:128
	;; [unrolled: 1-line block ×4, first 2 shown]
	; wave barrier
	ds_read_b64 v[24:25], v47 offset:528
	s_andn2_b64 vcc, exec, s[66:67]
	s_cbranch_vccnz .LBB37_55
; %bb.54:                               ;   in Loop: Header=BB37_37 Depth=2
	v_mov_b32_e32 v26, s99
	ds_read_b64 v[26:27], v26
	s_cbranch_execz .LBB37_56
	s_branch .LBB37_59
.LBB37_55:                              ;   in Loop: Header=BB37_37 Depth=2
                                        ; implicit-def: $vgpr27
.LBB37_56:                              ;   in Loop: Header=BB37_37 Depth=2
	s_andn2_b64 vcc, exec, s[38:39]
	s_waitcnt lgkmcnt(0)
	v_mov_b32_e32 v27, 0
	s_cbranch_vccnz .LBB37_58
; %bb.57:                               ;   in Loop: Header=BB37_37 Depth=2
	s_mov_b32 s75, s59
	s_lshl_b64 s[36:37], s[74:75], 2
	s_add_u32 s36, s45, s36
	s_addc_u32 s37, s49, s37
	global_load_dword v27, v1, s[36:37]
.LBB37_58:                              ;   in Loop: Header=BB37_37 Depth=2
	v_mov_b32_e32 v26, 1.0
.LBB37_59:                              ;   in Loop: Header=BB37_37 Depth=2
	v_mul_f32_e32 v30, 0x3fb8aa3b, v30
	s_waitcnt lgkmcnt(5)
	v_lshlrev_b32_e32 v31, 16, v28
	v_and_b32_e32 v32, 0xffff0000, v28
	v_mul_f32_e32 v28, v30, v58
	v_cmp_gt_f32_e32 vcc, s92, v28
	v_lshlrev_b32_e32 v36, 16, v29
	v_and_b32_e32 v37, 0xffff0000, v29
	v_cndmask_b32_e32 v28, 0, v55, vcc
	v_fmac_f32_e32 v28, v30, v58
	v_exp_f32_e32 v28, v28
	v_cndmask_b32_e32 v29, 1.0, v56, vcc
	v_mul_f32_e32 v29, v28, v29
	v_mul_f32_e32 v28, v62, v31
	;; [unrolled: 1-line block ×3, first 2 shown]
	v_cmp_gt_f32_e32 vcc, s92, v31
	v_cndmask_b32_e64 v33, 1.0, v29, s[26:27]
	v_cndmask_b32_e64 v28, 0, v28, s[26:27]
	v_cndmask_b32_e32 v31, 0, v55, vcc
	v_fmac_f32_e32 v31, v30, v59
	v_exp_f32_e32 v31, v31
	v_cndmask_b32_e32 v29, 1.0, v56, vcc
	v_mul_f32_e32 v31, v31, v29
	v_pk_mul_f32 v[34:35], v[30:31], v[18:19] op_sel_hi:[0,1]
	v_cmp_gt_f32_e32 vcc, s92, v34
	v_mul_f32_e32 v29, v61, v32
	v_cmp_gt_f32_e64 s[36:37], s92, v35
	v_cndmask_b32_e32 v32, 0, v55, vcc
	v_add_f32_e32 v32, v34, v32
	v_cndmask_b32_e64 v34, 0, v55, s[36:37]
	v_exp_f32_e32 v32, v32
	v_add_f32_e32 v34, v35, v34
	v_exp_f32_e32 v34, v34
	v_cndmask_b32_e32 v35, 1.0, v56, vcc
	v_mul_f32_e32 v32, v32, v35
	v_cndmask_b32_e64 v35, 1.0, v56, s[36:37]
	v_cndmask_b32_e64 v29, 0, v29, s[28:29]
	v_cndmask_b32_e64 v31, 1.0, v31, s[28:29]
	v_mul_f32_e32 v35, v34, v35
	v_mul_f32_e32 v30, v60, v36
	;; [unrolled: 1-line block ×3, first 2 shown]
	v_cndmask_b32_e64 v37, 1.0, v35, s[30:31]
	v_cndmask_b32_e64 v36, 1.0, v32, s[34:35]
	v_fma_f32 v32, v31, v28, v29
	v_cndmask_b32_e64 v30, 0, v30, s[30:31]
	v_mul_f32_e32 v32, v32, v37
	v_pk_add_f32 v[38:39], v[32:33], v[30:31]
	v_pk_mul_f32 v[64:65], v[32:33], v[30:31]
	v_cndmask_b32_e64 v34, 0, v34, s[34:35]
	v_mov_b32_e32 v39, v65
	v_pk_mul_f32 v[64:65], v[38:39], v[36:37]
	v_mov_b32_e32 v35, v36
	v_pk_fma_f32 v[66:67], v[38:39], v[36:37], v[34:35]
	v_pk_mul_f32 v[64:65], v[64:65], v[34:35]
	s_nop 0
	v_mov_b32_dpp v35, v66 row_shr:1 row_mask:0xf bank_mask:0xf
	v_mov_b32_dpp v32, v65 row_shr:1 row_mask:0xf bank_mask:0xf
	v_mul_f32_e32 v63, v65, v32
	v_fma_f32 v32, v65, v35, v66
	v_cndmask_b32_e64 v39, v32, v66, s[0:1]
	v_cndmask_b32_e64 v32, v32, v66, s[0:1]
	;; [unrolled: 1-line block ×4, first 2 shown]
	v_mov_b32_dpp v64, v32 row_shr:2 row_mask:0xf bank_mask:0xf
	v_mov_b32_dpp v63, v35 row_shr:2 row_mask:0xf bank_mask:0xf
	s_and_saveexec_b64 s[36:37], s[2:3]
; %bb.60:                               ;   in Loop: Header=BB37_37 Depth=2
	v_fmac_f32_e32 v32, v35, v64
	v_mul_f32_e32 v35, v35, v63
	v_mov_b32_e32 v38, v35
	v_mov_b32_e32 v39, v32
; %bb.61:                               ;   in Loop: Header=BB37_37 Depth=2
	s_or_b64 exec, exec, s[36:37]
	v_mov_b32_dpp v63, v35 row_shr:4 row_mask:0xf bank_mask:0xf
	v_mov_b32_dpp v64, v32 row_shr:4 row_mask:0xf bank_mask:0xf
	s_and_saveexec_b64 s[36:37], s[4:5]
; %bb.62:                               ;   in Loop: Header=BB37_37 Depth=2
	v_fmac_f32_e32 v32, v35, v64
	v_mul_f32_e32 v35, v35, v63
	v_mov_b32_e32 v38, v35
	v_mov_b32_e32 v39, v32
; %bb.63:                               ;   in Loop: Header=BB37_37 Depth=2
	s_or_b64 exec, exec, s[36:37]
	v_mov_b32_dpp v63, v35 row_shr:8 row_mask:0xf bank_mask:0xf
	v_mov_b32_dpp v64, v32 row_shr:8 row_mask:0xf bank_mask:0xf
	s_and_saveexec_b64 s[36:37], s[6:7]
; %bb.64:                               ;   in Loop: Header=BB37_37 Depth=2
	v_fmac_f32_e32 v32, v35, v64
	v_mul_f32_e32 v35, v35, v63
	v_mov_b32_e32 v38, v35
	v_mov_b32_e32 v39, v32
; %bb.65:                               ;   in Loop: Header=BB37_37 Depth=2
	s_or_b64 exec, exec, s[36:37]
	v_mov_b32_dpp v63, v35 row_bcast:15 row_mask:0xf bank_mask:0xf
	v_mov_b32_dpp v64, v32 row_bcast:15 row_mask:0xf bank_mask:0xf
	s_and_saveexec_b64 s[36:37], s[8:9]
; %bb.66:                               ;   in Loop: Header=BB37_37 Depth=2
	v_fmac_f32_e32 v32, v35, v64
	v_mul_f32_e32 v35, v35, v63
	v_mov_b32_e32 v38, v35
	v_mov_b32_e32 v39, v32
; %bb.67:                               ;   in Loop: Header=BB37_37 Depth=2
	s_or_b64 exec, exec, s[36:37]
	v_mov_b32_dpp v63, v35 row_bcast:31 row_mask:0xf bank_mask:0xf
	v_mov_b32_dpp v64, v32 row_bcast:31 row_mask:0xf bank_mask:0xf
	v_mul_f32_e32 v63, v35, v63
	v_fmac_f32_e32 v32, v35, v64
	v_cndmask_b32_e64 v38, v38, v63, s[10:11]
	v_cndmask_b32_e64 v39, v39, v32, s[10:11]
	s_and_saveexec_b64 s[36:37], s[12:13]
	s_cbranch_execz .LBB37_69
; %bb.68:                               ;   in Loop: Header=BB37_37 Depth=2
	ds_write_b64 v1, v[38:39] offset:1056
.LBB37_69:                              ;   in Loop: Header=BB37_37 Depth=2
	s_or_b64 exec, exec, s[36:37]
	ds_bpermute_b32 v32, v51, v38
	ds_bpermute_b32 v35, v51, v39
	s_waitcnt vmcnt(0) lgkmcnt(2)
	v_mov_b32_e32 v39, v27
	s_waitcnt lgkmcnt(0)
	; wave barrier
	s_waitcnt lgkmcnt(0)
	s_and_saveexec_b64 s[36:37], s[14:15]
	s_cbranch_execz .LBB37_73
; %bb.70:                               ;   in Loop: Header=BB37_37 Depth=2
	ds_read_b64 v[38:39], v1 offset:1056
	s_and_saveexec_b64 s[76:77], s[16:17]
	s_cbranch_execz .LBB37_72
; %bb.71:                               ;   in Loop: Header=BB37_37 Depth=2
	ds_write_b64 v1, v[26:27] offset:1056
.LBB37_72:                              ;   in Loop: Header=BB37_37 Depth=2
	s_or_b64 exec, exec, s[76:77]
	s_waitcnt lgkmcnt(0)
	v_fmac_f32_e32 v39, v27, v38
	v_mul_f32_e32 v26, v26, v38
	v_mov_b32_e32 v27, v39
.LBB37_73:                              ;   in Loop: Header=BB37_37 Depth=2
	s_or_b64 exec, exec, s[36:37]
	s_waitcnt lgkmcnt(0)
	; wave barrier
	ds_read_b32 v38, v1 offset:1060
	s_and_saveexec_b64 s[36:37], s[16:17]
	s_cbranch_execz .LBB37_36
; %bb.74:                               ;   in Loop: Header=BB37_37 Depth=2
	v_mov_b32_e32 v63, s99
	s_andn2_b64 vcc, exec, s[68:69]
	ds_write_b64 v63, v[26:27]
	s_cbranch_vccnz .LBB37_36
; %bb.75:                               ;   in Loop: Header=BB37_37 Depth=2
	s_mov_b32 s75, s59
	s_lshl_b64 s[76:77], s[74:75], 2
	s_add_u32 s76, s45, s76
	s_addc_u32 s77, s49, s77
	global_store_dword v1, v39, s[76:77]
	s_branch .LBB37_36
.LBB37_76:                              ;   in Loop: Header=BB37_12 Depth=1
	v_bfe_u32 v13, v14, 16, 1
	v_bfe_u32 v18, v15, 16, 1
	v_add3_u32 v13, v14, v13, s93
	v_bfe_u32 v19, v16, 16, 1
	v_add3_u32 v18, v15, v18, s93
	v_lshrrev_b32_e32 v13, 16, v13
	v_cmp_o_f32_e32 vcc, v14, v14
	v_bfe_u32 v20, v17, 16, 1
	v_add3_u32 v19, v16, v19, s93
	v_lshrrev_b32_e32 v18, 16, v18
	v_cndmask_b32_e32 v13, v57, v13, vcc
	v_cmp_o_f32_e32 vcc, v15, v15
	v_add3_u32 v20, v17, v20, s93
	v_lshrrev_b32_e32 v21, 16, v19
	v_cndmask_b32_e32 v18, v57, v18, vcc
	v_cmp_o_f32_e32 vcc, v16, v16
	v_lshrrev_b32_e32 v20, 16, v20
	v_perm_b32 v19, v18, v13, s94
	v_cndmask_b32_e32 v13, v57, v21, vcc
	v_cmp_o_f32_e32 vcc, v17, v17
	s_waitcnt lgkmcnt(0)
	; wave barrier
	s_nop 0
	v_cndmask_b32_e32 v18, v57, v20, vcc
	v_perm_b32 v18, v18, v13, s94
	ds_write_b64 v47, v[18:19]
	; wave barrier
	ds_read_u16 v21, v44 offset:128
	ds_read_u16 v20, v45 offset:256
	;; [unrolled: 1-line block ×3, first 2 shown]
	s_mov_b32 s65, s59
	v_lshl_add_u64 v[18:19], s[64:65], 1, v[4:5]
	s_and_saveexec_b64 s[26:27], s[18:19]
	s_cbranch_execnz .LBB37_95
; %bb.77:                               ;   in Loop: Header=BB37_12 Depth=1
	s_or_b64 exec, exec, s[26:27]
	s_and_saveexec_b64 s[26:27], s[20:21]
	s_cbranch_execnz .LBB37_96
.LBB37_78:                              ;   in Loop: Header=BB37_12 Depth=1
	s_or_b64 exec, exec, s[26:27]
	s_and_saveexec_b64 s[26:27], s[22:23]
	s_cbranch_execnz .LBB37_97
.LBB37_79:                              ;   in Loop: Header=BB37_12 Depth=1
	s_or_b64 exec, exec, s[26:27]
	s_and_saveexec_b64 s[26:27], s[24:25]
	s_cbranch_execz .LBB37_81
.LBB37_80:                              ;   in Loop: Header=BB37_12 Depth=1
	s_waitcnt lgkmcnt(0)
	global_store_short v[18:19], v13, off offset:384
.LBB37_81:                              ;   in Loop: Header=BB37_12 Depth=1
	s_or_b64 exec, exec, s[26:27]
	v_lshl_add_u64 v[18:19], s[64:65], 1, v[6:7]
	s_waitcnt lgkmcnt(0)
	v_mov_b32_e32 v13, 0
	v_mov_b32_e32 v20, 0
	s_waitcnt lgkmcnt(0)
	; wave barrier
	s_and_saveexec_b64 s[26:27], s[18:19]
	s_cbranch_execz .LBB37_83
; %bb.82:                               ;   in Loop: Header=BB37_12 Depth=1
	global_load_ushort v20, v[18:19], off
.LBB37_83:                              ;   in Loop: Header=BB37_12 Depth=1
	s_or_b64 exec, exec, s[26:27]
	s_and_saveexec_b64 s[26:27], s[20:21]
	s_cbranch_execz .LBB37_85
; %bb.84:                               ;   in Loop: Header=BB37_12 Depth=1
	global_load_ushort v13, v[18:19], off offset:128
.LBB37_85:                              ;   in Loop: Header=BB37_12 Depth=1
	s_or_b64 exec, exec, s[26:27]
	v_mov_b32_e32 v21, 0
	v_mov_b32_e32 v22, 0
	s_and_saveexec_b64 s[26:27], s[22:23]
	s_cbranch_execz .LBB37_87
; %bb.86:                               ;   in Loop: Header=BB37_12 Depth=1
	global_load_ushort v22, v[18:19], off offset:256
.LBB37_87:                              ;   in Loop: Header=BB37_12 Depth=1
	s_or_b64 exec, exec, s[26:27]
	s_and_saveexec_b64 s[26:27], s[24:25]
	s_cbranch_execz .LBB37_89
; %bb.88:                               ;   in Loop: Header=BB37_12 Depth=1
	global_load_ushort v21, v[18:19], off offset:384
.LBB37_89:                              ;   in Loop: Header=BB37_12 Depth=1
	s_or_b64 exec, exec, s[26:27]
	s_waitcnt vmcnt(0)
	ds_write_b16 v43, v20
	ds_write_b16 v44, v13 offset:128
	ds_write_b16 v45, v22 offset:256
	;; [unrolled: 1-line block ×3, first 2 shown]
	; wave barrier
	ds_read_b64 v[18:19], v47
	s_waitcnt lgkmcnt(0)
	; wave barrier
	s_waitcnt lgkmcnt(0)
	v_and_b32_e32 v13, 0xffff0000, v19
	v_mul_f32_e32 v20, 0xbfb8aa3b, v13
	v_fma_f32 v21, v13, s95, -v20
	v_rndne_f32_e32 v22, v20
	v_fmac_f32_e32 v21, 0xb2a5705f, v13
	v_sub_f32_e32 v20, v20, v22
	v_add_f32_e32 v20, v20, v21
	v_exp_f32_e32 v20, v20
	v_cvt_i32_f32_e32 v21, v22
	v_and_b32_e32 v22, 0xffff0000, v18
	v_lshlrev_b32_e32 v24, 16, v19
	v_mul_f32_e32 v19, 0xbfb8aa3b, v22
	v_lshlrev_b32_e32 v23, 16, v18
	v_ldexp_f32 v18, v20, v21
	v_fma_f32 v20, v22, s95, -v19
	v_rndne_f32_e32 v21, v19
	v_fmac_f32_e32 v20, 0xb2a5705f, v22
	v_sub_f32_e32 v19, v19, v21
	v_add_f32_e32 v19, v19, v20
	v_exp_f32_e32 v20, v19
	v_cvt_i32_f32_e32 v21, v21
	v_cmp_nlt_f32_e32 vcc, s96, v13
	s_nop 1
	v_cndmask_b32_e32 v18, 0, v18, vcc
	v_cmp_ngt_f32_e32 vcc, s97, v13
	s_nop 1
	v_cndmask_b32_e32 v19, v54, v18, vcc
	v_ldexp_f32 v18, v20, v21
	v_mul_f32_e32 v20, 0xbfb8aa3b, v24
	v_rndne_f32_e32 v21, v20
	v_sub_f32_e32 v25, v20, v21
	v_fma_f32 v20, v24, s95, -v20
	v_fmac_f32_e32 v20, 0xb2a5705f, v24
	v_add_f32_e32 v20, v25, v20
	v_exp_f32_e32 v20, v20
	v_cvt_i32_f32_e32 v25, v21
	v_cmp_nlt_f32_e32 vcc, s96, v22
	s_nop 1
	v_cndmask_b32_e32 v18, 0, v18, vcc
	v_cmp_ngt_f32_e32 vcc, s97, v22
	s_nop 1
	v_cndmask_b32_e32 v21, v54, v18, vcc
	v_ldexp_f32 v18, v20, v25
	v_mul_f32_e32 v20, 0xbfb8aa3b, v23
	v_rndne_f32_e32 v25, v20
	v_sub_f32_e32 v26, v20, v25
	v_fma_f32 v20, v23, s95, -v20
	v_fmac_f32_e32 v20, 0xb2a5705f, v23
	v_add_f32_e32 v20, v26, v20
	v_exp_f32_e32 v20, v20
	v_cvt_i32_f32_e32 v25, v25
	v_cmp_nlt_f32_e32 vcc, s96, v24
	v_ldexp_f32 v20, v20, v25
	s_nop 0
	v_cndmask_b32_e32 v18, 0, v18, vcc
	v_cmp_ngt_f32_e32 vcc, s97, v24
	s_nop 1
	v_cndmask_b32_e32 v18, v54, v18, vcc
	v_pk_add_f32 v[18:19], v[18:19], 1.0 op_sel_hi:[1,0]
	v_cmp_nlt_f32_e32 vcc, s96, v23
	v_div_scale_f32 v25, s[26:27], v19, v19, v13
	v_rcp_f32_e32 v26, v25
	v_cndmask_b32_e32 v20, 0, v20, vcc
	v_cmp_ngt_f32_e32 vcc, s97, v23
	v_fma_f32 v27, -v25, v26, 1.0
	s_nop 0
	v_cndmask_b32_e32 v20, v54, v20, vcc
	v_fmac_f32_e32 v26, v27, v26
	v_div_scale_f32 v27, vcc, v13, v19, v13
	v_mul_f32_e32 v28, v27, v26
	v_fma_f32 v29, -v25, v28, v27
	v_fmac_f32_e32 v28, v29, v26
	v_fma_f32 v25, -v25, v28, v27
	v_div_scale_f32 v27, s[26:27], v18, v18, v24
	v_rcp_f32_e32 v29, v27
	v_div_fmas_f32 v25, v25, v26, v28
	v_div_fixup_f32 v19, v25, v19, v13
	v_pk_add_f32 v[20:21], v[20:21], 1.0 op_sel_hi:[1,0]
	v_fma_f32 v13, -v27, v29, 1.0
	v_fmac_f32_e32 v29, v13, v29
	v_div_scale_f32 v13, vcc, v24, v18, v24
	v_mul_f32_e32 v25, v13, v29
	v_fma_f32 v26, -v27, v25, v13
	v_fmac_f32_e32 v25, v26, v29
	v_div_scale_f32 v26, s[26:27], v21, v21, v22
	v_fma_f32 v13, -v27, v25, v13
	v_rcp_f32_e32 v27, v26
	v_div_fmas_f32 v13, v13, v29, v25
	v_div_fixup_f32 v18, v13, v18, v24
	v_pk_mul_f32 v[14:15], v[14:15], v[18:19]
	v_fma_f32 v13, -v26, v27, 1.0
	v_fmac_f32_e32 v27, v13, v27
	v_div_scale_f32 v13, vcc, v22, v21, v22
	v_mul_f32_e32 v24, v13, v27
	v_fma_f32 v25, -v26, v24, v13
	v_fmac_f32_e32 v24, v25, v27
	v_div_scale_f32 v25, s[26:27], v20, v20, v23
	v_fma_f32 v13, -v26, v24, v13
	v_rcp_f32_e32 v26, v25
	v_div_fmas_f32 v13, v13, v27, v24
	v_div_fixup_f32 v21, v13, v21, v22
	v_bfe_u32 v19, v14, 16, 1
	v_fma_f32 v13, -v25, v26, 1.0
	v_fmac_f32_e32 v26, v13, v26
	v_div_scale_f32 v13, vcc, v23, v20, v23
	v_mul_f32_e32 v22, v13, v26
	v_fma_f32 v24, -v25, v22, v13
	v_fmac_f32_e32 v22, v24, v26
	v_fma_f32 v13, -v25, v22, v13
	v_div_fmas_f32 v13, v13, v26, v22
	v_div_fixup_f32 v20, v13, v20, v23
	v_pk_mul_f32 v[16:17], v[16:17], v[20:21]
	v_bfe_u32 v20, v15, 16, 1
	v_bfe_u32 v13, v16, 16, 1
	v_bfe_u32 v18, v17, 16, 1
	v_add3_u32 v13, v16, v13, s93
	v_add3_u32 v18, v17, v18, s93
	v_lshrrev_b32_e32 v13, 16, v13
	v_cmp_o_f32_e32 vcc, v16, v16
	v_add3_u32 v19, v14, v19, s93
	v_lshrrev_b32_e32 v18, 16, v18
	v_cndmask_b32_e32 v13, v57, v13, vcc
	v_cmp_o_f32_e32 vcc, v17, v17
	v_add3_u32 v20, v15, v20, s93
	v_lshrrev_b32_e32 v19, 16, v19
	v_cndmask_b32_e32 v16, v57, v18, vcc
	v_cmp_o_f32_e32 vcc, v14, v14
	v_lshrrev_b32_e32 v20, 16, v20
	v_perm_b32 v16, v16, v13, s94
	v_cndmask_b32_e32 v13, v57, v19, vcc
	v_cmp_o_f32_e32 vcc, v15, v15
	s_nop 1
	v_cndmask_b32_e32 v14, v57, v20, vcc
	v_perm_b32 v17, v14, v13, s94
	ds_write_b64 v47, v[16:17]
	; wave barrier
	ds_read_u16 v17, v44 offset:128
	ds_read_u16 v16, v45 offset:256
	;; [unrolled: 1-line block ×3, first 2 shown]
	v_lshl_add_u64 v[14:15], s[64:65], 1, v[8:9]
	s_and_saveexec_b64 s[26:27], s[18:19]
	s_cbranch_execnz .LBB37_98
; %bb.90:                               ;   in Loop: Header=BB37_12 Depth=1
	s_or_b64 exec, exec, s[26:27]
	s_and_saveexec_b64 s[18:19], s[20:21]
	s_cbranch_execnz .LBB37_99
.LBB37_91:                              ;   in Loop: Header=BB37_12 Depth=1
	s_or_b64 exec, exec, s[18:19]
	s_and_saveexec_b64 s[18:19], s[22:23]
	s_cbranch_execnz .LBB37_100
.LBB37_92:                              ;   in Loop: Header=BB37_12 Depth=1
	s_or_b64 exec, exec, s[18:19]
	s_and_saveexec_b64 s[18:19], s[24:25]
	s_cbranch_execz .LBB37_11
	s_branch .LBB37_101
.LBB37_93:                              ;   in Loop: Header=BB37_12 Depth=1
	global_load_ushort v19, v[14:15], off offset:128
	s_or_b64 exec, exec, s[26:27]
	s_and_saveexec_b64 s[26:27], s[22:23]
	s_cbranch_execz .LBB37_24
.LBB37_94:                              ;   in Loop: Header=BB37_12 Depth=1
	global_load_ushort v18, v[14:15], off offset:256
	s_or_b64 exec, exec, s[26:27]
	v_mov_b32_e32 v20, 0
	s_and_saveexec_b64 s[26:27], s[24:25]
	s_cbranch_execnz .LBB37_25
	s_branch .LBB37_26
.LBB37_95:                              ;   in Loop: Header=BB37_12 Depth=1
	ds_read_u16 v22, v43
	s_waitcnt lgkmcnt(0)
	global_store_short v[18:19], v22, off
	s_or_b64 exec, exec, s[26:27]
	s_and_saveexec_b64 s[26:27], s[20:21]
	s_cbranch_execz .LBB37_78
.LBB37_96:                              ;   in Loop: Header=BB37_12 Depth=1
	s_waitcnt lgkmcnt(2)
	global_store_short v[18:19], v21, off offset:128
	s_or_b64 exec, exec, s[26:27]
	s_and_saveexec_b64 s[26:27], s[22:23]
	s_cbranch_execz .LBB37_79
.LBB37_97:                              ;   in Loop: Header=BB37_12 Depth=1
	s_waitcnt lgkmcnt(1)
	global_store_short v[18:19], v20, off offset:256
	s_or_b64 exec, exec, s[26:27]
	s_and_saveexec_b64 s[26:27], s[24:25]
	s_cbranch_execnz .LBB37_80
	s_branch .LBB37_81
.LBB37_98:                              ;   in Loop: Header=BB37_12 Depth=1
	ds_read_u16 v18, v43
	s_waitcnt lgkmcnt(0)
	global_store_short v[14:15], v18, off
	s_or_b64 exec, exec, s[26:27]
	s_and_saveexec_b64 s[18:19], s[20:21]
	s_cbranch_execz .LBB37_91
.LBB37_99:                              ;   in Loop: Header=BB37_12 Depth=1
	s_waitcnt lgkmcnt(2)
	global_store_short v[14:15], v17, off offset:128
	s_or_b64 exec, exec, s[18:19]
	s_and_saveexec_b64 s[18:19], s[22:23]
	s_cbranch_execz .LBB37_92
.LBB37_100:                             ;   in Loop: Header=BB37_12 Depth=1
	s_waitcnt lgkmcnt(1)
	global_store_short v[14:15], v16, off offset:256
	s_or_b64 exec, exec, s[18:19]
	s_and_saveexec_b64 s[18:19], s[24:25]
	s_cbranch_execz .LBB37_11
.LBB37_101:                             ;   in Loop: Header=BB37_12 Depth=1
	s_waitcnt lgkmcnt(0)
	global_store_short v[14:15], v13, off offset:384
	s_branch .LBB37_11
.LBB37_102:
	s_endpgm
	.section	.rodata,"a",@progbits
	.p2align	6, 0x0
	.amdhsa_kernel _Z25selective_scan_fwd_kernelI32Selective_Scan_fwd_kernel_traitsILi64ELi4ELi1ELb0ELb1ELb1ELb1ELb0EN3c108BFloat16EffEEv13SSMParamsBase
		.amdhsa_group_segment_fixed_size 0
		.amdhsa_private_segment_fixed_size 0
		.amdhsa_kernarg_size 248
		.amdhsa_user_sgpr_count 2
		.amdhsa_user_sgpr_dispatch_ptr 0
		.amdhsa_user_sgpr_queue_ptr 0
		.amdhsa_user_sgpr_kernarg_segment_ptr 1
		.amdhsa_user_sgpr_dispatch_id 0
		.amdhsa_user_sgpr_kernarg_preload_length 0
		.amdhsa_user_sgpr_kernarg_preload_offset 0
		.amdhsa_user_sgpr_private_segment_size 0
		.amdhsa_uses_dynamic_stack 0
		.amdhsa_enable_private_segment 0
		.amdhsa_system_sgpr_workgroup_id_x 1
		.amdhsa_system_sgpr_workgroup_id_y 1
		.amdhsa_system_sgpr_workgroup_id_z 0
		.amdhsa_system_sgpr_workgroup_info 0
		.amdhsa_system_vgpr_workitem_id 0
		.amdhsa_next_free_vgpr 68
		.amdhsa_next_free_sgpr 100
		.amdhsa_accum_offset 68
		.amdhsa_reserve_vcc 1
		.amdhsa_float_round_mode_32 0
		.amdhsa_float_round_mode_16_64 0
		.amdhsa_float_denorm_mode_32 3
		.amdhsa_float_denorm_mode_16_64 3
		.amdhsa_dx10_clamp 1
		.amdhsa_ieee_mode 1
		.amdhsa_fp16_overflow 0
		.amdhsa_tg_split 0
		.amdhsa_exception_fp_ieee_invalid_op 0
		.amdhsa_exception_fp_denorm_src 0
		.amdhsa_exception_fp_ieee_div_zero 0
		.amdhsa_exception_fp_ieee_overflow 0
		.amdhsa_exception_fp_ieee_underflow 0
		.amdhsa_exception_fp_ieee_inexact 0
		.amdhsa_exception_int_div_zero 0
	.end_amdhsa_kernel
	.section	.text._Z25selective_scan_fwd_kernelI32Selective_Scan_fwd_kernel_traitsILi64ELi4ELi1ELb0ELb1ELb1ELb1ELb0EN3c108BFloat16EffEEv13SSMParamsBase,"axG",@progbits,_Z25selective_scan_fwd_kernelI32Selective_Scan_fwd_kernel_traitsILi64ELi4ELi1ELb0ELb1ELb1ELb1ELb0EN3c108BFloat16EffEEv13SSMParamsBase,comdat
.Lfunc_end37:
	.size	_Z25selective_scan_fwd_kernelI32Selective_Scan_fwd_kernel_traitsILi64ELi4ELi1ELb0ELb1ELb1ELb1ELb0EN3c108BFloat16EffEEv13SSMParamsBase, .Lfunc_end37-_Z25selective_scan_fwd_kernelI32Selective_Scan_fwd_kernel_traitsILi64ELi4ELi1ELb0ELb1ELb1ELb1ELb0EN3c108BFloat16EffEEv13SSMParamsBase
                                        ; -- End function
	.section	.AMDGPU.csdata,"",@progbits
; Kernel info:
; codeLenInByte = 7408
; NumSgprs: 106
; NumVgprs: 68
; NumAgprs: 0
; TotalNumVgprs: 68
; ScratchSize: 0
; MemoryBound: 0
; FloatMode: 240
; IeeeMode: 1
; LDSByteSize: 0 bytes/workgroup (compile time only)
; SGPRBlocks: 13
; VGPRBlocks: 8
; NumSGPRsForWavesPerEU: 106
; NumVGPRsForWavesPerEU: 68
; AccumOffset: 68
; Occupancy: 7
; WaveLimiterHint : 0
; COMPUTE_PGM_RSRC2:SCRATCH_EN: 0
; COMPUTE_PGM_RSRC2:USER_SGPR: 2
; COMPUTE_PGM_RSRC2:TRAP_HANDLER: 0
; COMPUTE_PGM_RSRC2:TGID_X_EN: 1
; COMPUTE_PGM_RSRC2:TGID_Y_EN: 1
; COMPUTE_PGM_RSRC2:TGID_Z_EN: 0
; COMPUTE_PGM_RSRC2:TIDIG_COMP_CNT: 0
; COMPUTE_PGM_RSRC3_GFX90A:ACCUM_OFFSET: 16
; COMPUTE_PGM_RSRC3_GFX90A:TG_SPLIT: 0
	.section	.text._Z25selective_scan_fwd_kernelI32Selective_Scan_fwd_kernel_traitsILi64ELi4ELi1ELb0ELb1ELb1ELb0ELb1EN3c108BFloat16EffEEv13SSMParamsBase,"axG",@progbits,_Z25selective_scan_fwd_kernelI32Selective_Scan_fwd_kernel_traitsILi64ELi4ELi1ELb0ELb1ELb1ELb0ELb1EN3c108BFloat16EffEEv13SSMParamsBase,comdat
	.protected	_Z25selective_scan_fwd_kernelI32Selective_Scan_fwd_kernel_traitsILi64ELi4ELi1ELb0ELb1ELb1ELb0ELb1EN3c108BFloat16EffEEv13SSMParamsBase ; -- Begin function _Z25selective_scan_fwd_kernelI32Selective_Scan_fwd_kernel_traitsILi64ELi4ELi1ELb0ELb1ELb1ELb0ELb1EN3c108BFloat16EffEEv13SSMParamsBase
	.globl	_Z25selective_scan_fwd_kernelI32Selective_Scan_fwd_kernel_traitsILi64ELi4ELi1ELb0ELb1ELb1ELb0ELb1EN3c108BFloat16EffEEv13SSMParamsBase
	.p2align	8
	.type	_Z25selective_scan_fwd_kernelI32Selective_Scan_fwd_kernel_traitsILi64ELi4ELi1ELb0ELb1ELb1ELb0ELb1EN3c108BFloat16EffEEv13SSMParamsBase,@function
_Z25selective_scan_fwd_kernelI32Selective_Scan_fwd_kernel_traitsILi64ELi4ELi1ELb0ELb1ELb1ELb0ELb1EN3c108BFloat16EffEEv13SSMParamsBase: ; @_Z25selective_scan_fwd_kernelI32Selective_Scan_fwd_kernel_traitsILi64ELi4ELi1ELb0ELb1ELb1ELb0ELb1EN3c108BFloat16EffEEv13SSMParamsBase
; %bb.0:
	s_load_dword s27, s[0:1], 0x18
	s_load_dwordx4 s[4:7], s[0:1], 0xe0
	s_load_dwordx2 s[10:11], s[0:1], 0xf0
	s_mov_b32 s20, s3
	s_ashr_i32 s3, s2, 31
	s_waitcnt lgkmcnt(0)
	s_abs_i32 s26, s27
	v_cvt_f32_u32_e32 v1, s26
	s_lshl_b64 s[8:9], s[2:3], 2
	s_add_u32 s24, s4, s8
	s_addc_u32 s25, s5, s9
	v_rcp_iflag_f32_e32 v1, v1
	s_cmp_eq_u64 s[10:11], 0
	v_mul_f32_e32 v1, 0x4f7ffffe, v1
	v_cvt_u32_f32_e32 v1, v1
	s_nop 0
	v_readfirstlane_b32 s28, v1
	s_cbranch_scc1 .LBB38_86
; %bb.1:
	s_add_u32 s4, s10, s2
	s_addc_u32 s5, s11, s3
	v_mov_b32_e32 v1, 0
	global_load_ubyte v1, v1, s[4:5]
	s_waitcnt vmcnt(0)
	v_and_b32_e32 v1, 1, v1
	v_cmp_eq_u32_e64 s[52:53], 1, v1
	s_load_dwordx2 s[4:5], s[0:1], 0x20
	s_cmp_eq_u64 s[6:7], 0
	s_cbranch_scc1 .LBB38_3
.LBB38_2:
	s_add_u32 s2, s6, s8
	s_addc_u32 s3, s7, s9
	s_load_dword s2, s[2:3], 0x0
	s_waitcnt lgkmcnt(0)
	s_ashr_i32 s3, s2, 31
.LBB38_3:
	s_waitcnt lgkmcnt(0)
	s_cmp_eq_u64 s[4:5], s[2:3]
	s_cbranch_scc1 .LBB38_85
; %bb.4:
	s_load_dwordx16 s[4:19], s[0:1], 0x88
	s_load_dwordx2 s[22:23], s[24:25], 0x0
	s_mov_b32 s33, 0
	s_mov_b32 s78, 0
	s_waitcnt lgkmcnt(0)
	s_cmp_eq_u64 s[10:11], 0
	s_cbranch_scc1 .LBB38_6
; %bb.5:
	s_ashr_i32 s21, s20, 31
	s_lshl_b64 s[24:25], s[20:21], 2
	s_add_u32 s10, s10, s24
	s_addc_u32 s11, s11, s25
	s_load_dword s78, s[10:11], 0x0
.LBB38_6:
	s_cmp_eq_u64 s[16:17], 0
	s_cbranch_scc1 .LBB38_8
; %bb.7:
	s_ashr_i32 s21, s20, 31
	s_lshl_b64 s[10:11], s[20:21], 2
	s_add_u32 s10, s16, s10
	s_addc_u32 s11, s17, s11
	s_load_dword s33, s[10:11], 0x0
.LBB38_8:
	s_sub_i32 s79, s23, s22
	s_cmp_lt_i32 s79, 1
	s_cbranch_scc1 .LBB38_85
; %bb.9:
	s_sub_i32 s3, 0, s26
	s_mul_i32 s3, s3, s28
	s_mul_hi_u32 s3, s28, s3
	s_load_dwordx8 s[40:47], s[0:1], 0x2c
	s_load_dwordx2 s[16:17], s[0:1], 0x5c
	s_load_dwordx4 s[48:51], s[0:1], 0x4c
	s_abs_i32 s21, s20
	s_add_i32 s28, s28, s3
	s_load_dwordx4 s[36:39], s[0:1], 0x7c
	s_load_dwordx2 s[10:11], s[0:1], 0x6c
	s_load_dwordx2 s[24:25], s[0:1], 0xc8
	s_mul_hi_u32 s3, s21, s28
	s_waitcnt lgkmcnt(0)
	s_load_dword s39, s[0:1], 0xc
	s_load_dword s23, s[0:1], 0x28
	s_ashr_i32 s0, s20, 31
	s_ashr_i32 s1, s27, 31
	s_xor_b32 s0, s0, s1
	s_mul_i32 s1, s3, s26
	s_sub_i32 s1, s21, s1
	s_add_i32 s21, s3, 1
	s_sub_i32 s27, s1, s26
	s_cmp_ge_u32 s1, s26
	s_cselect_b32 s3, s21, s3
	s_cselect_b32 s1, s27, s1
	s_add_i32 s21, s3, 1
	s_cmp_ge_u32 s1, s26
	s_cselect_b32 s1, s21, s3
	s_xor_b32 s1, s1, s0
	s_mul_i32 s54, s22, s50
	s_mov_b32 s55, 0
	s_sub_i32 s3, s1, s0
	s_lshl_b64 s[0:1], s[54:55], 1
	s_add_u32 s12, s12, s0
	s_mul_i32 s54, s51, s20
	s_addc_u32 s13, s13, s1
	s_lshl_b64 s[0:1], s[54:55], 1
	s_add_u32 s50, s12, s0
	s_mul_i32 s54, s22, s16
	s_addc_u32 s51, s13, s1
	;; [unrolled: 4-line block ×9, first 2 shown]
	s_lshl_b64 s[0:1], s[54:55], 2
	s_add_u32 s2, s24, s0
	s_mul_i32 s54, s37, s20
	v_mbcnt_lo_u32_b32 v2, -1, 0
	s_addc_u32 s3, s25, s1
	s_lshl_b64 s[0:1], s[54:55], 2
	v_mbcnt_hi_u32_b32 v2, -1, v2
	s_add_u32 s45, s2, s0
	v_lshrrev_b32_e32 v3, 5, v2
	s_addc_u32 s49, s3, s1
	s_add_i32 s0, s79, 0x7ff
	v_and_b32_e32 v3, 2, v3
	s_lshr_b32 s81, s0, 11
	v_add_u32_e32 v36, 64, v2
	v_or_b32_e32 v37, 0x80, v2
	v_add_u32_e32 v38, 0xc0, v2
	v_add_u32_e32 v3, v3, v2
	v_lshl_add_u32 v39, v3, 1, 0
	v_lshrrev_b32_e32 v3, 5, v36
	v_lshrrev_b32_e32 v4, 5, v37
	;; [unrolled: 1-line block ×3, first 2 shown]
	s_waitcnt lgkmcnt(0)
	s_bitcmp1_b32 s23, 0
	v_and_b32_e32 v3, 6, v3
	v_and_b32_e32 v4, 6, v4
	;; [unrolled: 1-line block ×3, first 2 shown]
	s_cselect_b64 s[58:59], -1, 0
	s_cmp_gt_i32 s39, 0
	v_add_lshl_u32 v3, v3, v2, 1
	v_add_lshl_u32 v4, v4, v2, 1
	;; [unrolled: 1-line block ×3, first 2 shown]
	s_cselect_b64 s[60:61], -1, 0
	s_add_i32 s0, 0, 0x210
	s_mul_i32 s54, s22, s10
	v_add_u32_e32 v44, s0, v3
	v_add_u32_e32 v45, s0, v4
	;; [unrolled: 1-line block ×3, first 2 shown]
	s_and_b32 s2, s79, 0xff
	s_add_i32 s82, s81, -1
	s_lshl_b64 s[0:1], s[54:55], 1
	s_add_u32 s3, s18, s0
	s_mul_i32 s54, s11, s20
	s_addc_u32 s4, s19, s1
	s_lshl_b64 s[0:1], s[54:55], 1
	s_add_u32 s18, s3, s0
	v_add_u32_e32 v40, 0, v3
	s_addc_u32 s19, s4, s1
	v_and_b32_e32 v3, 15, v2
	s_cmp_eq_u32 s2, 0
	v_cmp_eq_u32_e64 s[0:1], 0, v3
	v_cmp_lt_u32_e64 s[2:3], 1, v3
	v_cmp_lt_u32_e64 s[4:5], 3, v3
	v_cmp_lt_u32_e64 s[6:7], 7, v3
	v_and_b32_e32 v3, 16, v2
	v_add_u32_e32 v41, 0, v4
	v_lshrrev_b32_e32 v6, 3, v2
	v_cmp_ne_u32_e64 s[8:9], 0, v3
	v_add_u32_e32 v3, -1, v2
	v_and_b32_e32 v4, 64, v2
	v_and_b32_e32 v6, 14, v6
	v_cmp_lt_i32_e32 vcc, v3, v4
	v_mov_b32_e32 v1, 0
	v_lshlrev_b32_e32 v7, 2, v0
	v_lshl_add_u32 v6, v2, 2, v6
	v_cmp_eq_u32_e64 s[12:13], 63, v0
	v_cndmask_b32_e32 v3, v3, v2, vcc
	v_cmp_gt_u32_e64 s[14:15], 64, v0
	v_cmp_eq_u32_e64 s[16:17], 0, v0
	v_lshlrev_b32_e32 v0, 1, v2
                                        ; implicit-def: $vgpr8
	v_add_u32_e32 v42, 0, v5
	v_lshl_add_u32 v43, v6, 1, 0
	s_cselect_b64 s[62:63], -1, 0
	v_cmp_lt_u32_e64 s[10:11], 31, v2
	v_lshlrev_b32_e32 v47, 2, v3
	v_lshl_add_u64 v[4:5], s[18:19], 0, v[0:1]
	v_or_b32_e32 v3, 1, v7
	v_or_b32_e32 v6, 2, v7
	;; [unrolled: 1-line block ×3, first 2 shown]
	v_lshlrev_b32_e32 v0, 1, v2
	s_mov_b32 s83, 0x41a00000
	s_mov_b32 s84, 0x3fb8aa3b
	s_mov_b32 s85, 0xc2ce8ed0
	s_mov_b32 s86, 0x42b17218
	s_mov_b32 s87, 0x7f800000
	s_mov_b32 s88, 0x3f2aaaab
	v_mov_b32_e32 v49, 0x3ecc95a3
	s_mov_b32 s89, 0x3f317218
	s_mov_b32 s90, 0x33800000
	s_add_i32 s91, 0, 0x428
	s_mov_b32 s92, 0xc2fc0000
	s_movk_i32 s93, 0x7fff
	s_mov_b32 s94, 0x5040100
	v_mov_b32_e32 v50, 0x7f800000
	v_mov_b32_e32 v8, 0x3f317218
	;; [unrolled: 1-line block ×5, first 2 shown]
	s_mov_b32 s95, 0
	s_branch .LBB38_11
.LBB38_10:                              ;   in Loop: Header=BB38_11 Depth=1
	s_or_b64 exec, exec, s[18:19]
	s_add_u32 s56, s56, 0x200
	s_addc_u32 s57, s57, 0
	s_add_u32 s50, s50, 0x200
	s_addc_u32 s51, s51, 0
	;; [unrolled: 2-line block ×4, first 2 shown]
	s_add_i32 s95, s95, 1
	s_cmp_eq_u32 s95, s81
	s_cbranch_scc1 .LBB38_85
.LBB38_11:                              ; =>This Loop Header: Depth=1
                                        ;     Child Loop BB38_36 Depth 2
	s_lshl_b32 s64, s95, 8
	s_sub_i32 s34, s79, s64
	v_lshl_add_u64 v[10:11], s[50:51], 0, v[0:1]
	v_cmp_gt_u32_e64 s[18:19], s34, v2
	s_waitcnt lgkmcnt(1)
	v_mov_b32_e32 v12, 0
	s_waitcnt lgkmcnt(0)
	; wave barrier
	s_and_saveexec_b64 s[20:21], s[18:19]
	s_cbranch_execz .LBB38_13
; %bb.12:                               ;   in Loop: Header=BB38_11 Depth=1
	global_load_ushort v12, v[10:11], off
.LBB38_13:                              ;   in Loop: Header=BB38_11 Depth=1
	s_or_b64 exec, exec, s[20:21]
	v_cmp_gt_u32_e64 s[20:21], s34, v36
	v_mov_b32_e32 v13, 0
	v_mov_b32_e32 v14, 0
	s_and_saveexec_b64 s[22:23], s[20:21]
	s_cbranch_execz .LBB38_15
; %bb.14:                               ;   in Loop: Header=BB38_11 Depth=1
	global_load_ushort v14, v[10:11], off offset:128
.LBB38_15:                              ;   in Loop: Header=BB38_11 Depth=1
	s_or_b64 exec, exec, s[22:23]
	v_cmp_gt_u32_e64 s[22:23], s34, v37
	s_and_saveexec_b64 s[24:25], s[22:23]
	s_cbranch_execz .LBB38_17
; %bb.16:                               ;   in Loop: Header=BB38_11 Depth=1
	global_load_ushort v13, v[10:11], off offset:256
.LBB38_17:                              ;   in Loop: Header=BB38_11 Depth=1
	s_or_b64 exec, exec, s[24:25]
	v_cmp_gt_u32_e64 s[24:25], s34, v38
	s_waitcnt lgkmcnt(0)
	v_mov_b32_e32 v9, 0
	v_mov_b32_e32 v15, 0
	s_and_saveexec_b64 s[26:27], s[24:25]
	s_cbranch_execz .LBB38_19
; %bb.18:                               ;   in Loop: Header=BB38_11 Depth=1
	global_load_ushort v15, v[10:11], off offset:384
.LBB38_19:                              ;   in Loop: Header=BB38_11 Depth=1
	s_or_b64 exec, exec, s[26:27]
	s_waitcnt vmcnt(0)
	ds_write_b16 v39, v12
	ds_write_b16 v40, v14 offset:128
	ds_write_b16 v41, v13 offset:256
	ds_write_b16 v42, v15 offset:384
	; wave barrier
	ds_read_b64 v[12:13], v43
	v_lshl_add_u64 v[10:11], s[56:57], 0, v[0:1]
	s_waitcnt lgkmcnt(0)
	; wave barrier
	s_waitcnt lgkmcnt(0)
	s_and_saveexec_b64 s[26:27], s[18:19]
	s_cbranch_execz .LBB38_21
; %bb.20:                               ;   in Loop: Header=BB38_11 Depth=1
	global_load_ushort v9, v[10:11], off
.LBB38_21:                              ;   in Loop: Header=BB38_11 Depth=1
	s_or_b64 exec, exec, s[26:27]
	v_mov_b32_e32 v14, 0
	v_mov_b32_e32 v15, 0
	s_and_saveexec_b64 s[26:27], s[20:21]
	s_cbranch_execnz .LBB38_79
; %bb.22:                               ;   in Loop: Header=BB38_11 Depth=1
	s_or_b64 exec, exec, s[26:27]
	s_and_saveexec_b64 s[26:27], s[22:23]
	s_cbranch_execnz .LBB38_80
.LBB38_23:                              ;   in Loop: Header=BB38_11 Depth=1
	s_or_b64 exec, exec, s[26:27]
	v_mov_b32_e32 v16, 0
	s_and_saveexec_b64 s[26:27], s[24:25]
	s_cbranch_execz .LBB38_25
.LBB38_24:                              ;   in Loop: Header=BB38_11 Depth=1
	global_load_ushort v16, v[10:11], off offset:384
.LBB38_25:                              ;   in Loop: Header=BB38_11 Depth=1
	s_or_b64 exec, exec, s[26:27]
	s_waitcnt vmcnt(0)
	ds_write_b16 v39, v9
	ds_write_b16 v40, v15 offset:128
	ds_write_b16 v41, v14 offset:256
	;; [unrolled: 1-line block ×3, first 2 shown]
	; wave barrier
	ds_read_b64 v[14:15], v43
	s_waitcnt lgkmcnt(0)
	v_lshlrev_b32_e32 v9, 16, v14
	v_add_f32_e32 v54, s33, v9
	v_cmp_ge_f32_e32 vcc, s83, v54
	s_and_b64 s[26:27], s[58:59], vcc
	s_and_saveexec_b64 s[28:29], s[26:27]
	s_cbranch_execz .LBB38_27
; %bb.26:                               ;   in Loop: Header=BB38_11 Depth=1
	v_mul_f32_e32 v9, 0x3fb8aa3b, v54
	v_rndne_f32_e32 v10, v9
	v_sub_f32_e32 v11, v9, v10
	v_fma_f32 v9, v54, s84, -v9
	v_fmac_f32_e32 v9, 0x32a5705f, v54
	v_add_f32_e32 v9, v11, v9
	v_cvt_i32_f32_e32 v10, v10
	v_exp_f32_e32 v9, v9
	v_cmp_ngt_f32_e32 vcc, s85, v54
	v_ldexp_f32 v9, v9, v10
	s_nop 0
	v_cndmask_b32_e32 v9, 0, v9, vcc
	v_cmp_nlt_f32_e32 vcc, s86, v54
	s_nop 1
	v_cndmask_b32_e32 v30, v50, v9, vcc
	v_add_f32_e32 v9, 1.0, v30
	v_add_f32_e32 v10, -1.0, v9
	v_sub_f32_e32 v11, v10, v9
	v_add_f32_e32 v11, 1.0, v11
	v_sub_f32_e32 v10, v30, v10
	v_add_f32_e32 v16, v10, v11
	v_frexp_mant_f32_e32 v17, v9
	v_cvt_f64_f32_e32 v[10:11], v9
	v_frexp_exp_i32_f64_e32 v10, v[10:11]
	v_cmp_gt_f32_e32 vcc, s88, v17
	v_cmp_gt_f32_e64 s[26:27], s90, v30
	s_nop 0
	v_subbrev_co_u32_e32 v22, vcc, 0, v10, vcc
	v_sub_u32_e32 v10, 0, v22
	v_ldexp_f32 v9, v9, v10
	v_ldexp_f32 v10, v16, v10
	v_add_f32_e32 v16, -1.0, v9
	v_add_f32_e32 v11, 1.0, v16
	v_sub_f32_e32 v11, v9, v11
	v_add_f32_e32 v17, v10, v11
	v_add_f32_e32 v11, 1.0, v9
	v_add_f32_e32 v18, -1.0, v11
	v_sub_f32_e32 v9, v9, v18
	v_add_f32_e32 v9, v10, v9
	v_add_f32_e32 v23, v11, v9
	v_rcp_f32_e32 v24, v23
	v_sub_f32_e32 v10, v11, v23
	v_add_f32_e32 v11, v16, v17
	v_add_f32_e32 v9, v9, v10
	v_mul_f32_e32 v26, v11, v24
	v_sub_f32_e32 v10, v16, v11
	v_mul_f32_e32 v16, v23, v26
	v_fma_f32 v18, v26, v23, -v16
	v_fmac_f32_e32 v18, v26, v9
	v_add_f32_e32 v25, v17, v10
	v_add_f32_e32 v10, v16, v18
	v_sub_f32_e32 v17, v11, v10
	v_pk_add_f32 v[20:21], v[10:11], v[16:17] neg_lo:[0,1] neg_hi:[0,1]
	v_mov_b32_e32 v19, v10
	v_pk_add_f32 v[10:11], v[20:21], v[18:19] neg_lo:[0,1] neg_hi:[0,1]
	v_cmp_eq_f32_e32 vcc, s87, v30
	v_add_f32_e32 v11, v25, v11
	v_add_f32_e32 v10, v10, v11
	;; [unrolled: 1-line block ×3, first 2 shown]
	v_mul_f32_e32 v25, v24, v11
	v_mul_f32_e32 v16, v23, v25
	v_fma_f32 v18, v25, v23, -v16
	v_fmac_f32_e32 v18, v25, v9
	v_sub_f32_e32 v9, v17, v11
	v_add_f32_e32 v9, v10, v9
	v_add_f32_e32 v10, v16, v18
	v_sub_f32_e32 v17, v11, v10
	v_pk_add_f32 v[20:21], v[10:11], v[16:17] neg_lo:[0,1] neg_hi:[0,1]
	v_mov_b32_e32 v19, v10
	v_pk_add_f32 v[10:11], v[20:21], v[18:19] neg_lo:[0,1] neg_hi:[0,1]
	s_or_b64 vcc, s[26:27], vcc
	v_add_f32_e32 v9, v9, v11
	v_add_f32_e32 v9, v10, v9
	;; [unrolled: 1-line block ×4, first 2 shown]
	v_sub_f32_e32 v10, v11, v26
	v_mul_f32_e32 v9, v24, v9
	v_sub_f32_e32 v10, v25, v10
	v_add_f32_e32 v16, v10, v9
	v_add_f32_e32 v18, v11, v16
	v_cvt_f32_i32_e32 v10, v22
	v_mul_f32_e32 v19, v18, v18
	v_sub_f32_e32 v11, v18, v11
	v_fmamk_f32 v9, v19, 0x3e9b6dac, v49
	v_sub_f32_e32 v11, v16, v11
	v_fmaak_f32 v9, v19, v9, 0x3f2aaada
	v_ldexp_f32 v20, v11, 1
	v_mul_f32_e32 v11, v18, v19
	v_ldexp_f32 v17, v18, 1
	v_pk_mul_f32 v[18:19], v[10:11], v[8:9]
	s_nop 0
	v_fma_f32 v16, v10, s89, -v18
	v_fmac_f32_e32 v16, 0xb102e308, v10
	v_pk_add_f32 v[10:11], v[18:19], v[16:17]
	s_nop 0
	v_sub_f32_e32 v9, v11, v17
	v_sub_f32_e32 v9, v19, v9
	v_add_f32_e32 v21, v20, v9
	v_mov_b32_e32 v20, v18
	v_pk_add_f32 v[18:19], v[10:11], v[18:19] neg_lo:[0,1] neg_hi:[0,1]
	v_pk_add_f32 v[22:23], v[10:11], v[20:21]
	v_mov_b32_e32 v17, v10
	v_mov_b32_e32 v19, v23
	v_pk_add_f32 v[24:25], v[16:17], v[18:19] neg_lo:[0,1] neg_hi:[0,1]
	v_pk_add_f32 v[16:17], v[16:17], v[18:19]
	v_mov_b32_e32 v20, v21
	v_mov_b32_e32 v18, v17
	v_pk_add_f32 v[26:27], v[18:19], v[10:11] neg_lo:[0,1] neg_hi:[0,1]
	v_mov_b32_e32 v16, v23
	v_mov_b32_e32 v9, v26
	v_pk_add_f32 v[28:29], v[22:23], v[8:9] neg_lo:[0,1] neg_hi:[0,1]
	v_mov_b32_e32 v22, v11
	v_mov_b32_e32 v23, v26
	;; [unrolled: 1-line block ×3, first 2 shown]
	v_pk_add_f32 v[16:17], v[16:17], v[22:23] neg_lo:[0,1] neg_hi:[0,1]
	v_mov_b32_e32 v21, v10
	v_pk_add_f32 v[10:11], v[20:21], v[16:17] neg_lo:[0,1] neg_hi:[0,1]
	v_mov_b32_e32 v28, v24
	v_pk_add_f32 v[16:17], v[28:29], v[10:11]
	s_nop 0
	v_mov_b32_e32 v20, v17
	v_pk_add_f32 v[20:21], v[16:17], v[20:21]
	s_nop 0
	v_pk_add_f32 v[18:19], v[18:19], v[20:21]
	v_mov_b32_e32 v11, v20
	v_mov_b32_e32 v17, v18
	v_pk_add_f32 v[22:23], v[16:17], v[24:25] neg_lo:[0,1] neg_hi:[0,1]
	s_nop 0
	v_sub_f32_e32 v9, v16, v22
	v_pk_add_f32 v[10:11], v[10:11], v[22:23] neg_lo:[0,1] neg_hi:[0,1]
	v_sub_f32_e32 v9, v24, v9
	v_add_f32_e32 v9, v10, v9
	v_add_f32_e32 v9, v9, v11
	v_add_f32_e32 v9, v18, v9
	v_cndmask_b32_e32 v54, v9, v30, vcc
.LBB38_27:                              ;   in Loop: Header=BB38_11 Depth=1
	s_or_b64 exec, exec, s[28:29]
	v_and_b32_e32 v9, 0xffff0000, v14
	v_add_f32_e32 v55, s33, v9
	v_cmp_ge_f32_e32 vcc, s83, v55
	s_and_b64 s[26:27], s[58:59], vcc
	s_and_saveexec_b64 s[28:29], s[26:27]
	s_cbranch_execz .LBB38_29
; %bb.28:                               ;   in Loop: Header=BB38_11 Depth=1
	v_mul_f32_e32 v9, 0x3fb8aa3b, v55
	v_rndne_f32_e32 v10, v9
	v_sub_f32_e32 v11, v9, v10
	v_fma_f32 v9, v55, s84, -v9
	v_fmac_f32_e32 v9, 0x32a5705f, v55
	v_add_f32_e32 v9, v11, v9
	v_cvt_i32_f32_e32 v10, v10
	v_exp_f32_e32 v9, v9
	v_cmp_ngt_f32_e32 vcc, s85, v55
	v_ldexp_f32 v9, v9, v10
	s_nop 0
	v_cndmask_b32_e32 v9, 0, v9, vcc
	v_cmp_nlt_f32_e32 vcc, s86, v55
	s_nop 1
	v_cndmask_b32_e32 v28, v50, v9, vcc
	v_add_f32_e32 v9, 1.0, v28
	v_add_f32_e32 v10, -1.0, v9
	v_sub_f32_e32 v11, v10, v9
	v_add_f32_e32 v11, 1.0, v11
	v_sub_f32_e32 v10, v28, v10
	v_add_f32_e32 v14, v10, v11
	v_frexp_mant_f32_e32 v16, v9
	v_cvt_f64_f32_e32 v[10:11], v9
	v_frexp_exp_i32_f64_e32 v10, v[10:11]
	v_cmp_gt_f32_e32 vcc, s88, v16
	v_cmp_gt_f32_e64 s[26:27], s90, v28
	s_nop 0
	v_subbrev_co_u32_e32 v22, vcc, 0, v10, vcc
	v_sub_u32_e32 v10, 0, v22
	v_ldexp_f32 v9, v9, v10
	v_ldexp_f32 v10, v14, v10
	v_add_f32_e32 v14, -1.0, v9
	v_add_f32_e32 v11, 1.0, v14
	v_sub_f32_e32 v11, v9, v11
	v_add_f32_e32 v16, v10, v11
	v_add_f32_e32 v11, 1.0, v9
	v_add_f32_e32 v17, -1.0, v11
	v_sub_f32_e32 v9, v9, v17
	v_add_f32_e32 v9, v10, v9
	v_add_f32_e32 v23, v11, v9
	v_rcp_f32_e32 v24, v23
	v_sub_f32_e32 v10, v11, v23
	v_add_f32_e32 v11, v14, v16
	v_add_f32_e32 v9, v9, v10
	v_sub_f32_e32 v10, v14, v11
	v_mul_f32_e32 v25, v11, v24
	v_add_f32_e32 v14, v16, v10
	v_mul_f32_e32 v16, v23, v25
	v_fma_f32 v18, v25, v23, -v16
	v_fmac_f32_e32 v18, v25, v9
	v_add_f32_e32 v10, v16, v18
	v_sub_f32_e32 v17, v11, v10
	v_pk_add_f32 v[20:21], v[10:11], v[16:17] neg_lo:[0,1] neg_hi:[0,1]
	v_mov_b32_e32 v19, v10
	v_pk_add_f32 v[10:11], v[20:21], v[18:19] neg_lo:[0,1] neg_hi:[0,1]
	v_cmp_eq_f32_e32 vcc, s87, v28
	v_add_f32_e32 v11, v14, v11
	v_add_f32_e32 v10, v10, v11
	;; [unrolled: 1-line block ×3, first 2 shown]
	v_mul_f32_e32 v14, v24, v11
	v_mul_f32_e32 v16, v23, v14
	v_fma_f32 v18, v14, v23, -v16
	v_fmac_f32_e32 v18, v14, v9
	v_sub_f32_e32 v9, v17, v11
	v_add_f32_e32 v9, v10, v9
	v_add_f32_e32 v10, v16, v18
	v_sub_f32_e32 v17, v11, v10
	v_pk_add_f32 v[20:21], v[10:11], v[16:17] neg_lo:[0,1] neg_hi:[0,1]
	v_mov_b32_e32 v19, v10
	v_pk_add_f32 v[10:11], v[20:21], v[18:19] neg_lo:[0,1] neg_hi:[0,1]
	s_or_b64 vcc, s[26:27], vcc
	v_add_f32_e32 v9, v9, v11
	v_add_f32_e32 v9, v10, v9
	;; [unrolled: 1-line block ×4, first 2 shown]
	v_sub_f32_e32 v10, v11, v25
	v_mul_f32_e32 v9, v24, v9
	v_sub_f32_e32 v10, v14, v10
	v_add_f32_e32 v14, v10, v9
	v_add_f32_e32 v16, v11, v14
	v_cvt_f32_i32_e32 v10, v22
	v_mul_f32_e32 v18, v16, v16
	v_sub_f32_e32 v11, v16, v11
	v_fmamk_f32 v9, v18, 0x3e9b6dac, v49
	v_sub_f32_e32 v11, v14, v11
	v_fmaak_f32 v9, v18, v9, 0x3f2aaada
	v_ldexp_f32 v14, v11, 1
	v_mul_f32_e32 v11, v16, v18
	v_pk_mul_f32 v[18:19], v[10:11], v[8:9]
	v_ldexp_f32 v17, v16, 1
	v_fma_f32 v16, v10, s89, -v18
	v_fmac_f32_e32 v16, 0xb102e308, v10
	v_pk_add_f32 v[10:11], v[18:19], v[16:17]
	v_mov_b32_e32 v20, v18
	v_sub_f32_e32 v9, v11, v17
	v_sub_f32_e32 v9, v19, v9
	v_add_f32_e32 v21, v14, v9
	v_pk_add_f32 v[18:19], v[10:11], v[18:19] neg_lo:[0,1] neg_hi:[0,1]
	v_pk_add_f32 v[22:23], v[10:11], v[20:21]
	v_mov_b32_e32 v17, v10
	v_mov_b32_e32 v19, v23
	v_pk_add_f32 v[24:25], v[16:17], v[18:19] neg_lo:[0,1] neg_hi:[0,1]
	v_pk_add_f32 v[16:17], v[16:17], v[18:19]
	s_nop 0
	v_mov_b32_e32 v14, v17
	v_pk_add_f32 v[18:19], v[14:15], v[10:11] neg_lo:[0,1] neg_hi:[0,1]
	v_mov_b32_e32 v16, v23
	v_mov_b32_e32 v9, v18
	v_pk_add_f32 v[26:27], v[22:23], v[8:9] neg_lo:[0,1] neg_hi:[0,1]
	v_mov_b32_e32 v22, v11
	v_mov_b32_e32 v23, v18
	;; [unrolled: 1-line block ×3, first 2 shown]
	v_pk_add_f32 v[16:17], v[16:17], v[22:23] neg_lo:[0,1] neg_hi:[0,1]
	v_mov_b32_e32 v18, v21
	v_mov_b32_e32 v19, v10
	v_pk_add_f32 v[10:11], v[18:19], v[16:17] neg_lo:[0,1] neg_hi:[0,1]
	v_mov_b32_e32 v26, v24
	v_pk_add_f32 v[16:17], v[26:27], v[10:11]
	s_nop 0
	v_mov_b32_e32 v18, v17
	v_pk_add_f32 v[18:19], v[16:17], v[18:19]
	s_nop 0
	v_pk_add_f32 v[20:21], v[14:15], v[18:19]
	v_mov_b32_e32 v11, v18
	v_mov_b32_e32 v17, v20
	v_pk_add_f32 v[22:23], v[16:17], v[24:25] neg_lo:[0,1] neg_hi:[0,1]
	s_nop 0
	v_sub_f32_e32 v9, v16, v22
	v_pk_add_f32 v[10:11], v[10:11], v[22:23] neg_lo:[0,1] neg_hi:[0,1]
	v_sub_f32_e32 v9, v24, v9
	v_add_f32_e32 v9, v10, v9
	v_add_f32_e32 v9, v9, v11
	v_add_f32_e32 v9, v20, v9
	v_cndmask_b32_e32 v55, v9, v28, vcc
.LBB38_29:                              ;   in Loop: Header=BB38_11 Depth=1
	s_or_b64 exec, exec, s[28:29]
	v_lshlrev_b32_e32 v9, 16, v15
	v_add_f32_e32 v11, s33, v9
	v_cmp_ge_f32_e32 vcc, s83, v11
	s_and_b64 s[26:27], s[58:59], vcc
	s_and_saveexec_b64 s[28:29], s[26:27]
	s_cbranch_execz .LBB38_31
; %bb.30:                               ;   in Loop: Header=BB38_11 Depth=1
	v_mul_f32_e32 v9, 0x3fb8aa3b, v11
	v_rndne_f32_e32 v10, v9
	v_sub_f32_e32 v14, v9, v10
	v_fma_f32 v9, v11, s84, -v9
	v_fmac_f32_e32 v9, 0x32a5705f, v11
	v_add_f32_e32 v9, v14, v9
	v_cvt_i32_f32_e32 v10, v10
	v_exp_f32_e32 v9, v9
	v_cmp_ngt_f32_e32 vcc, s85, v11
	v_ldexp_f32 v9, v9, v10
	s_nop 0
	v_cndmask_b32_e32 v9, 0, v9, vcc
	v_cmp_nlt_f32_e32 vcc, s86, v11
	s_nop 1
	v_cndmask_b32_e32 v28, v50, v9, vcc
	v_add_f32_e32 v9, 1.0, v28
	v_add_f32_e32 v10, -1.0, v9
	v_sub_f32_e32 v11, v10, v9
	v_add_f32_e32 v11, 1.0, v11
	v_sub_f32_e32 v10, v28, v10
	v_add_f32_e32 v14, v10, v11
	v_frexp_mant_f32_e32 v16, v9
	v_cvt_f64_f32_e32 v[10:11], v9
	v_frexp_exp_i32_f64_e32 v10, v[10:11]
	v_cmp_gt_f32_e32 vcc, s88, v16
	v_cmp_gt_f32_e64 s[26:27], s90, v28
	s_nop 0
	v_subbrev_co_u32_e32 v22, vcc, 0, v10, vcc
	v_sub_u32_e32 v10, 0, v22
	v_ldexp_f32 v9, v9, v10
	v_ldexp_f32 v10, v14, v10
	v_add_f32_e32 v14, -1.0, v9
	v_add_f32_e32 v11, 1.0, v14
	v_sub_f32_e32 v11, v9, v11
	v_add_f32_e32 v16, v10, v11
	v_add_f32_e32 v11, 1.0, v9
	v_add_f32_e32 v17, -1.0, v11
	v_sub_f32_e32 v9, v9, v17
	v_add_f32_e32 v9, v10, v9
	v_add_f32_e32 v23, v11, v9
	v_rcp_f32_e32 v24, v23
	v_sub_f32_e32 v10, v11, v23
	v_add_f32_e32 v11, v14, v16
	v_add_f32_e32 v9, v9, v10
	v_sub_f32_e32 v10, v14, v11
	v_mul_f32_e32 v25, v11, v24
	v_add_f32_e32 v14, v16, v10
	v_mul_f32_e32 v16, v23, v25
	v_fma_f32 v18, v25, v23, -v16
	v_fmac_f32_e32 v18, v25, v9
	v_add_f32_e32 v10, v16, v18
	v_sub_f32_e32 v17, v11, v10
	v_pk_add_f32 v[20:21], v[10:11], v[16:17] neg_lo:[0,1] neg_hi:[0,1]
	v_mov_b32_e32 v19, v10
	v_pk_add_f32 v[10:11], v[20:21], v[18:19] neg_lo:[0,1] neg_hi:[0,1]
	v_cmp_eq_f32_e32 vcc, s87, v28
	v_add_f32_e32 v11, v14, v11
	v_add_f32_e32 v10, v10, v11
	;; [unrolled: 1-line block ×3, first 2 shown]
	v_mul_f32_e32 v14, v24, v11
	v_mul_f32_e32 v16, v23, v14
	v_fma_f32 v18, v14, v23, -v16
	v_fmac_f32_e32 v18, v14, v9
	v_sub_f32_e32 v9, v17, v11
	v_add_f32_e32 v9, v10, v9
	v_add_f32_e32 v10, v16, v18
	v_sub_f32_e32 v17, v11, v10
	v_pk_add_f32 v[20:21], v[10:11], v[16:17] neg_lo:[0,1] neg_hi:[0,1]
	v_mov_b32_e32 v19, v10
	v_pk_add_f32 v[10:11], v[20:21], v[18:19] neg_lo:[0,1] neg_hi:[0,1]
	s_or_b64 vcc, s[26:27], vcc
	v_add_f32_e32 v9, v9, v11
	v_add_f32_e32 v9, v10, v9
	;; [unrolled: 1-line block ×4, first 2 shown]
	v_sub_f32_e32 v10, v11, v25
	v_mul_f32_e32 v9, v24, v9
	v_sub_f32_e32 v10, v14, v10
	v_add_f32_e32 v14, v10, v9
	v_add_f32_e32 v16, v11, v14
	v_cvt_f32_i32_e32 v10, v22
	v_mul_f32_e32 v18, v16, v16
	v_sub_f32_e32 v11, v16, v11
	v_fmamk_f32 v9, v18, 0x3e9b6dac, v49
	v_sub_f32_e32 v11, v14, v11
	v_fmaak_f32 v9, v18, v9, 0x3f2aaada
	v_ldexp_f32 v14, v11, 1
	v_mul_f32_e32 v11, v16, v18
	v_pk_mul_f32 v[18:19], v[10:11], v[8:9]
	v_ldexp_f32 v17, v16, 1
	v_fma_f32 v16, v10, s89, -v18
	v_fmac_f32_e32 v16, 0xb102e308, v10
	v_pk_add_f32 v[10:11], v[18:19], v[16:17]
	v_mov_b32_e32 v20, v18
	v_sub_f32_e32 v9, v11, v17
	v_sub_f32_e32 v9, v19, v9
	v_add_f32_e32 v21, v14, v9
	v_pk_add_f32 v[18:19], v[10:11], v[18:19] neg_lo:[0,1] neg_hi:[0,1]
	v_pk_add_f32 v[22:23], v[10:11], v[20:21]
	v_mov_b32_e32 v17, v10
	v_mov_b32_e32 v19, v23
	v_pk_add_f32 v[24:25], v[16:17], v[18:19] neg_lo:[0,1] neg_hi:[0,1]
	v_pk_add_f32 v[16:17], v[16:17], v[18:19]
	s_nop 0
	v_mov_b32_e32 v14, v17
	v_pk_add_f32 v[18:19], v[14:15], v[10:11] neg_lo:[0,1] neg_hi:[0,1]
	v_mov_b32_e32 v16, v23
	v_mov_b32_e32 v9, v18
	v_pk_add_f32 v[26:27], v[22:23], v[8:9] neg_lo:[0,1] neg_hi:[0,1]
	v_mov_b32_e32 v22, v11
	v_mov_b32_e32 v23, v18
	;; [unrolled: 1-line block ×3, first 2 shown]
	v_pk_add_f32 v[16:17], v[16:17], v[22:23] neg_lo:[0,1] neg_hi:[0,1]
	v_mov_b32_e32 v18, v21
	v_mov_b32_e32 v19, v10
	v_pk_add_f32 v[10:11], v[18:19], v[16:17] neg_lo:[0,1] neg_hi:[0,1]
	v_mov_b32_e32 v26, v24
	v_pk_add_f32 v[16:17], v[26:27], v[10:11]
	s_nop 0
	v_mov_b32_e32 v18, v17
	v_pk_add_f32 v[18:19], v[16:17], v[18:19]
	s_nop 0
	v_pk_add_f32 v[20:21], v[14:15], v[18:19]
	v_mov_b32_e32 v11, v18
	v_mov_b32_e32 v17, v20
	v_pk_add_f32 v[22:23], v[16:17], v[24:25] neg_lo:[0,1] neg_hi:[0,1]
	s_nop 0
	v_sub_f32_e32 v9, v16, v22
	v_pk_add_f32 v[10:11], v[10:11], v[22:23] neg_lo:[0,1] neg_hi:[0,1]
	v_sub_f32_e32 v9, v24, v9
	v_add_f32_e32 v9, v10, v9
	v_add_f32_e32 v9, v9, v11
	;; [unrolled: 1-line block ×3, first 2 shown]
	v_cndmask_b32_e32 v11, v9, v28, vcc
.LBB38_31:                              ;   in Loop: Header=BB38_11 Depth=1
	s_or_b64 exec, exec, s[28:29]
	v_and_b32_e32 v9, 0xffff0000, v15
	v_add_f32_e32 v10, s33, v9
	v_cmp_ge_f32_e32 vcc, s83, v10
	s_and_b64 s[26:27], s[58:59], vcc
	s_and_saveexec_b64 s[28:29], s[26:27]
	s_cbranch_execz .LBB38_33
; %bb.32:                               ;   in Loop: Header=BB38_11 Depth=1
	v_mul_f32_e32 v9, 0x3fb8aa3b, v10
	v_rndne_f32_e32 v14, v9
	v_sub_f32_e32 v15, v9, v14
	v_fma_f32 v9, v10, s84, -v9
	v_fmac_f32_e32 v9, 0x32a5705f, v10
	v_add_f32_e32 v9, v15, v9
	v_cvt_i32_f32_e32 v14, v14
	v_exp_f32_e32 v9, v9
	v_cmp_ngt_f32_e32 vcc, s85, v10
	v_ldexp_f32 v9, v9, v14
	s_nop 0
	v_cndmask_b32_e32 v9, 0, v9, vcc
	v_cmp_nlt_f32_e32 vcc, s86, v10
	s_nop 1
	v_cndmask_b32_e32 v28, v50, v9, vcc
	v_add_f32_e32 v9, 1.0, v28
	v_add_f32_e32 v10, -1.0, v9
	v_sub_f32_e32 v14, v10, v9
	v_add_f32_e32 v14, 1.0, v14
	v_sub_f32_e32 v10, v28, v10
	v_add_f32_e32 v10, v10, v14
	v_frexp_mant_f32_e32 v16, v9
	v_cvt_f64_f32_e32 v[14:15], v9
	v_frexp_exp_i32_f64_e32 v14, v[14:15]
	v_cmp_gt_f32_e32 vcc, s88, v16
	v_cmp_gt_f32_e64 s[26:27], s90, v28
	s_nop 0
	v_subbrev_co_u32_e32 v22, vcc, 0, v14, vcc
	v_sub_u32_e32 v14, 0, v22
	v_ldexp_f32 v9, v9, v14
	v_ldexp_f32 v10, v10, v14
	v_add_f32_e32 v14, -1.0, v9
	v_add_f32_e32 v15, 1.0, v14
	v_sub_f32_e32 v15, v9, v15
	v_add_f32_e32 v16, v10, v15
	v_add_f32_e32 v15, 1.0, v9
	v_add_f32_e32 v17, -1.0, v15
	v_sub_f32_e32 v9, v9, v17
	v_add_f32_e32 v9, v10, v9
	v_add_f32_e32 v10, v15, v9
	v_rcp_f32_e32 v23, v10
	v_sub_f32_e32 v15, v15, v10
	v_add_f32_e32 v9, v9, v15
	v_add_f32_e32 v15, v14, v16
	v_sub_f32_e32 v14, v14, v15
	v_mul_f32_e32 v25, v15, v23
	v_add_f32_e32 v24, v16, v14
	v_mul_f32_e32 v16, v10, v25
	v_fma_f32 v18, v25, v10, -v16
	v_fmac_f32_e32 v18, v25, v9
	v_add_f32_e32 v14, v16, v18
	v_sub_f32_e32 v17, v15, v14
	v_pk_add_f32 v[20:21], v[14:15], v[16:17] neg_lo:[0,1] neg_hi:[0,1]
	v_mov_b32_e32 v19, v14
	v_pk_add_f32 v[14:15], v[20:21], v[18:19] neg_lo:[0,1] neg_hi:[0,1]
	v_cmp_eq_f32_e32 vcc, s87, v28
	v_add_f32_e32 v15, v24, v15
	v_add_f32_e32 v14, v14, v15
	;; [unrolled: 1-line block ×3, first 2 shown]
	v_mul_f32_e32 v24, v23, v15
	v_mul_f32_e32 v16, v10, v24
	v_fma_f32 v18, v24, v10, -v16
	v_fmac_f32_e32 v18, v24, v9
	v_sub_f32_e32 v9, v17, v15
	v_add_f32_e32 v9, v14, v9
	v_add_f32_e32 v14, v16, v18
	v_sub_f32_e32 v17, v15, v14
	v_pk_add_f32 v[20:21], v[14:15], v[16:17] neg_lo:[0,1] neg_hi:[0,1]
	v_mov_b32_e32 v19, v14
	v_pk_add_f32 v[14:15], v[20:21], v[18:19] neg_lo:[0,1] neg_hi:[0,1]
	v_add_f32_e32 v10, v25, v24
	v_add_f32_e32 v9, v9, v15
	;; [unrolled: 1-line block ×4, first 2 shown]
	v_sub_f32_e32 v14, v10, v25
	v_mul_f32_e32 v9, v23, v9
	v_sub_f32_e32 v14, v24, v14
	v_add_f32_e32 v15, v14, v9
	v_add_f32_e32 v16, v10, v15
	v_cvt_f32_i32_e32 v14, v22
	v_mul_f32_e32 v18, v16, v16
	v_fmamk_f32 v9, v18, 0x3e9b6dac, v49
	v_sub_f32_e32 v10, v16, v10
	v_fmaak_f32 v9, v18, v9, 0x3f2aaada
	v_sub_f32_e32 v10, v15, v10
	v_mul_f32_e32 v15, v16, v18
	v_pk_mul_f32 v[18:19], v[14:15], v[8:9]
	v_ldexp_f32 v17, v16, 1
	v_fma_f32 v16, v14, s89, -v18
	v_fmac_f32_e32 v16, 0xb102e308, v14
	v_pk_add_f32 v[14:15], v[18:19], v[16:17]
	v_ldexp_f32 v10, v10, 1
	v_sub_f32_e32 v9, v15, v17
	v_sub_f32_e32 v9, v19, v9
	v_add_f32_e32 v21, v10, v9
	v_mov_b32_e32 v20, v18
	v_pk_add_f32 v[18:19], v[14:15], v[18:19] neg_lo:[0,1] neg_hi:[0,1]
	v_pk_add_f32 v[22:23], v[14:15], v[20:21]
	v_mov_b32_e32 v17, v14
	v_mov_b32_e32 v19, v23
	v_pk_add_f32 v[24:25], v[16:17], v[18:19] neg_lo:[0,1] neg_hi:[0,1]
	v_pk_add_f32 v[16:17], v[16:17], v[18:19]
	s_or_b64 vcc, s[26:27], vcc
	v_mov_b32_e32 v10, v17
	v_pk_add_f32 v[18:19], v[10:11], v[14:15] neg_lo:[0,1] neg_hi:[0,1]
	v_mov_b32_e32 v16, v23
	v_mov_b32_e32 v9, v18
	v_pk_add_f32 v[26:27], v[22:23], v[8:9] neg_lo:[0,1] neg_hi:[0,1]
	v_mov_b32_e32 v22, v15
	v_mov_b32_e32 v23, v18
	v_mov_b32_e32 v25, v17
	v_pk_add_f32 v[16:17], v[16:17], v[22:23] neg_lo:[0,1] neg_hi:[0,1]
	v_mov_b32_e32 v18, v21
	v_mov_b32_e32 v19, v14
	v_pk_add_f32 v[14:15], v[18:19], v[16:17] neg_lo:[0,1] neg_hi:[0,1]
	v_mov_b32_e32 v26, v24
	v_pk_add_f32 v[16:17], v[26:27], v[14:15]
	s_nop 0
	v_mov_b32_e32 v18, v17
	v_pk_add_f32 v[18:19], v[16:17], v[18:19]
	s_nop 0
	v_pk_add_f32 v[20:21], v[10:11], v[18:19]
	v_mov_b32_e32 v15, v18
	v_mov_b32_e32 v17, v20
	v_pk_add_f32 v[22:23], v[16:17], v[24:25] neg_lo:[0,1] neg_hi:[0,1]
	s_nop 0
	v_sub_f32_e32 v9, v16, v22
	v_pk_add_f32 v[14:15], v[14:15], v[22:23] neg_lo:[0,1] neg_hi:[0,1]
	v_sub_f32_e32 v9, v24, v9
	v_add_f32_e32 v9, v14, v9
	v_add_f32_e32 v9, v9, v15
	v_add_f32_e32 v9, v20, v9
	v_cndmask_b32_e32 v10, v9, v28, vcc
.LBB38_33:                              ;   in Loop: Header=BB38_11 Depth=1
	s_or_b64 exec, exec, s[28:29]
	v_lshlrev_b32_e32 v20, 16, v13
	v_and_b32_e32 v9, 0xffff0000, v13
	v_and_b32_e32 v21, 0xffff0000, v12
	v_lshlrev_b32_e32 v22, 16, v12
	v_mul_f32_e32 v14, s78, v20
	v_mul_f32_e32 v13, s78, v21
	;; [unrolled: 1-line block ×4, first 2 shown]
	s_and_b64 vcc, exec, s[60:61]
	s_waitcnt lgkmcnt(0)
	; wave barrier
	s_cbranch_vccz .LBB38_75
; %bb.34:                               ;   in Loop: Header=BB38_11 Depth=1
	s_cmp_lg_u32 s95, 0
	s_cselect_b64 s[66:67], -1, 0
	s_cmp_eq_u32 s95, s82
	v_cmp_gt_u32_e32 vcc, s34, v7
	s_cselect_b64 s[68:69], -1, 0
	s_or_b64 s[26:27], s[62:63], vcc
	v_cmp_gt_u32_e32 vcc, s34, v6
	s_mov_b32 s54, 0
	v_cmp_gt_u32_e64 s[28:29], s34, v3
	s_or_b64 s[30:31], s[62:63], vcc
	v_cmp_gt_u32_e32 vcc, s34, v48
	v_mul_f32_e32 v9, v10, v9
	v_lshl_add_u64 v[16:17], s[42:43], 0, v[0:1]
	v_lshl_add_u64 v[18:19], s[46:47], 0, v[0:1]
	v_mul_f32_e32 v56, v11, v20
	v_mul_f32_e32 v57, v55, v21
	;; [unrolled: 1-line block ×3, first 2 shown]
	s_or_b64 s[28:29], s[62:63], s[28:29]
	s_or_b64 s[34:35], s[62:63], vcc
	s_mov_b32 s70, s54
	s_mov_b32 s72, s54
	;; [unrolled: 1-line block ×5, first 2 shown]
	s_branch .LBB38_36
.LBB38_35:                              ;   in Loop: Header=BB38_36 Depth=2
	s_or_b64 exec, exec, s[36:37]
	v_mul_f32_e32 v22, v29, v28
	v_fma_f32 v23, v29, v31, v24
	v_cndmask_b32_e64 v24, v23, v24, s[16:17]
	v_cndmask_b32_e64 v22, v22, v29, s[16:17]
	s_waitcnt lgkmcnt(0)
	v_fmac_f32_e32 v24, v34, v22
	v_fmac_f32_e32 v25, v24, v27
	;; [unrolled: 1-line block ×4, first 2 shown]
	v_and_b32_e32 v23, 0xffff0000, v20
	v_and_b32_e32 v29, 0xffff0000, v21
	v_lshlrev_b32_e32 v22, 16, v20
	v_lshlrev_b32_e32 v28, 16, v21
	v_mov_b32_e32 v27, v30
	s_add_i32 s96, s96, 8
	s_add_i32 s65, s65, -1
	s_add_i32 s74, s74, s38
	s_add_i32 s72, s72, s48
	;; [unrolled: 1-line block ×4, first 2 shown]
	v_pk_fma_f32 v[14:15], v[26:27], v[28:29], v[14:15]
	s_cmp_eq_u32 s65, 0
	v_pk_fma_f32 v[12:13], v[24:25], v[22:23], v[12:13]
	s_cbranch_scc1 .LBB38_75
.LBB38_36:                              ;   Parent Loop BB38_11 Depth=1
                                        ; =>  This Inner Loop Header: Depth=2
	s_lshl_b64 s[36:37], s[54:55], 2
	s_add_u32 s36, s40, s36
	s_addc_u32 s37, s80, s37
	global_load_dword v26, v1, s[36:37]
	s_mov_b32 s71, s55
	v_lshl_add_u64 v[20:21], s[70:71], 1, v[16:17]
	v_mov_b32_e32 v22, 0
	v_mov_b32_e32 v23, 0
	s_and_saveexec_b64 s[36:37], s[18:19]
	s_cbranch_execz .LBB38_38
; %bb.37:                               ;   in Loop: Header=BB38_36 Depth=2
	global_load_ushort v23, v[20:21], off
.LBB38_38:                              ;   in Loop: Header=BB38_36 Depth=2
	s_or_b64 exec, exec, s[36:37]
	s_and_saveexec_b64 s[36:37], s[20:21]
	s_cbranch_execz .LBB38_40
; %bb.39:                               ;   in Loop: Header=BB38_36 Depth=2
	global_load_ushort v22, v[20:21], off offset:128
.LBB38_40:                              ;   in Loop: Header=BB38_36 Depth=2
	s_or_b64 exec, exec, s[36:37]
	v_mov_b32_e32 v24, 0
	v_mov_b32_e32 v25, 0
	s_and_saveexec_b64 s[36:37], s[22:23]
	s_cbranch_execz .LBB38_42
; %bb.41:                               ;   in Loop: Header=BB38_36 Depth=2
	global_load_ushort v25, v[20:21], off offset:256
.LBB38_42:                              ;   in Loop: Header=BB38_36 Depth=2
	s_or_b64 exec, exec, s[36:37]
	s_and_saveexec_b64 s[36:37], s[24:25]
	s_cbranch_execz .LBB38_44
; %bb.43:                               ;   in Loop: Header=BB38_36 Depth=2
	global_load_ushort v24, v[20:21], off offset:384
.LBB38_44:                              ;   in Loop: Header=BB38_36 Depth=2
	s_or_b64 exec, exec, s[36:37]
	s_waitcnt vmcnt(0)
	ds_write_b16 v39, v23
	ds_write_b16 v40, v22 offset:128
	ds_write_b16 v41, v25 offset:256
	;; [unrolled: 1-line block ×3, first 2 shown]
	; wave barrier
	ds_read_b64 v[24:25], v43
	s_mov_b32 s73, s55
	v_lshl_add_u64 v[20:21], s[72:73], 1, v[18:19]
	v_mov_b32_e32 v22, 0
	v_mov_b32_e32 v23, 0
	s_and_saveexec_b64 s[36:37], s[18:19]
	s_cbranch_execz .LBB38_46
; %bb.45:                               ;   in Loop: Header=BB38_36 Depth=2
	global_load_ushort v23, v[20:21], off
.LBB38_46:                              ;   in Loop: Header=BB38_36 Depth=2
	s_or_b64 exec, exec, s[36:37]
	s_and_saveexec_b64 s[36:37], s[20:21]
	s_cbranch_execz .LBB38_48
; %bb.47:                               ;   in Loop: Header=BB38_36 Depth=2
	global_load_ushort v22, v[20:21], off offset:128
.LBB38_48:                              ;   in Loop: Header=BB38_36 Depth=2
	s_or_b64 exec, exec, s[36:37]
	v_mov_b32_e32 v27, 0
	v_mov_b32_e32 v28, 0
	s_and_saveexec_b64 s[36:37], s[22:23]
	s_cbranch_execz .LBB38_50
; %bb.49:                               ;   in Loop: Header=BB38_36 Depth=2
	global_load_ushort v28, v[20:21], off offset:256
.LBB38_50:                              ;   in Loop: Header=BB38_36 Depth=2
	s_or_b64 exec, exec, s[36:37]
	s_and_saveexec_b64 s[36:37], s[24:25]
	s_cbranch_execz .LBB38_52
; %bb.51:                               ;   in Loop: Header=BB38_36 Depth=2
	global_load_ushort v27, v[20:21], off offset:384
.LBB38_52:                              ;   in Loop: Header=BB38_36 Depth=2
	s_or_b64 exec, exec, s[36:37]
	s_waitcnt vmcnt(0)
	ds_write_b16 v39, v23 offset:528
	ds_write_b16 v44, v22 offset:128
	;; [unrolled: 1-line block ×4, first 2 shown]
	; wave barrier
	ds_read_b64 v[20:21], v43 offset:528
	s_andn2_b64 vcc, exec, s[66:67]
	s_cbranch_vccnz .LBB38_54
; %bb.53:                               ;   in Loop: Header=BB38_36 Depth=2
	v_mov_b32_e32 v22, s96
	ds_read_b64 v[22:23], v22
	s_cbranch_execz .LBB38_55
	s_branch .LBB38_58
.LBB38_54:                              ;   in Loop: Header=BB38_36 Depth=2
                                        ; implicit-def: $vgpr23
.LBB38_55:                              ;   in Loop: Header=BB38_36 Depth=2
	s_andn2_b64 vcc, exec, s[52:53]
	s_waitcnt lgkmcnt(0)
	v_mov_b32_e32 v23, 0
	s_cbranch_vccnz .LBB38_57
; %bb.56:                               ;   in Loop: Header=BB38_36 Depth=2
	s_mov_b32 s75, s55
	s_lshl_b64 s[36:37], s[74:75], 2
	s_add_u32 s36, s45, s36
	s_addc_u32 s37, s49, s37
	global_load_dword v23, v1, s[36:37]
.LBB38_57:                              ;   in Loop: Header=BB38_36 Depth=2
	v_mov_b32_e32 v22, 1.0
.LBB38_58:                              ;   in Loop: Header=BB38_36 Depth=2
	v_mul_f32_e32 v26, 0x3fb8aa3b, v26
	s_waitcnt lgkmcnt(5)
	v_lshlrev_b32_e32 v27, 16, v24
	v_and_b32_e32 v28, 0xffff0000, v24
	v_mul_f32_e32 v24, v26, v54
	v_cmp_gt_f32_e32 vcc, s92, v24
	v_lshlrev_b32_e32 v32, 16, v25
	v_and_b32_e32 v33, 0xffff0000, v25
	v_cndmask_b32_e32 v24, 0, v51, vcc
	v_fmac_f32_e32 v24, v26, v54
	v_exp_f32_e32 v24, v24
	v_cndmask_b32_e32 v25, 1.0, v52, vcc
	v_mul_f32_e32 v25, v24, v25
	v_mul_f32_e32 v24, v58, v27
	;; [unrolled: 1-line block ×3, first 2 shown]
	v_cmp_gt_f32_e32 vcc, s92, v27
	v_cndmask_b32_e64 v29, 1.0, v25, s[26:27]
	v_cndmask_b32_e64 v24, 0, v24, s[26:27]
	v_cndmask_b32_e32 v27, 0, v51, vcc
	v_fmac_f32_e32 v27, v26, v55
	v_exp_f32_e32 v27, v27
	v_cndmask_b32_e32 v25, 1.0, v52, vcc
	v_mul_f32_e32 v27, v27, v25
	v_pk_mul_f32 v[30:31], v[26:27], v[10:11] op_sel_hi:[0,1]
	v_cmp_gt_f32_e32 vcc, s92, v30
	v_mul_f32_e32 v25, v57, v28
	v_cmp_gt_f32_e64 s[36:37], s92, v31
	v_cndmask_b32_e32 v28, 0, v51, vcc
	v_add_f32_e32 v28, v30, v28
	v_cndmask_b32_e64 v30, 0, v51, s[36:37]
	v_exp_f32_e32 v28, v28
	v_add_f32_e32 v30, v31, v30
	v_exp_f32_e32 v30, v30
	v_cndmask_b32_e32 v31, 1.0, v52, vcc
	v_mul_f32_e32 v28, v28, v31
	v_cndmask_b32_e64 v31, 1.0, v52, s[36:37]
	v_cndmask_b32_e64 v25, 0, v25, s[28:29]
	v_cndmask_b32_e64 v27, 1.0, v27, s[28:29]
	v_mul_f32_e32 v31, v30, v31
	v_mul_f32_e32 v26, v56, v32
	;; [unrolled: 1-line block ×3, first 2 shown]
	v_cndmask_b32_e64 v33, 1.0, v31, s[30:31]
	v_cndmask_b32_e64 v32, 1.0, v28, s[34:35]
	v_fma_f32 v28, v27, v24, v25
	v_cndmask_b32_e64 v26, 0, v26, s[30:31]
	v_mul_f32_e32 v28, v28, v33
	v_pk_add_f32 v[34:35], v[28:29], v[26:27]
	v_pk_mul_f32 v[60:61], v[28:29], v[26:27]
	v_cndmask_b32_e64 v30, 0, v30, s[34:35]
	v_mov_b32_e32 v35, v61
	v_pk_mul_f32 v[60:61], v[34:35], v[32:33]
	v_mov_b32_e32 v31, v32
	v_pk_fma_f32 v[62:63], v[34:35], v[32:33], v[30:31]
	v_pk_mul_f32 v[60:61], v[60:61], v[30:31]
	s_nop 0
	v_mov_b32_dpp v31, v62 row_shr:1 row_mask:0xf bank_mask:0xf
	v_mov_b32_dpp v28, v61 row_shr:1 row_mask:0xf bank_mask:0xf
	v_mul_f32_e32 v59, v61, v28
	v_fma_f32 v28, v61, v31, v62
	v_cndmask_b32_e64 v35, v28, v62, s[0:1]
	v_cndmask_b32_e64 v28, v28, v62, s[0:1]
	v_cndmask_b32_e64 v31, v59, v61, s[0:1]
	v_cndmask_b32_e64 v34, v59, v61, s[0:1]
	v_mov_b32_dpp v60, v28 row_shr:2 row_mask:0xf bank_mask:0xf
	v_mov_b32_dpp v59, v31 row_shr:2 row_mask:0xf bank_mask:0xf
	s_and_saveexec_b64 s[36:37], s[2:3]
; %bb.59:                               ;   in Loop: Header=BB38_36 Depth=2
	v_fmac_f32_e32 v28, v31, v60
	v_mul_f32_e32 v31, v31, v59
	v_mov_b32_e32 v34, v31
	v_mov_b32_e32 v35, v28
; %bb.60:                               ;   in Loop: Header=BB38_36 Depth=2
	s_or_b64 exec, exec, s[36:37]
	v_mov_b32_dpp v59, v31 row_shr:4 row_mask:0xf bank_mask:0xf
	v_mov_b32_dpp v60, v28 row_shr:4 row_mask:0xf bank_mask:0xf
	s_and_saveexec_b64 s[36:37], s[4:5]
; %bb.61:                               ;   in Loop: Header=BB38_36 Depth=2
	v_fmac_f32_e32 v28, v31, v60
	v_mul_f32_e32 v31, v31, v59
	v_mov_b32_e32 v34, v31
	v_mov_b32_e32 v35, v28
; %bb.62:                               ;   in Loop: Header=BB38_36 Depth=2
	s_or_b64 exec, exec, s[36:37]
	v_mov_b32_dpp v59, v31 row_shr:8 row_mask:0xf bank_mask:0xf
	v_mov_b32_dpp v60, v28 row_shr:8 row_mask:0xf bank_mask:0xf
	s_and_saveexec_b64 s[36:37], s[6:7]
; %bb.63:                               ;   in Loop: Header=BB38_36 Depth=2
	v_fmac_f32_e32 v28, v31, v60
	v_mul_f32_e32 v31, v31, v59
	v_mov_b32_e32 v34, v31
	v_mov_b32_e32 v35, v28
; %bb.64:                               ;   in Loop: Header=BB38_36 Depth=2
	s_or_b64 exec, exec, s[36:37]
	v_mov_b32_dpp v59, v31 row_bcast:15 row_mask:0xf bank_mask:0xf
	v_mov_b32_dpp v60, v28 row_bcast:15 row_mask:0xf bank_mask:0xf
	s_and_saveexec_b64 s[36:37], s[8:9]
; %bb.65:                               ;   in Loop: Header=BB38_36 Depth=2
	v_fmac_f32_e32 v28, v31, v60
	v_mul_f32_e32 v31, v31, v59
	v_mov_b32_e32 v34, v31
	v_mov_b32_e32 v35, v28
; %bb.66:                               ;   in Loop: Header=BB38_36 Depth=2
	s_or_b64 exec, exec, s[36:37]
	v_mov_b32_dpp v59, v31 row_bcast:31 row_mask:0xf bank_mask:0xf
	v_mov_b32_dpp v60, v28 row_bcast:31 row_mask:0xf bank_mask:0xf
	v_mul_f32_e32 v59, v31, v59
	v_fmac_f32_e32 v28, v31, v60
	v_cndmask_b32_e64 v34, v34, v59, s[10:11]
	v_cndmask_b32_e64 v35, v35, v28, s[10:11]
	s_and_saveexec_b64 s[36:37], s[12:13]
	s_cbranch_execz .LBB38_68
; %bb.67:                               ;   in Loop: Header=BB38_36 Depth=2
	ds_write_b64 v1, v[34:35] offset:1056
.LBB38_68:                              ;   in Loop: Header=BB38_36 Depth=2
	s_or_b64 exec, exec, s[36:37]
	ds_bpermute_b32 v28, v47, v34
	ds_bpermute_b32 v31, v47, v35
	s_waitcnt vmcnt(0) lgkmcnt(2)
	v_mov_b32_e32 v35, v23
	s_waitcnt lgkmcnt(0)
	; wave barrier
	s_waitcnt lgkmcnt(0)
	s_and_saveexec_b64 s[36:37], s[14:15]
	s_cbranch_execz .LBB38_72
; %bb.69:                               ;   in Loop: Header=BB38_36 Depth=2
	ds_read_b64 v[34:35], v1 offset:1056
	s_and_saveexec_b64 s[76:77], s[16:17]
	s_cbranch_execz .LBB38_71
; %bb.70:                               ;   in Loop: Header=BB38_36 Depth=2
	ds_write_b64 v1, v[22:23] offset:1056
.LBB38_71:                              ;   in Loop: Header=BB38_36 Depth=2
	s_or_b64 exec, exec, s[76:77]
	s_waitcnt lgkmcnt(0)
	v_fmac_f32_e32 v35, v23, v34
	v_mul_f32_e32 v22, v22, v34
	v_mov_b32_e32 v23, v35
.LBB38_72:                              ;   in Loop: Header=BB38_36 Depth=2
	s_or_b64 exec, exec, s[36:37]
	s_waitcnt lgkmcnt(0)
	; wave barrier
	ds_read_b32 v34, v1 offset:1060
	s_and_saveexec_b64 s[36:37], s[16:17]
	s_cbranch_execz .LBB38_35
; %bb.73:                               ;   in Loop: Header=BB38_36 Depth=2
	v_mov_b32_e32 v59, s96
	s_andn2_b64 vcc, exec, s[68:69]
	ds_write_b64 v59, v[22:23]
	s_cbranch_vccnz .LBB38_35
; %bb.74:                               ;   in Loop: Header=BB38_36 Depth=2
	s_mov_b32 s75, s55
	s_lshl_b64 s[76:77], s[74:75], 2
	s_add_u32 s76, s45, s76
	s_addc_u32 s77, s49, s77
	global_store_dword v1, v35, s[76:77]
	s_branch .LBB38_35
.LBB38_75:                              ;   in Loop: Header=BB38_11 Depth=1
	v_bfe_u32 v9, v14, 16, 1
	v_bfe_u32 v10, v15, 16, 1
	v_add3_u32 v9, v14, v9, s93
	v_bfe_u32 v11, v12, 16, 1
	v_add3_u32 v10, v15, v10, s93
	v_lshrrev_b32_e32 v9, 16, v9
	v_cmp_o_f32_e32 vcc, v14, v14
	v_bfe_u32 v16, v13, 16, 1
	v_add3_u32 v11, v12, v11, s93
	v_lshrrev_b32_e32 v10, 16, v10
	v_cndmask_b32_e32 v9, v53, v9, vcc
	v_cmp_o_f32_e32 vcc, v15, v15
	v_add3_u32 v16, v13, v16, s93
	v_lshrrev_b32_e32 v17, 16, v11
	v_cndmask_b32_e32 v10, v53, v10, vcc
	v_cmp_o_f32_e32 vcc, v12, v12
	v_lshrrev_b32_e32 v16, 16, v16
	v_perm_b32 v11, v10, v9, s94
	v_cndmask_b32_e32 v9, v53, v17, vcc
	v_cmp_o_f32_e32 vcc, v13, v13
	s_waitcnt lgkmcnt(0)
	; wave barrier
	s_nop 0
	v_cndmask_b32_e32 v10, v53, v16, vcc
	v_perm_b32 v10, v10, v9, s94
	ds_write_b64 v43, v[10:11]
	; wave barrier
	ds_read_u16 v13, v40 offset:128
	ds_read_u16 v12, v41 offset:256
	;; [unrolled: 1-line block ×3, first 2 shown]
	s_mov_b32 s65, s55
	v_lshl_add_u64 v[10:11], s[64:65], 1, v[4:5]
	s_and_saveexec_b64 s[26:27], s[18:19]
	s_cbranch_execnz .LBB38_81
; %bb.76:                               ;   in Loop: Header=BB38_11 Depth=1
	s_or_b64 exec, exec, s[26:27]
	s_and_saveexec_b64 s[18:19], s[20:21]
	s_cbranch_execnz .LBB38_82
.LBB38_77:                              ;   in Loop: Header=BB38_11 Depth=1
	s_or_b64 exec, exec, s[18:19]
	s_and_saveexec_b64 s[18:19], s[22:23]
	s_cbranch_execnz .LBB38_83
.LBB38_78:                              ;   in Loop: Header=BB38_11 Depth=1
	s_or_b64 exec, exec, s[18:19]
	s_and_saveexec_b64 s[18:19], s[24:25]
	s_cbranch_execz .LBB38_10
	s_branch .LBB38_84
.LBB38_79:                              ;   in Loop: Header=BB38_11 Depth=1
	global_load_ushort v15, v[10:11], off offset:128
	s_or_b64 exec, exec, s[26:27]
	s_and_saveexec_b64 s[26:27], s[22:23]
	s_cbranch_execz .LBB38_23
.LBB38_80:                              ;   in Loop: Header=BB38_11 Depth=1
	global_load_ushort v14, v[10:11], off offset:256
	s_or_b64 exec, exec, s[26:27]
	v_mov_b32_e32 v16, 0
	s_and_saveexec_b64 s[26:27], s[24:25]
	s_cbranch_execnz .LBB38_24
	s_branch .LBB38_25
.LBB38_81:                              ;   in Loop: Header=BB38_11 Depth=1
	ds_read_u16 v14, v39
	s_waitcnt lgkmcnt(0)
	global_store_short v[10:11], v14, off
	s_or_b64 exec, exec, s[26:27]
	s_and_saveexec_b64 s[18:19], s[20:21]
	s_cbranch_execz .LBB38_77
.LBB38_82:                              ;   in Loop: Header=BB38_11 Depth=1
	s_waitcnt lgkmcnt(2)
	global_store_short v[10:11], v13, off offset:128
	s_or_b64 exec, exec, s[18:19]
	s_and_saveexec_b64 s[18:19], s[22:23]
	s_cbranch_execz .LBB38_78
.LBB38_83:                              ;   in Loop: Header=BB38_11 Depth=1
	s_waitcnt lgkmcnt(1)
	global_store_short v[10:11], v12, off offset:256
	s_or_b64 exec, exec, s[18:19]
	s_and_saveexec_b64 s[18:19], s[24:25]
	s_cbranch_execz .LBB38_10
.LBB38_84:                              ;   in Loop: Header=BB38_11 Depth=1
	s_waitcnt lgkmcnt(0)
	global_store_short v[10:11], v9, off offset:384
	s_branch .LBB38_10
.LBB38_85:
	s_endpgm
.LBB38_86:
	s_mov_b64 s[52:53], 0
	s_load_dwordx2 s[4:5], s[0:1], 0x20
	s_cmp_eq_u64 s[6:7], 0
	s_cbranch_scc0 .LBB38_2
	s_branch .LBB38_3
	.section	.rodata,"a",@progbits
	.p2align	6, 0x0
	.amdhsa_kernel _Z25selective_scan_fwd_kernelI32Selective_Scan_fwd_kernel_traitsILi64ELi4ELi1ELb0ELb1ELb1ELb0ELb1EN3c108BFloat16EffEEv13SSMParamsBase
		.amdhsa_group_segment_fixed_size 0
		.amdhsa_private_segment_fixed_size 0
		.amdhsa_kernarg_size 248
		.amdhsa_user_sgpr_count 2
		.amdhsa_user_sgpr_dispatch_ptr 0
		.amdhsa_user_sgpr_queue_ptr 0
		.amdhsa_user_sgpr_kernarg_segment_ptr 1
		.amdhsa_user_sgpr_dispatch_id 0
		.amdhsa_user_sgpr_kernarg_preload_length 0
		.amdhsa_user_sgpr_kernarg_preload_offset 0
		.amdhsa_user_sgpr_private_segment_size 0
		.amdhsa_uses_dynamic_stack 0
		.amdhsa_enable_private_segment 0
		.amdhsa_system_sgpr_workgroup_id_x 1
		.amdhsa_system_sgpr_workgroup_id_y 1
		.amdhsa_system_sgpr_workgroup_id_z 0
		.amdhsa_system_sgpr_workgroup_info 0
		.amdhsa_system_vgpr_workitem_id 0
		.amdhsa_next_free_vgpr 64
		.amdhsa_next_free_sgpr 97
		.amdhsa_accum_offset 64
		.amdhsa_reserve_vcc 1
		.amdhsa_float_round_mode_32 0
		.amdhsa_float_round_mode_16_64 0
		.amdhsa_float_denorm_mode_32 3
		.amdhsa_float_denorm_mode_16_64 3
		.amdhsa_dx10_clamp 1
		.amdhsa_ieee_mode 1
		.amdhsa_fp16_overflow 0
		.amdhsa_tg_split 0
		.amdhsa_exception_fp_ieee_invalid_op 0
		.amdhsa_exception_fp_denorm_src 0
		.amdhsa_exception_fp_ieee_div_zero 0
		.amdhsa_exception_fp_ieee_overflow 0
		.amdhsa_exception_fp_ieee_underflow 0
		.amdhsa_exception_fp_ieee_inexact 0
		.amdhsa_exception_int_div_zero 0
	.end_amdhsa_kernel
	.section	.text._Z25selective_scan_fwd_kernelI32Selective_Scan_fwd_kernel_traitsILi64ELi4ELi1ELb0ELb1ELb1ELb0ELb1EN3c108BFloat16EffEEv13SSMParamsBase,"axG",@progbits,_Z25selective_scan_fwd_kernelI32Selective_Scan_fwd_kernel_traitsILi64ELi4ELi1ELb0ELb1ELb1ELb0ELb1EN3c108BFloat16EffEEv13SSMParamsBase,comdat
.Lfunc_end38:
	.size	_Z25selective_scan_fwd_kernelI32Selective_Scan_fwd_kernel_traitsILi64ELi4ELi1ELb0ELb1ELb1ELb0ELb1EN3c108BFloat16EffEEv13SSMParamsBase, .Lfunc_end38-_Z25selective_scan_fwd_kernelI32Selective_Scan_fwd_kernel_traitsILi64ELi4ELi1ELb0ELb1ELb1ELb0ELb1EN3c108BFloat16EffEEv13SSMParamsBase
                                        ; -- End function
	.section	.AMDGPU.csdata,"",@progbits
; Kernel info:
; codeLenInByte = 6184
; NumSgprs: 103
; NumVgprs: 64
; NumAgprs: 0
; TotalNumVgprs: 64
; ScratchSize: 0
; MemoryBound: 0
; FloatMode: 240
; IeeeMode: 1
; LDSByteSize: 0 bytes/workgroup (compile time only)
; SGPRBlocks: 12
; VGPRBlocks: 7
; NumSGPRsForWavesPerEU: 103
; NumVGPRsForWavesPerEU: 64
; AccumOffset: 64
; Occupancy: 7
; WaveLimiterHint : 1
; COMPUTE_PGM_RSRC2:SCRATCH_EN: 0
; COMPUTE_PGM_RSRC2:USER_SGPR: 2
; COMPUTE_PGM_RSRC2:TRAP_HANDLER: 0
; COMPUTE_PGM_RSRC2:TGID_X_EN: 1
; COMPUTE_PGM_RSRC2:TGID_Y_EN: 1
; COMPUTE_PGM_RSRC2:TGID_Z_EN: 0
; COMPUTE_PGM_RSRC2:TIDIG_COMP_CNT: 0
; COMPUTE_PGM_RSRC3_GFX90A:ACCUM_OFFSET: 15
; COMPUTE_PGM_RSRC3_GFX90A:TG_SPLIT: 0
	.section	.text._Z25selective_scan_fwd_kernelI32Selective_Scan_fwd_kernel_traitsILi64ELi4ELi1ELb0ELb1ELb1ELb0ELb0EN3c108BFloat16EffEEv13SSMParamsBase,"axG",@progbits,_Z25selective_scan_fwd_kernelI32Selective_Scan_fwd_kernel_traitsILi64ELi4ELi1ELb0ELb1ELb1ELb0ELb0EN3c108BFloat16EffEEv13SSMParamsBase,comdat
	.protected	_Z25selective_scan_fwd_kernelI32Selective_Scan_fwd_kernel_traitsILi64ELi4ELi1ELb0ELb1ELb1ELb0ELb0EN3c108BFloat16EffEEv13SSMParamsBase ; -- Begin function _Z25selective_scan_fwd_kernelI32Selective_Scan_fwd_kernel_traitsILi64ELi4ELi1ELb0ELb1ELb1ELb0ELb0EN3c108BFloat16EffEEv13SSMParamsBase
	.globl	_Z25selective_scan_fwd_kernelI32Selective_Scan_fwd_kernel_traitsILi64ELi4ELi1ELb0ELb1ELb1ELb0ELb0EN3c108BFloat16EffEEv13SSMParamsBase
	.p2align	8
	.type	_Z25selective_scan_fwd_kernelI32Selective_Scan_fwd_kernel_traitsILi64ELi4ELi1ELb0ELb1ELb1ELb0ELb0EN3c108BFloat16EffEEv13SSMParamsBase,@function
_Z25selective_scan_fwd_kernelI32Selective_Scan_fwd_kernel_traitsILi64ELi4ELi1ELb0ELb1ELb1ELb0ELb0EN3c108BFloat16EffEEv13SSMParamsBase: ; @_Z25selective_scan_fwd_kernelI32Selective_Scan_fwd_kernel_traitsILi64ELi4ELi1ELb0ELb1ELb1ELb0ELb0EN3c108BFloat16EffEEv13SSMParamsBase
; %bb.0:
	s_load_dword s25, s[0:1], 0x18
	s_load_dwordx4 s[4:7], s[0:1], 0xe8
	s_mov_b32 s20, s3
	s_waitcnt lgkmcnt(0)
	s_abs_i32 s24, s25
	v_cvt_f32_u32_e32 v1, s24
	s_cmp_eq_u64 s[6:7], 0
	v_rcp_iflag_f32_e32 v1, v1
	s_nop 0
	v_mul_f32_e32 v1, 0x4f7ffffe, v1
	v_cvt_u32_f32_e32 v1, v1
	s_nop 0
	v_readfirstlane_b32 s26, v1
	s_cbranch_scc1 .LBB39_3
; %bb.1:
	s_ashr_i32 s3, s2, 31
	s_add_u32 s6, s6, s2
	s_addc_u32 s7, s7, s3
	v_mov_b32_e32 v1, 0
	global_load_ubyte v1, v1, s[6:7]
	s_waitcnt vmcnt(0)
	v_and_b32_e32 v1, 1, v1
	v_cmp_eq_u32_e64 s[52:53], 1, v1
	s_load_dwordx2 s[6:7], s[0:1], 0x20
	s_cmp_eq_u64 s[4:5], 0
	s_cbranch_scc1 .LBB39_4
.LBB39_2:
	s_ashr_i32 s3, s2, 31
	s_lshl_b64 s[8:9], s[2:3], 2
	s_add_u32 s4, s4, s8
	s_addc_u32 s5, s5, s9
	s_load_dword s22, s[4:5], 0x0
	s_waitcnt lgkmcnt(0)
	s_ashr_i32 s23, s22, 31
	s_cmp_eq_u64 s[6:7], s[22:23]
	s_cbranch_scc0 .LBB39_5
	s_branch .LBB39_86
.LBB39_3:
	s_mov_b64 s[52:53], 0
	s_load_dwordx2 s[6:7], s[0:1], 0x20
	s_cmp_eq_u64 s[4:5], 0
	s_cbranch_scc0 .LBB39_2
.LBB39_4:
	s_mov_b32 s22, s2
	s_ashr_i32 s23, s22, 31
	s_waitcnt lgkmcnt(0)
	s_cmp_eq_u64 s[6:7], s[22:23]
	s_cbranch_scc1 .LBB39_86
.LBB39_5:
	s_load_dwordx16 s[4:19], s[0:1], 0x88
	s_load_dwordx2 s[54:55], s[0:1], 0x8
	s_mov_b32 s33, 0
	s_mov_b32 s80, 0
	s_waitcnt lgkmcnt(0)
	s_cmp_eq_u64 s[10:11], 0
	s_cbranch_scc1 .LBB39_7
; %bb.6:
	s_ashr_i32 s21, s20, 31
	s_lshl_b64 s[28:29], s[20:21], 2
	s_add_u32 s10, s10, s28
	s_addc_u32 s11, s11, s29
	s_load_dword s80, s[10:11], 0x0
.LBB39_7:
	s_cmp_eq_u64 s[16:17], 0
	s_cbranch_scc1 .LBB39_9
; %bb.8:
	s_ashr_i32 s21, s20, 31
	s_lshl_b64 s[10:11], s[20:21], 2
	s_add_u32 s10, s16, s10
	s_addc_u32 s11, s17, s11
	s_load_dword s33, s[10:11], 0x0
.LBB39_9:
	s_cmp_lt_i32 s54, 1
	s_cbranch_scc1 .LBB39_86
; %bb.10:
	s_sub_i32 s3, 0, s24
	s_mul_i32 s3, s3, s26
	s_mul_hi_u32 s3, s26, s3
	s_abs_i32 s21, s20
	s_add_i32 s3, s26, s3
	s_load_dwordx8 s[40:47], s[0:1], 0x2c
	s_load_dwordx2 s[16:17], s[0:1], 0x5c
	s_load_dwordx4 s[48:51], s[0:1], 0x4c
	s_load_dwordx4 s[36:39], s[0:1], 0x7c
	s_load_dwordx2 s[10:11], s[0:1], 0x6c
	s_load_dwordx2 s[26:27], s[0:1], 0xc8
	s_mul_hi_u32 s3, s21, s3
	s_load_dword s23, s[0:1], 0x28
	s_ashr_i32 s0, s20, 31
	s_ashr_i32 s1, s25, 31
	s_xor_b32 s0, s0, s1
	s_mul_i32 s1, s3, s24
	s_sub_i32 s1, s21, s1
	s_add_i32 s21, s3, 1
	s_sub_i32 s25, s1, s24
	s_cmp_ge_u32 s1, s24
	s_cselect_b32 s3, s21, s3
	s_cselect_b32 s1, s25, s1
	s_add_i32 s21, s3, 1
	s_cmp_ge_u32 s1, s24
	s_cselect_b32 s1, s21, s3
	s_xor_b32 s1, s1, s0
	s_waitcnt lgkmcnt(0)
	s_mul_i32 s56, s50, s2
	s_mov_b32 s57, 0
	s_sub_i32 s3, s1, s0
	s_lshl_b64 s[0:1], s[56:57], 1
	s_add_u32 s12, s12, s0
	s_mul_i32 s56, s51, s20
	s_addc_u32 s13, s13, s1
	s_lshl_b64 s[0:1], s[56:57], 1
	s_add_u32 s50, s12, s0
	s_mul_i32 s56, s16, s2
	s_addc_u32 s51, s13, s1
	;; [unrolled: 4-line block ×9, first 2 shown]
	s_lshl_b64 s[0:1], s[56:57], 2
	s_add_u32 s3, s26, s0
	s_mul_i32 s56, s37, s20
	v_mbcnt_lo_u32_b32 v2, -1, 0
	s_addc_u32 s4, s27, s1
	s_lshl_b64 s[0:1], s[56:57], 2
	v_mbcnt_hi_u32_b32 v2, -1, v2
	s_add_u32 s45, s3, s0
	v_lshrrev_b32_e32 v3, 5, v2
	s_addc_u32 s49, s4, s1
	s_add_i32 s0, s54, 0x7ff
	v_and_b32_e32 v3, 2, v3
	s_lshr_b32 s81, s0, 11
	v_add_u32_e32 v36, 64, v2
	v_or_b32_e32 v37, 0x80, v2
	v_add_u32_e32 v38, 0xc0, v2
	v_add_u32_e32 v3, v3, v2
	v_lshl_add_u32 v39, v3, 1, 0
	v_lshrrev_b32_e32 v3, 5, v36
	v_lshrrev_b32_e32 v4, 5, v37
	;; [unrolled: 1-line block ×3, first 2 shown]
	s_bitcmp1_b32 s23, 0
	v_and_b32_e32 v3, 6, v3
	v_and_b32_e32 v4, 6, v4
	;; [unrolled: 1-line block ×3, first 2 shown]
	s_cselect_b64 s[60:61], -1, 0
	s_cmp_gt_i32 s55, 0
	v_add_lshl_u32 v3, v3, v2, 1
	v_add_lshl_u32 v4, v4, v2, 1
	;; [unrolled: 1-line block ×3, first 2 shown]
	s_cselect_b64 s[62:63], -1, 0
	s_add_i32 s0, 0, 0x210
	s_mul_i32 s56, s10, s2
	v_add_u32_e32 v44, s0, v3
	v_add_u32_e32 v45, s0, v4
	;; [unrolled: 1-line block ×3, first 2 shown]
	s_and_b32 s3, s54, 0xff
	s_add_i32 s82, s81, -1
	s_lshl_b64 s[0:1], s[56:57], 1
	s_add_u32 s2, s18, s0
	s_mul_i32 s56, s11, s20
	s_addc_u32 s4, s19, s1
	s_lshl_b64 s[0:1], s[56:57], 1
	s_add_u32 s18, s2, s0
	v_add_u32_e32 v40, 0, v3
	s_addc_u32 s19, s4, s1
	v_and_b32_e32 v3, 15, v2
	s_cmp_eq_u32 s3, 0
	v_cmp_eq_u32_e64 s[0:1], 0, v3
	v_cmp_lt_u32_e64 s[2:3], 1, v3
	v_cmp_lt_u32_e64 s[4:5], 3, v3
	;; [unrolled: 1-line block ×3, first 2 shown]
	v_and_b32_e32 v3, 16, v2
	v_add_u32_e32 v41, 0, v4
	v_lshrrev_b32_e32 v6, 3, v2
	v_cmp_ne_u32_e64 s[8:9], 0, v3
	v_add_u32_e32 v3, -1, v2
	v_and_b32_e32 v4, 64, v2
	v_and_b32_e32 v6, 14, v6
	v_cmp_lt_i32_e32 vcc, v3, v4
	v_mov_b32_e32 v1, 0
	v_lshlrev_b32_e32 v7, 2, v0
	v_lshl_add_u32 v6, v2, 2, v6
	v_cmp_eq_u32_e64 s[12:13], 63, v0
	v_cndmask_b32_e32 v3, v3, v2, vcc
	v_cmp_gt_u32_e64 s[14:15], 64, v0
	v_cmp_eq_u32_e64 s[16:17], 0, v0
	v_lshlrev_b32_e32 v0, 1, v2
                                        ; implicit-def: $vgpr8
	v_add_u32_e32 v42, 0, v5
	v_lshl_add_u32 v43, v6, 1, 0
	s_cselect_b64 s[64:65], -1, 0
	v_cmp_lt_u32_e64 s[10:11], 31, v2
	v_lshlrev_b32_e32 v47, 2, v3
	v_lshl_add_u64 v[4:5], s[18:19], 0, v[0:1]
	v_or_b32_e32 v3, 1, v7
	v_or_b32_e32 v6, 2, v7
	;; [unrolled: 1-line block ×3, first 2 shown]
	v_lshlrev_b32_e32 v0, 1, v2
	s_mov_b32 s83, 0x41a00000
	s_mov_b32 s84, 0x3fb8aa3b
	;; [unrolled: 1-line block ×6, first 2 shown]
	v_mov_b32_e32 v49, 0x3ecc95a3
	s_mov_b32 s89, 0x3f317218
	s_mov_b32 s90, 0x33800000
	s_add_i32 s91, 0, 0x428
	s_mov_b32 s92, 0xc2fc0000
	s_movk_i32 s93, 0x7fff
	s_mov_b32 s94, 0x5040100
	v_mov_b32_e32 v50, 0x7f800000
	v_mov_b32_e32 v8, 0x3f317218
	;; [unrolled: 1-line block ×5, first 2 shown]
	s_mov_b32 s95, 0
	s_branch .LBB39_12
.LBB39_11:                              ;   in Loop: Header=BB39_12 Depth=1
	s_or_b64 exec, exec, s[18:19]
	s_add_u32 s58, s58, 0x200
	s_addc_u32 s59, s59, 0
	s_add_u32 s50, s50, 0x200
	s_addc_u32 s51, s51, 0
	;; [unrolled: 2-line block ×4, first 2 shown]
	s_add_i32 s95, s95, 1
	s_cmp_eq_u32 s95, s81
	s_cbranch_scc1 .LBB39_86
.LBB39_12:                              ; =>This Loop Header: Depth=1
                                        ;     Child Loop BB39_37 Depth 2
	s_lshl_b32 s66, s95, 8
	s_sub_i32 s34, s54, s66
	v_lshl_add_u64 v[10:11], s[50:51], 0, v[0:1]
	v_cmp_gt_u32_e64 s[18:19], s34, v2
	s_waitcnt lgkmcnt(1)
	v_mov_b32_e32 v12, 0
	s_waitcnt lgkmcnt(0)
	; wave barrier
	s_and_saveexec_b64 s[20:21], s[18:19]
	s_cbranch_execz .LBB39_14
; %bb.13:                               ;   in Loop: Header=BB39_12 Depth=1
	global_load_ushort v12, v[10:11], off
.LBB39_14:                              ;   in Loop: Header=BB39_12 Depth=1
	s_or_b64 exec, exec, s[20:21]
	v_cmp_gt_u32_e64 s[20:21], s34, v36
	v_mov_b32_e32 v13, 0
	v_mov_b32_e32 v14, 0
	s_and_saveexec_b64 s[22:23], s[20:21]
	s_cbranch_execz .LBB39_16
; %bb.15:                               ;   in Loop: Header=BB39_12 Depth=1
	global_load_ushort v14, v[10:11], off offset:128
.LBB39_16:                              ;   in Loop: Header=BB39_12 Depth=1
	s_or_b64 exec, exec, s[22:23]
	v_cmp_gt_u32_e64 s[22:23], s34, v37
	s_and_saveexec_b64 s[24:25], s[22:23]
	s_cbranch_execz .LBB39_18
; %bb.17:                               ;   in Loop: Header=BB39_12 Depth=1
	global_load_ushort v13, v[10:11], off offset:256
.LBB39_18:                              ;   in Loop: Header=BB39_12 Depth=1
	s_or_b64 exec, exec, s[24:25]
	v_cmp_gt_u32_e64 s[24:25], s34, v38
	s_waitcnt lgkmcnt(0)
	v_mov_b32_e32 v9, 0
	v_mov_b32_e32 v15, 0
	s_and_saveexec_b64 s[26:27], s[24:25]
	s_cbranch_execz .LBB39_20
; %bb.19:                               ;   in Loop: Header=BB39_12 Depth=1
	global_load_ushort v15, v[10:11], off offset:384
.LBB39_20:                              ;   in Loop: Header=BB39_12 Depth=1
	s_or_b64 exec, exec, s[26:27]
	s_waitcnt vmcnt(0)
	ds_write_b16 v39, v12
	ds_write_b16 v40, v14 offset:128
	ds_write_b16 v41, v13 offset:256
	;; [unrolled: 1-line block ×3, first 2 shown]
	; wave barrier
	ds_read_b64 v[12:13], v43
	v_lshl_add_u64 v[10:11], s[58:59], 0, v[0:1]
	s_waitcnt lgkmcnt(0)
	; wave barrier
	s_waitcnt lgkmcnt(0)
	s_and_saveexec_b64 s[26:27], s[18:19]
	s_cbranch_execz .LBB39_22
; %bb.21:                               ;   in Loop: Header=BB39_12 Depth=1
	global_load_ushort v9, v[10:11], off
.LBB39_22:                              ;   in Loop: Header=BB39_12 Depth=1
	s_or_b64 exec, exec, s[26:27]
	v_mov_b32_e32 v14, 0
	v_mov_b32_e32 v15, 0
	s_and_saveexec_b64 s[26:27], s[20:21]
	s_cbranch_execnz .LBB39_80
; %bb.23:                               ;   in Loop: Header=BB39_12 Depth=1
	s_or_b64 exec, exec, s[26:27]
	s_and_saveexec_b64 s[26:27], s[22:23]
	s_cbranch_execnz .LBB39_81
.LBB39_24:                              ;   in Loop: Header=BB39_12 Depth=1
	s_or_b64 exec, exec, s[26:27]
	v_mov_b32_e32 v16, 0
	s_and_saveexec_b64 s[26:27], s[24:25]
	s_cbranch_execz .LBB39_26
.LBB39_25:                              ;   in Loop: Header=BB39_12 Depth=1
	global_load_ushort v16, v[10:11], off offset:384
.LBB39_26:                              ;   in Loop: Header=BB39_12 Depth=1
	s_or_b64 exec, exec, s[26:27]
	s_waitcnt vmcnt(0)
	ds_write_b16 v39, v9
	ds_write_b16 v40, v15 offset:128
	ds_write_b16 v41, v14 offset:256
	;; [unrolled: 1-line block ×3, first 2 shown]
	; wave barrier
	ds_read_b64 v[14:15], v43
	s_waitcnt lgkmcnt(0)
	v_lshlrev_b32_e32 v9, 16, v14
	v_add_f32_e32 v54, s33, v9
	v_cmp_ge_f32_e32 vcc, s83, v54
	s_and_b64 s[26:27], s[60:61], vcc
	s_and_saveexec_b64 s[28:29], s[26:27]
	s_cbranch_execz .LBB39_28
; %bb.27:                               ;   in Loop: Header=BB39_12 Depth=1
	v_mul_f32_e32 v9, 0x3fb8aa3b, v54
	v_rndne_f32_e32 v10, v9
	v_sub_f32_e32 v11, v9, v10
	v_fma_f32 v9, v54, s84, -v9
	v_fmac_f32_e32 v9, 0x32a5705f, v54
	v_add_f32_e32 v9, v11, v9
	v_cvt_i32_f32_e32 v10, v10
	v_exp_f32_e32 v9, v9
	v_cmp_ngt_f32_e32 vcc, s85, v54
	v_ldexp_f32 v9, v9, v10
	s_nop 0
	v_cndmask_b32_e32 v9, 0, v9, vcc
	v_cmp_nlt_f32_e32 vcc, s86, v54
	s_nop 1
	v_cndmask_b32_e32 v30, v50, v9, vcc
	v_add_f32_e32 v9, 1.0, v30
	v_add_f32_e32 v10, -1.0, v9
	v_sub_f32_e32 v11, v10, v9
	v_add_f32_e32 v11, 1.0, v11
	v_sub_f32_e32 v10, v30, v10
	v_add_f32_e32 v16, v10, v11
	v_frexp_mant_f32_e32 v17, v9
	v_cvt_f64_f32_e32 v[10:11], v9
	v_frexp_exp_i32_f64_e32 v10, v[10:11]
	v_cmp_gt_f32_e32 vcc, s88, v17
	v_cmp_gt_f32_e64 s[26:27], s90, v30
	s_nop 0
	v_subbrev_co_u32_e32 v22, vcc, 0, v10, vcc
	v_sub_u32_e32 v10, 0, v22
	v_ldexp_f32 v9, v9, v10
	v_ldexp_f32 v10, v16, v10
	v_add_f32_e32 v16, -1.0, v9
	v_add_f32_e32 v11, 1.0, v16
	v_sub_f32_e32 v11, v9, v11
	v_add_f32_e32 v17, v10, v11
	v_add_f32_e32 v11, 1.0, v9
	v_add_f32_e32 v18, -1.0, v11
	v_sub_f32_e32 v9, v9, v18
	v_add_f32_e32 v9, v10, v9
	v_add_f32_e32 v23, v11, v9
	v_rcp_f32_e32 v24, v23
	v_sub_f32_e32 v10, v11, v23
	v_add_f32_e32 v11, v16, v17
	v_add_f32_e32 v9, v9, v10
	v_mul_f32_e32 v26, v11, v24
	v_sub_f32_e32 v10, v16, v11
	v_mul_f32_e32 v16, v23, v26
	v_fma_f32 v18, v26, v23, -v16
	v_fmac_f32_e32 v18, v26, v9
	v_add_f32_e32 v25, v17, v10
	v_add_f32_e32 v10, v16, v18
	v_sub_f32_e32 v17, v11, v10
	v_pk_add_f32 v[20:21], v[10:11], v[16:17] neg_lo:[0,1] neg_hi:[0,1]
	v_mov_b32_e32 v19, v10
	v_pk_add_f32 v[10:11], v[20:21], v[18:19] neg_lo:[0,1] neg_hi:[0,1]
	v_cmp_eq_f32_e32 vcc, s87, v30
	v_add_f32_e32 v11, v25, v11
	v_add_f32_e32 v10, v10, v11
	;; [unrolled: 1-line block ×3, first 2 shown]
	v_mul_f32_e32 v25, v24, v11
	v_mul_f32_e32 v16, v23, v25
	v_fma_f32 v18, v25, v23, -v16
	v_fmac_f32_e32 v18, v25, v9
	v_sub_f32_e32 v9, v17, v11
	v_add_f32_e32 v9, v10, v9
	v_add_f32_e32 v10, v16, v18
	v_sub_f32_e32 v17, v11, v10
	v_pk_add_f32 v[20:21], v[10:11], v[16:17] neg_lo:[0,1] neg_hi:[0,1]
	v_mov_b32_e32 v19, v10
	v_pk_add_f32 v[10:11], v[20:21], v[18:19] neg_lo:[0,1] neg_hi:[0,1]
	s_or_b64 vcc, s[26:27], vcc
	v_add_f32_e32 v9, v9, v11
	v_add_f32_e32 v9, v10, v9
	v_add_f32_e32 v11, v26, v25
	v_add_f32_e32 v9, v17, v9
	v_sub_f32_e32 v10, v11, v26
	v_mul_f32_e32 v9, v24, v9
	v_sub_f32_e32 v10, v25, v10
	v_add_f32_e32 v16, v10, v9
	v_add_f32_e32 v18, v11, v16
	v_cvt_f32_i32_e32 v10, v22
	v_mul_f32_e32 v19, v18, v18
	v_sub_f32_e32 v11, v18, v11
	v_fmamk_f32 v9, v19, 0x3e9b6dac, v49
	v_sub_f32_e32 v11, v16, v11
	v_fmaak_f32 v9, v19, v9, 0x3f2aaada
	v_ldexp_f32 v20, v11, 1
	v_mul_f32_e32 v11, v18, v19
	v_ldexp_f32 v17, v18, 1
	v_pk_mul_f32 v[18:19], v[10:11], v[8:9]
	s_nop 0
	v_fma_f32 v16, v10, s89, -v18
	v_fmac_f32_e32 v16, 0xb102e308, v10
	v_pk_add_f32 v[10:11], v[18:19], v[16:17]
	s_nop 0
	v_sub_f32_e32 v9, v11, v17
	v_sub_f32_e32 v9, v19, v9
	v_add_f32_e32 v21, v20, v9
	v_mov_b32_e32 v20, v18
	v_pk_add_f32 v[18:19], v[10:11], v[18:19] neg_lo:[0,1] neg_hi:[0,1]
	v_pk_add_f32 v[22:23], v[10:11], v[20:21]
	v_mov_b32_e32 v17, v10
	v_mov_b32_e32 v19, v23
	v_pk_add_f32 v[24:25], v[16:17], v[18:19] neg_lo:[0,1] neg_hi:[0,1]
	v_pk_add_f32 v[16:17], v[16:17], v[18:19]
	v_mov_b32_e32 v20, v21
	v_mov_b32_e32 v18, v17
	v_pk_add_f32 v[26:27], v[18:19], v[10:11] neg_lo:[0,1] neg_hi:[0,1]
	v_mov_b32_e32 v16, v23
	v_mov_b32_e32 v9, v26
	v_pk_add_f32 v[28:29], v[22:23], v[8:9] neg_lo:[0,1] neg_hi:[0,1]
	v_mov_b32_e32 v22, v11
	v_mov_b32_e32 v23, v26
	;; [unrolled: 1-line block ×3, first 2 shown]
	v_pk_add_f32 v[16:17], v[16:17], v[22:23] neg_lo:[0,1] neg_hi:[0,1]
	v_mov_b32_e32 v21, v10
	v_pk_add_f32 v[10:11], v[20:21], v[16:17] neg_lo:[0,1] neg_hi:[0,1]
	v_mov_b32_e32 v28, v24
	v_pk_add_f32 v[16:17], v[28:29], v[10:11]
	s_nop 0
	v_mov_b32_e32 v20, v17
	v_pk_add_f32 v[20:21], v[16:17], v[20:21]
	s_nop 0
	v_pk_add_f32 v[18:19], v[18:19], v[20:21]
	v_mov_b32_e32 v11, v20
	v_mov_b32_e32 v17, v18
	v_pk_add_f32 v[22:23], v[16:17], v[24:25] neg_lo:[0,1] neg_hi:[0,1]
	s_nop 0
	v_sub_f32_e32 v9, v16, v22
	v_pk_add_f32 v[10:11], v[10:11], v[22:23] neg_lo:[0,1] neg_hi:[0,1]
	v_sub_f32_e32 v9, v24, v9
	v_add_f32_e32 v9, v10, v9
	v_add_f32_e32 v9, v9, v11
	;; [unrolled: 1-line block ×3, first 2 shown]
	v_cndmask_b32_e32 v54, v9, v30, vcc
.LBB39_28:                              ;   in Loop: Header=BB39_12 Depth=1
	s_or_b64 exec, exec, s[28:29]
	v_and_b32_e32 v9, 0xffff0000, v14
	v_add_f32_e32 v55, s33, v9
	v_cmp_ge_f32_e32 vcc, s83, v55
	s_and_b64 s[26:27], s[60:61], vcc
	s_and_saveexec_b64 s[28:29], s[26:27]
	s_cbranch_execz .LBB39_30
; %bb.29:                               ;   in Loop: Header=BB39_12 Depth=1
	v_mul_f32_e32 v9, 0x3fb8aa3b, v55
	v_rndne_f32_e32 v10, v9
	v_sub_f32_e32 v11, v9, v10
	v_fma_f32 v9, v55, s84, -v9
	v_fmac_f32_e32 v9, 0x32a5705f, v55
	v_add_f32_e32 v9, v11, v9
	v_cvt_i32_f32_e32 v10, v10
	v_exp_f32_e32 v9, v9
	v_cmp_ngt_f32_e32 vcc, s85, v55
	v_ldexp_f32 v9, v9, v10
	s_nop 0
	v_cndmask_b32_e32 v9, 0, v9, vcc
	v_cmp_nlt_f32_e32 vcc, s86, v55
	s_nop 1
	v_cndmask_b32_e32 v28, v50, v9, vcc
	v_add_f32_e32 v9, 1.0, v28
	v_add_f32_e32 v10, -1.0, v9
	v_sub_f32_e32 v11, v10, v9
	v_add_f32_e32 v11, 1.0, v11
	v_sub_f32_e32 v10, v28, v10
	v_add_f32_e32 v14, v10, v11
	v_frexp_mant_f32_e32 v16, v9
	v_cvt_f64_f32_e32 v[10:11], v9
	v_frexp_exp_i32_f64_e32 v10, v[10:11]
	v_cmp_gt_f32_e32 vcc, s88, v16
	v_cmp_gt_f32_e64 s[26:27], s90, v28
	s_nop 0
	v_subbrev_co_u32_e32 v22, vcc, 0, v10, vcc
	v_sub_u32_e32 v10, 0, v22
	v_ldexp_f32 v9, v9, v10
	v_ldexp_f32 v10, v14, v10
	v_add_f32_e32 v14, -1.0, v9
	v_add_f32_e32 v11, 1.0, v14
	v_sub_f32_e32 v11, v9, v11
	v_add_f32_e32 v16, v10, v11
	v_add_f32_e32 v11, 1.0, v9
	v_add_f32_e32 v17, -1.0, v11
	v_sub_f32_e32 v9, v9, v17
	v_add_f32_e32 v9, v10, v9
	v_add_f32_e32 v23, v11, v9
	v_rcp_f32_e32 v24, v23
	v_sub_f32_e32 v10, v11, v23
	v_add_f32_e32 v11, v14, v16
	v_add_f32_e32 v9, v9, v10
	v_sub_f32_e32 v10, v14, v11
	v_mul_f32_e32 v25, v11, v24
	v_add_f32_e32 v14, v16, v10
	v_mul_f32_e32 v16, v23, v25
	v_fma_f32 v18, v25, v23, -v16
	v_fmac_f32_e32 v18, v25, v9
	v_add_f32_e32 v10, v16, v18
	v_sub_f32_e32 v17, v11, v10
	v_pk_add_f32 v[20:21], v[10:11], v[16:17] neg_lo:[0,1] neg_hi:[0,1]
	v_mov_b32_e32 v19, v10
	v_pk_add_f32 v[10:11], v[20:21], v[18:19] neg_lo:[0,1] neg_hi:[0,1]
	v_cmp_eq_f32_e32 vcc, s87, v28
	v_add_f32_e32 v11, v14, v11
	v_add_f32_e32 v10, v10, v11
	;; [unrolled: 1-line block ×3, first 2 shown]
	v_mul_f32_e32 v14, v24, v11
	v_mul_f32_e32 v16, v23, v14
	v_fma_f32 v18, v14, v23, -v16
	v_fmac_f32_e32 v18, v14, v9
	v_sub_f32_e32 v9, v17, v11
	v_add_f32_e32 v9, v10, v9
	v_add_f32_e32 v10, v16, v18
	v_sub_f32_e32 v17, v11, v10
	v_pk_add_f32 v[20:21], v[10:11], v[16:17] neg_lo:[0,1] neg_hi:[0,1]
	v_mov_b32_e32 v19, v10
	v_pk_add_f32 v[10:11], v[20:21], v[18:19] neg_lo:[0,1] neg_hi:[0,1]
	s_or_b64 vcc, s[26:27], vcc
	v_add_f32_e32 v9, v9, v11
	v_add_f32_e32 v9, v10, v9
	;; [unrolled: 1-line block ×4, first 2 shown]
	v_sub_f32_e32 v10, v11, v25
	v_mul_f32_e32 v9, v24, v9
	v_sub_f32_e32 v10, v14, v10
	v_add_f32_e32 v14, v10, v9
	v_add_f32_e32 v16, v11, v14
	v_cvt_f32_i32_e32 v10, v22
	v_mul_f32_e32 v18, v16, v16
	v_sub_f32_e32 v11, v16, v11
	v_fmamk_f32 v9, v18, 0x3e9b6dac, v49
	v_sub_f32_e32 v11, v14, v11
	v_fmaak_f32 v9, v18, v9, 0x3f2aaada
	v_ldexp_f32 v14, v11, 1
	v_mul_f32_e32 v11, v16, v18
	v_pk_mul_f32 v[18:19], v[10:11], v[8:9]
	v_ldexp_f32 v17, v16, 1
	v_fma_f32 v16, v10, s89, -v18
	v_fmac_f32_e32 v16, 0xb102e308, v10
	v_pk_add_f32 v[10:11], v[18:19], v[16:17]
	v_mov_b32_e32 v20, v18
	v_sub_f32_e32 v9, v11, v17
	v_sub_f32_e32 v9, v19, v9
	v_add_f32_e32 v21, v14, v9
	v_pk_add_f32 v[18:19], v[10:11], v[18:19] neg_lo:[0,1] neg_hi:[0,1]
	v_pk_add_f32 v[22:23], v[10:11], v[20:21]
	v_mov_b32_e32 v17, v10
	v_mov_b32_e32 v19, v23
	v_pk_add_f32 v[24:25], v[16:17], v[18:19] neg_lo:[0,1] neg_hi:[0,1]
	v_pk_add_f32 v[16:17], v[16:17], v[18:19]
	s_nop 0
	v_mov_b32_e32 v14, v17
	v_pk_add_f32 v[18:19], v[14:15], v[10:11] neg_lo:[0,1] neg_hi:[0,1]
	v_mov_b32_e32 v16, v23
	v_mov_b32_e32 v9, v18
	v_pk_add_f32 v[26:27], v[22:23], v[8:9] neg_lo:[0,1] neg_hi:[0,1]
	v_mov_b32_e32 v22, v11
	v_mov_b32_e32 v23, v18
	;; [unrolled: 1-line block ×3, first 2 shown]
	v_pk_add_f32 v[16:17], v[16:17], v[22:23] neg_lo:[0,1] neg_hi:[0,1]
	v_mov_b32_e32 v18, v21
	v_mov_b32_e32 v19, v10
	v_pk_add_f32 v[10:11], v[18:19], v[16:17] neg_lo:[0,1] neg_hi:[0,1]
	v_mov_b32_e32 v26, v24
	v_pk_add_f32 v[16:17], v[26:27], v[10:11]
	s_nop 0
	v_mov_b32_e32 v18, v17
	v_pk_add_f32 v[18:19], v[16:17], v[18:19]
	s_nop 0
	v_pk_add_f32 v[20:21], v[14:15], v[18:19]
	v_mov_b32_e32 v11, v18
	v_mov_b32_e32 v17, v20
	v_pk_add_f32 v[22:23], v[16:17], v[24:25] neg_lo:[0,1] neg_hi:[0,1]
	s_nop 0
	v_sub_f32_e32 v9, v16, v22
	v_pk_add_f32 v[10:11], v[10:11], v[22:23] neg_lo:[0,1] neg_hi:[0,1]
	v_sub_f32_e32 v9, v24, v9
	v_add_f32_e32 v9, v10, v9
	v_add_f32_e32 v9, v9, v11
	;; [unrolled: 1-line block ×3, first 2 shown]
	v_cndmask_b32_e32 v55, v9, v28, vcc
.LBB39_30:                              ;   in Loop: Header=BB39_12 Depth=1
	s_or_b64 exec, exec, s[28:29]
	v_lshlrev_b32_e32 v9, 16, v15
	v_add_f32_e32 v11, s33, v9
	v_cmp_ge_f32_e32 vcc, s83, v11
	s_and_b64 s[26:27], s[60:61], vcc
	s_and_saveexec_b64 s[28:29], s[26:27]
	s_cbranch_execz .LBB39_32
; %bb.31:                               ;   in Loop: Header=BB39_12 Depth=1
	v_mul_f32_e32 v9, 0x3fb8aa3b, v11
	v_rndne_f32_e32 v10, v9
	v_sub_f32_e32 v14, v9, v10
	v_fma_f32 v9, v11, s84, -v9
	v_fmac_f32_e32 v9, 0x32a5705f, v11
	v_add_f32_e32 v9, v14, v9
	v_cvt_i32_f32_e32 v10, v10
	v_exp_f32_e32 v9, v9
	v_cmp_ngt_f32_e32 vcc, s85, v11
	v_ldexp_f32 v9, v9, v10
	s_nop 0
	v_cndmask_b32_e32 v9, 0, v9, vcc
	v_cmp_nlt_f32_e32 vcc, s86, v11
	s_nop 1
	v_cndmask_b32_e32 v28, v50, v9, vcc
	v_add_f32_e32 v9, 1.0, v28
	v_add_f32_e32 v10, -1.0, v9
	v_sub_f32_e32 v11, v10, v9
	v_add_f32_e32 v11, 1.0, v11
	v_sub_f32_e32 v10, v28, v10
	v_add_f32_e32 v14, v10, v11
	v_frexp_mant_f32_e32 v16, v9
	v_cvt_f64_f32_e32 v[10:11], v9
	v_frexp_exp_i32_f64_e32 v10, v[10:11]
	v_cmp_gt_f32_e32 vcc, s88, v16
	v_cmp_gt_f32_e64 s[26:27], s90, v28
	s_nop 0
	v_subbrev_co_u32_e32 v22, vcc, 0, v10, vcc
	v_sub_u32_e32 v10, 0, v22
	v_ldexp_f32 v9, v9, v10
	v_ldexp_f32 v10, v14, v10
	v_add_f32_e32 v14, -1.0, v9
	v_add_f32_e32 v11, 1.0, v14
	v_sub_f32_e32 v11, v9, v11
	v_add_f32_e32 v16, v10, v11
	v_add_f32_e32 v11, 1.0, v9
	v_add_f32_e32 v17, -1.0, v11
	v_sub_f32_e32 v9, v9, v17
	v_add_f32_e32 v9, v10, v9
	v_add_f32_e32 v23, v11, v9
	v_rcp_f32_e32 v24, v23
	v_sub_f32_e32 v10, v11, v23
	v_add_f32_e32 v11, v14, v16
	v_add_f32_e32 v9, v9, v10
	v_sub_f32_e32 v10, v14, v11
	v_mul_f32_e32 v25, v11, v24
	v_add_f32_e32 v14, v16, v10
	v_mul_f32_e32 v16, v23, v25
	v_fma_f32 v18, v25, v23, -v16
	v_fmac_f32_e32 v18, v25, v9
	v_add_f32_e32 v10, v16, v18
	v_sub_f32_e32 v17, v11, v10
	v_pk_add_f32 v[20:21], v[10:11], v[16:17] neg_lo:[0,1] neg_hi:[0,1]
	v_mov_b32_e32 v19, v10
	v_pk_add_f32 v[10:11], v[20:21], v[18:19] neg_lo:[0,1] neg_hi:[0,1]
	v_cmp_eq_f32_e32 vcc, s87, v28
	v_add_f32_e32 v11, v14, v11
	v_add_f32_e32 v10, v10, v11
	;; [unrolled: 1-line block ×3, first 2 shown]
	v_mul_f32_e32 v14, v24, v11
	v_mul_f32_e32 v16, v23, v14
	v_fma_f32 v18, v14, v23, -v16
	v_fmac_f32_e32 v18, v14, v9
	v_sub_f32_e32 v9, v17, v11
	v_add_f32_e32 v9, v10, v9
	v_add_f32_e32 v10, v16, v18
	v_sub_f32_e32 v17, v11, v10
	v_pk_add_f32 v[20:21], v[10:11], v[16:17] neg_lo:[0,1] neg_hi:[0,1]
	v_mov_b32_e32 v19, v10
	v_pk_add_f32 v[10:11], v[20:21], v[18:19] neg_lo:[0,1] neg_hi:[0,1]
	s_or_b64 vcc, s[26:27], vcc
	v_add_f32_e32 v9, v9, v11
	v_add_f32_e32 v9, v10, v9
	;; [unrolled: 1-line block ×4, first 2 shown]
	v_sub_f32_e32 v10, v11, v25
	v_mul_f32_e32 v9, v24, v9
	v_sub_f32_e32 v10, v14, v10
	v_add_f32_e32 v14, v10, v9
	v_add_f32_e32 v16, v11, v14
	v_cvt_f32_i32_e32 v10, v22
	v_mul_f32_e32 v18, v16, v16
	v_sub_f32_e32 v11, v16, v11
	v_fmamk_f32 v9, v18, 0x3e9b6dac, v49
	v_sub_f32_e32 v11, v14, v11
	v_fmaak_f32 v9, v18, v9, 0x3f2aaada
	v_ldexp_f32 v14, v11, 1
	v_mul_f32_e32 v11, v16, v18
	v_pk_mul_f32 v[18:19], v[10:11], v[8:9]
	v_ldexp_f32 v17, v16, 1
	v_fma_f32 v16, v10, s89, -v18
	v_fmac_f32_e32 v16, 0xb102e308, v10
	v_pk_add_f32 v[10:11], v[18:19], v[16:17]
	v_mov_b32_e32 v20, v18
	v_sub_f32_e32 v9, v11, v17
	v_sub_f32_e32 v9, v19, v9
	v_add_f32_e32 v21, v14, v9
	v_pk_add_f32 v[18:19], v[10:11], v[18:19] neg_lo:[0,1] neg_hi:[0,1]
	v_pk_add_f32 v[22:23], v[10:11], v[20:21]
	v_mov_b32_e32 v17, v10
	v_mov_b32_e32 v19, v23
	v_pk_add_f32 v[24:25], v[16:17], v[18:19] neg_lo:[0,1] neg_hi:[0,1]
	v_pk_add_f32 v[16:17], v[16:17], v[18:19]
	s_nop 0
	v_mov_b32_e32 v14, v17
	v_pk_add_f32 v[18:19], v[14:15], v[10:11] neg_lo:[0,1] neg_hi:[0,1]
	v_mov_b32_e32 v16, v23
	v_mov_b32_e32 v9, v18
	v_pk_add_f32 v[26:27], v[22:23], v[8:9] neg_lo:[0,1] neg_hi:[0,1]
	v_mov_b32_e32 v22, v11
	v_mov_b32_e32 v23, v18
	;; [unrolled: 1-line block ×3, first 2 shown]
	v_pk_add_f32 v[16:17], v[16:17], v[22:23] neg_lo:[0,1] neg_hi:[0,1]
	v_mov_b32_e32 v18, v21
	v_mov_b32_e32 v19, v10
	v_pk_add_f32 v[10:11], v[18:19], v[16:17] neg_lo:[0,1] neg_hi:[0,1]
	v_mov_b32_e32 v26, v24
	v_pk_add_f32 v[16:17], v[26:27], v[10:11]
	s_nop 0
	v_mov_b32_e32 v18, v17
	v_pk_add_f32 v[18:19], v[16:17], v[18:19]
	s_nop 0
	v_pk_add_f32 v[20:21], v[14:15], v[18:19]
	v_mov_b32_e32 v11, v18
	v_mov_b32_e32 v17, v20
	v_pk_add_f32 v[22:23], v[16:17], v[24:25] neg_lo:[0,1] neg_hi:[0,1]
	s_nop 0
	v_sub_f32_e32 v9, v16, v22
	v_pk_add_f32 v[10:11], v[10:11], v[22:23] neg_lo:[0,1] neg_hi:[0,1]
	v_sub_f32_e32 v9, v24, v9
	v_add_f32_e32 v9, v10, v9
	v_add_f32_e32 v9, v9, v11
	;; [unrolled: 1-line block ×3, first 2 shown]
	v_cndmask_b32_e32 v11, v9, v28, vcc
.LBB39_32:                              ;   in Loop: Header=BB39_12 Depth=1
	s_or_b64 exec, exec, s[28:29]
	v_and_b32_e32 v9, 0xffff0000, v15
	v_add_f32_e32 v10, s33, v9
	v_cmp_ge_f32_e32 vcc, s83, v10
	s_and_b64 s[26:27], s[60:61], vcc
	s_and_saveexec_b64 s[28:29], s[26:27]
	s_cbranch_execz .LBB39_34
; %bb.33:                               ;   in Loop: Header=BB39_12 Depth=1
	v_mul_f32_e32 v9, 0x3fb8aa3b, v10
	v_rndne_f32_e32 v14, v9
	v_sub_f32_e32 v15, v9, v14
	v_fma_f32 v9, v10, s84, -v9
	v_fmac_f32_e32 v9, 0x32a5705f, v10
	v_add_f32_e32 v9, v15, v9
	v_cvt_i32_f32_e32 v14, v14
	v_exp_f32_e32 v9, v9
	v_cmp_ngt_f32_e32 vcc, s85, v10
	v_ldexp_f32 v9, v9, v14
	s_nop 0
	v_cndmask_b32_e32 v9, 0, v9, vcc
	v_cmp_nlt_f32_e32 vcc, s86, v10
	s_nop 1
	v_cndmask_b32_e32 v28, v50, v9, vcc
	v_add_f32_e32 v9, 1.0, v28
	v_add_f32_e32 v10, -1.0, v9
	v_sub_f32_e32 v14, v10, v9
	v_add_f32_e32 v14, 1.0, v14
	v_sub_f32_e32 v10, v28, v10
	v_add_f32_e32 v10, v10, v14
	v_frexp_mant_f32_e32 v16, v9
	v_cvt_f64_f32_e32 v[14:15], v9
	v_frexp_exp_i32_f64_e32 v14, v[14:15]
	v_cmp_gt_f32_e32 vcc, s88, v16
	v_cmp_gt_f32_e64 s[26:27], s90, v28
	s_nop 0
	v_subbrev_co_u32_e32 v22, vcc, 0, v14, vcc
	v_sub_u32_e32 v14, 0, v22
	v_ldexp_f32 v9, v9, v14
	v_ldexp_f32 v10, v10, v14
	v_add_f32_e32 v14, -1.0, v9
	v_add_f32_e32 v15, 1.0, v14
	v_sub_f32_e32 v15, v9, v15
	v_add_f32_e32 v16, v10, v15
	v_add_f32_e32 v15, 1.0, v9
	v_add_f32_e32 v17, -1.0, v15
	v_sub_f32_e32 v9, v9, v17
	v_add_f32_e32 v9, v10, v9
	v_add_f32_e32 v10, v15, v9
	v_rcp_f32_e32 v23, v10
	v_sub_f32_e32 v15, v15, v10
	v_add_f32_e32 v9, v9, v15
	v_add_f32_e32 v15, v14, v16
	v_sub_f32_e32 v14, v14, v15
	v_mul_f32_e32 v25, v15, v23
	v_add_f32_e32 v24, v16, v14
	v_mul_f32_e32 v16, v10, v25
	v_fma_f32 v18, v25, v10, -v16
	v_fmac_f32_e32 v18, v25, v9
	v_add_f32_e32 v14, v16, v18
	v_sub_f32_e32 v17, v15, v14
	v_pk_add_f32 v[20:21], v[14:15], v[16:17] neg_lo:[0,1] neg_hi:[0,1]
	v_mov_b32_e32 v19, v14
	v_pk_add_f32 v[14:15], v[20:21], v[18:19] neg_lo:[0,1] neg_hi:[0,1]
	v_cmp_eq_f32_e32 vcc, s87, v28
	v_add_f32_e32 v15, v24, v15
	v_add_f32_e32 v14, v14, v15
	;; [unrolled: 1-line block ×3, first 2 shown]
	v_mul_f32_e32 v24, v23, v15
	v_mul_f32_e32 v16, v10, v24
	v_fma_f32 v18, v24, v10, -v16
	v_fmac_f32_e32 v18, v24, v9
	v_sub_f32_e32 v9, v17, v15
	v_add_f32_e32 v9, v14, v9
	v_add_f32_e32 v14, v16, v18
	v_sub_f32_e32 v17, v15, v14
	v_pk_add_f32 v[20:21], v[14:15], v[16:17] neg_lo:[0,1] neg_hi:[0,1]
	v_mov_b32_e32 v19, v14
	v_pk_add_f32 v[14:15], v[20:21], v[18:19] neg_lo:[0,1] neg_hi:[0,1]
	v_add_f32_e32 v10, v25, v24
	v_add_f32_e32 v9, v9, v15
	;; [unrolled: 1-line block ×4, first 2 shown]
	v_sub_f32_e32 v14, v10, v25
	v_mul_f32_e32 v9, v23, v9
	v_sub_f32_e32 v14, v24, v14
	v_add_f32_e32 v15, v14, v9
	v_add_f32_e32 v16, v10, v15
	v_cvt_f32_i32_e32 v14, v22
	v_mul_f32_e32 v18, v16, v16
	v_fmamk_f32 v9, v18, 0x3e9b6dac, v49
	v_sub_f32_e32 v10, v16, v10
	v_fmaak_f32 v9, v18, v9, 0x3f2aaada
	v_sub_f32_e32 v10, v15, v10
	v_mul_f32_e32 v15, v16, v18
	v_pk_mul_f32 v[18:19], v[14:15], v[8:9]
	v_ldexp_f32 v17, v16, 1
	v_fma_f32 v16, v14, s89, -v18
	v_fmac_f32_e32 v16, 0xb102e308, v14
	v_pk_add_f32 v[14:15], v[18:19], v[16:17]
	v_ldexp_f32 v10, v10, 1
	v_sub_f32_e32 v9, v15, v17
	v_sub_f32_e32 v9, v19, v9
	v_add_f32_e32 v21, v10, v9
	v_mov_b32_e32 v20, v18
	v_pk_add_f32 v[18:19], v[14:15], v[18:19] neg_lo:[0,1] neg_hi:[0,1]
	v_pk_add_f32 v[22:23], v[14:15], v[20:21]
	v_mov_b32_e32 v17, v14
	v_mov_b32_e32 v19, v23
	v_pk_add_f32 v[24:25], v[16:17], v[18:19] neg_lo:[0,1] neg_hi:[0,1]
	v_pk_add_f32 v[16:17], v[16:17], v[18:19]
	s_or_b64 vcc, s[26:27], vcc
	v_mov_b32_e32 v10, v17
	v_pk_add_f32 v[18:19], v[10:11], v[14:15] neg_lo:[0,1] neg_hi:[0,1]
	v_mov_b32_e32 v16, v23
	v_mov_b32_e32 v9, v18
	v_pk_add_f32 v[26:27], v[22:23], v[8:9] neg_lo:[0,1] neg_hi:[0,1]
	v_mov_b32_e32 v22, v15
	v_mov_b32_e32 v23, v18
	;; [unrolled: 1-line block ×3, first 2 shown]
	v_pk_add_f32 v[16:17], v[16:17], v[22:23] neg_lo:[0,1] neg_hi:[0,1]
	v_mov_b32_e32 v18, v21
	v_mov_b32_e32 v19, v14
	v_pk_add_f32 v[14:15], v[18:19], v[16:17] neg_lo:[0,1] neg_hi:[0,1]
	v_mov_b32_e32 v26, v24
	v_pk_add_f32 v[16:17], v[26:27], v[14:15]
	s_nop 0
	v_mov_b32_e32 v18, v17
	v_pk_add_f32 v[18:19], v[16:17], v[18:19]
	s_nop 0
	v_pk_add_f32 v[20:21], v[10:11], v[18:19]
	v_mov_b32_e32 v15, v18
	v_mov_b32_e32 v17, v20
	v_pk_add_f32 v[22:23], v[16:17], v[24:25] neg_lo:[0,1] neg_hi:[0,1]
	s_nop 0
	v_sub_f32_e32 v9, v16, v22
	v_pk_add_f32 v[14:15], v[14:15], v[22:23] neg_lo:[0,1] neg_hi:[0,1]
	v_sub_f32_e32 v9, v24, v9
	v_add_f32_e32 v9, v14, v9
	v_add_f32_e32 v9, v9, v15
	;; [unrolled: 1-line block ×3, first 2 shown]
	v_cndmask_b32_e32 v10, v9, v28, vcc
.LBB39_34:                              ;   in Loop: Header=BB39_12 Depth=1
	s_or_b64 exec, exec, s[28:29]
	v_lshlrev_b32_e32 v20, 16, v13
	v_and_b32_e32 v9, 0xffff0000, v13
	v_and_b32_e32 v21, 0xffff0000, v12
	v_lshlrev_b32_e32 v22, 16, v12
	v_mul_f32_e32 v14, s80, v20
	v_mul_f32_e32 v13, s80, v21
	;; [unrolled: 1-line block ×4, first 2 shown]
	s_and_b64 vcc, exec, s[62:63]
	s_waitcnt lgkmcnt(0)
	; wave barrier
	s_cbranch_vccz .LBB39_76
; %bb.35:                               ;   in Loop: Header=BB39_12 Depth=1
	s_cmp_lg_u32 s95, 0
	s_cselect_b64 s[68:69], -1, 0
	s_cmp_eq_u32 s95, s82
	v_cmp_gt_u32_e32 vcc, s34, v7
	s_cselect_b64 s[70:71], -1, 0
	s_or_b64 s[26:27], s[64:65], vcc
	v_cmp_gt_u32_e32 vcc, s34, v6
	s_mov_b32 s56, 0
	v_cmp_gt_u32_e64 s[28:29], s34, v3
	s_or_b64 s[30:31], s[64:65], vcc
	v_cmp_gt_u32_e32 vcc, s34, v48
	v_mul_f32_e32 v9, v10, v9
	v_lshl_add_u64 v[16:17], s[42:43], 0, v[0:1]
	v_lshl_add_u64 v[18:19], s[46:47], 0, v[0:1]
	v_mul_f32_e32 v56, v11, v20
	v_mul_f32_e32 v57, v55, v21
	;; [unrolled: 1-line block ×3, first 2 shown]
	s_or_b64 s[28:29], s[64:65], s[28:29]
	s_or_b64 s[34:35], s[64:65], vcc
	s_mov_b32 s72, s56
	s_mov_b32 s74, s56
	;; [unrolled: 1-line block ×5, first 2 shown]
	s_branch .LBB39_37
.LBB39_36:                              ;   in Loop: Header=BB39_37 Depth=2
	s_or_b64 exec, exec, s[36:37]
	v_mul_f32_e32 v22, v29, v28
	v_fma_f32 v23, v29, v31, v24
	v_cndmask_b32_e64 v24, v23, v24, s[16:17]
	v_cndmask_b32_e64 v22, v22, v29, s[16:17]
	s_waitcnt lgkmcnt(0)
	v_fmac_f32_e32 v24, v34, v22
	v_fmac_f32_e32 v25, v24, v27
	;; [unrolled: 1-line block ×4, first 2 shown]
	v_and_b32_e32 v23, 0xffff0000, v20
	v_and_b32_e32 v29, 0xffff0000, v21
	v_lshlrev_b32_e32 v22, 16, v20
	v_lshlrev_b32_e32 v28, 16, v21
	v_mov_b32_e32 v27, v30
	s_add_i32 s96, s96, 8
	s_add_i32 s67, s67, -1
	s_add_i32 s76, s76, s38
	s_add_i32 s74, s74, s48
	;; [unrolled: 1-line block ×4, first 2 shown]
	v_pk_fma_f32 v[14:15], v[26:27], v[28:29], v[14:15]
	s_cmp_eq_u32 s67, 0
	v_pk_fma_f32 v[12:13], v[24:25], v[22:23], v[12:13]
	s_cbranch_scc1 .LBB39_76
.LBB39_37:                              ;   Parent Loop BB39_12 Depth=1
                                        ; =>  This Inner Loop Header: Depth=2
	s_lshl_b64 s[36:37], s[56:57], 2
	s_add_u32 s36, s39, s36
	s_addc_u32 s37, s40, s37
	global_load_dword v26, v1, s[36:37]
	s_mov_b32 s73, s57
	v_lshl_add_u64 v[20:21], s[72:73], 1, v[16:17]
	v_mov_b32_e32 v22, 0
	v_mov_b32_e32 v23, 0
	s_and_saveexec_b64 s[36:37], s[18:19]
	s_cbranch_execz .LBB39_39
; %bb.38:                               ;   in Loop: Header=BB39_37 Depth=2
	global_load_ushort v23, v[20:21], off
.LBB39_39:                              ;   in Loop: Header=BB39_37 Depth=2
	s_or_b64 exec, exec, s[36:37]
	s_and_saveexec_b64 s[36:37], s[20:21]
	s_cbranch_execz .LBB39_41
; %bb.40:                               ;   in Loop: Header=BB39_37 Depth=2
	global_load_ushort v22, v[20:21], off offset:128
.LBB39_41:                              ;   in Loop: Header=BB39_37 Depth=2
	s_or_b64 exec, exec, s[36:37]
	v_mov_b32_e32 v24, 0
	v_mov_b32_e32 v25, 0
	s_and_saveexec_b64 s[36:37], s[22:23]
	s_cbranch_execz .LBB39_43
; %bb.42:                               ;   in Loop: Header=BB39_37 Depth=2
	global_load_ushort v25, v[20:21], off offset:256
.LBB39_43:                              ;   in Loop: Header=BB39_37 Depth=2
	s_or_b64 exec, exec, s[36:37]
	s_and_saveexec_b64 s[36:37], s[24:25]
	s_cbranch_execz .LBB39_45
; %bb.44:                               ;   in Loop: Header=BB39_37 Depth=2
	global_load_ushort v24, v[20:21], off offset:384
.LBB39_45:                              ;   in Loop: Header=BB39_37 Depth=2
	s_or_b64 exec, exec, s[36:37]
	s_waitcnt vmcnt(0)
	ds_write_b16 v39, v23
	ds_write_b16 v40, v22 offset:128
	ds_write_b16 v41, v25 offset:256
	;; [unrolled: 1-line block ×3, first 2 shown]
	; wave barrier
	ds_read_b64 v[24:25], v43
	s_mov_b32 s75, s57
	v_lshl_add_u64 v[20:21], s[74:75], 1, v[18:19]
	v_mov_b32_e32 v22, 0
	v_mov_b32_e32 v23, 0
	s_and_saveexec_b64 s[36:37], s[18:19]
	s_cbranch_execz .LBB39_47
; %bb.46:                               ;   in Loop: Header=BB39_37 Depth=2
	global_load_ushort v23, v[20:21], off
.LBB39_47:                              ;   in Loop: Header=BB39_37 Depth=2
	s_or_b64 exec, exec, s[36:37]
	s_and_saveexec_b64 s[36:37], s[20:21]
	s_cbranch_execz .LBB39_49
; %bb.48:                               ;   in Loop: Header=BB39_37 Depth=2
	global_load_ushort v22, v[20:21], off offset:128
.LBB39_49:                              ;   in Loop: Header=BB39_37 Depth=2
	s_or_b64 exec, exec, s[36:37]
	v_mov_b32_e32 v27, 0
	v_mov_b32_e32 v28, 0
	s_and_saveexec_b64 s[36:37], s[22:23]
	s_cbranch_execz .LBB39_51
; %bb.50:                               ;   in Loop: Header=BB39_37 Depth=2
	global_load_ushort v28, v[20:21], off offset:256
.LBB39_51:                              ;   in Loop: Header=BB39_37 Depth=2
	s_or_b64 exec, exec, s[36:37]
	s_and_saveexec_b64 s[36:37], s[24:25]
	s_cbranch_execz .LBB39_53
; %bb.52:                               ;   in Loop: Header=BB39_37 Depth=2
	global_load_ushort v27, v[20:21], off offset:384
.LBB39_53:                              ;   in Loop: Header=BB39_37 Depth=2
	s_or_b64 exec, exec, s[36:37]
	s_waitcnt vmcnt(0)
	ds_write_b16 v39, v23 offset:528
	ds_write_b16 v44, v22 offset:128
	;; [unrolled: 1-line block ×4, first 2 shown]
	; wave barrier
	ds_read_b64 v[20:21], v43 offset:528
	s_andn2_b64 vcc, exec, s[68:69]
	s_cbranch_vccnz .LBB39_55
; %bb.54:                               ;   in Loop: Header=BB39_37 Depth=2
	v_mov_b32_e32 v22, s96
	ds_read_b64 v[22:23], v22
	s_cbranch_execz .LBB39_56
	s_branch .LBB39_59
.LBB39_55:                              ;   in Loop: Header=BB39_37 Depth=2
                                        ; implicit-def: $vgpr23
.LBB39_56:                              ;   in Loop: Header=BB39_37 Depth=2
	s_andn2_b64 vcc, exec, s[52:53]
	s_waitcnt lgkmcnt(0)
	v_mov_b32_e32 v23, 0
	s_cbranch_vccnz .LBB39_58
; %bb.57:                               ;   in Loop: Header=BB39_37 Depth=2
	s_mov_b32 s77, s57
	s_lshl_b64 s[36:37], s[76:77], 2
	s_add_u32 s36, s45, s36
	s_addc_u32 s37, s49, s37
	global_load_dword v23, v1, s[36:37]
.LBB39_58:                              ;   in Loop: Header=BB39_37 Depth=2
	v_mov_b32_e32 v22, 1.0
.LBB39_59:                              ;   in Loop: Header=BB39_37 Depth=2
	v_mul_f32_e32 v26, 0x3fb8aa3b, v26
	s_waitcnt lgkmcnt(5)
	v_lshlrev_b32_e32 v27, 16, v24
	v_and_b32_e32 v28, 0xffff0000, v24
	v_mul_f32_e32 v24, v26, v54
	v_cmp_gt_f32_e32 vcc, s92, v24
	v_lshlrev_b32_e32 v32, 16, v25
	v_and_b32_e32 v33, 0xffff0000, v25
	v_cndmask_b32_e32 v24, 0, v51, vcc
	v_fmac_f32_e32 v24, v26, v54
	v_exp_f32_e32 v24, v24
	v_cndmask_b32_e32 v25, 1.0, v52, vcc
	v_mul_f32_e32 v25, v24, v25
	v_mul_f32_e32 v24, v58, v27
	;; [unrolled: 1-line block ×3, first 2 shown]
	v_cmp_gt_f32_e32 vcc, s92, v27
	v_cndmask_b32_e64 v29, 1.0, v25, s[26:27]
	v_cndmask_b32_e64 v24, 0, v24, s[26:27]
	v_cndmask_b32_e32 v27, 0, v51, vcc
	v_fmac_f32_e32 v27, v26, v55
	v_exp_f32_e32 v27, v27
	v_cndmask_b32_e32 v25, 1.0, v52, vcc
	v_mul_f32_e32 v27, v27, v25
	v_pk_mul_f32 v[30:31], v[26:27], v[10:11] op_sel_hi:[0,1]
	v_cmp_gt_f32_e32 vcc, s92, v30
	v_mul_f32_e32 v25, v57, v28
	v_cmp_gt_f32_e64 s[36:37], s92, v31
	v_cndmask_b32_e32 v28, 0, v51, vcc
	v_add_f32_e32 v28, v30, v28
	v_cndmask_b32_e64 v30, 0, v51, s[36:37]
	v_exp_f32_e32 v28, v28
	v_add_f32_e32 v30, v31, v30
	v_exp_f32_e32 v30, v30
	v_cndmask_b32_e32 v31, 1.0, v52, vcc
	v_mul_f32_e32 v28, v28, v31
	v_cndmask_b32_e64 v31, 1.0, v52, s[36:37]
	v_cndmask_b32_e64 v25, 0, v25, s[28:29]
	v_cndmask_b32_e64 v27, 1.0, v27, s[28:29]
	v_mul_f32_e32 v31, v30, v31
	v_mul_f32_e32 v26, v56, v32
	;; [unrolled: 1-line block ×3, first 2 shown]
	v_cndmask_b32_e64 v33, 1.0, v31, s[30:31]
	v_cndmask_b32_e64 v32, 1.0, v28, s[34:35]
	v_fma_f32 v28, v27, v24, v25
	v_cndmask_b32_e64 v26, 0, v26, s[30:31]
	v_mul_f32_e32 v28, v28, v33
	v_pk_add_f32 v[34:35], v[28:29], v[26:27]
	v_pk_mul_f32 v[60:61], v[28:29], v[26:27]
	v_cndmask_b32_e64 v30, 0, v30, s[34:35]
	v_mov_b32_e32 v35, v61
	v_pk_mul_f32 v[60:61], v[34:35], v[32:33]
	v_mov_b32_e32 v31, v32
	v_pk_fma_f32 v[62:63], v[34:35], v[32:33], v[30:31]
	v_pk_mul_f32 v[60:61], v[60:61], v[30:31]
	s_nop 0
	v_mov_b32_dpp v31, v62 row_shr:1 row_mask:0xf bank_mask:0xf
	v_mov_b32_dpp v28, v61 row_shr:1 row_mask:0xf bank_mask:0xf
	v_mul_f32_e32 v59, v61, v28
	v_fma_f32 v28, v61, v31, v62
	v_cndmask_b32_e64 v35, v28, v62, s[0:1]
	v_cndmask_b32_e64 v28, v28, v62, s[0:1]
	;; [unrolled: 1-line block ×4, first 2 shown]
	v_mov_b32_dpp v60, v28 row_shr:2 row_mask:0xf bank_mask:0xf
	v_mov_b32_dpp v59, v31 row_shr:2 row_mask:0xf bank_mask:0xf
	s_and_saveexec_b64 s[36:37], s[2:3]
; %bb.60:                               ;   in Loop: Header=BB39_37 Depth=2
	v_fmac_f32_e32 v28, v31, v60
	v_mul_f32_e32 v31, v31, v59
	v_mov_b32_e32 v34, v31
	v_mov_b32_e32 v35, v28
; %bb.61:                               ;   in Loop: Header=BB39_37 Depth=2
	s_or_b64 exec, exec, s[36:37]
	v_mov_b32_dpp v59, v31 row_shr:4 row_mask:0xf bank_mask:0xf
	v_mov_b32_dpp v60, v28 row_shr:4 row_mask:0xf bank_mask:0xf
	s_and_saveexec_b64 s[36:37], s[4:5]
; %bb.62:                               ;   in Loop: Header=BB39_37 Depth=2
	v_fmac_f32_e32 v28, v31, v60
	v_mul_f32_e32 v31, v31, v59
	v_mov_b32_e32 v34, v31
	v_mov_b32_e32 v35, v28
; %bb.63:                               ;   in Loop: Header=BB39_37 Depth=2
	s_or_b64 exec, exec, s[36:37]
	v_mov_b32_dpp v59, v31 row_shr:8 row_mask:0xf bank_mask:0xf
	v_mov_b32_dpp v60, v28 row_shr:8 row_mask:0xf bank_mask:0xf
	s_and_saveexec_b64 s[36:37], s[6:7]
; %bb.64:                               ;   in Loop: Header=BB39_37 Depth=2
	v_fmac_f32_e32 v28, v31, v60
	v_mul_f32_e32 v31, v31, v59
	v_mov_b32_e32 v34, v31
	v_mov_b32_e32 v35, v28
; %bb.65:                               ;   in Loop: Header=BB39_37 Depth=2
	s_or_b64 exec, exec, s[36:37]
	v_mov_b32_dpp v59, v31 row_bcast:15 row_mask:0xf bank_mask:0xf
	v_mov_b32_dpp v60, v28 row_bcast:15 row_mask:0xf bank_mask:0xf
	s_and_saveexec_b64 s[36:37], s[8:9]
; %bb.66:                               ;   in Loop: Header=BB39_37 Depth=2
	v_fmac_f32_e32 v28, v31, v60
	v_mul_f32_e32 v31, v31, v59
	v_mov_b32_e32 v34, v31
	v_mov_b32_e32 v35, v28
; %bb.67:                               ;   in Loop: Header=BB39_37 Depth=2
	s_or_b64 exec, exec, s[36:37]
	v_mov_b32_dpp v59, v31 row_bcast:31 row_mask:0xf bank_mask:0xf
	v_mov_b32_dpp v60, v28 row_bcast:31 row_mask:0xf bank_mask:0xf
	v_mul_f32_e32 v59, v31, v59
	v_fmac_f32_e32 v28, v31, v60
	v_cndmask_b32_e64 v34, v34, v59, s[10:11]
	v_cndmask_b32_e64 v35, v35, v28, s[10:11]
	s_and_saveexec_b64 s[36:37], s[12:13]
	s_cbranch_execz .LBB39_69
; %bb.68:                               ;   in Loop: Header=BB39_37 Depth=2
	ds_write_b64 v1, v[34:35] offset:1056
.LBB39_69:                              ;   in Loop: Header=BB39_37 Depth=2
	s_or_b64 exec, exec, s[36:37]
	ds_bpermute_b32 v28, v47, v34
	ds_bpermute_b32 v31, v47, v35
	s_waitcnt vmcnt(0) lgkmcnt(2)
	v_mov_b32_e32 v35, v23
	s_waitcnt lgkmcnt(0)
	; wave barrier
	s_waitcnt lgkmcnt(0)
	s_and_saveexec_b64 s[36:37], s[14:15]
	s_cbranch_execz .LBB39_73
; %bb.70:                               ;   in Loop: Header=BB39_37 Depth=2
	ds_read_b64 v[34:35], v1 offset:1056
	s_and_saveexec_b64 s[78:79], s[16:17]
	s_cbranch_execz .LBB39_72
; %bb.71:                               ;   in Loop: Header=BB39_37 Depth=2
	ds_write_b64 v1, v[22:23] offset:1056
.LBB39_72:                              ;   in Loop: Header=BB39_37 Depth=2
	s_or_b64 exec, exec, s[78:79]
	s_waitcnt lgkmcnt(0)
	v_fmac_f32_e32 v35, v23, v34
	v_mul_f32_e32 v22, v22, v34
	v_mov_b32_e32 v23, v35
.LBB39_73:                              ;   in Loop: Header=BB39_37 Depth=2
	s_or_b64 exec, exec, s[36:37]
	s_waitcnt lgkmcnt(0)
	; wave barrier
	ds_read_b32 v34, v1 offset:1060
	s_and_saveexec_b64 s[36:37], s[16:17]
	s_cbranch_execz .LBB39_36
; %bb.74:                               ;   in Loop: Header=BB39_37 Depth=2
	v_mov_b32_e32 v59, s96
	s_andn2_b64 vcc, exec, s[70:71]
	ds_write_b64 v59, v[22:23]
	s_cbranch_vccnz .LBB39_36
; %bb.75:                               ;   in Loop: Header=BB39_37 Depth=2
	s_mov_b32 s77, s57
	s_lshl_b64 s[78:79], s[76:77], 2
	s_add_u32 s78, s45, s78
	s_addc_u32 s79, s49, s79
	global_store_dword v1, v35, s[78:79]
	s_branch .LBB39_36
.LBB39_76:                              ;   in Loop: Header=BB39_12 Depth=1
	v_bfe_u32 v9, v14, 16, 1
	v_bfe_u32 v10, v15, 16, 1
	v_add3_u32 v9, v14, v9, s93
	v_bfe_u32 v11, v12, 16, 1
	v_add3_u32 v10, v15, v10, s93
	v_lshrrev_b32_e32 v9, 16, v9
	v_cmp_o_f32_e32 vcc, v14, v14
	v_bfe_u32 v16, v13, 16, 1
	v_add3_u32 v11, v12, v11, s93
	v_lshrrev_b32_e32 v10, 16, v10
	v_cndmask_b32_e32 v9, v53, v9, vcc
	v_cmp_o_f32_e32 vcc, v15, v15
	v_add3_u32 v16, v13, v16, s93
	v_lshrrev_b32_e32 v17, 16, v11
	v_cndmask_b32_e32 v10, v53, v10, vcc
	v_cmp_o_f32_e32 vcc, v12, v12
	v_lshrrev_b32_e32 v16, 16, v16
	v_perm_b32 v11, v10, v9, s94
	v_cndmask_b32_e32 v9, v53, v17, vcc
	v_cmp_o_f32_e32 vcc, v13, v13
	s_waitcnt lgkmcnt(0)
	; wave barrier
	s_nop 0
	v_cndmask_b32_e32 v10, v53, v16, vcc
	v_perm_b32 v10, v10, v9, s94
	ds_write_b64 v43, v[10:11]
	; wave barrier
	ds_read_u16 v13, v40 offset:128
	ds_read_u16 v12, v41 offset:256
	;; [unrolled: 1-line block ×3, first 2 shown]
	s_mov_b32 s67, s57
	v_lshl_add_u64 v[10:11], s[66:67], 1, v[4:5]
	s_and_saveexec_b64 s[26:27], s[18:19]
	s_cbranch_execnz .LBB39_82
; %bb.77:                               ;   in Loop: Header=BB39_12 Depth=1
	s_or_b64 exec, exec, s[26:27]
	s_and_saveexec_b64 s[18:19], s[20:21]
	s_cbranch_execnz .LBB39_83
.LBB39_78:                              ;   in Loop: Header=BB39_12 Depth=1
	s_or_b64 exec, exec, s[18:19]
	s_and_saveexec_b64 s[18:19], s[22:23]
	s_cbranch_execnz .LBB39_84
.LBB39_79:                              ;   in Loop: Header=BB39_12 Depth=1
	s_or_b64 exec, exec, s[18:19]
	s_and_saveexec_b64 s[18:19], s[24:25]
	s_cbranch_execz .LBB39_11
	s_branch .LBB39_85
.LBB39_80:                              ;   in Loop: Header=BB39_12 Depth=1
	global_load_ushort v15, v[10:11], off offset:128
	s_or_b64 exec, exec, s[26:27]
	s_and_saveexec_b64 s[26:27], s[22:23]
	s_cbranch_execz .LBB39_24
.LBB39_81:                              ;   in Loop: Header=BB39_12 Depth=1
	global_load_ushort v14, v[10:11], off offset:256
	s_or_b64 exec, exec, s[26:27]
	v_mov_b32_e32 v16, 0
	s_and_saveexec_b64 s[26:27], s[24:25]
	s_cbranch_execnz .LBB39_25
	s_branch .LBB39_26
.LBB39_82:                              ;   in Loop: Header=BB39_12 Depth=1
	ds_read_u16 v14, v39
	s_waitcnt lgkmcnt(0)
	global_store_short v[10:11], v14, off
	s_or_b64 exec, exec, s[26:27]
	s_and_saveexec_b64 s[18:19], s[20:21]
	s_cbranch_execz .LBB39_78
.LBB39_83:                              ;   in Loop: Header=BB39_12 Depth=1
	s_waitcnt lgkmcnt(2)
	global_store_short v[10:11], v13, off offset:128
	s_or_b64 exec, exec, s[18:19]
	s_and_saveexec_b64 s[18:19], s[22:23]
	s_cbranch_execz .LBB39_79
.LBB39_84:                              ;   in Loop: Header=BB39_12 Depth=1
	s_waitcnt lgkmcnt(1)
	global_store_short v[10:11], v12, off offset:256
	s_or_b64 exec, exec, s[18:19]
	s_and_saveexec_b64 s[18:19], s[24:25]
	s_cbranch_execz .LBB39_11
.LBB39_85:                              ;   in Loop: Header=BB39_12 Depth=1
	s_waitcnt lgkmcnt(0)
	global_store_short v[10:11], v9, off offset:384
	s_branch .LBB39_11
.LBB39_86:
	s_endpgm
	.section	.rodata,"a",@progbits
	.p2align	6, 0x0
	.amdhsa_kernel _Z25selective_scan_fwd_kernelI32Selective_Scan_fwd_kernel_traitsILi64ELi4ELi1ELb0ELb1ELb1ELb0ELb0EN3c108BFloat16EffEEv13SSMParamsBase
		.amdhsa_group_segment_fixed_size 0
		.amdhsa_private_segment_fixed_size 0
		.amdhsa_kernarg_size 248
		.amdhsa_user_sgpr_count 2
		.amdhsa_user_sgpr_dispatch_ptr 0
		.amdhsa_user_sgpr_queue_ptr 0
		.amdhsa_user_sgpr_kernarg_segment_ptr 1
		.amdhsa_user_sgpr_dispatch_id 0
		.amdhsa_user_sgpr_kernarg_preload_length 0
		.amdhsa_user_sgpr_kernarg_preload_offset 0
		.amdhsa_user_sgpr_private_segment_size 0
		.amdhsa_uses_dynamic_stack 0
		.amdhsa_enable_private_segment 0
		.amdhsa_system_sgpr_workgroup_id_x 1
		.amdhsa_system_sgpr_workgroup_id_y 1
		.amdhsa_system_sgpr_workgroup_id_z 0
		.amdhsa_system_sgpr_workgroup_info 0
		.amdhsa_system_vgpr_workitem_id 0
		.amdhsa_next_free_vgpr 64
		.amdhsa_next_free_sgpr 97
		.amdhsa_accum_offset 64
		.amdhsa_reserve_vcc 1
		.amdhsa_float_round_mode_32 0
		.amdhsa_float_round_mode_16_64 0
		.amdhsa_float_denorm_mode_32 3
		.amdhsa_float_denorm_mode_16_64 3
		.amdhsa_dx10_clamp 1
		.amdhsa_ieee_mode 1
		.amdhsa_fp16_overflow 0
		.amdhsa_tg_split 0
		.amdhsa_exception_fp_ieee_invalid_op 0
		.amdhsa_exception_fp_denorm_src 0
		.amdhsa_exception_fp_ieee_div_zero 0
		.amdhsa_exception_fp_ieee_overflow 0
		.amdhsa_exception_fp_ieee_underflow 0
		.amdhsa_exception_fp_ieee_inexact 0
		.amdhsa_exception_int_div_zero 0
	.end_amdhsa_kernel
	.section	.text._Z25selective_scan_fwd_kernelI32Selective_Scan_fwd_kernel_traitsILi64ELi4ELi1ELb0ELb1ELb1ELb0ELb0EN3c108BFloat16EffEEv13SSMParamsBase,"axG",@progbits,_Z25selective_scan_fwd_kernelI32Selective_Scan_fwd_kernel_traitsILi64ELi4ELi1ELb0ELb1ELb1ELb0ELb0EN3c108BFloat16EffEEv13SSMParamsBase,comdat
.Lfunc_end39:
	.size	_Z25selective_scan_fwd_kernelI32Selective_Scan_fwd_kernel_traitsILi64ELi4ELi1ELb0ELb1ELb1ELb0ELb0EN3c108BFloat16EffEEv13SSMParamsBase, .Lfunc_end39-_Z25selective_scan_fwd_kernelI32Selective_Scan_fwd_kernel_traitsILi64ELi4ELi1ELb0ELb1ELb1ELb0ELb0EN3c108BFloat16EffEEv13SSMParamsBase
                                        ; -- End function
	.section	.AMDGPU.csdata,"",@progbits
; Kernel info:
; codeLenInByte = 6176
; NumSgprs: 103
; NumVgprs: 64
; NumAgprs: 0
; TotalNumVgprs: 64
; ScratchSize: 0
; MemoryBound: 0
; FloatMode: 240
; IeeeMode: 1
; LDSByteSize: 0 bytes/workgroup (compile time only)
; SGPRBlocks: 12
; VGPRBlocks: 7
; NumSGPRsForWavesPerEU: 103
; NumVGPRsForWavesPerEU: 64
; AccumOffset: 64
; Occupancy: 7
; WaveLimiterHint : 0
; COMPUTE_PGM_RSRC2:SCRATCH_EN: 0
; COMPUTE_PGM_RSRC2:USER_SGPR: 2
; COMPUTE_PGM_RSRC2:TRAP_HANDLER: 0
; COMPUTE_PGM_RSRC2:TGID_X_EN: 1
; COMPUTE_PGM_RSRC2:TGID_Y_EN: 1
; COMPUTE_PGM_RSRC2:TGID_Z_EN: 0
; COMPUTE_PGM_RSRC2:TIDIG_COMP_CNT: 0
; COMPUTE_PGM_RSRC3_GFX90A:ACCUM_OFFSET: 15
; COMPUTE_PGM_RSRC3_GFX90A:TG_SPLIT: 0
	.section	.text._Z25selective_scan_fwd_kernelI32Selective_Scan_fwd_kernel_traitsILi64ELi8ELi1ELb1ELb1ELb1ELb1ELb1EN3c108BFloat16EffEEv13SSMParamsBase,"axG",@progbits,_Z25selective_scan_fwd_kernelI32Selective_Scan_fwd_kernel_traitsILi64ELi8ELi1ELb1ELb1ELb1ELb1ELb1EN3c108BFloat16EffEEv13SSMParamsBase,comdat
	.protected	_Z25selective_scan_fwd_kernelI32Selective_Scan_fwd_kernel_traitsILi64ELi8ELi1ELb1ELb1ELb1ELb1ELb1EN3c108BFloat16EffEEv13SSMParamsBase ; -- Begin function _Z25selective_scan_fwd_kernelI32Selective_Scan_fwd_kernel_traitsILi64ELi8ELi1ELb1ELb1ELb1ELb1ELb1EN3c108BFloat16EffEEv13SSMParamsBase
	.globl	_Z25selective_scan_fwd_kernelI32Selective_Scan_fwd_kernel_traitsILi64ELi8ELi1ELb1ELb1ELb1ELb1ELb1EN3c108BFloat16EffEEv13SSMParamsBase
	.p2align	8
	.type	_Z25selective_scan_fwd_kernelI32Selective_Scan_fwd_kernel_traitsILi64ELi8ELi1ELb1ELb1ELb1ELb1ELb1EN3c108BFloat16EffEEv13SSMParamsBase,@function
_Z25selective_scan_fwd_kernelI32Selective_Scan_fwd_kernel_traitsILi64ELi8ELi1ELb1ELb1ELb1ELb1ELb1EN3c108BFloat16EffEEv13SSMParamsBase: ; @_Z25selective_scan_fwd_kernelI32Selective_Scan_fwd_kernel_traitsILi64ELi8ELi1ELb1ELb1ELb1ELb1ELb1EN3c108BFloat16EffEEv13SSMParamsBase
; %bb.0:
	s_load_dword s37, s[0:1], 0x18
	s_load_dwordx4 s[4:7], s[0:1], 0xe8
	s_load_dwordx8 s[20:27], s[0:1], 0xc8
	s_mov_b32 s34, s3
	s_ashr_i32 s3, s2, 31
	s_lshl_b64 s[8:9], s[2:3], 2
	s_waitcnt lgkmcnt(0)
	s_abs_i32 s36, s37
	v_cvt_f32_u32_e32 v1, s36
	s_add_u32 s28, s26, s8
	s_addc_u32 s29, s27, s9
	s_cmp_eq_u64 s[6:7], 0
	v_rcp_iflag_f32_e32 v1, v1
	s_nop 0
	v_mul_f32_e32 v1, 0x4f7ffffe, v1
	v_cvt_u32_f32_e32 v1, v1
	s_nop 0
	v_readfirstlane_b32 s38, v1
	s_cbranch_scc1 .LBB40_169
; %bb.1:
	s_add_u32 s6, s6, s2
	s_addc_u32 s7, s7, s3
	v_mov_b32_e32 v1, 0
	global_load_ubyte v1, v1, s[6:7]
	s_waitcnt vmcnt(0)
	v_and_b32_e32 v1, 1, v1
	v_cmp_eq_u32_e64 s[68:69], 1, v1
	s_load_dwordx2 s[6:7], s[0:1], 0x20
	s_cmp_eq_u64 s[4:5], 0
	s_cbranch_scc1 .LBB40_3
.LBB40_2:
	s_add_u32 s2, s4, s8
	s_addc_u32 s3, s5, s9
	s_load_dword s2, s[2:3], 0x0
	s_waitcnt lgkmcnt(0)
	s_ashr_i32 s3, s2, 31
.LBB40_3:
	s_waitcnt lgkmcnt(0)
	s_cmp_eq_u64 s[6:7], s[2:3]
	s_cbranch_scc1 .LBB40_168
; %bb.4:
	s_load_dwordx16 s[4:19], s[0:1], 0x88
	s_load_dwordx2 s[26:27], s[28:29], 0x0
	s_mov_b32 s33, 0
	s_mov_b32 s92, 0
	s_waitcnt lgkmcnt(0)
	s_cmp_eq_u64 s[10:11], 0
	s_cbranch_scc1 .LBB40_6
; %bb.5:
	s_ashr_i32 s35, s34, 31
	s_lshl_b64 s[28:29], s[34:35], 2
	s_add_u32 s10, s10, s28
	s_addc_u32 s11, s11, s29
	s_load_dword s92, s[10:11], 0x0
.LBB40_6:
	s_cmp_eq_u64 s[16:17], 0
	s_cbranch_scc1 .LBB40_8
; %bb.7:
	s_ashr_i32 s35, s34, 31
	s_lshl_b64 s[10:11], s[34:35], 2
	s_add_u32 s10, s16, s10
	s_addc_u32 s11, s17, s11
	s_load_dword s33, s[10:11], 0x0
.LBB40_8:
	s_sub_i32 s35, s27, s26
	s_cmp_lt_i32 s35, 1
	s_cbranch_scc1 .LBB40_168
; %bb.9:
	s_sub_i32 s3, 0, s36
	s_mul_i32 s3, s3, s38
	s_mul_hi_u32 s3, s38, s3
	s_abs_i32 s16, s34
	s_add_i32 s38, s38, s3
	s_load_dwordx8 s[52:59], s[0:1], 0x2c
	s_load_dwordx2 s[10:11], s[0:1], 0x7c
	s_load_dwordx4 s[28:31], s[0:1], 0x6c
	s_load_dwordx8 s[60:67], s[0:1], 0x4c
	s_load_dword s94, s[0:1], 0x84
	s_mul_hi_u32 s3, s16, s38
	s_load_dword s38, s[0:1], 0xc
	s_load_dword s17, s[0:1], 0x28
	s_ashr_i32 s0, s34, 31
	s_ashr_i32 s1, s37, 31
	s_xor_b32 s0, s0, s1
	s_mul_i32 s1, s3, s36
	s_sub_i32 s1, s16, s1
	s_add_i32 s16, s3, 1
	s_sub_i32 s27, s1, s36
	s_cmp_ge_u32 s1, s36
	s_cselect_b32 s3, s16, s3
	s_cselect_b32 s1, s27, s1
	s_add_i32 s16, s3, 1
	s_cmp_ge_u32 s1, s36
	s_cselect_b32 s1, s16, s3
	s_xor_b32 s1, s1, s0
	s_waitcnt lgkmcnt(0)
	s_mul_i32 s70, s26, s62
	s_mov_b32 s71, 0
	s_sub_i32 s3, s1, s0
	s_lshl_b64 s[0:1], s[70:71], 1
	s_add_u32 s12, s12, s0
	s_mul_i32 s70, s63, s34
	s_addc_u32 s13, s13, s1
	s_lshl_b64 s[0:1], s[70:71], 1
	s_add_u32 s62, s12, s0
	s_mul_i32 s70, s26, s64
	s_addc_u32 s63, s13, s1
	;; [unrolled: 4-line block ×10, first 2 shown]
	s_lshl_b64 s[0:1], s[70:71], 2
	v_mbcnt_lo_u32_b32 v1, -1, 0
	s_add_u32 s57, s2, s0
	v_mbcnt_hi_u32_b32 v10, -1, v1
	s_addc_u32 s61, s3, s1
	s_add_i32 s0, s35, 0x7ff
	v_lshrrev_b32_e32 v1, 5, v10
	s_lshr_b32 s1, s0, 11
	v_and_b32_e32 v1, 2, v1
	v_add_u32_e32 v40, 64, v10
	v_or_b32_e32 v41, 0x80, v10
	v_add_u32_e32 v42, 0xc0, v10
	v_or_b32_e32 v43, 0x100, v10
	;; [unrolled: 2-line block ×3, first 2 shown]
	v_add_u32_e32 v46, 0x1c0, v10
	v_add_u32_e32 v1, v1, v10
	s_bitcmp1_b32 s17, 0
	v_lshl_add_u32 v47, v1, 1, 0
	v_lshrrev_b32_e32 v1, 5, v40
	v_lshrrev_b32_e32 v2, 5, v41
	;; [unrolled: 1-line block ×7, first 2 shown]
	s_cselect_b64 s[72:73], -1, 0
                                        ; implicit-def: $vgpr95 : SGPR spill to VGPR lane
	s_cmp_gt_i32 s38, 0
	v_and_b32_e32 v1, 6, v1
	v_and_b32_e32 v2, 6, v2
	;; [unrolled: 1-line block ×7, first 2 shown]
	v_writelane_b32 v95, s38, 0
	s_cselect_b64 s[2:3], -1, 0
	v_add_lshl_u32 v1, v1, v10, 1
	v_add_lshl_u32 v2, v2, v10, 1
	;; [unrolled: 1-line block ×7, first 2 shown]
	v_writelane_b32 v95, s2, 1
	s_add_i32 s0, 0, 0x420
	v_add_u32_e32 v56, s0, v1
	v_writelane_b32 v95, s3, 2
	v_add_u32_e32 v57, s0, v2
	v_add_u32_e32 v58, s0, v3
	;; [unrolled: 1-line block ×6, first 2 shown]
	s_and_b32 s0, s35, 0x1ff
	v_writelane_b32 v95, s35, 3
	s_cmp_eq_u32 s0, 0
	s_cselect_b64 s[76:77], -1, 0
	v_writelane_b32 v95, s1, 4
	s_add_i32 s0, s1, -1
	s_mul_i32 s70, s26, s28
	v_writelane_b32 v95, s0, 5
	s_lshl_b64 s[0:1], s[70:71], 1
	s_add_u32 s14, s18, s0
	s_mul_i32 s70, s29, s34
	s_addc_u32 s15, s19, s1
	s_lshl_b64 s[12:13], s[70:71], 1
	s_add_u32 s18, s14, s12
	s_mul_i32 s70, s26, s66
	s_addc_u32 s19, s15, s13
	s_lshl_b64 s[12:13], s[70:71], 1
	s_add_u32 s14, s22, s12
	s_mul_i32 s70, s67, s34
	v_lshrrev_b32_e32 v8, 2, v10
	s_addc_u32 s15, s23, s13
	s_lshl_b64 s[12:13], s[70:71], 1
	v_and_b32_e32 v8, 30, v8
	s_add_u32 s20, s14, s12
	s_mul_i32 s70, s26, s30
	v_lshl_add_u32 v8, v10, 3, v8
	s_addc_u32 s21, s15, s13
	s_lshl_b64 s[14:15], s[70:71], 1
	v_mov_b32_e32 v9, 0
	v_add_u32_e32 v48, 0, v1
	v_lshl_add_u32 v55, v8, 1, 0
	v_and_b32_e32 v1, 15, v10
	s_add_u32 s22, s24, s14
	v_lshlrev_b32_e32 v8, 1, v10
	s_mul_i32 s70, s31, s34
	v_cmp_ne_u32_e64 s[0:1], 0, v1
	v_cmp_lt_u32_e64 s[2:3], 1, v1
	v_cmp_lt_u32_e64 s[4:5], 3, v1
	;; [unrolled: 1-line block ×3, first 2 shown]
	v_and_b32_e32 v1, 16, v10
	s_addc_u32 s23, s25, s15
	v_lshl_add_u64 v[12:13], s[18:19], 0, v[8:9]
	s_lshl_b64 s[18:19], s[70:71], 1
	v_add_u32_e32 v49, 0, v2
	v_cmp_ne_u32_e64 s[8:9], 0, v1
	v_add_u32_e32 v1, -1, v10
	v_and_b32_e32 v2, 64, v10
	s_add_u32 s18, s22, s18
	v_cmp_lt_i32_e32 vcc, v1, v2
	s_addc_u32 s19, s23, s19
	v_lshl_add_u64 v[16:17], s[18:19], 0, v[8:9]
	v_cndmask_b32_e32 v1, v1, v10, vcc
	s_add_i32 s18, 0, 0x848
	v_lshlrev_b32_e32 v11, 3, v0
	v_add_u32_e32 v50, 0, v3
	v_add_u32_e32 v51, 0, v4
	v_add_u32_e32 v52, 0, v5
	v_add_u32_e32 v53, 0, v6
	v_add_u32_e32 v54, 0, v7
	v_cmp_lt_u32_e64 s[10:11], 31, v10
	v_cmp_eq_u32_e64 s[12:13], 63, v0
	v_lshlrev_b32_e32 v63, 2, v1
	v_cmp_gt_u32_e64 s[14:15], 64, v0
	v_cmp_eq_u32_e64 s[16:17], 0, v0
	v_lshl_add_u64 v[14:15], s[20:21], 0, v[8:9]
	v_lshlrev_b32_e32 v8, 1, v10
	s_mov_b32 s40, 0x41a00000
	s_mov_b32 s41, 0x3fb8aa3b
	;; [unrolled: 1-line block ×6, first 2 shown]
	v_mov_b32_e32 v71, 0x3ecc95a3
	s_mov_b32 s46, 0x3f317218
	s_mov_b32 s47, 0x33800000
	v_writelane_b32 v95, s18, 6
	s_mov_b32 s98, 0xc2fc0000
	s_movk_i32 s74, 0x7fff
	s_mov_b32 s97, 0xbfb8aa3b
	s_mov_b32 s93, 0x42ce8ed0
	;; [unrolled: 1-line block ×3, first 2 shown]
	v_mov_b32_e32 v72, 0x7f800000
	v_mov_b32_e32 v18, 0x3f317218
	;; [unrolled: 1-line block ×5, first 2 shown]
	s_mov_b32 s99, 0
                                        ; implicit-def: $vgpr0
	s_branch .LBB40_11
.LBB40_10:                              ;   in Loop: Header=BB40_11 Depth=1
	s_or_b64 exec, exec, s[18:19]
	s_add_u32 s64, s64, 0x400
	s_addc_u32 s65, s65, 0
	s_add_u32 s62, s62, 0x400
	s_addc_u32 s63, s63, 0
	;; [unrolled: 2-line block ×4, first 2 shown]
	s_add_i32 s99, s99, 1
	v_readlane_b32 s18, v95, 4
	s_cmp_lg_u32 s99, s18
	s_cbranch_scc0 .LBB40_168
.LBB40_11:                              ; =>This Loop Header: Depth=1
                                        ;     Child Loop BB40_60 Depth 2
	s_lshl_b32 s66, s99, 9
	v_readlane_b32 s18, v95, 3
	s_sub_i32 s50, s18, s66
	v_lshl_add_u64 v[0:1], s[62:63], 0, v[8:9]
	v_cmp_gt_u32_e64 s[18:19], s50, v10
	s_waitcnt lgkmcnt(0)
	v_mov_b32_e32 v2, 0
	s_waitcnt lgkmcnt(0)
	; wave barrier
	s_and_saveexec_b64 s[20:21], s[18:19]
	s_cbranch_execz .LBB40_13
; %bb.12:                               ;   in Loop: Header=BB40_11 Depth=1
	global_load_ushort v2, v[0:1], off
.LBB40_13:                              ;   in Loop: Header=BB40_11 Depth=1
	s_or_b64 exec, exec, s[20:21]
	v_cmp_gt_u32_e64 s[20:21], s50, v40
	v_mov_b32_e32 v3, 0
	v_mov_b32_e32 v4, 0
	s_and_saveexec_b64 s[22:23], s[20:21]
	s_cbranch_execz .LBB40_15
; %bb.14:                               ;   in Loop: Header=BB40_11 Depth=1
	global_load_ushort v4, v[0:1], off offset:128
.LBB40_15:                              ;   in Loop: Header=BB40_11 Depth=1
	s_or_b64 exec, exec, s[22:23]
	v_cmp_gt_u32_e64 s[22:23], s50, v41
	s_and_saveexec_b64 s[24:25], s[22:23]
	s_cbranch_execz .LBB40_17
; %bb.16:                               ;   in Loop: Header=BB40_11 Depth=1
	global_load_ushort v3, v[0:1], off offset:256
.LBB40_17:                              ;   in Loop: Header=BB40_11 Depth=1
	s_or_b64 exec, exec, s[24:25]
	v_cmp_gt_u32_e64 s[24:25], s50, v42
	v_mov_b32_e32 v5, 0
	v_mov_b32_e32 v7, 0
	s_and_saveexec_b64 s[26:27], s[24:25]
	s_cbranch_execz .LBB40_19
; %bb.18:                               ;   in Loop: Header=BB40_11 Depth=1
	global_load_ushort v7, v[0:1], off offset:384
.LBB40_19:                              ;   in Loop: Header=BB40_11 Depth=1
	s_or_b64 exec, exec, s[26:27]
	v_cmp_gt_u32_e64 s[26:27], s50, v43
	s_and_saveexec_b64 s[28:29], s[26:27]
	s_cbranch_execz .LBB40_21
; %bb.20:                               ;   in Loop: Header=BB40_11 Depth=1
	global_load_ushort v5, v[0:1], off offset:512
.LBB40_21:                              ;   in Loop: Header=BB40_11 Depth=1
	;; [unrolled: 16-line block ×3, first 2 shown]
	s_or_b64 exec, exec, s[34:35]
	v_cmp_gt_u32_e64 s[34:35], s50, v46
	v_mov_b32_e32 v6, 0
	v_mov_b32_e32 v21, 0
	s_and_saveexec_b64 s[36:37], s[34:35]
	s_cbranch_execz .LBB40_27
; %bb.26:                               ;   in Loop: Header=BB40_11 Depth=1
	global_load_ushort v21, v[0:1], off offset:896
.LBB40_27:                              ;   in Loop: Header=BB40_11 Depth=1
	s_or_b64 exec, exec, s[36:37]
	s_waitcnt vmcnt(0)
	ds_write_b16 v47, v2
	ds_write_b16 v48, v4 offset:128
	ds_write_b16 v49, v3 offset:256
	;; [unrolled: 1-line block ×7, first 2 shown]
	; wave barrier
	ds_read_b128 v[0:3], v55
	v_lshl_add_u64 v[4:5], s[64:65], 0, v[8:9]
	s_waitcnt lgkmcnt(0)
	; wave barrier
	s_waitcnt lgkmcnt(0)
	s_and_saveexec_b64 s[36:37], s[18:19]
	s_cbranch_execz .LBB40_29
; %bb.28:                               ;   in Loop: Header=BB40_11 Depth=1
	global_load_ushort v6, v[4:5], off
.LBB40_29:                              ;   in Loop: Header=BB40_11 Depth=1
	s_or_b64 exec, exec, s[36:37]
	v_mov_b32_e32 v7, 0
	v_mov_b32_e32 v19, 0
	s_and_saveexec_b64 s[36:37], s[20:21]
	s_cbranch_execz .LBB40_31
; %bb.30:                               ;   in Loop: Header=BB40_11 Depth=1
	global_load_ushort v19, v[4:5], off offset:128
.LBB40_31:                              ;   in Loop: Header=BB40_11 Depth=1
	s_or_b64 exec, exec, s[36:37]
	s_and_saveexec_b64 s[36:37], s[22:23]
	s_cbranch_execz .LBB40_33
; %bb.32:                               ;   in Loop: Header=BB40_11 Depth=1
	global_load_ushort v7, v[4:5], off offset:256
.LBB40_33:                              ;   in Loop: Header=BB40_11 Depth=1
	s_or_b64 exec, exec, s[36:37]
	v_mov_b32_e32 v20, 0
	v_mov_b32_e32 v21, 0
	s_and_saveexec_b64 s[36:37], s[24:25]
	s_cbranch_execz .LBB40_35
; %bb.34:                               ;   in Loop: Header=BB40_11 Depth=1
	global_load_ushort v21, v[4:5], off offset:384
.LBB40_35:                              ;   in Loop: Header=BB40_11 Depth=1
	s_or_b64 exec, exec, s[36:37]
	s_and_saveexec_b64 s[36:37], s[26:27]
	s_cbranch_execz .LBB40_37
; %bb.36:                               ;   in Loop: Header=BB40_11 Depth=1
	global_load_ushort v20, v[4:5], off offset:512
.LBB40_37:                              ;   in Loop: Header=BB40_11 Depth=1
	s_or_b64 exec, exec, s[36:37]
	v_mov_b32_e32 v22, 0
	v_mov_b32_e32 v23, 0
	s_and_saveexec_b64 s[36:37], s[28:29]
	s_cbranch_execnz .LBB40_151
; %bb.38:                               ;   in Loop: Header=BB40_11 Depth=1
	s_or_b64 exec, exec, s[36:37]
	s_and_saveexec_b64 s[36:37], s[30:31]
	s_cbranch_execnz .LBB40_152
.LBB40_39:                              ;   in Loop: Header=BB40_11 Depth=1
	s_or_b64 exec, exec, s[36:37]
	v_mov_b32_e32 v24, 0
	s_and_saveexec_b64 s[36:37], s[34:35]
	s_cbranch_execz .LBB40_41
.LBB40_40:                              ;   in Loop: Header=BB40_11 Depth=1
	global_load_ushort v24, v[4:5], off offset:896
.LBB40_41:                              ;   in Loop: Header=BB40_11 Depth=1
	s_or_b64 exec, exec, s[36:37]
	s_waitcnt vmcnt(0)
	ds_write_b16 v47, v6
	ds_write_b16 v48, v19 offset:128
	ds_write_b16 v49, v7 offset:256
	ds_write_b16 v50, v21 offset:384
	ds_write_b16 v51, v20 offset:512
	ds_write_b16 v52, v23 offset:640
	ds_write_b16 v53, v22 offset:768
	ds_write_b16 v54, v24 offset:896
	; wave barrier
	ds_read_b128 v[4:7], v55
	s_waitcnt lgkmcnt(0)
	v_lshlrev_b32_e32 v19, 16, v4
	v_add_f32_e32 v76, s33, v19
	v_cmp_ge_f32_e32 vcc, s40, v76
	s_and_b64 s[36:37], s[72:73], vcc
	s_and_saveexec_b64 s[38:39], s[36:37]
	s_cbranch_execz .LBB40_43
; %bb.42:                               ;   in Loop: Header=BB40_11 Depth=1
	v_mul_f32_e32 v19, 0x3fb8aa3b, v76
	v_rndne_f32_e32 v20, v19
	v_sub_f32_e32 v21, v19, v20
	v_fma_f32 v19, v76, s41, -v19
	v_fmac_f32_e32 v19, 0x32a5705f, v76
	v_add_f32_e32 v19, v21, v19
	v_cvt_i32_f32_e32 v20, v20
	v_exp_f32_e32 v19, v19
	v_cmp_ngt_f32_e32 vcc, s42, v76
	v_ldexp_f32 v19, v19, v20
	s_nop 0
	v_cndmask_b32_e32 v19, 0, v19, vcc
	v_cmp_nlt_f32_e32 vcc, s43, v76
	s_nop 1
	v_cndmask_b32_e32 v36, v72, v19, vcc
	v_add_f32_e32 v19, 1.0, v36
	v_add_f32_e32 v20, -1.0, v19
	v_sub_f32_e32 v21, v20, v19
	v_add_f32_e32 v21, 1.0, v21
	v_sub_f32_e32 v20, v36, v20
	v_add_f32_e32 v22, v20, v21
	v_frexp_mant_f32_e32 v23, v19
	v_cvt_f64_f32_e32 v[20:21], v19
	v_frexp_exp_i32_f64_e32 v20, v[20:21]
	v_cmp_gt_f32_e32 vcc, s45, v23
	v_cmp_gt_f32_e64 s[36:37], s47, v36
	s_nop 0
	v_subbrev_co_u32_e32 v28, vcc, 0, v20, vcc
	v_sub_u32_e32 v20, 0, v28
	v_ldexp_f32 v19, v19, v20
	v_ldexp_f32 v20, v22, v20
	v_add_f32_e32 v22, -1.0, v19
	v_add_f32_e32 v21, 1.0, v22
	v_sub_f32_e32 v21, v19, v21
	v_add_f32_e32 v23, v20, v21
	v_add_f32_e32 v21, 1.0, v19
	v_add_f32_e32 v24, -1.0, v21
	v_sub_f32_e32 v19, v19, v24
	v_add_f32_e32 v19, v20, v19
	v_add_f32_e32 v29, v21, v19
	v_rcp_f32_e32 v30, v29
	v_sub_f32_e32 v20, v21, v29
	v_add_f32_e32 v21, v22, v23
	v_add_f32_e32 v19, v19, v20
	v_mul_f32_e32 v32, v21, v30
	v_sub_f32_e32 v20, v22, v21
	v_mul_f32_e32 v22, v29, v32
	v_fma_f32 v24, v32, v29, -v22
	v_fmac_f32_e32 v24, v32, v19
	v_add_f32_e32 v31, v23, v20
	v_add_f32_e32 v20, v22, v24
	v_sub_f32_e32 v23, v21, v20
	v_pk_add_f32 v[26:27], v[20:21], v[22:23] neg_lo:[0,1] neg_hi:[0,1]
	v_mov_b32_e32 v25, v20
	v_pk_add_f32 v[20:21], v[26:27], v[24:25] neg_lo:[0,1] neg_hi:[0,1]
	v_cmp_eq_f32_e32 vcc, s44, v36
	v_add_f32_e32 v21, v31, v21
	v_add_f32_e32 v20, v20, v21
	;; [unrolled: 1-line block ×3, first 2 shown]
	v_mul_f32_e32 v31, v30, v21
	v_mul_f32_e32 v22, v29, v31
	v_fma_f32 v24, v31, v29, -v22
	v_fmac_f32_e32 v24, v31, v19
	v_sub_f32_e32 v19, v23, v21
	v_add_f32_e32 v19, v20, v19
	v_add_f32_e32 v20, v22, v24
	v_sub_f32_e32 v23, v21, v20
	v_pk_add_f32 v[26:27], v[20:21], v[22:23] neg_lo:[0,1] neg_hi:[0,1]
	v_mov_b32_e32 v25, v20
	v_pk_add_f32 v[20:21], v[26:27], v[24:25] neg_lo:[0,1] neg_hi:[0,1]
	s_or_b64 vcc, s[36:37], vcc
	v_add_f32_e32 v19, v19, v21
	v_add_f32_e32 v19, v20, v19
	v_add_f32_e32 v21, v32, v31
	v_add_f32_e32 v19, v23, v19
	v_sub_f32_e32 v20, v21, v32
	v_mul_f32_e32 v19, v30, v19
	v_sub_f32_e32 v20, v31, v20
	v_add_f32_e32 v22, v20, v19
	v_add_f32_e32 v24, v21, v22
	v_cvt_f32_i32_e32 v20, v28
	v_mul_f32_e32 v25, v24, v24
	v_sub_f32_e32 v21, v24, v21
	v_fmamk_f32 v19, v25, 0x3e9b6dac, v71
	v_sub_f32_e32 v21, v22, v21
	v_fmaak_f32 v19, v25, v19, 0x3f2aaada
	v_ldexp_f32 v26, v21, 1
	v_mul_f32_e32 v21, v24, v25
	v_ldexp_f32 v23, v24, 1
	v_pk_mul_f32 v[24:25], v[20:21], v[18:19]
	s_nop 0
	v_fma_f32 v22, v20, s46, -v24
	v_fmac_f32_e32 v22, 0xb102e308, v20
	v_pk_add_f32 v[20:21], v[24:25], v[22:23]
	s_nop 0
	v_sub_f32_e32 v19, v21, v23
	v_sub_f32_e32 v19, v25, v19
	v_add_f32_e32 v27, v26, v19
	v_mov_b32_e32 v26, v24
	v_pk_add_f32 v[24:25], v[20:21], v[24:25] neg_lo:[0,1] neg_hi:[0,1]
	v_pk_add_f32 v[28:29], v[20:21], v[26:27]
	v_mov_b32_e32 v23, v20
	v_mov_b32_e32 v25, v29
	v_pk_add_f32 v[30:31], v[22:23], v[24:25] neg_lo:[0,1] neg_hi:[0,1]
	v_pk_add_f32 v[22:23], v[22:23], v[24:25]
	v_mov_b32_e32 v26, v27
	v_mov_b32_e32 v24, v23
	v_pk_add_f32 v[32:33], v[24:25], v[20:21] neg_lo:[0,1] neg_hi:[0,1]
	v_mov_b32_e32 v22, v29
	v_mov_b32_e32 v19, v32
	v_pk_add_f32 v[34:35], v[28:29], v[18:19] neg_lo:[0,1] neg_hi:[0,1]
	v_mov_b32_e32 v28, v21
	v_mov_b32_e32 v29, v32
	;; [unrolled: 1-line block ×3, first 2 shown]
	v_pk_add_f32 v[22:23], v[22:23], v[28:29] neg_lo:[0,1] neg_hi:[0,1]
	v_mov_b32_e32 v27, v20
	v_pk_add_f32 v[20:21], v[26:27], v[22:23] neg_lo:[0,1] neg_hi:[0,1]
	v_mov_b32_e32 v34, v30
	v_pk_add_f32 v[22:23], v[34:35], v[20:21]
	s_nop 0
	v_mov_b32_e32 v26, v23
	v_pk_add_f32 v[26:27], v[22:23], v[26:27]
	s_nop 0
	v_pk_add_f32 v[24:25], v[24:25], v[26:27]
	v_mov_b32_e32 v21, v26
	v_mov_b32_e32 v23, v24
	v_pk_add_f32 v[28:29], v[22:23], v[30:31] neg_lo:[0,1] neg_hi:[0,1]
	s_nop 0
	v_sub_f32_e32 v19, v22, v28
	v_pk_add_f32 v[20:21], v[20:21], v[28:29] neg_lo:[0,1] neg_hi:[0,1]
	v_sub_f32_e32 v19, v30, v19
	v_add_f32_e32 v19, v20, v19
	v_add_f32_e32 v19, v19, v21
	v_add_f32_e32 v19, v24, v19
	v_cndmask_b32_e32 v76, v19, v36, vcc
.LBB40_43:                              ;   in Loop: Header=BB40_11 Depth=1
	s_or_b64 exec, exec, s[38:39]
	v_and_b32_e32 v4, 0xffff0000, v4
	v_add_f32_e32 v77, s33, v4
	v_cmp_ge_f32_e32 vcc, s40, v77
	s_and_b64 s[36:37], s[72:73], vcc
	s_and_saveexec_b64 s[38:39], s[36:37]
	s_cbranch_execz .LBB40_45
; %bb.44:                               ;   in Loop: Header=BB40_11 Depth=1
	v_mul_f32_e32 v4, 0x3fb8aa3b, v77
	v_rndne_f32_e32 v19, v4
	v_sub_f32_e32 v20, v4, v19
	v_fma_f32 v4, v77, s41, -v4
	v_fmac_f32_e32 v4, 0x32a5705f, v77
	v_add_f32_e32 v4, v20, v4
	v_cvt_i32_f32_e32 v19, v19
	v_exp_f32_e32 v4, v4
	v_cmp_ngt_f32_e32 vcc, s42, v77
	v_ldexp_f32 v4, v4, v19
	s_nop 0
	v_cndmask_b32_e32 v4, 0, v4, vcc
	v_cmp_nlt_f32_e32 vcc, s43, v77
	s_nop 1
	v_cndmask_b32_e32 v34, v72, v4, vcc
	v_add_f32_e32 v4, 1.0, v34
	v_add_f32_e32 v19, -1.0, v4
	v_sub_f32_e32 v20, v19, v4
	v_add_f32_e32 v20, 1.0, v20
	v_sub_f32_e32 v19, v34, v19
	v_add_f32_e32 v19, v19, v20
	v_frexp_mant_f32_e32 v22, v4
	v_cvt_f64_f32_e32 v[20:21], v4
	v_frexp_exp_i32_f64_e32 v20, v[20:21]
	v_cmp_gt_f32_e32 vcc, s45, v22
	v_cmp_gt_f32_e64 s[36:37], s47, v34
	s_nop 0
	v_subbrev_co_u32_e32 v28, vcc, 0, v20, vcc
	v_sub_u32_e32 v20, 0, v28
	v_ldexp_f32 v4, v4, v20
	v_ldexp_f32 v19, v19, v20
	v_add_f32_e32 v20, -1.0, v4
	v_add_f32_e32 v21, 1.0, v20
	v_sub_f32_e32 v21, v4, v21
	v_add_f32_e32 v22, v19, v21
	v_add_f32_e32 v21, 1.0, v4
	v_add_f32_e32 v23, -1.0, v21
	v_sub_f32_e32 v4, v4, v23
	v_add_f32_e32 v4, v19, v4
	v_add_f32_e32 v19, v21, v4
	v_rcp_f32_e32 v29, v19
	v_sub_f32_e32 v21, v21, v19
	v_add_f32_e32 v4, v4, v21
	v_add_f32_e32 v21, v20, v22
	v_sub_f32_e32 v20, v20, v21
	v_mul_f32_e32 v31, v21, v29
	v_add_f32_e32 v30, v22, v20
	v_mul_f32_e32 v22, v19, v31
	v_fma_f32 v24, v31, v19, -v22
	v_fmac_f32_e32 v24, v31, v4
	v_add_f32_e32 v20, v22, v24
	v_sub_f32_e32 v23, v21, v20
	v_pk_add_f32 v[26:27], v[20:21], v[22:23] neg_lo:[0,1] neg_hi:[0,1]
	v_mov_b32_e32 v25, v20
	v_pk_add_f32 v[20:21], v[26:27], v[24:25] neg_lo:[0,1] neg_hi:[0,1]
	v_cmp_eq_f32_e32 vcc, s44, v34
	v_add_f32_e32 v21, v30, v21
	v_add_f32_e32 v20, v20, v21
	;; [unrolled: 1-line block ×3, first 2 shown]
	v_mul_f32_e32 v30, v29, v21
	v_mul_f32_e32 v22, v19, v30
	v_fma_f32 v24, v30, v19, -v22
	v_fmac_f32_e32 v24, v30, v4
	v_sub_f32_e32 v4, v23, v21
	v_add_f32_e32 v4, v20, v4
	v_add_f32_e32 v20, v22, v24
	v_sub_f32_e32 v23, v21, v20
	v_pk_add_f32 v[26:27], v[20:21], v[22:23] neg_lo:[0,1] neg_hi:[0,1]
	v_mov_b32_e32 v25, v20
	v_pk_add_f32 v[20:21], v[26:27], v[24:25] neg_lo:[0,1] neg_hi:[0,1]
	s_or_b64 vcc, s[36:37], vcc
	v_add_f32_e32 v4, v4, v21
	v_add_f32_e32 v4, v20, v4
	;; [unrolled: 1-line block ×4, first 2 shown]
	v_sub_f32_e32 v19, v21, v31
	v_mul_f32_e32 v4, v29, v4
	v_sub_f32_e32 v19, v30, v19
	v_add_f32_e32 v4, v19, v4
	v_add_f32_e32 v22, v21, v4
	v_cvt_f32_i32_e32 v20, v28
	v_mul_f32_e32 v24, v22, v22
	v_fmamk_f32 v19, v24, 0x3e9b6dac, v71
	v_sub_f32_e32 v21, v22, v21
	v_fmaak_f32 v19, v24, v19, 0x3f2aaada
	v_sub_f32_e32 v4, v4, v21
	v_mul_f32_e32 v21, v22, v24
	v_pk_mul_f32 v[24:25], v[20:21], v[18:19]
	v_ldexp_f32 v23, v22, 1
	v_fma_f32 v22, v20, s46, -v24
	v_fmac_f32_e32 v22, 0xb102e308, v20
	v_pk_add_f32 v[20:21], v[24:25], v[22:23]
	v_ldexp_f32 v4, v4, 1
	v_sub_f32_e32 v19, v21, v23
	v_sub_f32_e32 v19, v25, v19
	v_add_f32_e32 v27, v4, v19
	v_mov_b32_e32 v26, v24
	v_pk_add_f32 v[24:25], v[20:21], v[24:25] neg_lo:[0,1] neg_hi:[0,1]
	v_pk_add_f32 v[28:29], v[20:21], v[26:27]
	v_mov_b32_e32 v23, v20
	v_mov_b32_e32 v25, v29
	v_pk_add_f32 v[30:31], v[22:23], v[24:25] neg_lo:[0,1] neg_hi:[0,1]
	v_pk_add_f32 v[22:23], v[22:23], v[24:25]
	s_nop 0
	v_mov_b32_e32 v4, v23
	v_pk_add_f32 v[24:25], v[4:5], v[20:21] neg_lo:[0,1] neg_hi:[0,1]
	v_mov_b32_e32 v22, v29
	v_mov_b32_e32 v19, v24
	v_pk_add_f32 v[32:33], v[28:29], v[18:19] neg_lo:[0,1] neg_hi:[0,1]
	v_mov_b32_e32 v28, v21
	v_mov_b32_e32 v29, v24
	;; [unrolled: 1-line block ×3, first 2 shown]
	v_pk_add_f32 v[22:23], v[22:23], v[28:29] neg_lo:[0,1] neg_hi:[0,1]
	v_mov_b32_e32 v24, v27
	v_mov_b32_e32 v25, v20
	v_pk_add_f32 v[20:21], v[24:25], v[22:23] neg_lo:[0,1] neg_hi:[0,1]
	v_mov_b32_e32 v32, v30
	v_pk_add_f32 v[22:23], v[32:33], v[20:21]
	s_nop 0
	v_mov_b32_e32 v24, v23
	v_pk_add_f32 v[24:25], v[22:23], v[24:25]
	s_nop 0
	v_pk_add_f32 v[26:27], v[4:5], v[24:25]
	v_mov_b32_e32 v21, v24
	v_mov_b32_e32 v23, v26
	v_pk_add_f32 v[28:29], v[22:23], v[30:31] neg_lo:[0,1] neg_hi:[0,1]
	s_nop 0
	v_sub_f32_e32 v4, v22, v28
	v_pk_add_f32 v[20:21], v[20:21], v[28:29] neg_lo:[0,1] neg_hi:[0,1]
	v_sub_f32_e32 v4, v30, v4
	v_add_f32_e32 v4, v20, v4
	v_add_f32_e32 v4, v4, v21
	;; [unrolled: 1-line block ×3, first 2 shown]
	v_cndmask_b32_e32 v77, v4, v34, vcc
.LBB40_45:                              ;   in Loop: Header=BB40_11 Depth=1
	s_or_b64 exec, exec, s[38:39]
	v_lshlrev_b32_e32 v4, 16, v5
	v_add_f32_e32 v78, s33, v4
	v_cmp_ge_f32_e32 vcc, s40, v78
	s_and_b64 s[36:37], s[72:73], vcc
	s_and_saveexec_b64 s[38:39], s[36:37]
	s_cbranch_execz .LBB40_47
; %bb.46:                               ;   in Loop: Header=BB40_11 Depth=1
	v_mul_f32_e32 v4, 0x3fb8aa3b, v78
	v_rndne_f32_e32 v19, v4
	v_sub_f32_e32 v20, v4, v19
	v_fma_f32 v4, v78, s41, -v4
	v_fmac_f32_e32 v4, 0x32a5705f, v78
	v_add_f32_e32 v4, v20, v4
	v_cvt_i32_f32_e32 v19, v19
	v_exp_f32_e32 v4, v4
	v_cmp_ngt_f32_e32 vcc, s42, v78
	v_ldexp_f32 v4, v4, v19
	s_nop 0
	v_cndmask_b32_e32 v4, 0, v4, vcc
	v_cmp_nlt_f32_e32 vcc, s43, v78
	s_nop 1
	v_cndmask_b32_e32 v34, v72, v4, vcc
	v_add_f32_e32 v4, 1.0, v34
	v_add_f32_e32 v19, -1.0, v4
	v_sub_f32_e32 v20, v19, v4
	v_add_f32_e32 v20, 1.0, v20
	v_sub_f32_e32 v19, v34, v19
	v_add_f32_e32 v19, v19, v20
	v_frexp_mant_f32_e32 v22, v4
	v_cvt_f64_f32_e32 v[20:21], v4
	v_frexp_exp_i32_f64_e32 v20, v[20:21]
	v_cmp_gt_f32_e32 vcc, s45, v22
	v_cmp_gt_f32_e64 s[36:37], s47, v34
	s_nop 0
	v_subbrev_co_u32_e32 v28, vcc, 0, v20, vcc
	v_sub_u32_e32 v20, 0, v28
	v_ldexp_f32 v4, v4, v20
	v_ldexp_f32 v19, v19, v20
	v_add_f32_e32 v20, -1.0, v4
	v_add_f32_e32 v21, 1.0, v20
	v_sub_f32_e32 v21, v4, v21
	v_add_f32_e32 v22, v19, v21
	v_add_f32_e32 v21, 1.0, v4
	v_add_f32_e32 v23, -1.0, v21
	v_sub_f32_e32 v4, v4, v23
	v_add_f32_e32 v4, v19, v4
	v_add_f32_e32 v19, v21, v4
	v_rcp_f32_e32 v29, v19
	v_sub_f32_e32 v21, v21, v19
	v_add_f32_e32 v4, v4, v21
	v_add_f32_e32 v21, v20, v22
	v_sub_f32_e32 v20, v20, v21
	v_mul_f32_e32 v31, v21, v29
	v_add_f32_e32 v30, v22, v20
	v_mul_f32_e32 v22, v19, v31
	v_fma_f32 v24, v31, v19, -v22
	v_fmac_f32_e32 v24, v31, v4
	v_add_f32_e32 v20, v22, v24
	v_sub_f32_e32 v23, v21, v20
	v_pk_add_f32 v[26:27], v[20:21], v[22:23] neg_lo:[0,1] neg_hi:[0,1]
	v_mov_b32_e32 v25, v20
	v_pk_add_f32 v[20:21], v[26:27], v[24:25] neg_lo:[0,1] neg_hi:[0,1]
	v_cmp_eq_f32_e32 vcc, s44, v34
	v_add_f32_e32 v21, v30, v21
	v_add_f32_e32 v20, v20, v21
	v_add_f32_e32 v21, v23, v20
	v_mul_f32_e32 v30, v29, v21
	v_mul_f32_e32 v22, v19, v30
	v_fma_f32 v24, v30, v19, -v22
	v_fmac_f32_e32 v24, v30, v4
	v_sub_f32_e32 v4, v23, v21
	v_add_f32_e32 v4, v20, v4
	v_add_f32_e32 v20, v22, v24
	v_sub_f32_e32 v23, v21, v20
	v_pk_add_f32 v[26:27], v[20:21], v[22:23] neg_lo:[0,1] neg_hi:[0,1]
	v_mov_b32_e32 v25, v20
	v_pk_add_f32 v[20:21], v[26:27], v[24:25] neg_lo:[0,1] neg_hi:[0,1]
	s_or_b64 vcc, s[36:37], vcc
	v_add_f32_e32 v4, v4, v21
	v_add_f32_e32 v4, v20, v4
	;; [unrolled: 1-line block ×4, first 2 shown]
	v_sub_f32_e32 v19, v21, v31
	v_mul_f32_e32 v4, v29, v4
	v_sub_f32_e32 v19, v30, v19
	v_add_f32_e32 v4, v19, v4
	v_add_f32_e32 v22, v21, v4
	v_cvt_f32_i32_e32 v20, v28
	v_mul_f32_e32 v24, v22, v22
	v_fmamk_f32 v19, v24, 0x3e9b6dac, v71
	v_sub_f32_e32 v21, v22, v21
	v_fmaak_f32 v19, v24, v19, 0x3f2aaada
	v_sub_f32_e32 v4, v4, v21
	v_mul_f32_e32 v21, v22, v24
	v_pk_mul_f32 v[24:25], v[20:21], v[18:19]
	v_ldexp_f32 v23, v22, 1
	v_fma_f32 v22, v20, s46, -v24
	v_fmac_f32_e32 v22, 0xb102e308, v20
	v_pk_add_f32 v[20:21], v[24:25], v[22:23]
	v_ldexp_f32 v4, v4, 1
	v_sub_f32_e32 v19, v21, v23
	v_sub_f32_e32 v19, v25, v19
	v_add_f32_e32 v27, v4, v19
	v_mov_b32_e32 v26, v24
	v_pk_add_f32 v[24:25], v[20:21], v[24:25] neg_lo:[0,1] neg_hi:[0,1]
	v_pk_add_f32 v[28:29], v[20:21], v[26:27]
	v_mov_b32_e32 v23, v20
	v_mov_b32_e32 v25, v29
	v_pk_add_f32 v[30:31], v[22:23], v[24:25] neg_lo:[0,1] neg_hi:[0,1]
	v_pk_add_f32 v[22:23], v[22:23], v[24:25]
	s_nop 0
	v_mov_b32_e32 v4, v23
	v_pk_add_f32 v[24:25], v[4:5], v[20:21] neg_lo:[0,1] neg_hi:[0,1]
	v_mov_b32_e32 v22, v29
	v_mov_b32_e32 v19, v24
	v_pk_add_f32 v[32:33], v[28:29], v[18:19] neg_lo:[0,1] neg_hi:[0,1]
	v_mov_b32_e32 v28, v21
	v_mov_b32_e32 v29, v24
	;; [unrolled: 1-line block ×3, first 2 shown]
	v_pk_add_f32 v[22:23], v[22:23], v[28:29] neg_lo:[0,1] neg_hi:[0,1]
	v_mov_b32_e32 v24, v27
	v_mov_b32_e32 v25, v20
	v_pk_add_f32 v[20:21], v[24:25], v[22:23] neg_lo:[0,1] neg_hi:[0,1]
	v_mov_b32_e32 v32, v30
	v_pk_add_f32 v[22:23], v[32:33], v[20:21]
	s_nop 0
	v_mov_b32_e32 v24, v23
	v_pk_add_f32 v[24:25], v[22:23], v[24:25]
	s_nop 0
	v_pk_add_f32 v[26:27], v[4:5], v[24:25]
	v_mov_b32_e32 v21, v24
	v_mov_b32_e32 v23, v26
	v_pk_add_f32 v[28:29], v[22:23], v[30:31] neg_lo:[0,1] neg_hi:[0,1]
	s_nop 0
	v_sub_f32_e32 v4, v22, v28
	v_pk_add_f32 v[20:21], v[20:21], v[28:29] neg_lo:[0,1] neg_hi:[0,1]
	v_sub_f32_e32 v4, v30, v4
	v_add_f32_e32 v4, v20, v4
	v_add_f32_e32 v4, v4, v21
	;; [unrolled: 1-line block ×3, first 2 shown]
	v_cndmask_b32_e32 v78, v4, v34, vcc
.LBB40_47:                              ;   in Loop: Header=BB40_11 Depth=1
	s_or_b64 exec, exec, s[38:39]
	v_and_b32_e32 v4, 0xffff0000, v5
	v_add_f32_e32 v79, s33, v4
	v_cmp_ge_f32_e32 vcc, s40, v79
	s_and_b64 s[36:37], s[72:73], vcc
	s_and_saveexec_b64 s[38:39], s[36:37]
	s_cbranch_execz .LBB40_49
; %bb.48:                               ;   in Loop: Header=BB40_11 Depth=1
	v_mul_f32_e32 v4, 0x3fb8aa3b, v79
	v_rndne_f32_e32 v5, v4
	v_sub_f32_e32 v19, v4, v5
	v_fma_f32 v4, v79, s41, -v4
	v_fmac_f32_e32 v4, 0x32a5705f, v79
	v_add_f32_e32 v4, v19, v4
	v_cvt_i32_f32_e32 v5, v5
	v_exp_f32_e32 v4, v4
	v_cmp_ngt_f32_e32 vcc, s42, v79
	v_ldexp_f32 v4, v4, v5
	s_nop 0
	v_cndmask_b32_e32 v4, 0, v4, vcc
	v_cmp_nlt_f32_e32 vcc, s43, v79
	s_nop 1
	v_cndmask_b32_e32 v34, v72, v4, vcc
	v_add_f32_e32 v19, 1.0, v34
	v_add_f32_e32 v4, -1.0, v19
	v_sub_f32_e32 v5, v4, v19
	v_add_f32_e32 v5, 1.0, v5
	v_sub_f32_e32 v4, v34, v4
	v_add_f32_e32 v20, v4, v5
	v_frexp_mant_f32_e32 v21, v19
	v_cvt_f64_f32_e32 v[4:5], v19
	v_frexp_exp_i32_f64_e32 v4, v[4:5]
	v_cmp_gt_f32_e32 vcc, s45, v21
	v_cmp_gt_f32_e64 s[36:37], s47, v34
	s_nop 0
	v_subbrev_co_u32_e32 v26, vcc, 0, v4, vcc
	v_sub_u32_e32 v4, 0, v26
	v_ldexp_f32 v5, v19, v4
	v_add_f32_e32 v19, -1.0, v5
	v_add_f32_e32 v21, 1.0, v5
	v_ldexp_f32 v4, v20, v4
	v_add_f32_e32 v20, 1.0, v19
	v_add_f32_e32 v22, -1.0, v21
	v_sub_f32_e32 v20, v5, v20
	v_sub_f32_e32 v5, v5, v22
	v_add_f32_e32 v20, v4, v20
	v_add_f32_e32 v4, v4, v5
	;; [unrolled: 1-line block ×3, first 2 shown]
	v_rcp_f32_e32 v29, v27
	v_sub_f32_e32 v5, v21, v27
	v_add_f32_e32 v28, v4, v5
	v_add_f32_e32 v5, v19, v20
	v_sub_f32_e32 v4, v19, v5
	v_mul_f32_e32 v30, v5, v29
	v_add_f32_e32 v19, v20, v4
	v_mul_f32_e32 v20, v27, v30
	v_fma_f32 v22, v30, v27, -v20
	v_fmac_f32_e32 v22, v30, v28
	v_add_f32_e32 v4, v20, v22
	v_sub_f32_e32 v21, v5, v4
	v_pk_add_f32 v[24:25], v[4:5], v[20:21] neg_lo:[0,1] neg_hi:[0,1]
	v_mov_b32_e32 v23, v4
	v_pk_add_f32 v[4:5], v[24:25], v[22:23] neg_lo:[0,1] neg_hi:[0,1]
	v_cmp_eq_f32_e32 vcc, s44, v34
	v_add_f32_e32 v5, v19, v5
	v_add_f32_e32 v4, v4, v5
	;; [unrolled: 1-line block ×3, first 2 shown]
	v_mul_f32_e32 v19, v29, v5
	v_mul_f32_e32 v20, v27, v19
	v_fma_f32 v22, v19, v27, -v20
	v_fmac_f32_e32 v22, v19, v28
	v_sub_f32_e32 v21, v21, v5
	v_add_f32_e32 v27, v4, v21
	v_add_f32_e32 v4, v20, v22
	v_sub_f32_e32 v21, v5, v4
	v_pk_add_f32 v[24:25], v[4:5], v[20:21] neg_lo:[0,1] neg_hi:[0,1]
	v_mov_b32_e32 v23, v4
	v_pk_add_f32 v[4:5], v[24:25], v[22:23] neg_lo:[0,1] neg_hi:[0,1]
	s_or_b64 vcc, s[36:37], vcc
	v_add_f32_e32 v5, v27, v5
	v_add_f32_e32 v4, v4, v5
	;; [unrolled: 1-line block ×4, first 2 shown]
	v_sub_f32_e32 v20, v5, v30
	v_mul_f32_e32 v4, v29, v4
	v_sub_f32_e32 v19, v19, v20
	v_add_f32_e32 v20, v19, v4
	v_add_f32_e32 v22, v5, v20
	v_mul_f32_e32 v23, v22, v22
	v_fmamk_f32 v4, v23, 0x3e9b6dac, v71
	v_fmaak_f32 v19, v23, v4, 0x3f2aaada
	v_cvt_f32_i32_e32 v4, v26
	v_sub_f32_e32 v5, v22, v5
	v_sub_f32_e32 v5, v20, v5
	v_ldexp_f32 v24, v5, 1
	v_mul_f32_e32 v5, v22, v23
	v_ldexp_f32 v21, v22, 1
	v_pk_mul_f32 v[22:23], v[4:5], v[18:19]
	s_nop 0
	v_fma_f32 v20, v4, s46, -v22
	v_fmac_f32_e32 v20, 0xb102e308, v4
	v_pk_add_f32 v[4:5], v[22:23], v[20:21]
	s_nop 0
	v_sub_f32_e32 v19, v5, v21
	v_sub_f32_e32 v19, v23, v19
	v_add_f32_e32 v25, v24, v19
	v_mov_b32_e32 v24, v22
	v_pk_add_f32 v[22:23], v[4:5], v[22:23] neg_lo:[0,1] neg_hi:[0,1]
	v_pk_add_f32 v[26:27], v[4:5], v[24:25]
	v_mov_b32_e32 v21, v4
	v_mov_b32_e32 v23, v27
	v_pk_add_f32 v[28:29], v[20:21], v[22:23] neg_lo:[0,1] neg_hi:[0,1]
	v_pk_add_f32 v[20:21], v[20:21], v[22:23]
	v_mov_b32_e32 v24, v25
	v_mov_b32_e32 v22, v21
	v_pk_add_f32 v[30:31], v[22:23], v[4:5] neg_lo:[0,1] neg_hi:[0,1]
	v_mov_b32_e32 v20, v27
	v_mov_b32_e32 v19, v30
	v_pk_add_f32 v[32:33], v[26:27], v[18:19] neg_lo:[0,1] neg_hi:[0,1]
	v_mov_b32_e32 v26, v5
	v_mov_b32_e32 v27, v30
	;; [unrolled: 1-line block ×3, first 2 shown]
	v_pk_add_f32 v[20:21], v[20:21], v[26:27] neg_lo:[0,1] neg_hi:[0,1]
	v_mov_b32_e32 v25, v4
	v_pk_add_f32 v[4:5], v[24:25], v[20:21] neg_lo:[0,1] neg_hi:[0,1]
	v_mov_b32_e32 v32, v28
	v_pk_add_f32 v[20:21], v[32:33], v[4:5]
	s_nop 0
	v_mov_b32_e32 v24, v21
	v_pk_add_f32 v[24:25], v[20:21], v[24:25]
	s_nop 0
	v_pk_add_f32 v[22:23], v[22:23], v[24:25]
	v_mov_b32_e32 v5, v24
	v_mov_b32_e32 v21, v22
	v_pk_add_f32 v[26:27], v[20:21], v[28:29] neg_lo:[0,1] neg_hi:[0,1]
	s_nop 0
	v_sub_f32_e32 v19, v20, v26
	v_pk_add_f32 v[4:5], v[4:5], v[26:27] neg_lo:[0,1] neg_hi:[0,1]
	v_sub_f32_e32 v19, v28, v19
	v_add_f32_e32 v4, v4, v19
	v_add_f32_e32 v4, v4, v5
	;; [unrolled: 1-line block ×3, first 2 shown]
	v_cndmask_b32_e32 v79, v4, v34, vcc
.LBB40_49:                              ;   in Loop: Header=BB40_11 Depth=1
	s_or_b64 exec, exec, s[38:39]
	v_lshlrev_b32_e32 v4, 16, v6
	v_add_f32_e32 v80, s33, v4
	v_cmp_ge_f32_e32 vcc, s40, v80
	s_and_b64 s[36:37], s[72:73], vcc
	s_and_saveexec_b64 s[38:39], s[36:37]
	s_cbranch_execz .LBB40_51
; %bb.50:                               ;   in Loop: Header=BB40_11 Depth=1
	v_mul_f32_e32 v4, 0x3fb8aa3b, v80
	v_rndne_f32_e32 v5, v4
	v_sub_f32_e32 v19, v4, v5
	v_fma_f32 v4, v80, s41, -v4
	v_fmac_f32_e32 v4, 0x32a5705f, v80
	v_add_f32_e32 v4, v19, v4
	v_cvt_i32_f32_e32 v5, v5
	v_exp_f32_e32 v4, v4
	v_cmp_ngt_f32_e32 vcc, s42, v80
	v_ldexp_f32 v4, v4, v5
	s_nop 0
	v_cndmask_b32_e32 v4, 0, v4, vcc
	v_cmp_nlt_f32_e32 vcc, s43, v80
	s_nop 1
	v_cndmask_b32_e32 v34, v72, v4, vcc
	v_add_f32_e32 v19, 1.0, v34
	v_add_f32_e32 v4, -1.0, v19
	v_sub_f32_e32 v5, v4, v19
	v_add_f32_e32 v5, 1.0, v5
	v_sub_f32_e32 v4, v34, v4
	v_add_f32_e32 v20, v4, v5
	v_frexp_mant_f32_e32 v21, v19
	v_cvt_f64_f32_e32 v[4:5], v19
	v_frexp_exp_i32_f64_e32 v4, v[4:5]
	v_cmp_gt_f32_e32 vcc, s45, v21
	v_cmp_gt_f32_e64 s[36:37], s47, v34
	s_nop 0
	v_subbrev_co_u32_e32 v26, vcc, 0, v4, vcc
	v_sub_u32_e32 v4, 0, v26
	v_ldexp_f32 v5, v19, v4
	v_add_f32_e32 v19, -1.0, v5
	v_add_f32_e32 v21, 1.0, v5
	v_ldexp_f32 v4, v20, v4
	v_add_f32_e32 v20, 1.0, v19
	v_add_f32_e32 v22, -1.0, v21
	v_sub_f32_e32 v20, v5, v20
	v_sub_f32_e32 v5, v5, v22
	v_add_f32_e32 v20, v4, v20
	v_add_f32_e32 v4, v4, v5
	;; [unrolled: 1-line block ×3, first 2 shown]
	v_rcp_f32_e32 v29, v27
	v_sub_f32_e32 v5, v21, v27
	v_add_f32_e32 v28, v4, v5
	v_add_f32_e32 v5, v19, v20
	v_sub_f32_e32 v4, v19, v5
	v_mul_f32_e32 v30, v5, v29
	v_add_f32_e32 v19, v20, v4
	v_mul_f32_e32 v20, v27, v30
	v_fma_f32 v22, v30, v27, -v20
	v_fmac_f32_e32 v22, v30, v28
	v_add_f32_e32 v4, v20, v22
	v_sub_f32_e32 v21, v5, v4
	v_pk_add_f32 v[24:25], v[4:5], v[20:21] neg_lo:[0,1] neg_hi:[0,1]
	v_mov_b32_e32 v23, v4
	v_pk_add_f32 v[4:5], v[24:25], v[22:23] neg_lo:[0,1] neg_hi:[0,1]
	v_cmp_eq_f32_e32 vcc, s44, v34
	v_add_f32_e32 v5, v19, v5
	v_add_f32_e32 v4, v4, v5
	;; [unrolled: 1-line block ×3, first 2 shown]
	v_mul_f32_e32 v19, v29, v5
	v_mul_f32_e32 v20, v27, v19
	v_fma_f32 v22, v19, v27, -v20
	v_fmac_f32_e32 v22, v19, v28
	v_sub_f32_e32 v21, v21, v5
	v_add_f32_e32 v27, v4, v21
	v_add_f32_e32 v4, v20, v22
	v_sub_f32_e32 v21, v5, v4
	v_pk_add_f32 v[24:25], v[4:5], v[20:21] neg_lo:[0,1] neg_hi:[0,1]
	v_mov_b32_e32 v23, v4
	v_pk_add_f32 v[4:5], v[24:25], v[22:23] neg_lo:[0,1] neg_hi:[0,1]
	s_or_b64 vcc, s[36:37], vcc
	v_add_f32_e32 v5, v27, v5
	v_add_f32_e32 v4, v4, v5
	;; [unrolled: 1-line block ×4, first 2 shown]
	v_sub_f32_e32 v20, v5, v30
	v_mul_f32_e32 v4, v29, v4
	v_sub_f32_e32 v19, v19, v20
	v_add_f32_e32 v20, v19, v4
	v_add_f32_e32 v22, v5, v20
	v_mul_f32_e32 v23, v22, v22
	v_fmamk_f32 v4, v23, 0x3e9b6dac, v71
	v_fmaak_f32 v19, v23, v4, 0x3f2aaada
	v_cvt_f32_i32_e32 v4, v26
	v_sub_f32_e32 v5, v22, v5
	v_sub_f32_e32 v5, v20, v5
	v_ldexp_f32 v24, v5, 1
	v_mul_f32_e32 v5, v22, v23
	v_ldexp_f32 v21, v22, 1
	v_pk_mul_f32 v[22:23], v[4:5], v[18:19]
	s_nop 0
	v_fma_f32 v20, v4, s46, -v22
	v_fmac_f32_e32 v20, 0xb102e308, v4
	v_pk_add_f32 v[4:5], v[22:23], v[20:21]
	s_nop 0
	v_sub_f32_e32 v19, v5, v21
	v_sub_f32_e32 v19, v23, v19
	v_add_f32_e32 v25, v24, v19
	v_mov_b32_e32 v24, v22
	v_pk_add_f32 v[22:23], v[4:5], v[22:23] neg_lo:[0,1] neg_hi:[0,1]
	v_pk_add_f32 v[26:27], v[4:5], v[24:25]
	v_mov_b32_e32 v21, v4
	v_mov_b32_e32 v23, v27
	v_pk_add_f32 v[28:29], v[20:21], v[22:23] neg_lo:[0,1] neg_hi:[0,1]
	v_pk_add_f32 v[20:21], v[20:21], v[22:23]
	v_mov_b32_e32 v24, v25
	v_mov_b32_e32 v22, v21
	v_pk_add_f32 v[30:31], v[22:23], v[4:5] neg_lo:[0,1] neg_hi:[0,1]
	v_mov_b32_e32 v20, v27
	v_mov_b32_e32 v19, v30
	v_pk_add_f32 v[32:33], v[26:27], v[18:19] neg_lo:[0,1] neg_hi:[0,1]
	v_mov_b32_e32 v26, v5
	v_mov_b32_e32 v27, v30
	;; [unrolled: 1-line block ×3, first 2 shown]
	v_pk_add_f32 v[20:21], v[20:21], v[26:27] neg_lo:[0,1] neg_hi:[0,1]
	v_mov_b32_e32 v25, v4
	v_pk_add_f32 v[4:5], v[24:25], v[20:21] neg_lo:[0,1] neg_hi:[0,1]
	v_mov_b32_e32 v32, v28
	v_pk_add_f32 v[20:21], v[32:33], v[4:5]
	s_nop 0
	v_mov_b32_e32 v24, v21
	v_pk_add_f32 v[24:25], v[20:21], v[24:25]
	s_nop 0
	v_pk_add_f32 v[22:23], v[22:23], v[24:25]
	v_mov_b32_e32 v5, v24
	v_mov_b32_e32 v21, v22
	v_pk_add_f32 v[26:27], v[20:21], v[28:29] neg_lo:[0,1] neg_hi:[0,1]
	s_nop 0
	v_sub_f32_e32 v19, v20, v26
	v_pk_add_f32 v[4:5], v[4:5], v[26:27] neg_lo:[0,1] neg_hi:[0,1]
	v_sub_f32_e32 v19, v28, v19
	v_add_f32_e32 v4, v4, v19
	v_add_f32_e32 v4, v4, v5
	;; [unrolled: 1-line block ×3, first 2 shown]
	v_cndmask_b32_e32 v80, v4, v34, vcc
.LBB40_51:                              ;   in Loop: Header=BB40_11 Depth=1
	s_or_b64 exec, exec, s[38:39]
	v_and_b32_e32 v4, 0xffff0000, v6
	v_add_f32_e32 v81, s33, v4
	v_cmp_ge_f32_e32 vcc, s40, v81
	s_and_b64 s[36:37], s[72:73], vcc
	s_and_saveexec_b64 s[38:39], s[36:37]
	s_cbranch_execz .LBB40_53
; %bb.52:                               ;   in Loop: Header=BB40_11 Depth=1
	v_mul_f32_e32 v4, 0x3fb8aa3b, v81
	v_rndne_f32_e32 v5, v4
	v_sub_f32_e32 v6, v4, v5
	v_fma_f32 v4, v81, s41, -v4
	v_fmac_f32_e32 v4, 0x32a5705f, v81
	v_add_f32_e32 v4, v6, v4
	v_cvt_i32_f32_e32 v5, v5
	v_exp_f32_e32 v4, v4
	v_cmp_ngt_f32_e32 vcc, s42, v81
	v_ldexp_f32 v4, v4, v5
	s_nop 0
	v_cndmask_b32_e32 v4, 0, v4, vcc
	v_cmp_nlt_f32_e32 vcc, s43, v81
	s_nop 1
	v_cndmask_b32_e32 v32, v72, v4, vcc
	v_add_f32_e32 v6, 1.0, v32
	v_add_f32_e32 v4, -1.0, v6
	v_sub_f32_e32 v5, v4, v6
	v_add_f32_e32 v5, 1.0, v5
	v_sub_f32_e32 v4, v32, v4
	v_add_f32_e32 v19, v4, v5
	v_frexp_mant_f32_e32 v20, v6
	v_cvt_f64_f32_e32 v[4:5], v6
	v_frexp_exp_i32_f64_e32 v4, v[4:5]
	v_cmp_gt_f32_e32 vcc, s45, v20
	v_cmp_gt_f32_e64 s[36:37], s47, v32
	s_nop 0
	v_subbrev_co_u32_e32 v26, vcc, 0, v4, vcc
	v_sub_u32_e32 v4, 0, v26
	v_ldexp_f32 v5, v6, v4
	v_add_f32_e32 v6, -1.0, v5
	v_add_f32_e32 v20, 1.0, v5
	v_ldexp_f32 v4, v19, v4
	v_add_f32_e32 v19, 1.0, v6
	v_add_f32_e32 v21, -1.0, v20
	v_sub_f32_e32 v19, v5, v19
	v_sub_f32_e32 v5, v5, v21
	v_add_f32_e32 v19, v4, v19
	v_add_f32_e32 v4, v4, v5
	;; [unrolled: 1-line block ×3, first 2 shown]
	v_rcp_f32_e32 v29, v27
	v_sub_f32_e32 v5, v20, v27
	v_add_f32_e32 v28, v4, v5
	v_add_f32_e32 v5, v6, v19
	v_sub_f32_e32 v4, v6, v5
	v_add_f32_e32 v6, v19, v4
	v_mul_f32_e32 v19, v5, v29
	v_mul_f32_e32 v20, v27, v19
	v_fma_f32 v22, v19, v27, -v20
	v_fmac_f32_e32 v22, v19, v28
	v_add_f32_e32 v4, v20, v22
	v_sub_f32_e32 v21, v5, v4
	v_pk_add_f32 v[24:25], v[4:5], v[20:21] neg_lo:[0,1] neg_hi:[0,1]
	v_mov_b32_e32 v23, v4
	v_pk_add_f32 v[4:5], v[24:25], v[22:23] neg_lo:[0,1] neg_hi:[0,1]
	v_cmp_eq_f32_e32 vcc, s44, v32
	v_add_f32_e32 v5, v6, v5
	v_add_f32_e32 v4, v4, v5
	;; [unrolled: 1-line block ×3, first 2 shown]
	v_mul_f32_e32 v6, v29, v5
	v_mul_f32_e32 v20, v27, v6
	v_fma_f32 v22, v6, v27, -v20
	v_fmac_f32_e32 v22, v6, v28
	v_sub_f32_e32 v21, v21, v5
	v_add_f32_e32 v27, v4, v21
	v_add_f32_e32 v4, v20, v22
	v_sub_f32_e32 v21, v5, v4
	v_pk_add_f32 v[24:25], v[4:5], v[20:21] neg_lo:[0,1] neg_hi:[0,1]
	v_mov_b32_e32 v23, v4
	v_pk_add_f32 v[4:5], v[24:25], v[22:23] neg_lo:[0,1] neg_hi:[0,1]
	s_or_b64 vcc, s[36:37], vcc
	v_add_f32_e32 v5, v27, v5
	v_add_f32_e32 v4, v4, v5
	;; [unrolled: 1-line block ×4, first 2 shown]
	v_sub_f32_e32 v19, v5, v19
	v_mul_f32_e32 v4, v29, v4
	v_sub_f32_e32 v6, v6, v19
	v_add_f32_e32 v6, v6, v4
	v_add_f32_e32 v20, v5, v6
	v_mul_f32_e32 v22, v20, v20
	v_fmamk_f32 v4, v22, 0x3e9b6dac, v71
	v_fmaak_f32 v19, v22, v4, 0x3f2aaada
	v_cvt_f32_i32_e32 v4, v26
	v_sub_f32_e32 v5, v20, v5
	v_sub_f32_e32 v5, v6, v5
	v_ldexp_f32 v6, v5, 1
	v_mul_f32_e32 v5, v20, v22
	v_pk_mul_f32 v[22:23], v[4:5], v[18:19]
	v_ldexp_f32 v21, v20, 1
	v_fma_f32 v20, v4, s46, -v22
	v_fmac_f32_e32 v20, 0xb102e308, v4
	v_pk_add_f32 v[4:5], v[22:23], v[20:21]
	v_mov_b32_e32 v24, v22
	v_sub_f32_e32 v19, v5, v21
	v_sub_f32_e32 v19, v23, v19
	v_add_f32_e32 v25, v6, v19
	v_pk_add_f32 v[22:23], v[4:5], v[22:23] neg_lo:[0,1] neg_hi:[0,1]
	v_pk_add_f32 v[26:27], v[4:5], v[24:25]
	v_mov_b32_e32 v21, v4
	v_mov_b32_e32 v23, v27
	v_pk_add_f32 v[28:29], v[20:21], v[22:23] neg_lo:[0,1] neg_hi:[0,1]
	v_pk_add_f32 v[20:21], v[20:21], v[22:23]
	s_nop 0
	v_mov_b32_e32 v6, v21
	v_pk_add_f32 v[22:23], v[6:7], v[4:5] neg_lo:[0,1] neg_hi:[0,1]
	v_mov_b32_e32 v20, v27
	v_mov_b32_e32 v19, v22
	v_pk_add_f32 v[30:31], v[26:27], v[18:19] neg_lo:[0,1] neg_hi:[0,1]
	v_mov_b32_e32 v26, v5
	v_mov_b32_e32 v27, v22
	;; [unrolled: 1-line block ×3, first 2 shown]
	v_pk_add_f32 v[20:21], v[20:21], v[26:27] neg_lo:[0,1] neg_hi:[0,1]
	v_mov_b32_e32 v22, v25
	v_mov_b32_e32 v23, v4
	v_pk_add_f32 v[4:5], v[22:23], v[20:21] neg_lo:[0,1] neg_hi:[0,1]
	v_mov_b32_e32 v30, v28
	v_pk_add_f32 v[20:21], v[30:31], v[4:5]
	s_nop 0
	v_mov_b32_e32 v22, v21
	v_pk_add_f32 v[22:23], v[20:21], v[22:23]
	s_nop 0
	v_pk_add_f32 v[24:25], v[6:7], v[22:23]
	v_mov_b32_e32 v5, v22
	v_mov_b32_e32 v21, v24
	v_pk_add_f32 v[26:27], v[20:21], v[28:29] neg_lo:[0,1] neg_hi:[0,1]
	s_nop 0
	v_sub_f32_e32 v6, v20, v26
	v_pk_add_f32 v[4:5], v[4:5], v[26:27] neg_lo:[0,1] neg_hi:[0,1]
	v_sub_f32_e32 v6, v28, v6
	v_add_f32_e32 v4, v4, v6
	v_add_f32_e32 v4, v4, v5
	;; [unrolled: 1-line block ×3, first 2 shown]
	v_cndmask_b32_e32 v81, v4, v32, vcc
.LBB40_53:                              ;   in Loop: Header=BB40_11 Depth=1
	s_or_b64 exec, exec, s[38:39]
	v_lshlrev_b32_e32 v4, 16, v7
	v_add_f32_e32 v82, s33, v4
	v_cmp_ge_f32_e32 vcc, s40, v82
	s_and_b64 s[36:37], s[72:73], vcc
	s_and_saveexec_b64 s[38:39], s[36:37]
	s_cbranch_execz .LBB40_55
; %bb.54:                               ;   in Loop: Header=BB40_11 Depth=1
	v_mul_f32_e32 v4, 0x3fb8aa3b, v82
	v_rndne_f32_e32 v5, v4
	v_sub_f32_e32 v6, v4, v5
	v_fma_f32 v4, v82, s41, -v4
	v_fmac_f32_e32 v4, 0x32a5705f, v82
	v_add_f32_e32 v4, v6, v4
	v_cvt_i32_f32_e32 v5, v5
	v_exp_f32_e32 v4, v4
	v_cmp_ngt_f32_e32 vcc, s42, v82
	v_ldexp_f32 v4, v4, v5
	s_nop 0
	v_cndmask_b32_e32 v4, 0, v4, vcc
	v_cmp_nlt_f32_e32 vcc, s43, v82
	s_nop 1
	v_cndmask_b32_e32 v32, v72, v4, vcc
	v_add_f32_e32 v6, 1.0, v32
	v_add_f32_e32 v4, -1.0, v6
	v_sub_f32_e32 v5, v4, v6
	v_add_f32_e32 v5, 1.0, v5
	v_sub_f32_e32 v4, v32, v4
	v_add_f32_e32 v19, v4, v5
	v_frexp_mant_f32_e32 v20, v6
	v_cvt_f64_f32_e32 v[4:5], v6
	v_frexp_exp_i32_f64_e32 v4, v[4:5]
	v_cmp_gt_f32_e32 vcc, s45, v20
	v_cmp_gt_f32_e64 s[36:37], s47, v32
	s_nop 0
	v_subbrev_co_u32_e32 v26, vcc, 0, v4, vcc
	v_sub_u32_e32 v4, 0, v26
	v_ldexp_f32 v5, v6, v4
	v_add_f32_e32 v6, -1.0, v5
	v_add_f32_e32 v20, 1.0, v5
	v_ldexp_f32 v4, v19, v4
	v_add_f32_e32 v19, 1.0, v6
	v_add_f32_e32 v21, -1.0, v20
	v_sub_f32_e32 v19, v5, v19
	v_sub_f32_e32 v5, v5, v21
	v_add_f32_e32 v19, v4, v19
	v_add_f32_e32 v4, v4, v5
	;; [unrolled: 1-line block ×3, first 2 shown]
	v_rcp_f32_e32 v29, v27
	v_sub_f32_e32 v5, v20, v27
	v_add_f32_e32 v28, v4, v5
	v_add_f32_e32 v5, v6, v19
	v_sub_f32_e32 v4, v6, v5
	v_add_f32_e32 v6, v19, v4
	v_mul_f32_e32 v19, v5, v29
	v_mul_f32_e32 v20, v27, v19
	v_fma_f32 v22, v19, v27, -v20
	v_fmac_f32_e32 v22, v19, v28
	v_add_f32_e32 v4, v20, v22
	v_sub_f32_e32 v21, v5, v4
	v_pk_add_f32 v[24:25], v[4:5], v[20:21] neg_lo:[0,1] neg_hi:[0,1]
	v_mov_b32_e32 v23, v4
	v_pk_add_f32 v[4:5], v[24:25], v[22:23] neg_lo:[0,1] neg_hi:[0,1]
	v_cmp_eq_f32_e32 vcc, s44, v32
	v_add_f32_e32 v5, v6, v5
	v_add_f32_e32 v4, v4, v5
	;; [unrolled: 1-line block ×3, first 2 shown]
	v_mul_f32_e32 v6, v29, v5
	v_mul_f32_e32 v20, v27, v6
	v_fma_f32 v22, v6, v27, -v20
	v_fmac_f32_e32 v22, v6, v28
	v_sub_f32_e32 v21, v21, v5
	v_add_f32_e32 v27, v4, v21
	v_add_f32_e32 v4, v20, v22
	v_sub_f32_e32 v21, v5, v4
	v_pk_add_f32 v[24:25], v[4:5], v[20:21] neg_lo:[0,1] neg_hi:[0,1]
	v_mov_b32_e32 v23, v4
	v_pk_add_f32 v[4:5], v[24:25], v[22:23] neg_lo:[0,1] neg_hi:[0,1]
	s_or_b64 vcc, s[36:37], vcc
	v_add_f32_e32 v5, v27, v5
	v_add_f32_e32 v4, v4, v5
	;; [unrolled: 1-line block ×4, first 2 shown]
	v_sub_f32_e32 v19, v5, v19
	v_mul_f32_e32 v4, v29, v4
	v_sub_f32_e32 v6, v6, v19
	v_add_f32_e32 v6, v6, v4
	v_add_f32_e32 v20, v5, v6
	v_mul_f32_e32 v22, v20, v20
	v_fmamk_f32 v4, v22, 0x3e9b6dac, v71
	v_fmaak_f32 v19, v22, v4, 0x3f2aaada
	v_cvt_f32_i32_e32 v4, v26
	v_sub_f32_e32 v5, v20, v5
	v_sub_f32_e32 v5, v6, v5
	v_ldexp_f32 v6, v5, 1
	v_mul_f32_e32 v5, v20, v22
	v_pk_mul_f32 v[22:23], v[4:5], v[18:19]
	v_ldexp_f32 v21, v20, 1
	v_fma_f32 v20, v4, s46, -v22
	v_fmac_f32_e32 v20, 0xb102e308, v4
	v_pk_add_f32 v[4:5], v[22:23], v[20:21]
	v_mov_b32_e32 v24, v22
	v_sub_f32_e32 v19, v5, v21
	v_sub_f32_e32 v19, v23, v19
	v_add_f32_e32 v25, v6, v19
	v_pk_add_f32 v[22:23], v[4:5], v[22:23] neg_lo:[0,1] neg_hi:[0,1]
	v_pk_add_f32 v[26:27], v[4:5], v[24:25]
	v_mov_b32_e32 v21, v4
	v_mov_b32_e32 v23, v27
	v_pk_add_f32 v[28:29], v[20:21], v[22:23] neg_lo:[0,1] neg_hi:[0,1]
	v_pk_add_f32 v[20:21], v[20:21], v[22:23]
	s_nop 0
	v_mov_b32_e32 v6, v21
	v_pk_add_f32 v[22:23], v[6:7], v[4:5] neg_lo:[0,1] neg_hi:[0,1]
	v_mov_b32_e32 v20, v27
	v_mov_b32_e32 v19, v22
	v_pk_add_f32 v[30:31], v[26:27], v[18:19] neg_lo:[0,1] neg_hi:[0,1]
	v_mov_b32_e32 v26, v5
	v_mov_b32_e32 v27, v22
	;; [unrolled: 1-line block ×3, first 2 shown]
	v_pk_add_f32 v[20:21], v[20:21], v[26:27] neg_lo:[0,1] neg_hi:[0,1]
	v_mov_b32_e32 v22, v25
	v_mov_b32_e32 v23, v4
	v_pk_add_f32 v[4:5], v[22:23], v[20:21] neg_lo:[0,1] neg_hi:[0,1]
	v_mov_b32_e32 v30, v28
	v_pk_add_f32 v[20:21], v[30:31], v[4:5]
	s_nop 0
	v_mov_b32_e32 v22, v21
	v_pk_add_f32 v[22:23], v[20:21], v[22:23]
	s_nop 0
	v_pk_add_f32 v[24:25], v[6:7], v[22:23]
	v_mov_b32_e32 v5, v22
	v_mov_b32_e32 v21, v24
	v_pk_add_f32 v[26:27], v[20:21], v[28:29] neg_lo:[0,1] neg_hi:[0,1]
	s_nop 0
	v_sub_f32_e32 v6, v20, v26
	v_pk_add_f32 v[4:5], v[4:5], v[26:27] neg_lo:[0,1] neg_hi:[0,1]
	v_sub_f32_e32 v6, v28, v6
	v_add_f32_e32 v4, v4, v6
	v_add_f32_e32 v4, v4, v5
	;; [unrolled: 1-line block ×3, first 2 shown]
	v_cndmask_b32_e32 v82, v4, v32, vcc
.LBB40_55:                              ;   in Loop: Header=BB40_11 Depth=1
	s_or_b64 exec, exec, s[38:39]
	v_and_b32_e32 v4, 0xffff0000, v7
	v_add_f32_e32 v19, s33, v4
	v_cmp_ge_f32_e32 vcc, s40, v19
	s_and_b64 s[36:37], s[72:73], vcc
	s_and_saveexec_b64 s[38:39], s[36:37]
	s_cbranch_execz .LBB40_57
; %bb.56:                               ;   in Loop: Header=BB40_11 Depth=1
	v_mul_f32_e32 v4, 0x3fb8aa3b, v19
	v_rndne_f32_e32 v5, v4
	v_sub_f32_e32 v6, v4, v5
	v_fma_f32 v4, v19, s41, -v4
	v_fmac_f32_e32 v4, 0x32a5705f, v19
	v_add_f32_e32 v4, v6, v4
	v_cvt_i32_f32_e32 v5, v5
	v_exp_f32_e32 v4, v4
	v_cmp_ngt_f32_e32 vcc, s42, v19
	v_ldexp_f32 v4, v4, v5
	s_nop 0
	v_cndmask_b32_e32 v4, 0, v4, vcc
	v_cmp_nlt_f32_e32 vcc, s43, v19
	s_nop 1
	v_cndmask_b32_e32 v32, v72, v4, vcc
	v_add_f32_e32 v6, 1.0, v32
	v_add_f32_e32 v4, -1.0, v6
	v_sub_f32_e32 v5, v4, v6
	v_add_f32_e32 v5, 1.0, v5
	v_sub_f32_e32 v4, v32, v4
	v_add_f32_e32 v7, v4, v5
	v_frexp_mant_f32_e32 v19, v6
	v_cvt_f64_f32_e32 v[4:5], v6
	v_frexp_exp_i32_f64_e32 v4, v[4:5]
	v_cmp_gt_f32_e32 vcc, s45, v19
	v_cmp_gt_f32_e64 s[36:37], s47, v32
	s_nop 0
	v_subbrev_co_u32_e32 v24, vcc, 0, v4, vcc
	v_sub_u32_e32 v4, 0, v24
	v_ldexp_f32 v5, v6, v4
	v_add_f32_e32 v6, -1.0, v5
	v_add_f32_e32 v19, 1.0, v5
	v_ldexp_f32 v4, v7, v4
	v_add_f32_e32 v7, 1.0, v6
	v_add_f32_e32 v20, -1.0, v19
	v_sub_f32_e32 v7, v5, v7
	v_sub_f32_e32 v5, v5, v20
	v_add_f32_e32 v7, v4, v7
	v_add_f32_e32 v4, v4, v5
	;; [unrolled: 1-line block ×3, first 2 shown]
	v_rcp_f32_e32 v26, v25
	v_sub_f32_e32 v5, v19, v25
	v_add_f32_e32 v19, v4, v5
	v_add_f32_e32 v5, v6, v7
	v_mul_f32_e32 v28, v5, v26
	v_sub_f32_e32 v4, v6, v5
	v_mul_f32_e32 v6, v25, v28
	v_fma_f32 v20, v28, v25, -v6
	v_fmac_f32_e32 v20, v28, v19
	v_add_f32_e32 v27, v7, v4
	v_add_f32_e32 v4, v6, v20
	v_sub_f32_e32 v7, v5, v4
	v_pk_add_f32 v[22:23], v[4:5], v[6:7] neg_lo:[0,1] neg_hi:[0,1]
	v_mov_b32_e32 v21, v4
	v_pk_add_f32 v[4:5], v[22:23], v[20:21] neg_lo:[0,1] neg_hi:[0,1]
	v_cmp_eq_f32_e32 vcc, s44, v32
	v_add_f32_e32 v5, v27, v5
	v_add_f32_e32 v4, v4, v5
	;; [unrolled: 1-line block ×3, first 2 shown]
	v_mul_f32_e32 v27, v26, v5
	v_mul_f32_e32 v6, v25, v27
	v_fma_f32 v20, v27, v25, -v6
	v_fmac_f32_e32 v20, v27, v19
	v_sub_f32_e32 v7, v7, v5
	v_add_f32_e32 v19, v4, v7
	v_add_f32_e32 v4, v6, v20
	v_sub_f32_e32 v7, v5, v4
	v_pk_add_f32 v[22:23], v[4:5], v[6:7] neg_lo:[0,1] neg_hi:[0,1]
	v_mov_b32_e32 v21, v4
	v_pk_add_f32 v[4:5], v[22:23], v[20:21] neg_lo:[0,1] neg_hi:[0,1]
	s_or_b64 vcc, s[36:37], vcc
	v_add_f32_e32 v5, v19, v5
	v_add_f32_e32 v4, v4, v5
	;; [unrolled: 1-line block ×4, first 2 shown]
	v_sub_f32_e32 v6, v5, v28
	v_mul_f32_e32 v4, v26, v4
	v_sub_f32_e32 v6, v27, v6
	v_add_f32_e32 v6, v6, v4
	v_add_f32_e32 v20, v5, v6
	v_mul_f32_e32 v21, v20, v20
	v_fmamk_f32 v4, v21, 0x3e9b6dac, v71
	v_fmaak_f32 v19, v21, v4, 0x3f2aaada
	v_cvt_f32_i32_e32 v4, v24
	v_sub_f32_e32 v5, v20, v5
	v_sub_f32_e32 v5, v6, v5
	v_ldexp_f32 v22, v5, 1
	v_mul_f32_e32 v5, v20, v21
	v_ldexp_f32 v7, v20, 1
	v_pk_mul_f32 v[20:21], v[4:5], v[18:19]
	s_nop 0
	v_fma_f32 v6, v4, s46, -v20
	v_fmac_f32_e32 v6, 0xb102e308, v4
	v_pk_add_f32 v[4:5], v[20:21], v[6:7]
	s_nop 0
	v_sub_f32_e32 v7, v5, v7
	v_sub_f32_e32 v7, v21, v7
	v_add_f32_e32 v23, v22, v7
	v_mov_b32_e32 v22, v20
	v_pk_add_f32 v[20:21], v[4:5], v[20:21] neg_lo:[0,1] neg_hi:[0,1]
	v_pk_add_f32 v[24:25], v[4:5], v[22:23]
	v_mov_b32_e32 v7, v4
	v_mov_b32_e32 v21, v25
	v_pk_add_f32 v[26:27], v[6:7], v[20:21] neg_lo:[0,1] neg_hi:[0,1]
	v_pk_add_f32 v[6:7], v[6:7], v[20:21]
	v_mov_b32_e32 v22, v23
	v_mov_b32_e32 v20, v7
	v_pk_add_f32 v[28:29], v[20:21], v[4:5] neg_lo:[0,1] neg_hi:[0,1]
	v_mov_b32_e32 v6, v25
	v_mov_b32_e32 v19, v28
	v_pk_add_f32 v[30:31], v[24:25], v[18:19] neg_lo:[0,1] neg_hi:[0,1]
	v_mov_b32_e32 v24, v5
	v_mov_b32_e32 v25, v28
	;; [unrolled: 1-line block ×3, first 2 shown]
	v_pk_add_f32 v[6:7], v[6:7], v[24:25] neg_lo:[0,1] neg_hi:[0,1]
	v_mov_b32_e32 v23, v4
	v_pk_add_f32 v[4:5], v[22:23], v[6:7] neg_lo:[0,1] neg_hi:[0,1]
	v_mov_b32_e32 v30, v26
	v_pk_add_f32 v[6:7], v[30:31], v[4:5]
	s_nop 0
	v_mov_b32_e32 v22, v7
	v_pk_add_f32 v[22:23], v[6:7], v[22:23]
	s_nop 0
	v_pk_add_f32 v[20:21], v[20:21], v[22:23]
	v_mov_b32_e32 v5, v22
	v_mov_b32_e32 v7, v20
	v_pk_add_f32 v[24:25], v[6:7], v[26:27] neg_lo:[0,1] neg_hi:[0,1]
	s_nop 0
	v_sub_f32_e32 v6, v6, v24
	v_pk_add_f32 v[4:5], v[4:5], v[24:25] neg_lo:[0,1] neg_hi:[0,1]
	v_sub_f32_e32 v6, v26, v6
	v_add_f32_e32 v4, v4, v6
	v_add_f32_e32 v4, v4, v5
	;; [unrolled: 1-line block ×3, first 2 shown]
	v_cndmask_b32_e32 v19, v4, v32, vcc
.LBB40_57:                              ;   in Loop: Header=BB40_11 Depth=1
	s_or_b64 exec, exec, s[38:39]
	v_readlane_b32 s36, v95, 1
	v_lshlrev_b32_e32 v4, 16, v3
	v_and_b32_e32 v7, 0xffff0000, v3
	v_and_b32_e32 v3, 0xffff0000, v2
	v_lshlrev_b32_e32 v2, 16, v2
	v_and_b32_e32 v5, 0xffff0000, v1
	v_lshlrev_b32_e32 v1, 16, v1
	;; [unrolled: 2-line block ×3, first 2 shown]
	v_readlane_b32 s37, v95, 2
	v_mul_f32_e32 v20, s92, v4
	v_mul_f32_e32 v23, s92, v3
	;; [unrolled: 1-line block ×8, first 2 shown]
	s_and_b64 vcc, exec, s[36:37]
	s_waitcnt lgkmcnt(0)
	; wave barrier
	s_cbranch_vccz .LBB40_118
; %bb.58:                               ;   in Loop: Header=BB40_11 Depth=1
	s_cmp_lg_u32 s99, 0
	v_readlane_b32 s36, v95, 5
	v_mul_f32_e32 v90, v76, v0
	s_cselect_b64 s[78:79], -1, 0
	s_cmp_eq_u32 s99, s36
	v_cmp_gt_u32_e32 vcc, s50, v11
	v_or_b32_e32 v0, 1, v11
	s_cselect_b64 s[80:81], -1, 0
	s_or_b64 s[36:37], s[76:77], vcc
	v_cmp_gt_u32_e32 vcc, s50, v0
	v_or_b32_e32 v0, 2, v11
	s_or_b64 s[38:39], s[76:77], vcc
	v_cmp_gt_u32_e32 vcc, s50, v0
	v_or_b32_e32 v0, 3, v11
	;; [unrolled: 3-line block ×6, first 2 shown]
	s_mov_b32 s70, 0
	s_or_b64 s[48:49], s[76:77], vcc
	v_cmp_gt_u32_e32 vcc, s50, v0
	v_mul_f32_e32 v83, v19, v7
	v_lshl_add_u64 v[28:29], s[54:55], 0, v[8:9]
	v_lshl_add_u64 v[30:31], s[58:59], 0, v[8:9]
	v_mul_f32_e32 v84, v82, v4
	v_mul_f32_e32 v85, v81, v3
	;; [unrolled: 1-line block ×6, first 2 shown]
	s_or_b64 s[50:51], s[76:77], vcc
	s_mov_b32 s82, s70
	s_mov_b32 s84, s70
	;; [unrolled: 1-line block ×3, first 2 shown]
	v_readlane_b32 s67, v95, 0
	v_readlane_b32 s75, v95, 6
	s_branch .LBB40_60
.LBB40_59:                              ;   in Loop: Header=BB40_60 Depth=2
	s_or_b64 exec, exec, s[88:89]
	v_mul_f32_e32 v32, v91, v68
	v_fma_f32 v33, v91, v69, v4
	v_cndmask_b32_e64 v4, v33, v4, s[16:17]
	v_cndmask_b32_e64 v32, v32, v91, s[16:17]
	s_waitcnt lgkmcnt(0)
	v_fmac_f32_e32 v4, v38, v32
	v_fmac_f32_e32 v5, v4, v92
	;; [unrolled: 1-line block ×8, first 2 shown]
	v_and_b32_e32 v33, 0xffff0000, v0
	v_and_b32_e32 v39, 0xffff0000, v1
	v_lshlrev_b32_e32 v32, 16, v0
	v_lshlrev_b32_e32 v38, 16, v1
	v_and_b32_e32 v1, 0xffff0000, v2
	v_and_b32_e32 v65, 0xffff0000, v3
	v_lshlrev_b32_e32 v0, 16, v2
	v_lshlrev_b32_e32 v64, 16, v3
	s_add_i32 s75, s75, 8
	s_add_i32 s67, s67, -1
	s_add_i32 s86, s86, s94
	s_add_i32 s84, s84, s60
	;; [unrolled: 1-line block ×4, first 2 shown]
	v_pk_fma_f32 v[24:25], v[34:35], v[38:39], v[24:25]
	v_pk_fma_f32 v[26:27], v[4:5], v[32:33], v[26:27]
	;; [unrolled: 1-line block ×3, first 2 shown]
	s_cmp_eq_u32 s67, 0
	v_pk_fma_f32 v[22:23], v[6:7], v[0:1], v[22:23]
	s_cbranch_scc1 .LBB40_117
.LBB40_60:                              ;   Parent Loop BB40_11 Depth=1
                                        ; =>  This Inner Loop Header: Depth=2
	s_lshl_b64 s[88:89], s[70:71], 2
	s_add_u32 s88, s52, s88
	s_addc_u32 s89, s96, s89
	global_load_dword v34, v9, s[88:89]
	s_mov_b32 s83, s71
	v_lshl_add_u64 v[0:1], s[82:83], 1, v[28:29]
	v_mov_b32_e32 v2, 0
	v_mov_b32_e32 v3, 0
	s_and_saveexec_b64 s[88:89], s[18:19]
	s_cbranch_execz .LBB40_62
; %bb.61:                               ;   in Loop: Header=BB40_60 Depth=2
	global_load_ushort v3, v[0:1], off
.LBB40_62:                              ;   in Loop: Header=BB40_60 Depth=2
	s_or_b64 exec, exec, s[88:89]
	s_and_saveexec_b64 s[88:89], s[20:21]
	s_cbranch_execz .LBB40_64
; %bb.63:                               ;   in Loop: Header=BB40_60 Depth=2
	global_load_ushort v2, v[0:1], off offset:128
.LBB40_64:                              ;   in Loop: Header=BB40_60 Depth=2
	s_or_b64 exec, exec, s[88:89]
	v_mov_b32_e32 v4, 0
	v_mov_b32_e32 v5, 0
	s_and_saveexec_b64 s[88:89], s[22:23]
	s_cbranch_execz .LBB40_66
; %bb.65:                               ;   in Loop: Header=BB40_60 Depth=2
	global_load_ushort v5, v[0:1], off offset:256
.LBB40_66:                              ;   in Loop: Header=BB40_60 Depth=2
	s_or_b64 exec, exec, s[88:89]
	s_and_saveexec_b64 s[88:89], s[24:25]
	s_cbranch_execz .LBB40_68
; %bb.67:                               ;   in Loop: Header=BB40_60 Depth=2
	global_load_ushort v4, v[0:1], off offset:384
.LBB40_68:                              ;   in Loop: Header=BB40_60 Depth=2
	s_or_b64 exec, exec, s[88:89]
	v_mov_b32_e32 v6, 0
	v_mov_b32_e32 v7, 0
	s_and_saveexec_b64 s[88:89], s[26:27]
	s_cbranch_execz .LBB40_70
; %bb.69:                               ;   in Loop: Header=BB40_60 Depth=2
	global_load_ushort v7, v[0:1], off offset:512
.LBB40_70:                              ;   in Loop: Header=BB40_60 Depth=2
	;; [unrolled: 14-line block ×3, first 2 shown]
	s_or_b64 exec, exec, s[88:89]
	s_and_saveexec_b64 s[88:89], s[34:35]
	s_cbranch_execz .LBB40_76
; %bb.75:                               ;   in Loop: Header=BB40_60 Depth=2
	global_load_ushort v32, v[0:1], off offset:896
.LBB40_76:                              ;   in Loop: Header=BB40_60 Depth=2
	s_or_b64 exec, exec, s[88:89]
	s_waitcnt vmcnt(0)
	ds_write_b16 v47, v3
	ds_write_b16 v48, v2 offset:128
	ds_write_b16 v49, v5 offset:256
	;; [unrolled: 1-line block ×7, first 2 shown]
	; wave barrier
	ds_read_b128 v[4:7], v55
	s_mov_b32 s85, s71
	v_lshl_add_u64 v[0:1], s[84:85], 1, v[30:31]
	v_mov_b32_e32 v2, 0
	v_mov_b32_e32 v3, 0
	s_and_saveexec_b64 s[88:89], s[18:19]
	s_cbranch_execz .LBB40_78
; %bb.77:                               ;   in Loop: Header=BB40_60 Depth=2
	global_load_ushort v3, v[0:1], off
.LBB40_78:                              ;   in Loop: Header=BB40_60 Depth=2
	s_or_b64 exec, exec, s[88:89]
	s_and_saveexec_b64 s[88:89], s[20:21]
	s_cbranch_execz .LBB40_80
; %bb.79:                               ;   in Loop: Header=BB40_60 Depth=2
	global_load_ushort v2, v[0:1], off offset:128
.LBB40_80:                              ;   in Loop: Header=BB40_60 Depth=2
	s_or_b64 exec, exec, s[88:89]
	v_mov_b32_e32 v32, 0
	v_mov_b32_e32 v33, 0
	s_and_saveexec_b64 s[88:89], s[22:23]
	s_cbranch_execz .LBB40_82
; %bb.81:                               ;   in Loop: Header=BB40_60 Depth=2
	global_load_ushort v33, v[0:1], off offset:256
.LBB40_82:                              ;   in Loop: Header=BB40_60 Depth=2
	s_or_b64 exec, exec, s[88:89]
	s_and_saveexec_b64 s[88:89], s[24:25]
	s_cbranch_execz .LBB40_84
; %bb.83:                               ;   in Loop: Header=BB40_60 Depth=2
	global_load_ushort v32, v[0:1], off offset:384
.LBB40_84:                              ;   in Loop: Header=BB40_60 Depth=2
	s_or_b64 exec, exec, s[88:89]
	v_mov_b32_e32 v35, 0
	v_mov_b32_e32 v36, 0
	s_and_saveexec_b64 s[88:89], s[26:27]
	s_cbranch_execz .LBB40_86
; %bb.85:                               ;   in Loop: Header=BB40_60 Depth=2
	global_load_ushort v36, v[0:1], off offset:512
.LBB40_86:                              ;   in Loop: Header=BB40_60 Depth=2
	;; [unrolled: 14-line block ×3, first 2 shown]
	s_or_b64 exec, exec, s[88:89]
	s_and_saveexec_b64 s[88:89], s[34:35]
	s_cbranch_execz .LBB40_92
; %bb.91:                               ;   in Loop: Header=BB40_60 Depth=2
	global_load_ushort v37, v[0:1], off offset:896
.LBB40_92:                              ;   in Loop: Header=BB40_60 Depth=2
	s_or_b64 exec, exec, s[88:89]
	s_waitcnt vmcnt(0)
	ds_write_b16 v47, v3 offset:1056
	ds_write_b16 v56, v2 offset:128
	;; [unrolled: 1-line block ×8, first 2 shown]
	; wave barrier
	ds_read_b128 v[0:3], v55 offset:1056
	s_andn2_b64 vcc, exec, s[78:79]
	s_cbranch_vccnz .LBB40_94
; %bb.93:                               ;   in Loop: Header=BB40_60 Depth=2
	v_mov_b32_e32 v32, s75
	ds_read_b64 v[32:33], v32
	s_cbranch_execz .LBB40_95
	s_branch .LBB40_98
.LBB40_94:                              ;   in Loop: Header=BB40_60 Depth=2
                                        ; implicit-def: $vgpr33
.LBB40_95:                              ;   in Loop: Header=BB40_60 Depth=2
	s_andn2_b64 vcc, exec, s[68:69]
	s_waitcnt lgkmcnt(0)
	v_mov_b32_e32 v33, 0
	s_cbranch_vccnz .LBB40_97
; %bb.96:                               ;   in Loop: Header=BB40_60 Depth=2
	s_mov_b32 s87, s71
	s_lshl_b64 s[88:89], s[86:87], 2
	s_add_u32 s88, s57, s88
	s_addc_u32 s89, s61, s89
	global_load_dword v33, v9, s[88:89]
.LBB40_97:                              ;   in Loop: Header=BB40_60 Depth=2
	v_mov_b32_e32 v32, 1.0
.LBB40_98:                              ;   in Loop: Header=BB40_60 Depth=2
	v_mul_f32_e32 v66, 0x3fb8aa3b, v34
	s_waitcnt lgkmcnt(9)
	v_lshlrev_b32_e32 v35, 16, v4
	v_and_b32_e32 v36, 0xffff0000, v4
	v_mul_f32_e32 v4, v66, v76
	v_cmp_gt_f32_e32 vcc, s98, v4
	v_lshlrev_b32_e32 v39, 16, v6
	v_and_b32_e32 v65, 0xffff0000, v6
	v_cndmask_b32_e32 v4, 0, v73, vcc
	v_mul_f32_e32 v6, v66, v77
	v_lshlrev_b32_e32 v37, 16, v5
	v_and_b32_e32 v38, 0xffff0000, v5
	v_fmac_f32_e32 v4, v66, v76
	v_cndmask_b32_e32 v5, 1.0, v74, vcc
	v_cmp_gt_f32_e32 vcc, s98, v6
	v_exp_f32_e32 v4, v4
	v_lshlrev_b32_e32 v67, 16, v7
	v_cndmask_b32_e32 v6, 0, v73, vcc
	v_fmac_f32_e32 v6, v66, v77
	v_exp_f32_e32 v6, v6
	v_and_b32_e32 v68, 0xffff0000, v7
	v_mul_f32_e32 v5, v4, v5
	v_mul_f32_e32 v7, v66, v78
	v_cndmask_b32_e64 v91, 1.0, v5, s[36:37]
	v_cndmask_b32_e32 v5, 1.0, v74, vcc
	v_cmp_gt_f32_e32 vcc, s98, v7
	v_mul_f32_e32 v6, v6, v5
	v_mul_f32_e32 v34, v66, v79
	v_cndmask_b32_e32 v7, 0, v73, vcc
	v_fmac_f32_e32 v7, v66, v78
	v_cndmask_b32_e64 v92, 1.0, v6, s[38:39]
	v_cndmask_b32_e32 v6, 1.0, v74, vcc
	v_cmp_gt_f32_e32 vcc, s98, v34
	v_exp_f32_e32 v7, v7
	v_mul_f32_e32 v4, v90, v35
	v_cndmask_b32_e32 v34, 0, v73, vcc
	v_fmac_f32_e32 v34, v66, v79
	v_exp_f32_e32 v35, v34
	v_mul_f32_e32 v6, v7, v6
	v_cndmask_b32_e64 v93, 1.0, v6, s[40:41]
	v_cndmask_b32_e32 v6, 1.0, v74, vcc
	v_mul_f32_e32 v6, v35, v6
	v_mul_f32_e32 v35, v66, v80
	v_cmp_gt_f32_e32 vcc, s98, v35
	v_mul_f32_e32 v5, v89, v36
	v_mul_f32_e32 v7, v88, v37
	v_cndmask_b32_e32 v35, 0, v73, vcc
	v_fmac_f32_e32 v35, v66, v80
	v_exp_f32_e32 v36, v35
	v_cndmask_b32_e64 v34, 0, v7, s[40:41]
	v_mul_f32_e32 v7, v87, v38
	v_cndmask_b32_e64 v94, 1.0, v6, s[42:43]
	v_cndmask_b32_e32 v6, 1.0, v74, vcc
	v_cndmask_b32_e64 v35, 0, v7, s[42:43]
	v_mul_f32_e32 v7, v36, v6
	v_mul_f32_e32 v36, v66, v81
	v_cmp_gt_f32_e32 vcc, s98, v36
	v_mul_f32_e32 v37, v66, v82
	v_cndmask_b32_e64 v64, 1.0, v7, s[44:45]
	v_cndmask_b32_e32 v36, 0, v73, vcc
	v_fmac_f32_e32 v36, v66, v81
	v_exp_f32_e32 v36, v36
	v_cndmask_b32_e32 v7, 1.0, v74, vcc
	v_cmp_gt_f32_e32 vcc, s98, v37
	v_mul_f32_e32 v38, v66, v19
	v_mul_f32_e32 v36, v36, v7
	v_cndmask_b32_e32 v37, 0, v73, vcc
	v_mul_f32_e32 v7, v85, v65
	v_fmac_f32_e32 v37, v66, v82
	v_cndmask_b32_e64 v65, 1.0, v36, s[46:47]
	v_cndmask_b32_e32 v36, 1.0, v74, vcc
	v_cmp_gt_f32_e32 vcc, s98, v38
	v_exp_f32_e32 v37, v37
	v_cndmask_b32_e64 v4, 0, v4, s[36:37]
	v_cndmask_b32_e32 v38, 0, v73, vcc
	v_fmac_f32_e32 v38, v66, v19
	v_exp_f32_e32 v38, v38
	v_mul_f32_e32 v37, v37, v36
	v_cndmask_b32_e64 v66, 1.0, v37, s[48:49]
	v_cndmask_b32_e32 v37, 1.0, v74, vcc
	v_cndmask_b32_e64 v5, 0, v5, s[38:39]
	v_mul_f32_e32 v38, v38, v37
	v_mul_f32_e32 v6, v86, v39
	;; [unrolled: 1-line block ×3, first 2 shown]
	v_cndmask_b32_e64 v67, 1.0, v38, s[50:51]
	v_mul_f32_e32 v38, v92, v91
	v_fma_f32 v39, v92, v4, v5
	v_mul_f32_e32 v38, v38, v93
	v_fma_f32 v39, v39, v93, v34
	v_cndmask_b32_e64 v6, 0, v6, s[44:45]
	v_mul_f32_e32 v38, v38, v94
	v_fma_f32 v39, v39, v94, v35
	v_cndmask_b32_e64 v7, 0, v7, s[46:47]
	;; [unrolled: 3-line block ×3, first 2 shown]
	v_mul_f32_e32 v37, v83, v68
	v_mul_f32_e32 v38, v38, v65
	v_fma_f32 v39, v39, v65, v7
	v_cndmask_b32_e64 v37, 0, v37, s[50:51]
	v_mul_f32_e32 v38, v38, v66
	v_fma_f32 v39, v39, v66, v36
	v_mul_f32_e32 v38, v38, v67
	v_fma_f32 v70, v39, v67, v37
	s_nop 0
	v_mov_b32_dpp v69, v38 row_shr:1 row_mask:0xf bank_mask:0xf
	v_mov_b32_dpp v68, v70 row_shr:1 row_mask:0xf bank_mask:0xf
	s_and_saveexec_b64 s[88:89], s[0:1]
; %bb.99:                               ;   in Loop: Header=BB40_60 Depth=2
	v_mul_f32_e32 v69, v38, v69
	v_fmac_f32_e32 v70, v38, v68
	v_mov_b32_e32 v38, v69
; %bb.100:                              ;   in Loop: Header=BB40_60 Depth=2
	s_or_b64 exec, exec, s[88:89]
	s_nop 0
	v_mov_b32_dpp v68, v38 row_shr:2 row_mask:0xf bank_mask:0xf
	v_mov_b32_dpp v69, v70 row_shr:2 row_mask:0xf bank_mask:0xf
	s_and_saveexec_b64 s[88:89], s[2:3]
; %bb.101:                              ;   in Loop: Header=BB40_60 Depth=2
	v_fmac_f32_e32 v70, v38, v69
	v_mul_f32_e32 v38, v38, v68
; %bb.102:                              ;   in Loop: Header=BB40_60 Depth=2
	s_or_b64 exec, exec, s[88:89]
	s_nop 0
	v_mov_b32_dpp v68, v38 row_shr:4 row_mask:0xf bank_mask:0xf
	v_mov_b32_dpp v69, v70 row_shr:4 row_mask:0xf bank_mask:0xf
	s_and_saveexec_b64 s[88:89], s[4:5]
; %bb.103:                              ;   in Loop: Header=BB40_60 Depth=2
	v_fmac_f32_e32 v70, v38, v69
	v_mul_f32_e32 v38, v38, v68
	;; [unrolled: 9-line block ×3, first 2 shown]
; %bb.106:                              ;   in Loop: Header=BB40_60 Depth=2
	s_or_b64 exec, exec, s[88:89]
	s_nop 0
	v_mov_b32_dpp v68, v38 row_bcast:15 row_mask:0xf bank_mask:0xf
	v_mov_b32_dpp v69, v70 row_bcast:15 row_mask:0xf bank_mask:0xf
	s_and_saveexec_b64 s[88:89], s[8:9]
; %bb.107:                              ;   in Loop: Header=BB40_60 Depth=2
	v_fmac_f32_e32 v70, v38, v69
	v_mul_f32_e32 v38, v38, v68
; %bb.108:                              ;   in Loop: Header=BB40_60 Depth=2
	s_or_b64 exec, exec, s[88:89]
	s_nop 0
	v_mov_b32_dpp v68, v38 row_bcast:31 row_mask:0xf bank_mask:0xf
	v_mov_b32_dpp v69, v70 row_bcast:31 row_mask:0xf bank_mask:0xf
	v_mov_b32_e32 v39, v70
	v_mul_f32_e32 v68, v38, v68
	v_fmac_f32_e32 v39, v38, v69
	v_cndmask_b32_e64 v38, v38, v68, s[10:11]
	v_cndmask_b32_e64 v39, v70, v39, s[10:11]
	s_and_saveexec_b64 s[88:89], s[12:13]
	s_cbranch_execz .LBB40_110
; %bb.109:                              ;   in Loop: Header=BB40_60 Depth=2
	ds_write_b64 v9, v[38:39] offset:2112
.LBB40_110:                             ;   in Loop: Header=BB40_60 Depth=2
	s_or_b64 exec, exec, s[88:89]
	ds_bpermute_b32 v68, v63, v38
	ds_bpermute_b32 v69, v63, v39
	s_waitcnt vmcnt(0) lgkmcnt(2)
	v_mov_b32_e32 v39, v33
	s_waitcnt lgkmcnt(0)
	; wave barrier
	s_waitcnt lgkmcnt(0)
	s_and_saveexec_b64 s[88:89], s[14:15]
	s_cbranch_execz .LBB40_114
; %bb.111:                              ;   in Loop: Header=BB40_60 Depth=2
	ds_read_b64 v[38:39], v9 offset:2112
	s_and_saveexec_b64 s[90:91], s[16:17]
	s_cbranch_execz .LBB40_113
; %bb.112:                              ;   in Loop: Header=BB40_60 Depth=2
	ds_write_b64 v9, v[32:33] offset:2112
.LBB40_113:                             ;   in Loop: Header=BB40_60 Depth=2
	s_or_b64 exec, exec, s[90:91]
	s_waitcnt lgkmcnt(0)
	v_fmac_f32_e32 v39, v33, v38
	v_mul_f32_e32 v32, v32, v38
	v_mov_b32_e32 v33, v39
.LBB40_114:                             ;   in Loop: Header=BB40_60 Depth=2
	s_or_b64 exec, exec, s[88:89]
	s_waitcnt lgkmcnt(0)
	; wave barrier
	ds_read_b32 v38, v9 offset:2116
	s_and_saveexec_b64 s[88:89], s[16:17]
	s_cbranch_execz .LBB40_59
; %bb.115:                              ;   in Loop: Header=BB40_60 Depth=2
	v_mov_b32_e32 v70, s75
	s_andn2_b64 vcc, exec, s[80:81]
	ds_write_b64 v70, v[32:33]
	s_cbranch_vccnz .LBB40_59
; %bb.116:                              ;   in Loop: Header=BB40_60 Depth=2
	s_mov_b32 s87, s71
	s_lshl_b64 s[90:91], s[86:87], 2
	s_add_u32 s90, s57, s90
	s_addc_u32 s91, s61, s91
	global_store_dword v9, v39, s[90:91]
	s_branch .LBB40_59
.LBB40_117:                             ;   in Loop: Header=BB40_11 Depth=1
	s_mov_b32 s40, 0x41a00000
	s_mov_b32 s41, 0x3fb8aa3b
	;; [unrolled: 1-line block ×8, first 2 shown]
.LBB40_118:                             ;   in Loop: Header=BB40_11 Depth=1
	v_bfe_u32 v0, v26, 16, 1
	v_bfe_u32 v1, v27, 16, 1
	v_add3_u32 v0, v26, v0, s74
	v_bfe_u32 v2, v24, 16, 1
	v_add3_u32 v1, v27, v1, s74
	v_lshrrev_b32_e32 v0, 16, v0
	v_cmp_o_f32_e32 vcc, v26, v26
	v_bfe_u32 v3, v25, 16, 1
	v_add3_u32 v2, v24, v2, s74
	v_lshrrev_b32_e32 v1, 16, v1
	v_cndmask_b32_e32 v0, v75, v0, vcc
	v_cmp_o_f32_e32 vcc, v27, v27
	v_add3_u32 v3, v25, v3, s74
	v_lshrrev_b32_e32 v2, 16, v2
	v_cndmask_b32_e32 v4, v75, v1, vcc
	v_cmp_o_f32_e32 vcc, v24, v24
	v_lshrrev_b32_e32 v3, 16, v3
	v_bfe_u32 v6, v20, 16, 1
	v_cndmask_b32_e32 v1, v75, v2, vcc
	v_cmp_o_f32_e32 vcc, v25, v25
	v_bfe_u32 v2, v22, 16, 1
	v_add3_u32 v2, v22, v2, s74
	v_cndmask_b32_e32 v5, v75, v3, vcc
	v_bfe_u32 v3, v23, 16, 1
	v_add3_u32 v3, v23, v3, s74
	v_lshrrev_b32_e32 v2, 16, v2
	v_cmp_o_f32_e32 vcc, v22, v22
	v_bfe_u32 v7, v21, 16, 1
	v_add3_u32 v6, v20, v6, s74
	v_lshrrev_b32_e32 v3, 16, v3
	v_cndmask_b32_e32 v2, v75, v2, vcc
	v_cmp_o_f32_e32 vcc, v23, v23
	v_add3_u32 v7, v21, v7, s74
	v_lshrrev_b32_e32 v6, 16, v6
	v_cndmask_b32_e32 v19, v75, v3, vcc
	v_cmp_o_f32_e32 vcc, v20, v20
	v_lshrrev_b32_e32 v7, 16, v7
	s_mov_b32 s36, 0x5040100
	v_cndmask_b32_e32 v3, v75, v6, vcc
	v_cmp_o_f32_e32 vcc, v21, v21
	v_perm_b32 v2, v19, v2, s36
	v_perm_b32 v1, v5, v1, s36
	v_cndmask_b32_e32 v6, v75, v7, vcc
	v_perm_b32 v3, v6, v3, s36
	v_perm_b32 v0, v4, v0, s36
	s_waitcnt lgkmcnt(0)
	; wave barrier
	ds_write_b128 v55, v[0:3]
	; wave barrier
	ds_read_u16 v19, v48 offset:128
	ds_read_u16 v7, v49 offset:256
	;; [unrolled: 1-line block ×7, first 2 shown]
	s_mov_b32 s67, s71
	v_lshl_add_u64 v[0:1], s[66:67], 1, v[12:13]
	s_and_saveexec_b64 s[36:37], s[18:19]
	s_cbranch_execnz .LBB40_153
; %bb.119:                              ;   in Loop: Header=BB40_11 Depth=1
	s_or_b64 exec, exec, s[36:37]
	s_and_saveexec_b64 s[36:37], s[20:21]
	s_cbranch_execnz .LBB40_154
.LBB40_120:                             ;   in Loop: Header=BB40_11 Depth=1
	s_or_b64 exec, exec, s[36:37]
	s_and_saveexec_b64 s[36:37], s[22:23]
	s_cbranch_execnz .LBB40_155
.LBB40_121:                             ;   in Loop: Header=BB40_11 Depth=1
	s_or_b64 exec, exec, s[36:37]
	s_and_saveexec_b64 s[36:37], s[24:25]
	s_cbranch_execnz .LBB40_156
.LBB40_122:                             ;   in Loop: Header=BB40_11 Depth=1
	s_or_b64 exec, exec, s[36:37]
	s_and_saveexec_b64 s[36:37], s[26:27]
	s_cbranch_execnz .LBB40_157
.LBB40_123:                             ;   in Loop: Header=BB40_11 Depth=1
	s_or_b64 exec, exec, s[36:37]
	s_and_saveexec_b64 s[36:37], s[28:29]
	s_cbranch_execnz .LBB40_158
.LBB40_124:                             ;   in Loop: Header=BB40_11 Depth=1
	s_or_b64 exec, exec, s[36:37]
	s_and_saveexec_b64 s[36:37], s[30:31]
	s_cbranch_execnz .LBB40_159
.LBB40_125:                             ;   in Loop: Header=BB40_11 Depth=1
	s_or_b64 exec, exec, s[36:37]
	s_and_saveexec_b64 s[36:37], s[34:35]
	s_cbranch_execz .LBB40_127
.LBB40_126:                             ;   in Loop: Header=BB40_11 Depth=1
	s_waitcnt lgkmcnt(0)
	global_store_short v[0:1], v2, off offset:896
.LBB40_127:                             ;   in Loop: Header=BB40_11 Depth=1
	s_or_b64 exec, exec, s[36:37]
	v_lshl_add_u64 v[0:1], s[66:67], 1, v[14:15]
	s_waitcnt lgkmcnt(0)
	v_mov_b32_e32 v2, 0
	v_mov_b32_e32 v3, 0
	s_waitcnt lgkmcnt(0)
	; wave barrier
	s_and_saveexec_b64 s[36:37], s[18:19]
	s_cbranch_execz .LBB40_129
; %bb.128:                              ;   in Loop: Header=BB40_11 Depth=1
	global_load_ushort v3, v[0:1], off
.LBB40_129:                             ;   in Loop: Header=BB40_11 Depth=1
	s_or_b64 exec, exec, s[36:37]
	s_and_saveexec_b64 s[36:37], s[20:21]
	s_cbranch_execz .LBB40_131
; %bb.130:                              ;   in Loop: Header=BB40_11 Depth=1
	global_load_ushort v2, v[0:1], off offset:128
.LBB40_131:                             ;   in Loop: Header=BB40_11 Depth=1
	s_or_b64 exec, exec, s[36:37]
	v_mov_b32_e32 v4, 0
	v_mov_b32_e32 v5, 0
	s_and_saveexec_b64 s[36:37], s[22:23]
	s_cbranch_execz .LBB40_133
; %bb.132:                              ;   in Loop: Header=BB40_11 Depth=1
	global_load_ushort v5, v[0:1], off offset:256
.LBB40_133:                             ;   in Loop: Header=BB40_11 Depth=1
	s_or_b64 exec, exec, s[36:37]
	s_and_saveexec_b64 s[36:37], s[24:25]
	s_cbranch_execz .LBB40_135
; %bb.134:                              ;   in Loop: Header=BB40_11 Depth=1
	global_load_ushort v4, v[0:1], off offset:384
.LBB40_135:                             ;   in Loop: Header=BB40_11 Depth=1
	s_or_b64 exec, exec, s[36:37]
	v_mov_b32_e32 v6, 0
	v_mov_b32_e32 v7, 0
	s_and_saveexec_b64 s[36:37], s[26:27]
	s_cbranch_execz .LBB40_137
; %bb.136:                              ;   in Loop: Header=BB40_11 Depth=1
	global_load_ushort v7, v[0:1], off offset:512
.LBB40_137:                             ;   in Loop: Header=BB40_11 Depth=1
	;; [unrolled: 14-line block ×3, first 2 shown]
	s_or_b64 exec, exec, s[36:37]
	s_and_saveexec_b64 s[36:37], s[34:35]
	s_cbranch_execz .LBB40_143
; %bb.142:                              ;   in Loop: Header=BB40_11 Depth=1
	global_load_ushort v19, v[0:1], off offset:896
.LBB40_143:                             ;   in Loop: Header=BB40_11 Depth=1
	s_or_b64 exec, exec, s[36:37]
	s_waitcnt vmcnt(0)
	ds_write_b16 v47, v3
	ds_write_b16 v48, v2 offset:128
	ds_write_b16 v49, v5 offset:256
	;; [unrolled: 1-line block ×7, first 2 shown]
	; wave barrier
	ds_read_b128 v[0:3], v55
	s_waitcnt lgkmcnt(0)
	; wave barrier
	s_waitcnt lgkmcnt(0)
	v_and_b32_e32 v6, 0xffff0000, v1
	v_mul_f32_e32 v4, 0xbfb8aa3b, v6
	v_fma_f32 v5, v6, s97, -v4
	v_rndne_f32_e32 v7, v4
	v_fmac_f32_e32 v5, 0xb2a5705f, v6
	v_sub_f32_e32 v4, v4, v7
	v_add_f32_e32 v4, v4, v5
	v_exp_f32_e32 v4, v4
	v_cvt_i32_f32_e32 v5, v7
	v_and_b32_e32 v7, 0xffff0000, v0
	v_lshlrev_b32_e32 v28, 16, v1
	v_mul_f32_e32 v1, 0xbfb8aa3b, v7
	v_lshlrev_b32_e32 v19, 16, v0
	v_ldexp_f32 v0, v4, v5
	v_fma_f32 v4, v7, s97, -v1
	v_rndne_f32_e32 v5, v1
	v_fmac_f32_e32 v4, 0xb2a5705f, v7
	v_sub_f32_e32 v1, v1, v5
	v_add_f32_e32 v1, v1, v4
	v_exp_f32_e32 v4, v1
	v_cvt_i32_f32_e32 v5, v5
	v_cmp_nlt_f32_e32 vcc, s93, v6
	s_nop 1
	v_cndmask_b32_e32 v0, 0, v0, vcc
	v_cmp_ngt_f32_e32 vcc, s95, v6
	s_nop 1
	v_cndmask_b32_e32 v1, v72, v0, vcc
	v_ldexp_f32 v0, v4, v5
	v_mul_f32_e32 v4, 0xbfb8aa3b, v28
	v_rndne_f32_e32 v5, v4
	v_sub_f32_e32 v29, v4, v5
	v_fma_f32 v4, v28, s97, -v4
	v_fmac_f32_e32 v4, 0xb2a5705f, v28
	v_add_f32_e32 v4, v29, v4
	v_exp_f32_e32 v4, v4
	v_cvt_i32_f32_e32 v29, v5
	v_cmp_nlt_f32_e32 vcc, s93, v7
	s_nop 1
	v_cndmask_b32_e32 v0, 0, v0, vcc
	v_cmp_ngt_f32_e32 vcc, s95, v7
	s_nop 1
	v_cndmask_b32_e32 v5, v72, v0, vcc
	v_ldexp_f32 v0, v4, v29
	v_mul_f32_e32 v4, 0xbfb8aa3b, v19
	v_rndne_f32_e32 v29, v4
	v_sub_f32_e32 v30, v4, v29
	v_fma_f32 v4, v19, s97, -v4
	v_fmac_f32_e32 v4, 0xb2a5705f, v19
	v_add_f32_e32 v4, v30, v4
	v_exp_f32_e32 v4, v4
	v_cvt_i32_f32_e32 v29, v29
	v_cmp_nlt_f32_e32 vcc, s93, v28
	v_ldexp_f32 v4, v4, v29
	s_nop 0
	v_cndmask_b32_e32 v0, 0, v0, vcc
	v_cmp_ngt_f32_e32 vcc, s95, v28
	s_nop 1
	v_cndmask_b32_e32 v0, v72, v0, vcc
	v_pk_add_f32 v[0:1], v[0:1], 1.0 op_sel_hi:[1,0]
	v_cmp_nlt_f32_e32 vcc, s93, v19
	v_div_scale_f32 v29, s[36:37], v1, v1, v6
	v_rcp_f32_e32 v30, v29
	v_cndmask_b32_e32 v4, 0, v4, vcc
	v_cmp_ngt_f32_e32 vcc, s95, v19
	v_fma_f32 v31, -v29, v30, 1.0
	s_nop 0
	v_cndmask_b32_e32 v4, v72, v4, vcc
	v_fmac_f32_e32 v30, v31, v30
	v_div_scale_f32 v31, vcc, v6, v1, v6
	v_mul_f32_e32 v32, v31, v30
	v_fma_f32 v33, -v29, v32, v31
	v_fmac_f32_e32 v32, v33, v30
	v_fma_f32 v29, -v29, v32, v31
	v_div_scale_f32 v31, s[36:37], v0, v0, v28
	v_rcp_f32_e32 v33, v31
	v_div_fmas_f32 v29, v29, v30, v32
	v_div_fixup_f32 v1, v29, v1, v6
	v_pk_add_f32 v[4:5], v[4:5], 1.0 op_sel_hi:[1,0]
	v_fma_f32 v6, -v31, v33, 1.0
	v_fmac_f32_e32 v33, v6, v33
	v_div_scale_f32 v6, vcc, v28, v0, v28
	v_mul_f32_e32 v29, v6, v33
	v_fma_f32 v30, -v31, v29, v6
	v_fmac_f32_e32 v29, v30, v33
	v_div_scale_f32 v30, s[36:37], v5, v5, v7
	v_fma_f32 v6, -v31, v29, v6
	v_rcp_f32_e32 v31, v30
	v_div_fmas_f32 v6, v6, v33, v29
	v_div_fixup_f32 v0, v6, v0, v28
	v_fma_f32 v6, -v30, v31, 1.0
	v_fmac_f32_e32 v31, v6, v31
	v_div_scale_f32 v6, vcc, v7, v5, v7
	v_mul_f32_e32 v28, v6, v31
	v_fma_f32 v29, -v30, v28, v6
	v_fmac_f32_e32 v28, v29, v31
	v_div_scale_f32 v29, s[36:37], v4, v4, v19
	v_fma_f32 v6, -v30, v28, v6
	v_rcp_f32_e32 v30, v29
	v_div_fmas_f32 v6, v6, v31, v28
	v_div_fixup_f32 v5, v6, v5, v7
	v_fma_f32 v6, -v29, v30, 1.0
	v_fmac_f32_e32 v30, v6, v30
	v_div_scale_f32 v6, vcc, v19, v4, v19
	v_mul_f32_e32 v7, v6, v30
	v_fma_f32 v28, -v29, v7, v6
	v_fmac_f32_e32 v7, v28, v30
	v_fma_f32 v6, -v29, v7, v6
	v_div_fmas_f32 v6, v6, v30, v7
	v_div_fixup_f32 v4, v6, v4, v19
	v_pk_mul_f32 v[4:5], v[26:27], v[4:5]
	v_pk_mul_f32 v[6:7], v[24:25], v[0:1]
	v_bfe_u32 v0, v4, 16, 1
	v_bfe_u32 v1, v5, 16, 1
	v_add3_u32 v0, v4, v0, s74
	v_bfe_u32 v19, v6, 16, 1
	v_add3_u32 v1, v5, v1, s74
	v_lshrrev_b32_e32 v0, 16, v0
	v_cmp_o_f32_e32 vcc, v4, v4
	v_add3_u32 v19, v6, v19, s74
	v_lshrrev_b32_e32 v1, 16, v1
	v_cndmask_b32_e32 v0, v75, v0, vcc
	v_cmp_o_f32_e32 vcc, v5, v5
	v_bfe_u32 v24, v7, 16, 1
	v_lshrrev_b32_e32 v19, 16, v19
	v_cndmask_b32_e32 v1, v75, v1, vcc
	v_cmp_o_f32_e32 vcc, v6, v6
	v_add3_u32 v24, v7, v24, s74
	v_lshrrev_b32_e32 v24, 16, v24
	v_cndmask_b32_e32 v6, v75, v19, vcc
	v_and_b32_e32 v19, 0xffff0000, v3
	v_cmp_o_f32_e32 vcc, v7, v7
	v_mul_f32_e32 v4, 0xbfb8aa3b, v19
	v_fma_f32 v5, v19, s97, -v4
	v_cndmask_b32_e32 v7, v75, v24, vcc
	v_rndne_f32_e32 v24, v4
	v_fmac_f32_e32 v5, 0xb2a5705f, v19
	v_sub_f32_e32 v4, v4, v24
	v_add_f32_e32 v4, v4, v5
	v_exp_f32_e32 v4, v4
	v_cvt_i32_f32_e32 v5, v24
	v_and_b32_e32 v24, 0xffff0000, v2
	v_lshlrev_b32_e32 v26, 16, v3
	v_mul_f32_e32 v3, 0xbfb8aa3b, v24
	v_lshlrev_b32_e32 v25, 16, v2
	v_ldexp_f32 v2, v4, v5
	v_fma_f32 v4, v24, s97, -v3
	v_rndne_f32_e32 v5, v3
	v_fmac_f32_e32 v4, 0xb2a5705f, v24
	v_sub_f32_e32 v3, v3, v5
	v_add_f32_e32 v3, v3, v4
	v_exp_f32_e32 v4, v3
	v_cvt_i32_f32_e32 v5, v5
	v_cmp_nlt_f32_e32 vcc, s93, v19
	s_nop 1
	v_cndmask_b32_e32 v2, 0, v2, vcc
	v_cmp_ngt_f32_e32 vcc, s95, v19
	s_nop 1
	v_cndmask_b32_e32 v3, v72, v2, vcc
	v_ldexp_f32 v2, v4, v5
	v_mul_f32_e32 v4, 0xbfb8aa3b, v26
	v_rndne_f32_e32 v5, v4
	v_sub_f32_e32 v27, v4, v5
	v_fma_f32 v4, v26, s97, -v4
	v_fmac_f32_e32 v4, 0xb2a5705f, v26
	v_add_f32_e32 v4, v27, v4
	v_exp_f32_e32 v4, v4
	v_cvt_i32_f32_e32 v27, v5
	v_cmp_nlt_f32_e32 vcc, s93, v24
	s_nop 1
	v_cndmask_b32_e32 v2, 0, v2, vcc
	v_cmp_ngt_f32_e32 vcc, s95, v24
	s_nop 1
	v_cndmask_b32_e32 v5, v72, v2, vcc
	v_ldexp_f32 v2, v4, v27
	v_mul_f32_e32 v4, 0xbfb8aa3b, v25
	v_rndne_f32_e32 v27, v4
	v_sub_f32_e32 v28, v4, v27
	v_fma_f32 v4, v25, s97, -v4
	v_fmac_f32_e32 v4, 0xb2a5705f, v25
	v_add_f32_e32 v4, v28, v4
	v_exp_f32_e32 v4, v4
	v_cvt_i32_f32_e32 v27, v27
	v_cmp_nlt_f32_e32 vcc, s93, v26
	v_ldexp_f32 v4, v4, v27
	s_nop 0
	v_cndmask_b32_e32 v2, 0, v2, vcc
	v_cmp_ngt_f32_e32 vcc, s95, v26
	s_nop 1
	v_cndmask_b32_e32 v2, v72, v2, vcc
	v_pk_add_f32 v[2:3], v[2:3], 1.0 op_sel_hi:[1,0]
	v_cmp_nlt_f32_e32 vcc, s93, v25
	v_div_scale_f32 v27, s[36:37], v3, v3, v19
	v_rcp_f32_e32 v28, v27
	v_cndmask_b32_e32 v4, 0, v4, vcc
	v_cmp_ngt_f32_e32 vcc, s95, v25
	v_fma_f32 v29, -v27, v28, 1.0
	s_nop 0
	v_cndmask_b32_e32 v4, v72, v4, vcc
	v_fmac_f32_e32 v28, v29, v28
	v_div_scale_f32 v29, vcc, v19, v3, v19
	v_mul_f32_e32 v30, v29, v28
	v_fma_f32 v31, -v27, v30, v29
	v_fmac_f32_e32 v30, v31, v28
	v_fma_f32 v27, -v27, v30, v29
	v_div_scale_f32 v29, s[36:37], v2, v2, v26
	v_rcp_f32_e32 v31, v29
	v_div_fmas_f32 v27, v27, v28, v30
	v_div_fixup_f32 v3, v27, v3, v19
	v_pk_add_f32 v[4:5], v[4:5], 1.0 op_sel_hi:[1,0]
	v_fma_f32 v19, -v29, v31, 1.0
	v_fmac_f32_e32 v31, v19, v31
	v_div_scale_f32 v19, vcc, v26, v2, v26
	v_mul_f32_e32 v27, v19, v31
	v_fma_f32 v28, -v29, v27, v19
	v_fmac_f32_e32 v27, v28, v31
	v_div_scale_f32 v28, s[36:37], v5, v5, v24
	v_fma_f32 v19, -v29, v27, v19
	v_rcp_f32_e32 v29, v28
	v_div_fmas_f32 v19, v19, v31, v27
	v_div_fixup_f32 v2, v19, v2, v26
	v_pk_mul_f32 v[2:3], v[20:21], v[2:3]
	v_fma_f32 v19, -v28, v29, 1.0
	v_fmac_f32_e32 v29, v19, v29
	v_div_scale_f32 v19, vcc, v24, v5, v24
	v_mul_f32_e32 v26, v19, v29
	v_fma_f32 v27, -v28, v26, v19
	v_fmac_f32_e32 v26, v27, v29
	v_div_scale_f32 v27, s[36:37], v4, v4, v25
	v_fma_f32 v19, -v28, v26, v19
	v_rcp_f32_e32 v28, v27
	v_div_fmas_f32 v19, v19, v29, v26
	v_div_fixup_f32 v5, v19, v5, v24
	v_bfe_u32 v21, v2, 16, 1
	v_fma_f32 v19, -v27, v28, 1.0
	v_fmac_f32_e32 v28, v19, v28
	v_div_scale_f32 v19, vcc, v25, v4, v25
	v_mul_f32_e32 v24, v19, v28
	v_fma_f32 v26, -v27, v24, v19
	v_fmac_f32_e32 v24, v26, v28
	v_fma_f32 v19, -v27, v24, v19
	v_div_fmas_f32 v19, v19, v28, v24
	v_div_fixup_f32 v4, v19, v4, v25
	v_pk_mul_f32 v[4:5], v[22:23], v[4:5]
	v_bfe_u32 v22, v3, 16, 1
	v_bfe_u32 v19, v4, 16, 1
	;; [unrolled: 1-line block ×3, first 2 shown]
	v_add3_u32 v19, v4, v19, s74
	v_add3_u32 v20, v5, v20, s74
	v_lshrrev_b32_e32 v19, 16, v19
	v_cmp_o_f32_e32 vcc, v4, v4
	v_add3_u32 v21, v2, v21, s74
	v_lshrrev_b32_e32 v20, 16, v20
	v_cndmask_b32_e32 v4, v75, v19, vcc
	v_cmp_o_f32_e32 vcc, v5, v5
	v_add3_u32 v22, v3, v22, s74
	v_lshrrev_b32_e32 v21, 16, v21
	v_cndmask_b32_e32 v19, v75, v20, vcc
	v_cmp_o_f32_e32 vcc, v2, v2
	v_lshrrev_b32_e32 v22, 16, v22
	s_mov_b32 s36, 0x5040100
	v_cndmask_b32_e32 v2, v75, v21, vcc
	v_cmp_o_f32_e32 vcc, v3, v3
	v_perm_b32 v4, v19, v4, s36
	s_nop 0
	v_cndmask_b32_e32 v3, v75, v22, vcc
	v_perm_b32 v5, v3, v2, s36
	v_perm_b32 v3, v7, v6, s36
	;; [unrolled: 1-line block ×3, first 2 shown]
	ds_write_b128 v55, v[2:5]
	; wave barrier
	ds_read_u16 v19, v48 offset:128
	ds_read_u16 v7, v49 offset:256
	;; [unrolled: 1-line block ×7, first 2 shown]
	v_lshl_add_u64 v[0:1], s[66:67], 1, v[16:17]
	s_and_saveexec_b64 s[36:37], s[18:19]
	s_cbranch_execnz .LBB40_160
; %bb.144:                              ;   in Loop: Header=BB40_11 Depth=1
	s_or_b64 exec, exec, s[36:37]
	s_and_saveexec_b64 s[18:19], s[20:21]
	s_cbranch_execnz .LBB40_161
.LBB40_145:                             ;   in Loop: Header=BB40_11 Depth=1
	s_or_b64 exec, exec, s[18:19]
	s_and_saveexec_b64 s[18:19], s[22:23]
	s_cbranch_execnz .LBB40_162
.LBB40_146:                             ;   in Loop: Header=BB40_11 Depth=1
	s_or_b64 exec, exec, s[18:19]
	s_and_saveexec_b64 s[18:19], s[24:25]
	s_cbranch_execnz .LBB40_163
.LBB40_147:                             ;   in Loop: Header=BB40_11 Depth=1
	s_or_b64 exec, exec, s[18:19]
	s_and_saveexec_b64 s[18:19], s[26:27]
	s_cbranch_execnz .LBB40_164
.LBB40_148:                             ;   in Loop: Header=BB40_11 Depth=1
	s_or_b64 exec, exec, s[18:19]
	s_and_saveexec_b64 s[18:19], s[28:29]
	s_cbranch_execnz .LBB40_165
.LBB40_149:                             ;   in Loop: Header=BB40_11 Depth=1
	s_or_b64 exec, exec, s[18:19]
	s_and_saveexec_b64 s[18:19], s[30:31]
	s_cbranch_execnz .LBB40_166
.LBB40_150:                             ;   in Loop: Header=BB40_11 Depth=1
	s_or_b64 exec, exec, s[18:19]
	s_and_saveexec_b64 s[18:19], s[34:35]
	s_cbranch_execz .LBB40_10
	s_branch .LBB40_167
.LBB40_151:                             ;   in Loop: Header=BB40_11 Depth=1
	global_load_ushort v23, v[4:5], off offset:640
	s_or_b64 exec, exec, s[36:37]
	s_and_saveexec_b64 s[36:37], s[30:31]
	s_cbranch_execz .LBB40_39
.LBB40_152:                             ;   in Loop: Header=BB40_11 Depth=1
	global_load_ushort v22, v[4:5], off offset:768
	s_or_b64 exec, exec, s[36:37]
	v_mov_b32_e32 v24, 0
	s_and_saveexec_b64 s[36:37], s[34:35]
	s_cbranch_execnz .LBB40_40
	s_branch .LBB40_41
.LBB40_153:                             ;   in Loop: Header=BB40_11 Depth=1
	ds_read_u16 v28, v47
	s_waitcnt lgkmcnt(0)
	global_store_short v[0:1], v28, off
	s_or_b64 exec, exec, s[36:37]
	s_and_saveexec_b64 s[36:37], s[20:21]
	s_cbranch_execz .LBB40_120
.LBB40_154:                             ;   in Loop: Header=BB40_11 Depth=1
	s_waitcnt lgkmcnt(6)
	global_store_short v[0:1], v19, off offset:128
	s_or_b64 exec, exec, s[36:37]
	s_and_saveexec_b64 s[36:37], s[22:23]
	s_cbranch_execz .LBB40_121
.LBB40_155:                             ;   in Loop: Header=BB40_11 Depth=1
	s_waitcnt lgkmcnt(5)
	global_store_short v[0:1], v7, off offset:256
	s_or_b64 exec, exec, s[36:37]
	s_and_saveexec_b64 s[36:37], s[24:25]
	s_cbranch_execz .LBB40_122
.LBB40_156:                             ;   in Loop: Header=BB40_11 Depth=1
	s_waitcnt lgkmcnt(4)
	global_store_short v[0:1], v6, off offset:384
	s_or_b64 exec, exec, s[36:37]
	s_and_saveexec_b64 s[36:37], s[26:27]
	s_cbranch_execz .LBB40_123
.LBB40_157:                             ;   in Loop: Header=BB40_11 Depth=1
	s_waitcnt lgkmcnt(3)
	global_store_short v[0:1], v5, off offset:512
	s_or_b64 exec, exec, s[36:37]
	s_and_saveexec_b64 s[36:37], s[28:29]
	s_cbranch_execz .LBB40_124
.LBB40_158:                             ;   in Loop: Header=BB40_11 Depth=1
	s_waitcnt lgkmcnt(2)
	global_store_short v[0:1], v4, off offset:640
	s_or_b64 exec, exec, s[36:37]
	s_and_saveexec_b64 s[36:37], s[30:31]
	s_cbranch_execz .LBB40_125
.LBB40_159:                             ;   in Loop: Header=BB40_11 Depth=1
	s_waitcnt lgkmcnt(1)
	global_store_short v[0:1], v3, off offset:768
	s_or_b64 exec, exec, s[36:37]
	s_and_saveexec_b64 s[36:37], s[34:35]
	s_cbranch_execnz .LBB40_126
	s_branch .LBB40_127
.LBB40_160:                             ;   in Loop: Header=BB40_11 Depth=1
	ds_read_u16 v20, v47
	s_waitcnt lgkmcnt(0)
	global_store_short v[0:1], v20, off
	s_or_b64 exec, exec, s[36:37]
	s_and_saveexec_b64 s[18:19], s[20:21]
	s_cbranch_execz .LBB40_145
.LBB40_161:                             ;   in Loop: Header=BB40_11 Depth=1
	s_waitcnt lgkmcnt(6)
	global_store_short v[0:1], v19, off offset:128
	s_or_b64 exec, exec, s[18:19]
	s_and_saveexec_b64 s[18:19], s[22:23]
	s_cbranch_execz .LBB40_146
.LBB40_162:                             ;   in Loop: Header=BB40_11 Depth=1
	s_waitcnt lgkmcnt(5)
	global_store_short v[0:1], v7, off offset:256
	s_or_b64 exec, exec, s[18:19]
	s_and_saveexec_b64 s[18:19], s[24:25]
	s_cbranch_execz .LBB40_147
.LBB40_163:                             ;   in Loop: Header=BB40_11 Depth=1
	s_waitcnt lgkmcnt(4)
	global_store_short v[0:1], v6, off offset:384
	s_or_b64 exec, exec, s[18:19]
	s_and_saveexec_b64 s[18:19], s[26:27]
	s_cbranch_execz .LBB40_148
.LBB40_164:                             ;   in Loop: Header=BB40_11 Depth=1
	s_waitcnt lgkmcnt(3)
	global_store_short v[0:1], v5, off offset:512
	s_or_b64 exec, exec, s[18:19]
	s_and_saveexec_b64 s[18:19], s[28:29]
	s_cbranch_execz .LBB40_149
.LBB40_165:                             ;   in Loop: Header=BB40_11 Depth=1
	s_waitcnt lgkmcnt(2)
	global_store_short v[0:1], v4, off offset:640
	s_or_b64 exec, exec, s[18:19]
	s_and_saveexec_b64 s[18:19], s[30:31]
	s_cbranch_execz .LBB40_150
.LBB40_166:                             ;   in Loop: Header=BB40_11 Depth=1
	s_waitcnt lgkmcnt(1)
	global_store_short v[0:1], v3, off offset:768
	s_or_b64 exec, exec, s[18:19]
	s_and_saveexec_b64 s[18:19], s[34:35]
	s_cbranch_execz .LBB40_10
.LBB40_167:                             ;   in Loop: Header=BB40_11 Depth=1
	s_waitcnt lgkmcnt(0)
	global_store_short v[0:1], v2, off offset:896
	s_branch .LBB40_10
.LBB40_168:
	s_endpgm
.LBB40_169:
	s_mov_b64 s[68:69], 0
	s_load_dwordx2 s[6:7], s[0:1], 0x20
	s_cmp_eq_u64 s[4:5], 0
	s_cbranch_scc0 .LBB40_2
	s_branch .LBB40_3
	.section	.rodata,"a",@progbits
	.p2align	6, 0x0
	.amdhsa_kernel _Z25selective_scan_fwd_kernelI32Selective_Scan_fwd_kernel_traitsILi64ELi8ELi1ELb1ELb1ELb1ELb1ELb1EN3c108BFloat16EffEEv13SSMParamsBase
		.amdhsa_group_segment_fixed_size 0
		.amdhsa_private_segment_fixed_size 0
		.amdhsa_kernarg_size 248
		.amdhsa_user_sgpr_count 2
		.amdhsa_user_sgpr_dispatch_ptr 0
		.amdhsa_user_sgpr_queue_ptr 0
		.amdhsa_user_sgpr_kernarg_segment_ptr 1
		.amdhsa_user_sgpr_dispatch_id 0
		.amdhsa_user_sgpr_kernarg_preload_length 0
		.amdhsa_user_sgpr_kernarg_preload_offset 0
		.amdhsa_user_sgpr_private_segment_size 0
		.amdhsa_uses_dynamic_stack 0
		.amdhsa_enable_private_segment 0
		.amdhsa_system_sgpr_workgroup_id_x 1
		.amdhsa_system_sgpr_workgroup_id_y 1
		.amdhsa_system_sgpr_workgroup_id_z 0
		.amdhsa_system_sgpr_workgroup_info 0
		.amdhsa_system_vgpr_workitem_id 0
		.amdhsa_next_free_vgpr 96
		.amdhsa_next_free_sgpr 100
		.amdhsa_accum_offset 96
		.amdhsa_reserve_vcc 1
		.amdhsa_float_round_mode_32 0
		.amdhsa_float_round_mode_16_64 0
		.amdhsa_float_denorm_mode_32 3
		.amdhsa_float_denorm_mode_16_64 3
		.amdhsa_dx10_clamp 1
		.amdhsa_ieee_mode 1
		.amdhsa_fp16_overflow 0
		.amdhsa_tg_split 0
		.amdhsa_exception_fp_ieee_invalid_op 0
		.amdhsa_exception_fp_denorm_src 0
		.amdhsa_exception_fp_ieee_div_zero 0
		.amdhsa_exception_fp_ieee_overflow 0
		.amdhsa_exception_fp_ieee_underflow 0
		.amdhsa_exception_fp_ieee_inexact 0
		.amdhsa_exception_int_div_zero 0
	.end_amdhsa_kernel
	.section	.text._Z25selective_scan_fwd_kernelI32Selective_Scan_fwd_kernel_traitsILi64ELi8ELi1ELb1ELb1ELb1ELb1ELb1EN3c108BFloat16EffEEv13SSMParamsBase,"axG",@progbits,_Z25selective_scan_fwd_kernelI32Selective_Scan_fwd_kernel_traitsILi64ELi8ELi1ELb1ELb1ELb1ELb1ELb1EN3c108BFloat16EffEEv13SSMParamsBase,comdat
.Lfunc_end40:
	.size	_Z25selective_scan_fwd_kernelI32Selective_Scan_fwd_kernel_traitsILi64ELi8ELi1ELb1ELb1ELb1ELb1ELb1EN3c108BFloat16EffEEv13SSMParamsBase, .Lfunc_end40-_Z25selective_scan_fwd_kernelI32Selective_Scan_fwd_kernel_traitsILi64ELi8ELi1ELb1ELb1ELb1ELb1ELb1EN3c108BFloat16EffEEv13SSMParamsBase
                                        ; -- End function
	.section	.AMDGPU.csdata,"",@progbits
; Kernel info:
; codeLenInByte = 12796
; NumSgprs: 106
; NumVgprs: 96
; NumAgprs: 0
; TotalNumVgprs: 96
; ScratchSize: 0
; MemoryBound: 0
; FloatMode: 240
; IeeeMode: 1
; LDSByteSize: 0 bytes/workgroup (compile time only)
; SGPRBlocks: 13
; VGPRBlocks: 11
; NumSGPRsForWavesPerEU: 106
; NumVGPRsForWavesPerEU: 96
; AccumOffset: 96
; Occupancy: 5
; WaveLimiterHint : 1
; COMPUTE_PGM_RSRC2:SCRATCH_EN: 0
; COMPUTE_PGM_RSRC2:USER_SGPR: 2
; COMPUTE_PGM_RSRC2:TRAP_HANDLER: 0
; COMPUTE_PGM_RSRC2:TGID_X_EN: 1
; COMPUTE_PGM_RSRC2:TGID_Y_EN: 1
; COMPUTE_PGM_RSRC2:TGID_Z_EN: 0
; COMPUTE_PGM_RSRC2:TIDIG_COMP_CNT: 0
; COMPUTE_PGM_RSRC3_GFX90A:ACCUM_OFFSET: 23
; COMPUTE_PGM_RSRC3_GFX90A:TG_SPLIT: 0
	.section	.text._Z25selective_scan_fwd_kernelI32Selective_Scan_fwd_kernel_traitsILi64ELi8ELi1ELb1ELb1ELb1ELb1ELb0EN3c108BFloat16EffEEv13SSMParamsBase,"axG",@progbits,_Z25selective_scan_fwd_kernelI32Selective_Scan_fwd_kernel_traitsILi64ELi8ELi1ELb1ELb1ELb1ELb1ELb0EN3c108BFloat16EffEEv13SSMParamsBase,comdat
	.protected	_Z25selective_scan_fwd_kernelI32Selective_Scan_fwd_kernel_traitsILi64ELi8ELi1ELb1ELb1ELb1ELb1ELb0EN3c108BFloat16EffEEv13SSMParamsBase ; -- Begin function _Z25selective_scan_fwd_kernelI32Selective_Scan_fwd_kernel_traitsILi64ELi8ELi1ELb1ELb1ELb1ELb1ELb0EN3c108BFloat16EffEEv13SSMParamsBase
	.globl	_Z25selective_scan_fwd_kernelI32Selective_Scan_fwd_kernel_traitsILi64ELi8ELi1ELb1ELb1ELb1ELb1ELb0EN3c108BFloat16EffEEv13SSMParamsBase
	.p2align	8
	.type	_Z25selective_scan_fwd_kernelI32Selective_Scan_fwd_kernel_traitsILi64ELi8ELi1ELb1ELb1ELb1ELb1ELb0EN3c108BFloat16EffEEv13SSMParamsBase,@function
_Z25selective_scan_fwd_kernelI32Selective_Scan_fwd_kernel_traitsILi64ELi8ELi1ELb1ELb1ELb1ELb1ELb0EN3c108BFloat16EffEEv13SSMParamsBase: ; @_Z25selective_scan_fwd_kernelI32Selective_Scan_fwd_kernel_traitsILi64ELi8ELi1ELb1ELb1ELb1ELb1ELb0EN3c108BFloat16EffEEv13SSMParamsBase
; %bb.0:
	s_load_dword s35, s[0:1], 0x18
	s_load_dwordx4 s[4:7], s[0:1], 0xe8
	s_mov_b32 s28, s3
	s_waitcnt lgkmcnt(0)
	s_abs_i32 s34, s35
	v_cvt_f32_u32_e32 v1, s34
	s_cmp_eq_u64 s[6:7], 0
	v_rcp_iflag_f32_e32 v1, v1
	s_nop 0
	v_mul_f32_e32 v1, 0x4f7ffffe, v1
	v_cvt_u32_f32_e32 v1, v1
	s_nop 0
	v_readfirstlane_b32 s20, v1
	s_cbranch_scc1 .LBB41_3
; %bb.1:
	s_ashr_i32 s3, s2, 31
	s_add_u32 s6, s6, s2
	s_addc_u32 s7, s7, s3
	v_mov_b32_e32 v1, 0
	global_load_ubyte v1, v1, s[6:7]
	s_waitcnt vmcnt(0)
	v_and_b32_e32 v1, 1, v1
	v_cmp_eq_u32_e64 s[38:39], 1, v1
	s_load_dwordx2 s[6:7], s[0:1], 0x20
	s_cmp_eq_u64 s[4:5], 0
	s_cbranch_scc1 .LBB41_4
.LBB41_2:
	s_ashr_i32 s3, s2, 31
	s_lshl_b64 s[8:9], s[2:3], 2
	s_add_u32 s4, s4, s8
	s_addc_u32 s5, s5, s9
	s_load_dword s30, s[4:5], 0x0
	s_waitcnt lgkmcnt(0)
	s_ashr_i32 s31, s30, 31
	s_cmp_eq_u64 s[6:7], s[30:31]
	s_cbranch_scc0 .LBB41_5
	s_branch .LBB41_60
.LBB41_3:
	s_mov_b64 s[38:39], 0
	s_load_dwordx2 s[6:7], s[0:1], 0x20
	s_cmp_eq_u64 s[4:5], 0
	s_cbranch_scc0 .LBB41_2
.LBB41_4:
	s_mov_b32 s30, s2
	s_ashr_i32 s31, s30, 31
	s_waitcnt lgkmcnt(0)
	s_cmp_eq_u64 s[6:7], s[30:31]
	s_cbranch_scc1 .LBB41_60
.LBB41_5:
	s_load_dwordx16 s[4:19], s[0:1], 0x88
	s_load_dwordx2 s[56:57], s[0:1], 0x8
	s_mov_b32 s33, 0
	s_mov_b32 s78, 0
	s_waitcnt lgkmcnt(0)
	s_cmp_eq_u64 s[10:11], 0
	s_cbranch_scc1 .LBB41_7
; %bb.6:
	s_ashr_i32 s29, s28, 31
	s_lshl_b64 s[22:23], s[28:29], 2
	s_add_u32 s10, s10, s22
	s_addc_u32 s11, s11, s23
	s_load_dword s78, s[10:11], 0x0
.LBB41_7:
	s_cmp_eq_u64 s[16:17], 0
	s_cbranch_scc1 .LBB41_9
; %bb.8:
	s_ashr_i32 s29, s28, 31
	s_lshl_b64 s[10:11], s[28:29], 2
	s_add_u32 s10, s16, s10
	s_addc_u32 s11, s17, s11
	s_load_dword s33, s[10:11], 0x0
.LBB41_9:
	s_cmp_lt_i32 s56, 1
	s_cbranch_scc1 .LBB41_60
; %bb.10:
	s_sub_i32 s3, 0, s34
	s_mul_i32 s3, s3, s20
	s_mul_hi_u32 s3, s20, s3
	s_abs_i32 s29, s28
	s_add_i32 s3, s20, s3
	s_load_dwordx8 s[40:47], s[0:1], 0x2c
	s_load_dwordx2 s[16:17], s[0:1], 0x7c
	s_load_dwordx4 s[24:27], s[0:1], 0x6c
	s_load_dwordx8 s[48:55], s[0:1], 0x4c
	s_load_dwordx2 s[10:11], s[0:1], 0xd8
	s_load_dwordx4 s[20:23], s[0:1], 0xc8
	s_load_dword s79, s[0:1], 0x84
	s_mul_hi_u32 s3, s29, s3
	s_load_dword s31, s[0:1], 0x28
	s_ashr_i32 s0, s28, 31
	s_ashr_i32 s1, s35, 31
	s_xor_b32 s0, s0, s1
	s_mul_i32 s1, s3, s34
	s_sub_i32 s1, s29, s1
	s_add_i32 s29, s3, 1
	s_sub_i32 s35, s1, s34
	s_cmp_ge_u32 s1, s34
	s_cselect_b32 s3, s29, s3
	s_cselect_b32 s1, s35, s1
	s_add_i32 s29, s3, 1
	s_cmp_ge_u32 s1, s34
	s_cselect_b32 s1, s29, s3
	s_xor_b32 s1, s1, s0
	s_waitcnt lgkmcnt(0)
	s_mul_i32 s58, s50, s2
	s_mov_b32 s59, 0
	s_sub_i32 s3, s1, s0
	s_lshl_b64 s[0:1], s[58:59], 1
	s_add_u32 s12, s12, s0
	s_mul_i32 s58, s51, s28
	s_addc_u32 s13, s13, s1
	s_lshl_b64 s[0:1], s[58:59], 1
	s_add_u32 s50, s12, s0
	s_mul_i32 s58, s52, s2
	s_addc_u32 s51, s13, s1
	;; [unrolled: 4-line block ×10, first 2 shown]
	s_lshl_b64 s[0:1], s[58:59], 2
	s_add_u32 s45, s3, s0
	s_addc_u32 s49, s4, s1
	s_add_i32 s0, s56, 0x7ff
	s_lshr_b32 s81, s0, 11
	s_bitcmp1_b32 s31, 0
	s_cselect_b64 s[60:61], -1, 0
	s_cmp_gt_i32 s57, 0
	s_cselect_b64 s[62:63], -1, 0
	s_and_b32 s3, s56, 0x1ff
	s_cmp_eq_u32 s3, 0
	s_mul_i32 s58, s24, s2
	s_cselect_b64 s[64:65], -1, 0
	s_add_i32 s82, s81, -1
	s_lshl_b64 s[4:5], s[58:59], 1
	s_add_u32 s3, s18, s4
	s_mul_i32 s58, s25, s28
	s_addc_u32 s8, s19, s5
	s_lshl_b64 s[6:7], s[58:59], 1
	s_add_u32 s6, s3, s6
	v_mov_b32_e32 v21, 0
	s_addc_u32 s7, s8, s7
	v_lshlrev_b32_e32 v20, 4, v0
	s_mul_i32 s58, s26, s2
	v_lshl_add_u64 v[22:23], s[6:7], 0, v[20:21]
	s_lshl_b64 s[6:7], s[58:59], 1
	s_add_u32 s3, s10, s6
	s_mul_i32 s58, s27, s28
	s_addc_u32 s8, s11, s7
	s_lshl_b64 s[6:7], s[58:59], 1
	s_add_u32 s6, s3, s6
	s_mul_i32 s58, s54, s2
	s_addc_u32 s7, s8, s7
	;; [unrolled: 4-line block ×3, first 2 shown]
	s_lshl_b64 s[2:3], s[58:59], 1
	s_add_u32 s2, s8, s2
	s_addc_u32 s3, s9, s3
	v_cmp_gt_u32_e64 s[0:1], 64, v0
	v_lshlrev_b32_e32 v50, 3, v0
	v_cmp_eq_u32_e64 s[36:37], 63, v0
	v_cmp_eq_u32_e64 s[4:5], 0, v0
	v_lshl_add_u64 v[24:25], s[2:3], 0, v[20:21]
	v_lshl_add_u64 v[26:27], s[6:7], 0, v[20:21]
	v_lshlrev_b32_e32 v20, 4, v0
	v_mbcnt_lo_u32_b32 v0, -1, 0
	v_or_b32_e32 v54, 4, v50
	v_or_b32_e32 v55, 5, v50
	;; [unrolled: 1-line block ×4, first 2 shown]
	s_mov_b32 s83, 0x41a00000
	s_mov_b32 s84, 0x3fb8aa3b
	s_mov_b32 s85, 0xc2ce8ed0
	s_mov_b32 s86, 0x42b17218
	s_mov_b32 s87, 0x7f800000
	s_mov_b32 s88, 0x3f2aaaab
	v_mov_b32_e32 v58, 0x3ecc95a3
	s_mov_b32 s89, 0x3f317218
	s_mov_b32 s90, 0x33800000
	s_add_i32 s91, 0, 0x848
	s_mov_b32 s92, 0xc2fc0000
	s_movk_i32 s93, 0x7fff
	s_mov_b32 s94, 0x5040100
	s_mov_b32 s95, 0xbfb8aa3b
	;; [unrolled: 1-line block ×4, first 2 shown]
	v_mov_b32_e32 v59, 0x7f800000
	v_mov_b32_e32 v28, 0x3f317218
	v_mbcnt_hi_u32_b32 v60, -1, v0
	v_mov_b32_e32 v61, 0x42800000
	v_mov_b32_e32 v62, 0x1f800000
	;; [unrolled: 1-line block ×3, first 2 shown]
	s_mov_b32 s98, 0
                                        ; implicit-def: $vgpr1
                                        ; implicit-def: $vgpr69
                                        ; implicit-def: $vgpr7
                                        ; implicit-def: $vgpr68
                                        ; implicit-def: $vgpr66
                                        ; implicit-def: $vgpr65
                                        ; implicit-def: $vgpr0
                                        ; implicit-def: $vgpr64
                                        ; implicit-def: $vgpr67
                                        ; implicit-def: $vgpr70
                                        ; implicit-def: $vgpr71
                                        ; implicit-def: $vgpr8_vgpr9
	s_branch .LBB41_12
.LBB41_11:                              ;   in Loop: Header=BB41_12 Depth=1
	s_or_b64 exec, exec, s[6:7]
	s_waitcnt vmcnt(0)
	v_and_b32_e32 v18, 0xffff0000, v8
	v_mul_f32_e32 v14, 0xbfb8aa3b, v18
	v_fma_f32 v15, v18, s95, -v14
	v_rndne_f32_e32 v16, v14
	v_fmac_f32_e32 v15, 0xb2a5705f, v18
	v_sub_f32_e32 v14, v14, v16
	v_add_f32_e32 v14, v14, v15
	v_exp_f32_e32 v14, v14
	v_cvt_i32_f32_e32 v15, v16
	v_and_b32_e32 v19, 0xffff0000, v9
	v_cmp_nlt_f32_e32 vcc, s96, v18
	v_lshlrev_b32_e32 v38, 16, v8
	v_ldexp_f32 v14, v14, v15
	v_mul_f32_e32 v15, 0xbfb8aa3b, v19
	v_fma_f32 v16, v19, s95, -v15
	v_rndne_f32_e32 v17, v15
	v_fmac_f32_e32 v16, 0xb2a5705f, v19
	v_sub_f32_e32 v15, v15, v17
	v_add_f32_e32 v15, v15, v16
	v_exp_f32_e32 v16, v15
	v_cvt_i32_f32_e32 v17, v17
	v_cndmask_b32_e32 v14, 0, v14, vcc
	v_cmp_ngt_f32_e32 vcc, s97, v18
	v_lshlrev_b32_e32 v29, 16, v9
	v_lshl_add_u64 v[12:13], s[2:3], 1, v[26:27]
	v_cndmask_b32_e32 v15, v59, v14, vcc
	v_ldexp_f32 v14, v16, v17
	v_mul_f32_e32 v16, 0xbfb8aa3b, v38
	v_rndne_f32_e32 v17, v16
	v_sub_f32_e32 v39, v16, v17
	v_fma_f32 v16, v38, s95, -v16
	v_fmac_f32_e32 v16, 0xb2a5705f, v38
	v_add_f32_e32 v16, v39, v16
	v_exp_f32_e32 v16, v16
	v_cvt_i32_f32_e32 v39, v17
	v_cmp_nlt_f32_e32 vcc, s96, v19
	s_add_u32 s52, s52, 0x400
	s_addc_u32 s53, s53, 0
	v_cndmask_b32_e32 v14, 0, v14, vcc
	v_cmp_ngt_f32_e32 vcc, s97, v19
	s_add_u32 s50, s50, 0x400
	s_addc_u32 s51, s51, 0
	v_cndmask_b32_e32 v17, v59, v14, vcc
	v_ldexp_f32 v14, v16, v39
	v_mul_f32_e32 v16, 0xbfb8aa3b, v29
	v_rndne_f32_e32 v39, v16
	v_sub_f32_e32 v40, v16, v39
	v_fma_f32 v16, v29, s95, -v16
	v_fmac_f32_e32 v16, 0xb2a5705f, v29
	v_add_f32_e32 v16, v40, v16
	v_exp_f32_e32 v16, v16
	v_cvt_i32_f32_e32 v39, v39
	v_cmp_nlt_f32_e32 vcc, s96, v38
	s_add_u32 s42, s42, 0x400
	s_addc_u32 s43, s43, 0
	v_cndmask_b32_e32 v14, 0, v14, vcc
	v_cmp_ngt_f32_e32 vcc, s97, v38
	v_ldexp_f32 v16, v16, v39
	s_add_u32 s46, s46, 0x400
	v_cndmask_b32_e32 v14, v59, v14, vcc
	v_pk_add_f32 v[14:15], v[14:15], 1.0 op_sel_hi:[1,0]
	v_cmp_nlt_f32_e32 vcc, s96, v29
	v_div_scale_f32 v39, s[2:3], v15, v15, v18
	v_rcp_f32_e32 v40, v39
	v_cndmask_b32_e32 v16, 0, v16, vcc
	v_cmp_ngt_f32_e32 vcc, s97, v29
	s_addc_u32 s47, s47, 0
	v_fma_f32 v41, -v39, v40, 1.0
	v_cndmask_b32_e32 v16, v59, v16, vcc
	v_fmac_f32_e32 v40, v41, v40
	v_div_scale_f32 v41, vcc, v18, v15, v18
	v_mul_f32_e32 v42, v41, v40
	v_fma_f32 v43, -v39, v42, v41
	v_fmac_f32_e32 v42, v43, v40
	v_fma_f32 v39, -v39, v42, v41
	v_div_scale_f32 v41, s[2:3], v14, v14, v38
	v_rcp_f32_e32 v43, v41
	v_div_fmas_f32 v39, v39, v40, v42
	v_div_fixup_f32 v15, v39, v15, v18
	v_pk_add_f32 v[16:17], v[16:17], 1.0 op_sel_hi:[1,0]
	v_fma_f32 v18, -v41, v43, 1.0
	v_fmac_f32_e32 v43, v18, v43
	v_div_scale_f32 v18, vcc, v38, v14, v38
	v_mul_f32_e32 v39, v18, v43
	v_fma_f32 v40, -v41, v39, v18
	v_fmac_f32_e32 v39, v40, v43
	v_div_scale_f32 v40, s[2:3], v17, v17, v19
	v_fma_f32 v18, -v41, v39, v18
	v_rcp_f32_e32 v41, v40
	v_div_fmas_f32 v18, v18, v43, v39
	v_div_fixup_f32 v14, v18, v14, v38
	v_pk_mul_f32 v[14:15], v[36:37], v[14:15]
	v_fma_f32 v18, -v40, v41, 1.0
	v_fmac_f32_e32 v41, v18, v41
	v_div_scale_f32 v18, vcc, v19, v17, v19
	v_mul_f32_e32 v38, v18, v41
	v_fma_f32 v39, -v40, v38, v18
	v_fmac_f32_e32 v38, v39, v41
	v_div_scale_f32 v39, s[2:3], v16, v16, v29
	v_fma_f32 v18, -v40, v38, v18
	v_rcp_f32_e32 v40, v39
	v_div_fmas_f32 v18, v18, v41, v38
	v_div_fixup_f32 v17, v18, v17, v19
	v_and_b32_e32 v36, 0xffff0000, v11
	v_fma_f32 v18, -v39, v40, 1.0
	v_fmac_f32_e32 v40, v18, v40
	v_div_scale_f32 v18, vcc, v29, v16, v29
	v_mul_f32_e32 v19, v18, v40
	v_fma_f32 v38, -v39, v19, v18
	v_fmac_f32_e32 v19, v38, v40
	v_fma_f32 v18, -v39, v19, v18
	v_div_fmas_f32 v18, v18, v40, v19
	v_div_fixup_f32 v16, v18, v16, v29
	v_pk_mul_f32 v[16:17], v[34:35], v[16:17]
	v_bfe_u32 v29, v14, 16, 1
	v_bfe_u32 v18, v16, 16, 1
	;; [unrolled: 1-line block ×3, first 2 shown]
	v_add3_u32 v18, v16, v18, s93
	v_add3_u32 v19, v17, v19, s93
	v_lshrrev_b32_e32 v18, 16, v18
	v_cmp_o_f32_e32 vcc, v16, v16
	v_add3_u32 v29, v14, v29, s93
	v_lshrrev_b32_e32 v19, 16, v19
	v_cndmask_b32_e32 v18, v63, v18, vcc
	v_cmp_o_f32_e32 vcc, v17, v17
	v_and_b32_e32 v35, 0xffff0000, v10
	v_bfe_u32 v34, v15, 16, 1
	v_lshrrev_b32_e32 v29, 16, v29
	v_cndmask_b32_e32 v19, v63, v19, vcc
	v_cmp_o_f32_e32 vcc, v14, v14
	v_mul_f32_e32 v14, 0xbfb8aa3b, v35
	v_add3_u32 v34, v15, v34, s93
	v_cndmask_b32_e32 v29, v63, v29, vcc
	v_cmp_o_f32_e32 vcc, v15, v15
	v_fma_f32 v15, v35, s95, -v14
	v_rndne_f32_e32 v16, v14
	v_fmac_f32_e32 v15, 0xb2a5705f, v35
	v_sub_f32_e32 v14, v14, v16
	v_add_f32_e32 v14, v14, v15
	v_exp_f32_e32 v14, v14
	v_cvt_i32_f32_e32 v15, v16
	v_lshrrev_b32_e32 v34, 16, v34
	v_cndmask_b32_e32 v34, v63, v34, vcc
	v_cmp_nlt_f32_e32 vcc, s96, v35
	v_ldexp_f32 v14, v14, v15
	v_mul_f32_e32 v15, 0xbfb8aa3b, v36
	v_fma_f32 v16, v36, s95, -v15
	v_rndne_f32_e32 v17, v15
	v_fmac_f32_e32 v16, 0xb2a5705f, v36
	v_sub_f32_e32 v15, v15, v17
	v_add_f32_e32 v15, v15, v16
	v_exp_f32_e32 v16, v15
	v_cvt_i32_f32_e32 v17, v17
	v_lshlrev_b32_e32 v38, 16, v10
	v_cndmask_b32_e32 v14, 0, v14, vcc
	v_cmp_ngt_f32_e32 vcc, s97, v35
	v_lshlrev_b32_e32 v37, 16, v11
	s_add_i32 s98, s98, 1
	v_cndmask_b32_e32 v15, v59, v14, vcc
	v_ldexp_f32 v14, v16, v17
	v_mul_f32_e32 v16, 0xbfb8aa3b, v38
	v_rndne_f32_e32 v17, v16
	v_sub_f32_e32 v39, v16, v17
	v_fma_f32 v16, v38, s95, -v16
	v_fmac_f32_e32 v16, 0xb2a5705f, v38
	v_add_f32_e32 v16, v39, v16
	v_exp_f32_e32 v16, v16
	v_cvt_i32_f32_e32 v39, v17
	v_cmp_nlt_f32_e32 vcc, s96, v36
	s_cmp_eq_u32 s98, s81
	s_nop 0
	v_cndmask_b32_e32 v14, 0, v14, vcc
	v_cmp_ngt_f32_e32 vcc, s97, v36
	; wave barrier
	s_nop 1
	v_cndmask_b32_e32 v17, v59, v14, vcc
	v_ldexp_f32 v14, v16, v39
	v_mul_f32_e32 v16, 0xbfb8aa3b, v37
	v_rndne_f32_e32 v39, v16
	v_sub_f32_e32 v40, v16, v39
	v_fma_f32 v16, v37, s95, -v16
	v_fmac_f32_e32 v16, 0xb2a5705f, v37
	v_add_f32_e32 v16, v40, v16
	v_exp_f32_e32 v16, v16
	v_cvt_i32_f32_e32 v39, v39
	v_cmp_nlt_f32_e32 vcc, s96, v38
	v_ldexp_f32 v16, v16, v39
	s_nop 0
	v_cndmask_b32_e32 v14, 0, v14, vcc
	v_cmp_ngt_f32_e32 vcc, s97, v38
	s_nop 1
	v_cndmask_b32_e32 v14, v59, v14, vcc
	v_pk_add_f32 v[14:15], v[14:15], 1.0 op_sel_hi:[1,0]
	v_cmp_nlt_f32_e32 vcc, s96, v37
	v_div_scale_f32 v39, s[2:3], v15, v15, v35
	v_rcp_f32_e32 v40, v39
	v_cndmask_b32_e32 v16, 0, v16, vcc
	v_cmp_ngt_f32_e32 vcc, s97, v37
	v_fma_f32 v41, -v39, v40, 1.0
	s_nop 0
	v_cndmask_b32_e32 v16, v59, v16, vcc
	v_fmac_f32_e32 v40, v41, v40
	v_div_scale_f32 v41, vcc, v35, v15, v35
	v_mul_f32_e32 v42, v41, v40
	v_fma_f32 v43, -v39, v42, v41
	v_fmac_f32_e32 v42, v43, v40
	v_fma_f32 v39, -v39, v42, v41
	v_div_scale_f32 v41, s[2:3], v14, v14, v38
	v_rcp_f32_e32 v43, v41
	v_div_fmas_f32 v39, v39, v40, v42
	v_div_fixup_f32 v15, v39, v15, v35
	v_pk_add_f32 v[16:17], v[16:17], 1.0 op_sel_hi:[1,0]
	v_fma_f32 v35, -v41, v43, 1.0
	v_fmac_f32_e32 v43, v35, v43
	v_div_scale_f32 v35, vcc, v38, v14, v38
	v_mul_f32_e32 v39, v35, v43
	v_fma_f32 v40, -v41, v39, v35
	v_fmac_f32_e32 v39, v40, v43
	v_div_scale_f32 v40, s[2:3], v17, v17, v36
	v_fma_f32 v35, -v41, v39, v35
	v_rcp_f32_e32 v41, v40
	v_div_fmas_f32 v35, v35, v43, v39
	v_div_fixup_f32 v14, v35, v14, v38
	v_pk_mul_f32 v[14:15], v[30:31], v[14:15]
	v_fma_f32 v35, -v40, v41, 1.0
	v_fmac_f32_e32 v41, v35, v41
	v_div_scale_f32 v35, vcc, v36, v17, v36
	v_mul_f32_e32 v38, v35, v41
	v_fma_f32 v39, -v40, v38, v35
	v_fmac_f32_e32 v38, v39, v41
	v_div_scale_f32 v39, s[2:3], v16, v16, v37
	v_fma_f32 v35, -v40, v38, v35
	v_rcp_f32_e32 v40, v39
	v_div_fmas_f32 v35, v35, v41, v38
	v_div_fixup_f32 v17, v35, v17, v36
	v_fma_f32 v35, -v39, v40, 1.0
	v_fmac_f32_e32 v40, v35, v40
	v_div_scale_f32 v35, vcc, v37, v16, v37
	v_mul_f32_e32 v36, v35, v40
	v_fma_f32 v38, -v39, v36, v35
	v_fmac_f32_e32 v36, v38, v40
	v_fma_f32 v35, -v39, v36, v35
	v_div_fmas_f32 v35, v35, v40, v36
	v_div_fixup_f32 v16, v35, v16, v37
	v_pk_mul_f32 v[16:17], v[32:33], v[16:17]
	v_bfe_u32 v32, v14, 16, 1
	v_bfe_u32 v30, v16, 16, 1
	;; [unrolled: 1-line block ×3, first 2 shown]
	v_add3_u32 v30, v16, v30, s93
	v_add3_u32 v31, v17, v31, s93
	v_lshrrev_b32_e32 v30, 16, v30
	v_cmp_o_f32_e32 vcc, v16, v16
	v_bfe_u32 v33, v15, 16, 1
	v_add3_u32 v32, v14, v32, s93
	v_lshrrev_b32_e32 v31, 16, v31
	v_cndmask_b32_e32 v30, v63, v30, vcc
	v_cmp_o_f32_e32 vcc, v17, v17
	v_add3_u32 v33, v15, v33, s93
	v_lshrrev_b32_e32 v32, 16, v32
	v_cndmask_b32_e32 v17, v63, v31, vcc
	v_cmp_o_f32_e32 vcc, v14, v14
	v_lshrrev_b32_e32 v33, 16, v33
	v_perm_b32 v17, v17, v30, s94
	v_cndmask_b32_e32 v14, v63, v32, vcc
	v_cmp_o_f32_e32 vcc, v15, v15
	s_nop 1
	v_cndmask_b32_e32 v15, v63, v33, vcc
	v_perm_b32 v16, v15, v14, s94
	v_perm_b32 v14, v34, v29, s94
	;; [unrolled: 1-line block ×3, first 2 shown]
	global_store_dwordx4 v[12:13], v[14:17], off
	s_cbranch_scc1 .LBB41_60
.LBB41_12:                              ; =>This Loop Header: Depth=1
                                        ;     Child Loop BB41_33 Depth 2
	s_waitcnt lgkmcnt(0)
	; wave barrier
	s_and_saveexec_b64 s[2:3], s[0:1]
	s_cbranch_execz .LBB41_14
; %bb.13:                               ;   in Loop: Header=BB41_12 Depth=1
	global_load_dwordx4 v[0:3], v20, s[50:51]
	global_load_dwordx4 v[4:7], v20, s[52:53]
	s_waitcnt vmcnt(1)
	v_lshrrev_b32_e32 v64, 16, v0
	v_lshrrev_b32_e32 v67, 16, v1
	;; [unrolled: 1-line block ×4, first 2 shown]
	s_waitcnt vmcnt(0)
	v_lshrrev_b32_e32 v65, 16, v4
	v_lshrrev_b32_e32 v66, 16, v5
	;; [unrolled: 1-line block ×4, first 2 shown]
.LBB41_14:                              ;   in Loop: Header=BB41_12 Depth=1
	s_or_b64 exec, exec, s[2:3]
	v_lshlrev_b32_e32 v12, 16, v4
	v_add_f32_e32 v72, s33, v12
	v_cmp_ge_f32_e32 vcc, s83, v72
	s_and_b64 s[2:3], s[60:61], vcc
	s_and_saveexec_b64 s[6:7], s[2:3]
	s_cbranch_execz .LBB41_16
; %bb.15:                               ;   in Loop: Header=BB41_12 Depth=1
	v_mul_f32_e32 v12, 0x3fb8aa3b, v72
	v_rndne_f32_e32 v13, v12
	v_sub_f32_e32 v14, v12, v13
	v_fma_f32 v12, v72, s84, -v12
	v_fmac_f32_e32 v12, 0x32a5705f, v72
	v_add_f32_e32 v12, v14, v12
	v_cvt_i32_f32_e32 v13, v13
	v_exp_f32_e32 v12, v12
	v_cmp_ngt_f32_e32 vcc, s85, v72
	v_ldexp_f32 v12, v12, v13
	s_nop 0
	v_cndmask_b32_e32 v12, 0, v12, vcc
	v_cmp_nlt_f32_e32 vcc, s86, v72
	s_nop 1
	v_cndmask_b32_e32 v38, v59, v12, vcc
	v_add_f32_e32 v14, 1.0, v38
	v_add_f32_e32 v12, -1.0, v14
	v_sub_f32_e32 v13, v12, v14
	v_add_f32_e32 v13, 1.0, v13
	v_sub_f32_e32 v12, v38, v12
	v_add_f32_e32 v15, v12, v13
	v_frexp_mant_f32_e32 v16, v14
	v_cvt_f64_f32_e32 v[12:13], v14
	v_frexp_exp_i32_f64_e32 v12, v[12:13]
	v_cmp_gt_f32_e32 vcc, s88, v16
	v_cmp_gt_f32_e64 s[2:3], s90, v38
	s_nop 0
	v_subbrev_co_u32_e32 v30, vcc, 0, v12, vcc
	v_sub_u32_e32 v12, 0, v30
	v_ldexp_f32 v13, v14, v12
	v_add_f32_e32 v14, -1.0, v13
	v_add_f32_e32 v16, 1.0, v13
	v_ldexp_f32 v12, v15, v12
	v_add_f32_e32 v15, 1.0, v14
	v_add_f32_e32 v17, -1.0, v16
	v_sub_f32_e32 v15, v13, v15
	v_sub_f32_e32 v13, v13, v17
	v_add_f32_e32 v15, v12, v15
	v_add_f32_e32 v12, v12, v13
	;; [unrolled: 1-line block ×3, first 2 shown]
	v_rcp_f32_e32 v32, v29
	v_sub_f32_e32 v13, v16, v29
	v_add_f32_e32 v31, v12, v13
	v_add_f32_e32 v13, v14, v15
	v_mul_f32_e32 v34, v13, v32
	v_sub_f32_e32 v12, v14, v13
	v_mul_f32_e32 v14, v29, v34
	v_fma_f32 v16, v34, v29, -v14
	v_fmac_f32_e32 v16, v34, v31
	v_add_f32_e32 v33, v15, v12
	v_add_f32_e32 v12, v14, v16
	v_sub_f32_e32 v15, v13, v12
	v_pk_add_f32 v[18:19], v[12:13], v[14:15] neg_lo:[0,1] neg_hi:[0,1]
	v_mov_b32_e32 v17, v12
	v_pk_add_f32 v[12:13], v[18:19], v[16:17] neg_lo:[0,1] neg_hi:[0,1]
	v_cmp_eq_f32_e32 vcc, s87, v38
	v_add_f32_e32 v13, v33, v13
	v_add_f32_e32 v12, v12, v13
	;; [unrolled: 1-line block ×3, first 2 shown]
	v_mul_f32_e32 v33, v32, v13
	v_mul_f32_e32 v14, v29, v33
	v_fma_f32 v16, v33, v29, -v14
	v_fmac_f32_e32 v16, v33, v31
	v_sub_f32_e32 v15, v15, v13
	v_add_f32_e32 v29, v12, v15
	v_add_f32_e32 v12, v14, v16
	v_sub_f32_e32 v15, v13, v12
	v_pk_add_f32 v[18:19], v[12:13], v[14:15] neg_lo:[0,1] neg_hi:[0,1]
	v_mov_b32_e32 v17, v12
	v_pk_add_f32 v[12:13], v[18:19], v[16:17] neg_lo:[0,1] neg_hi:[0,1]
	s_or_b64 vcc, s[2:3], vcc
	v_add_f32_e32 v13, v29, v13
	v_add_f32_e32 v12, v12, v13
	;; [unrolled: 1-line block ×4, first 2 shown]
	v_sub_f32_e32 v14, v13, v34
	v_mul_f32_e32 v12, v32, v12
	v_sub_f32_e32 v14, v33, v14
	v_add_f32_e32 v14, v14, v12
	v_add_f32_e32 v16, v13, v14
	v_mul_f32_e32 v17, v16, v16
	v_fmamk_f32 v12, v17, 0x3e9b6dac, v58
	v_fmaak_f32 v29, v17, v12, 0x3f2aaada
	v_cvt_f32_i32_e32 v12, v30
	v_sub_f32_e32 v13, v16, v13
	v_sub_f32_e32 v13, v14, v13
	v_ldexp_f32 v18, v13, 1
	v_mul_f32_e32 v13, v16, v17
	v_ldexp_f32 v15, v16, 1
	v_pk_mul_f32 v[16:17], v[12:13], v[28:29]
	s_nop 0
	v_fma_f32 v14, v12, s89, -v16
	v_fmac_f32_e32 v14, 0xb102e308, v12
	v_pk_add_f32 v[12:13], v[16:17], v[14:15]
	s_nop 0
	v_sub_f32_e32 v15, v13, v15
	v_sub_f32_e32 v15, v17, v15
	v_add_f32_e32 v19, v18, v15
	v_mov_b32_e32 v18, v16
	v_pk_add_f32 v[16:17], v[12:13], v[16:17] neg_lo:[0,1] neg_hi:[0,1]
	v_pk_add_f32 v[30:31], v[12:13], v[18:19]
	v_mov_b32_e32 v15, v12
	v_mov_b32_e32 v17, v31
	v_pk_add_f32 v[32:33], v[14:15], v[16:17] neg_lo:[0,1] neg_hi:[0,1]
	v_pk_add_f32 v[14:15], v[14:15], v[16:17]
	v_mov_b32_e32 v18, v19
	v_mov_b32_e32 v16, v15
	v_pk_add_f32 v[34:35], v[16:17], v[12:13] neg_lo:[0,1] neg_hi:[0,1]
	v_mov_b32_e32 v14, v31
	v_mov_b32_e32 v17, v34
	v_pk_add_f32 v[36:37], v[30:31], v[16:17] neg_lo:[0,1] neg_hi:[0,1]
	v_mov_b32_e32 v30, v13
	v_mov_b32_e32 v31, v34
	;; [unrolled: 1-line block ×3, first 2 shown]
	v_pk_add_f32 v[14:15], v[14:15], v[30:31] neg_lo:[0,1] neg_hi:[0,1]
	v_mov_b32_e32 v19, v12
	v_pk_add_f32 v[12:13], v[18:19], v[14:15] neg_lo:[0,1] neg_hi:[0,1]
	v_mov_b32_e32 v36, v32
	v_pk_add_f32 v[14:15], v[36:37], v[12:13]
	s_nop 0
	v_mov_b32_e32 v18, v15
	v_pk_add_f32 v[18:19], v[14:15], v[18:19]
	s_nop 0
	v_pk_add_f32 v[16:17], v[16:17], v[18:19]
	v_mov_b32_e32 v13, v18
	v_mov_b32_e32 v15, v16
	v_pk_add_f32 v[30:31], v[14:15], v[32:33] neg_lo:[0,1] neg_hi:[0,1]
	s_nop 0
	v_sub_f32_e32 v14, v14, v30
	v_pk_add_f32 v[12:13], v[12:13], v[30:31] neg_lo:[0,1] neg_hi:[0,1]
	v_sub_f32_e32 v14, v32, v14
	v_add_f32_e32 v12, v12, v14
	v_add_f32_e32 v12, v12, v13
	;; [unrolled: 1-line block ×3, first 2 shown]
	v_cndmask_b32_e32 v72, v12, v38, vcc
.LBB41_16:                              ;   in Loop: Header=BB41_12 Depth=1
	s_or_b64 exec, exec, s[6:7]
	v_lshlrev_b32_e32 v12, 16, v65
	v_add_f32_e32 v73, s33, v12
	v_cmp_ge_f32_e32 vcc, s83, v73
	s_and_b64 s[2:3], s[60:61], vcc
	s_and_saveexec_b64 s[6:7], s[2:3]
	s_cbranch_execz .LBB41_18
; %bb.17:                               ;   in Loop: Header=BB41_12 Depth=1
	v_mul_f32_e32 v12, 0x3fb8aa3b, v73
	v_rndne_f32_e32 v13, v12
	v_sub_f32_e32 v14, v12, v13
	v_fma_f32 v12, v73, s84, -v12
	v_fmac_f32_e32 v12, 0x32a5705f, v73
	v_add_f32_e32 v12, v14, v12
	v_cvt_i32_f32_e32 v13, v13
	v_exp_f32_e32 v12, v12
	v_cmp_ngt_f32_e32 vcc, s85, v73
	v_ldexp_f32 v12, v12, v13
	s_nop 0
	v_cndmask_b32_e32 v12, 0, v12, vcc
	v_cmp_nlt_f32_e32 vcc, s86, v73
	s_nop 1
	v_cndmask_b32_e32 v38, v59, v12, vcc
	v_add_f32_e32 v14, 1.0, v38
	v_add_f32_e32 v12, -1.0, v14
	v_sub_f32_e32 v13, v12, v14
	v_add_f32_e32 v13, 1.0, v13
	v_sub_f32_e32 v12, v38, v12
	v_add_f32_e32 v15, v12, v13
	v_frexp_mant_f32_e32 v16, v14
	v_cvt_f64_f32_e32 v[12:13], v14
	v_frexp_exp_i32_f64_e32 v12, v[12:13]
	v_cmp_gt_f32_e32 vcc, s88, v16
	v_cmp_gt_f32_e64 s[2:3], s90, v38
	s_nop 0
	v_subbrev_co_u32_e32 v30, vcc, 0, v12, vcc
	v_sub_u32_e32 v12, 0, v30
	v_ldexp_f32 v13, v14, v12
	v_add_f32_e32 v14, -1.0, v13
	v_add_f32_e32 v16, 1.0, v13
	v_ldexp_f32 v12, v15, v12
	v_add_f32_e32 v15, 1.0, v14
	v_add_f32_e32 v17, -1.0, v16
	v_sub_f32_e32 v15, v13, v15
	v_sub_f32_e32 v13, v13, v17
	v_add_f32_e32 v15, v12, v15
	v_add_f32_e32 v12, v12, v13
	;; [unrolled: 1-line block ×3, first 2 shown]
	v_rcp_f32_e32 v32, v29
	v_sub_f32_e32 v13, v16, v29
	v_add_f32_e32 v31, v12, v13
	v_add_f32_e32 v13, v14, v15
	v_mul_f32_e32 v34, v13, v32
	v_sub_f32_e32 v12, v14, v13
	v_mul_f32_e32 v14, v29, v34
	v_fma_f32 v16, v34, v29, -v14
	v_fmac_f32_e32 v16, v34, v31
	v_add_f32_e32 v33, v15, v12
	v_add_f32_e32 v12, v14, v16
	v_sub_f32_e32 v15, v13, v12
	v_pk_add_f32 v[18:19], v[12:13], v[14:15] neg_lo:[0,1] neg_hi:[0,1]
	v_mov_b32_e32 v17, v12
	v_pk_add_f32 v[12:13], v[18:19], v[16:17] neg_lo:[0,1] neg_hi:[0,1]
	v_cmp_eq_f32_e32 vcc, s87, v38
	v_add_f32_e32 v13, v33, v13
	v_add_f32_e32 v12, v12, v13
	;; [unrolled: 1-line block ×3, first 2 shown]
	v_mul_f32_e32 v33, v32, v13
	v_mul_f32_e32 v14, v29, v33
	v_fma_f32 v16, v33, v29, -v14
	v_fmac_f32_e32 v16, v33, v31
	v_sub_f32_e32 v15, v15, v13
	v_add_f32_e32 v29, v12, v15
	v_add_f32_e32 v12, v14, v16
	v_sub_f32_e32 v15, v13, v12
	v_pk_add_f32 v[18:19], v[12:13], v[14:15] neg_lo:[0,1] neg_hi:[0,1]
	v_mov_b32_e32 v17, v12
	v_pk_add_f32 v[12:13], v[18:19], v[16:17] neg_lo:[0,1] neg_hi:[0,1]
	s_or_b64 vcc, s[2:3], vcc
	v_add_f32_e32 v13, v29, v13
	v_add_f32_e32 v12, v12, v13
	v_add_f32_e32 v13, v34, v33
	v_add_f32_e32 v12, v15, v12
	v_sub_f32_e32 v14, v13, v34
	v_mul_f32_e32 v12, v32, v12
	v_sub_f32_e32 v14, v33, v14
	v_add_f32_e32 v14, v14, v12
	v_add_f32_e32 v16, v13, v14
	v_mul_f32_e32 v17, v16, v16
	v_fmamk_f32 v12, v17, 0x3e9b6dac, v58
	v_fmaak_f32 v29, v17, v12, 0x3f2aaada
	v_cvt_f32_i32_e32 v12, v30
	v_sub_f32_e32 v13, v16, v13
	v_sub_f32_e32 v13, v14, v13
	v_ldexp_f32 v18, v13, 1
	v_mul_f32_e32 v13, v16, v17
	v_ldexp_f32 v15, v16, 1
	v_pk_mul_f32 v[16:17], v[12:13], v[28:29]
	s_nop 0
	v_fma_f32 v14, v12, s89, -v16
	v_fmac_f32_e32 v14, 0xb102e308, v12
	v_pk_add_f32 v[12:13], v[16:17], v[14:15]
	s_nop 0
	v_sub_f32_e32 v15, v13, v15
	v_sub_f32_e32 v15, v17, v15
	v_add_f32_e32 v19, v18, v15
	v_mov_b32_e32 v18, v16
	v_pk_add_f32 v[16:17], v[12:13], v[16:17] neg_lo:[0,1] neg_hi:[0,1]
	v_pk_add_f32 v[30:31], v[12:13], v[18:19]
	v_mov_b32_e32 v15, v12
	v_mov_b32_e32 v17, v31
	v_pk_add_f32 v[32:33], v[14:15], v[16:17] neg_lo:[0,1] neg_hi:[0,1]
	v_pk_add_f32 v[14:15], v[14:15], v[16:17]
	v_mov_b32_e32 v18, v19
	v_mov_b32_e32 v16, v15
	v_pk_add_f32 v[34:35], v[16:17], v[12:13] neg_lo:[0,1] neg_hi:[0,1]
	v_mov_b32_e32 v14, v31
	v_mov_b32_e32 v17, v34
	v_pk_add_f32 v[36:37], v[30:31], v[16:17] neg_lo:[0,1] neg_hi:[0,1]
	v_mov_b32_e32 v30, v13
	v_mov_b32_e32 v31, v34
	;; [unrolled: 1-line block ×3, first 2 shown]
	v_pk_add_f32 v[14:15], v[14:15], v[30:31] neg_lo:[0,1] neg_hi:[0,1]
	v_mov_b32_e32 v19, v12
	v_pk_add_f32 v[12:13], v[18:19], v[14:15] neg_lo:[0,1] neg_hi:[0,1]
	v_mov_b32_e32 v36, v32
	v_pk_add_f32 v[14:15], v[36:37], v[12:13]
	s_nop 0
	v_mov_b32_e32 v18, v15
	v_pk_add_f32 v[18:19], v[14:15], v[18:19]
	s_nop 0
	v_pk_add_f32 v[16:17], v[16:17], v[18:19]
	v_mov_b32_e32 v13, v18
	v_mov_b32_e32 v15, v16
	v_pk_add_f32 v[30:31], v[14:15], v[32:33] neg_lo:[0,1] neg_hi:[0,1]
	s_nop 0
	v_sub_f32_e32 v14, v14, v30
	v_pk_add_f32 v[12:13], v[12:13], v[30:31] neg_lo:[0,1] neg_hi:[0,1]
	v_sub_f32_e32 v14, v32, v14
	v_add_f32_e32 v12, v12, v14
	v_add_f32_e32 v12, v12, v13
	;; [unrolled: 1-line block ×3, first 2 shown]
	v_cndmask_b32_e32 v73, v12, v38, vcc
.LBB41_18:                              ;   in Loop: Header=BB41_12 Depth=1
	s_or_b64 exec, exec, s[6:7]
	v_lshlrev_b32_e32 v12, 16, v5
	v_add_f32_e32 v74, s33, v12
	v_cmp_ge_f32_e32 vcc, s83, v74
	s_and_b64 s[2:3], s[60:61], vcc
	s_and_saveexec_b64 s[6:7], s[2:3]
	s_cbranch_execz .LBB41_20
; %bb.19:                               ;   in Loop: Header=BB41_12 Depth=1
	v_mul_f32_e32 v12, 0x3fb8aa3b, v74
	v_rndne_f32_e32 v13, v12
	v_sub_f32_e32 v14, v12, v13
	v_fma_f32 v12, v74, s84, -v12
	v_fmac_f32_e32 v12, 0x32a5705f, v74
	v_add_f32_e32 v12, v14, v12
	v_cvt_i32_f32_e32 v13, v13
	v_exp_f32_e32 v12, v12
	v_cmp_ngt_f32_e32 vcc, s85, v74
	v_ldexp_f32 v12, v12, v13
	s_nop 0
	v_cndmask_b32_e32 v12, 0, v12, vcc
	v_cmp_nlt_f32_e32 vcc, s86, v74
	s_nop 1
	v_cndmask_b32_e32 v38, v59, v12, vcc
	v_add_f32_e32 v14, 1.0, v38
	v_add_f32_e32 v12, -1.0, v14
	v_sub_f32_e32 v13, v12, v14
	v_add_f32_e32 v13, 1.0, v13
	v_sub_f32_e32 v12, v38, v12
	v_add_f32_e32 v15, v12, v13
	v_frexp_mant_f32_e32 v16, v14
	v_cvt_f64_f32_e32 v[12:13], v14
	v_frexp_exp_i32_f64_e32 v12, v[12:13]
	v_cmp_gt_f32_e32 vcc, s88, v16
	v_cmp_gt_f32_e64 s[2:3], s90, v38
	s_nop 0
	v_subbrev_co_u32_e32 v30, vcc, 0, v12, vcc
	v_sub_u32_e32 v12, 0, v30
	v_ldexp_f32 v13, v14, v12
	v_add_f32_e32 v14, -1.0, v13
	v_add_f32_e32 v16, 1.0, v13
	v_ldexp_f32 v12, v15, v12
	v_add_f32_e32 v15, 1.0, v14
	v_add_f32_e32 v17, -1.0, v16
	v_sub_f32_e32 v15, v13, v15
	v_sub_f32_e32 v13, v13, v17
	v_add_f32_e32 v15, v12, v15
	v_add_f32_e32 v12, v12, v13
	;; [unrolled: 1-line block ×3, first 2 shown]
	v_rcp_f32_e32 v32, v29
	v_sub_f32_e32 v13, v16, v29
	v_add_f32_e32 v31, v12, v13
	v_add_f32_e32 v13, v14, v15
	v_mul_f32_e32 v34, v13, v32
	v_sub_f32_e32 v12, v14, v13
	v_mul_f32_e32 v14, v29, v34
	v_fma_f32 v16, v34, v29, -v14
	v_fmac_f32_e32 v16, v34, v31
	v_add_f32_e32 v33, v15, v12
	v_add_f32_e32 v12, v14, v16
	v_sub_f32_e32 v15, v13, v12
	v_pk_add_f32 v[18:19], v[12:13], v[14:15] neg_lo:[0,1] neg_hi:[0,1]
	v_mov_b32_e32 v17, v12
	v_pk_add_f32 v[12:13], v[18:19], v[16:17] neg_lo:[0,1] neg_hi:[0,1]
	v_cmp_eq_f32_e32 vcc, s87, v38
	v_add_f32_e32 v13, v33, v13
	v_add_f32_e32 v12, v12, v13
	;; [unrolled: 1-line block ×3, first 2 shown]
	v_mul_f32_e32 v33, v32, v13
	v_mul_f32_e32 v14, v29, v33
	v_fma_f32 v16, v33, v29, -v14
	v_fmac_f32_e32 v16, v33, v31
	v_sub_f32_e32 v15, v15, v13
	v_add_f32_e32 v29, v12, v15
	v_add_f32_e32 v12, v14, v16
	v_sub_f32_e32 v15, v13, v12
	v_pk_add_f32 v[18:19], v[12:13], v[14:15] neg_lo:[0,1] neg_hi:[0,1]
	v_mov_b32_e32 v17, v12
	v_pk_add_f32 v[12:13], v[18:19], v[16:17] neg_lo:[0,1] neg_hi:[0,1]
	s_or_b64 vcc, s[2:3], vcc
	v_add_f32_e32 v13, v29, v13
	v_add_f32_e32 v12, v12, v13
	v_add_f32_e32 v13, v34, v33
	v_add_f32_e32 v12, v15, v12
	v_sub_f32_e32 v14, v13, v34
	v_mul_f32_e32 v12, v32, v12
	v_sub_f32_e32 v14, v33, v14
	v_add_f32_e32 v14, v14, v12
	v_add_f32_e32 v16, v13, v14
	v_mul_f32_e32 v17, v16, v16
	v_fmamk_f32 v12, v17, 0x3e9b6dac, v58
	v_fmaak_f32 v29, v17, v12, 0x3f2aaada
	v_cvt_f32_i32_e32 v12, v30
	v_sub_f32_e32 v13, v16, v13
	v_sub_f32_e32 v13, v14, v13
	v_ldexp_f32 v18, v13, 1
	v_mul_f32_e32 v13, v16, v17
	v_ldexp_f32 v15, v16, 1
	v_pk_mul_f32 v[16:17], v[12:13], v[28:29]
	s_nop 0
	v_fma_f32 v14, v12, s89, -v16
	v_fmac_f32_e32 v14, 0xb102e308, v12
	v_pk_add_f32 v[12:13], v[16:17], v[14:15]
	s_nop 0
	v_sub_f32_e32 v15, v13, v15
	v_sub_f32_e32 v15, v17, v15
	v_add_f32_e32 v19, v18, v15
	v_mov_b32_e32 v18, v16
	v_pk_add_f32 v[16:17], v[12:13], v[16:17] neg_lo:[0,1] neg_hi:[0,1]
	v_pk_add_f32 v[30:31], v[12:13], v[18:19]
	v_mov_b32_e32 v15, v12
	v_mov_b32_e32 v17, v31
	v_pk_add_f32 v[32:33], v[14:15], v[16:17] neg_lo:[0,1] neg_hi:[0,1]
	v_pk_add_f32 v[14:15], v[14:15], v[16:17]
	v_mov_b32_e32 v18, v19
	v_mov_b32_e32 v16, v15
	v_pk_add_f32 v[34:35], v[16:17], v[12:13] neg_lo:[0,1] neg_hi:[0,1]
	v_mov_b32_e32 v14, v31
	v_mov_b32_e32 v17, v34
	v_pk_add_f32 v[36:37], v[30:31], v[16:17] neg_lo:[0,1] neg_hi:[0,1]
	v_mov_b32_e32 v30, v13
	v_mov_b32_e32 v31, v34
	;; [unrolled: 1-line block ×3, first 2 shown]
	v_pk_add_f32 v[14:15], v[14:15], v[30:31] neg_lo:[0,1] neg_hi:[0,1]
	v_mov_b32_e32 v19, v12
	v_pk_add_f32 v[12:13], v[18:19], v[14:15] neg_lo:[0,1] neg_hi:[0,1]
	v_mov_b32_e32 v36, v32
	v_pk_add_f32 v[14:15], v[36:37], v[12:13]
	s_nop 0
	v_mov_b32_e32 v18, v15
	v_pk_add_f32 v[18:19], v[14:15], v[18:19]
	s_nop 0
	v_pk_add_f32 v[16:17], v[16:17], v[18:19]
	v_mov_b32_e32 v13, v18
	v_mov_b32_e32 v15, v16
	v_pk_add_f32 v[30:31], v[14:15], v[32:33] neg_lo:[0,1] neg_hi:[0,1]
	s_nop 0
	v_sub_f32_e32 v14, v14, v30
	v_pk_add_f32 v[12:13], v[12:13], v[30:31] neg_lo:[0,1] neg_hi:[0,1]
	v_sub_f32_e32 v14, v32, v14
	v_add_f32_e32 v12, v12, v14
	v_add_f32_e32 v12, v12, v13
	;; [unrolled: 1-line block ×3, first 2 shown]
	v_cndmask_b32_e32 v74, v12, v38, vcc
.LBB41_20:                              ;   in Loop: Header=BB41_12 Depth=1
	s_or_b64 exec, exec, s[6:7]
	v_lshlrev_b32_e32 v12, 16, v66
	v_add_f32_e32 v75, s33, v12
	v_cmp_ge_f32_e32 vcc, s83, v75
	s_and_b64 s[2:3], s[60:61], vcc
	s_and_saveexec_b64 s[6:7], s[2:3]
	s_cbranch_execz .LBB41_22
; %bb.21:                               ;   in Loop: Header=BB41_12 Depth=1
	v_mul_f32_e32 v12, 0x3fb8aa3b, v75
	v_rndne_f32_e32 v13, v12
	v_sub_f32_e32 v14, v12, v13
	v_fma_f32 v12, v75, s84, -v12
	v_fmac_f32_e32 v12, 0x32a5705f, v75
	v_add_f32_e32 v12, v14, v12
	v_cvt_i32_f32_e32 v13, v13
	v_exp_f32_e32 v12, v12
	v_cmp_ngt_f32_e32 vcc, s85, v75
	v_ldexp_f32 v12, v12, v13
	s_nop 0
	v_cndmask_b32_e32 v12, 0, v12, vcc
	v_cmp_nlt_f32_e32 vcc, s86, v75
	s_nop 1
	v_cndmask_b32_e32 v38, v59, v12, vcc
	v_add_f32_e32 v14, 1.0, v38
	v_add_f32_e32 v12, -1.0, v14
	v_sub_f32_e32 v13, v12, v14
	v_add_f32_e32 v13, 1.0, v13
	v_sub_f32_e32 v12, v38, v12
	v_add_f32_e32 v15, v12, v13
	v_frexp_mant_f32_e32 v16, v14
	v_cvt_f64_f32_e32 v[12:13], v14
	v_frexp_exp_i32_f64_e32 v12, v[12:13]
	v_cmp_gt_f32_e32 vcc, s88, v16
	v_cmp_gt_f32_e64 s[2:3], s90, v38
	s_nop 0
	v_subbrev_co_u32_e32 v30, vcc, 0, v12, vcc
	v_sub_u32_e32 v12, 0, v30
	v_ldexp_f32 v13, v14, v12
	v_add_f32_e32 v14, -1.0, v13
	v_add_f32_e32 v16, 1.0, v13
	v_ldexp_f32 v12, v15, v12
	v_add_f32_e32 v15, 1.0, v14
	v_add_f32_e32 v17, -1.0, v16
	v_sub_f32_e32 v15, v13, v15
	v_sub_f32_e32 v13, v13, v17
	v_add_f32_e32 v15, v12, v15
	v_add_f32_e32 v12, v12, v13
	;; [unrolled: 1-line block ×3, first 2 shown]
	v_rcp_f32_e32 v32, v29
	v_sub_f32_e32 v13, v16, v29
	v_add_f32_e32 v31, v12, v13
	v_add_f32_e32 v13, v14, v15
	v_mul_f32_e32 v34, v13, v32
	v_sub_f32_e32 v12, v14, v13
	v_mul_f32_e32 v14, v29, v34
	v_fma_f32 v16, v34, v29, -v14
	v_fmac_f32_e32 v16, v34, v31
	v_add_f32_e32 v33, v15, v12
	v_add_f32_e32 v12, v14, v16
	v_sub_f32_e32 v15, v13, v12
	v_pk_add_f32 v[18:19], v[12:13], v[14:15] neg_lo:[0,1] neg_hi:[0,1]
	v_mov_b32_e32 v17, v12
	v_pk_add_f32 v[12:13], v[18:19], v[16:17] neg_lo:[0,1] neg_hi:[0,1]
	v_cmp_eq_f32_e32 vcc, s87, v38
	v_add_f32_e32 v13, v33, v13
	v_add_f32_e32 v12, v12, v13
	;; [unrolled: 1-line block ×3, first 2 shown]
	v_mul_f32_e32 v33, v32, v13
	v_mul_f32_e32 v14, v29, v33
	v_fma_f32 v16, v33, v29, -v14
	v_fmac_f32_e32 v16, v33, v31
	v_sub_f32_e32 v15, v15, v13
	v_add_f32_e32 v29, v12, v15
	v_add_f32_e32 v12, v14, v16
	v_sub_f32_e32 v15, v13, v12
	v_pk_add_f32 v[18:19], v[12:13], v[14:15] neg_lo:[0,1] neg_hi:[0,1]
	v_mov_b32_e32 v17, v12
	v_pk_add_f32 v[12:13], v[18:19], v[16:17] neg_lo:[0,1] neg_hi:[0,1]
	s_or_b64 vcc, s[2:3], vcc
	v_add_f32_e32 v13, v29, v13
	v_add_f32_e32 v12, v12, v13
	;; [unrolled: 1-line block ×4, first 2 shown]
	v_sub_f32_e32 v14, v13, v34
	v_mul_f32_e32 v12, v32, v12
	v_sub_f32_e32 v14, v33, v14
	v_add_f32_e32 v14, v14, v12
	v_add_f32_e32 v16, v13, v14
	v_mul_f32_e32 v17, v16, v16
	v_fmamk_f32 v12, v17, 0x3e9b6dac, v58
	v_fmaak_f32 v29, v17, v12, 0x3f2aaada
	v_cvt_f32_i32_e32 v12, v30
	v_sub_f32_e32 v13, v16, v13
	v_sub_f32_e32 v13, v14, v13
	v_ldexp_f32 v18, v13, 1
	v_mul_f32_e32 v13, v16, v17
	v_ldexp_f32 v15, v16, 1
	v_pk_mul_f32 v[16:17], v[12:13], v[28:29]
	s_nop 0
	v_fma_f32 v14, v12, s89, -v16
	v_fmac_f32_e32 v14, 0xb102e308, v12
	v_pk_add_f32 v[12:13], v[16:17], v[14:15]
	s_nop 0
	v_sub_f32_e32 v15, v13, v15
	v_sub_f32_e32 v15, v17, v15
	v_add_f32_e32 v19, v18, v15
	v_mov_b32_e32 v18, v16
	v_pk_add_f32 v[16:17], v[12:13], v[16:17] neg_lo:[0,1] neg_hi:[0,1]
	v_pk_add_f32 v[30:31], v[12:13], v[18:19]
	v_mov_b32_e32 v15, v12
	v_mov_b32_e32 v17, v31
	v_pk_add_f32 v[32:33], v[14:15], v[16:17] neg_lo:[0,1] neg_hi:[0,1]
	v_pk_add_f32 v[14:15], v[14:15], v[16:17]
	v_mov_b32_e32 v18, v19
	v_mov_b32_e32 v16, v15
	v_pk_add_f32 v[34:35], v[16:17], v[12:13] neg_lo:[0,1] neg_hi:[0,1]
	v_mov_b32_e32 v14, v31
	v_mov_b32_e32 v17, v34
	v_pk_add_f32 v[36:37], v[30:31], v[16:17] neg_lo:[0,1] neg_hi:[0,1]
	v_mov_b32_e32 v30, v13
	v_mov_b32_e32 v31, v34
	;; [unrolled: 1-line block ×3, first 2 shown]
	v_pk_add_f32 v[14:15], v[14:15], v[30:31] neg_lo:[0,1] neg_hi:[0,1]
	v_mov_b32_e32 v19, v12
	v_pk_add_f32 v[12:13], v[18:19], v[14:15] neg_lo:[0,1] neg_hi:[0,1]
	v_mov_b32_e32 v36, v32
	v_pk_add_f32 v[14:15], v[36:37], v[12:13]
	s_nop 0
	v_mov_b32_e32 v18, v15
	v_pk_add_f32 v[18:19], v[14:15], v[18:19]
	s_nop 0
	v_pk_add_f32 v[16:17], v[16:17], v[18:19]
	v_mov_b32_e32 v13, v18
	v_mov_b32_e32 v15, v16
	v_pk_add_f32 v[30:31], v[14:15], v[32:33] neg_lo:[0,1] neg_hi:[0,1]
	s_nop 0
	v_sub_f32_e32 v14, v14, v30
	v_pk_add_f32 v[12:13], v[12:13], v[30:31] neg_lo:[0,1] neg_hi:[0,1]
	v_sub_f32_e32 v14, v32, v14
	v_add_f32_e32 v12, v12, v14
	v_add_f32_e32 v12, v12, v13
	;; [unrolled: 1-line block ×3, first 2 shown]
	v_cndmask_b32_e32 v75, v12, v38, vcc
.LBB41_22:                              ;   in Loop: Header=BB41_12 Depth=1
	s_or_b64 exec, exec, s[6:7]
	v_lshlrev_b32_e32 v12, 16, v6
	v_add_f32_e32 v76, s33, v12
	v_cmp_ge_f32_e32 vcc, s83, v76
	s_and_b64 s[2:3], s[60:61], vcc
	s_and_saveexec_b64 s[6:7], s[2:3]
	s_cbranch_execz .LBB41_24
; %bb.23:                               ;   in Loop: Header=BB41_12 Depth=1
	v_mul_f32_e32 v12, 0x3fb8aa3b, v76
	v_rndne_f32_e32 v13, v12
	v_sub_f32_e32 v14, v12, v13
	v_fma_f32 v12, v76, s84, -v12
	v_fmac_f32_e32 v12, 0x32a5705f, v76
	v_add_f32_e32 v12, v14, v12
	v_cvt_i32_f32_e32 v13, v13
	v_exp_f32_e32 v12, v12
	v_cmp_ngt_f32_e32 vcc, s85, v76
	v_ldexp_f32 v12, v12, v13
	s_nop 0
	v_cndmask_b32_e32 v12, 0, v12, vcc
	v_cmp_nlt_f32_e32 vcc, s86, v76
	s_nop 1
	v_cndmask_b32_e32 v38, v59, v12, vcc
	v_add_f32_e32 v14, 1.0, v38
	v_add_f32_e32 v12, -1.0, v14
	v_sub_f32_e32 v13, v12, v14
	v_add_f32_e32 v13, 1.0, v13
	v_sub_f32_e32 v12, v38, v12
	v_add_f32_e32 v15, v12, v13
	v_frexp_mant_f32_e32 v16, v14
	v_cvt_f64_f32_e32 v[12:13], v14
	v_frexp_exp_i32_f64_e32 v12, v[12:13]
	v_cmp_gt_f32_e32 vcc, s88, v16
	v_cmp_gt_f32_e64 s[2:3], s90, v38
	s_nop 0
	v_subbrev_co_u32_e32 v30, vcc, 0, v12, vcc
	v_sub_u32_e32 v12, 0, v30
	v_ldexp_f32 v13, v14, v12
	v_add_f32_e32 v14, -1.0, v13
	v_add_f32_e32 v16, 1.0, v13
	v_ldexp_f32 v12, v15, v12
	v_add_f32_e32 v15, 1.0, v14
	v_add_f32_e32 v17, -1.0, v16
	v_sub_f32_e32 v15, v13, v15
	v_sub_f32_e32 v13, v13, v17
	v_add_f32_e32 v15, v12, v15
	v_add_f32_e32 v12, v12, v13
	;; [unrolled: 1-line block ×3, first 2 shown]
	v_rcp_f32_e32 v32, v29
	v_sub_f32_e32 v13, v16, v29
	v_add_f32_e32 v31, v12, v13
	v_add_f32_e32 v13, v14, v15
	v_mul_f32_e32 v34, v13, v32
	v_sub_f32_e32 v12, v14, v13
	v_mul_f32_e32 v14, v29, v34
	v_fma_f32 v16, v34, v29, -v14
	v_fmac_f32_e32 v16, v34, v31
	v_add_f32_e32 v33, v15, v12
	v_add_f32_e32 v12, v14, v16
	v_sub_f32_e32 v15, v13, v12
	v_pk_add_f32 v[18:19], v[12:13], v[14:15] neg_lo:[0,1] neg_hi:[0,1]
	v_mov_b32_e32 v17, v12
	v_pk_add_f32 v[12:13], v[18:19], v[16:17] neg_lo:[0,1] neg_hi:[0,1]
	v_cmp_eq_f32_e32 vcc, s87, v38
	v_add_f32_e32 v13, v33, v13
	v_add_f32_e32 v12, v12, v13
	;; [unrolled: 1-line block ×3, first 2 shown]
	v_mul_f32_e32 v33, v32, v13
	v_mul_f32_e32 v14, v29, v33
	v_fma_f32 v16, v33, v29, -v14
	v_fmac_f32_e32 v16, v33, v31
	v_sub_f32_e32 v15, v15, v13
	v_add_f32_e32 v29, v12, v15
	v_add_f32_e32 v12, v14, v16
	v_sub_f32_e32 v15, v13, v12
	v_pk_add_f32 v[18:19], v[12:13], v[14:15] neg_lo:[0,1] neg_hi:[0,1]
	v_mov_b32_e32 v17, v12
	v_pk_add_f32 v[12:13], v[18:19], v[16:17] neg_lo:[0,1] neg_hi:[0,1]
	s_or_b64 vcc, s[2:3], vcc
	v_add_f32_e32 v13, v29, v13
	v_add_f32_e32 v12, v12, v13
	;; [unrolled: 1-line block ×4, first 2 shown]
	v_sub_f32_e32 v14, v13, v34
	v_mul_f32_e32 v12, v32, v12
	v_sub_f32_e32 v14, v33, v14
	v_add_f32_e32 v14, v14, v12
	v_add_f32_e32 v16, v13, v14
	v_mul_f32_e32 v17, v16, v16
	v_fmamk_f32 v12, v17, 0x3e9b6dac, v58
	v_fmaak_f32 v29, v17, v12, 0x3f2aaada
	v_cvt_f32_i32_e32 v12, v30
	v_sub_f32_e32 v13, v16, v13
	v_sub_f32_e32 v13, v14, v13
	v_ldexp_f32 v18, v13, 1
	v_mul_f32_e32 v13, v16, v17
	v_ldexp_f32 v15, v16, 1
	v_pk_mul_f32 v[16:17], v[12:13], v[28:29]
	s_nop 0
	v_fma_f32 v14, v12, s89, -v16
	v_fmac_f32_e32 v14, 0xb102e308, v12
	v_pk_add_f32 v[12:13], v[16:17], v[14:15]
	s_nop 0
	v_sub_f32_e32 v15, v13, v15
	v_sub_f32_e32 v15, v17, v15
	v_add_f32_e32 v19, v18, v15
	v_mov_b32_e32 v18, v16
	v_pk_add_f32 v[16:17], v[12:13], v[16:17] neg_lo:[0,1] neg_hi:[0,1]
	v_pk_add_f32 v[30:31], v[12:13], v[18:19]
	v_mov_b32_e32 v15, v12
	v_mov_b32_e32 v17, v31
	v_pk_add_f32 v[32:33], v[14:15], v[16:17] neg_lo:[0,1] neg_hi:[0,1]
	v_pk_add_f32 v[14:15], v[14:15], v[16:17]
	v_mov_b32_e32 v18, v19
	v_mov_b32_e32 v16, v15
	v_pk_add_f32 v[34:35], v[16:17], v[12:13] neg_lo:[0,1] neg_hi:[0,1]
	v_mov_b32_e32 v14, v31
	v_mov_b32_e32 v17, v34
	v_pk_add_f32 v[36:37], v[30:31], v[16:17] neg_lo:[0,1] neg_hi:[0,1]
	v_mov_b32_e32 v30, v13
	v_mov_b32_e32 v31, v34
	;; [unrolled: 1-line block ×3, first 2 shown]
	v_pk_add_f32 v[14:15], v[14:15], v[30:31] neg_lo:[0,1] neg_hi:[0,1]
	v_mov_b32_e32 v19, v12
	v_pk_add_f32 v[12:13], v[18:19], v[14:15] neg_lo:[0,1] neg_hi:[0,1]
	v_mov_b32_e32 v36, v32
	v_pk_add_f32 v[14:15], v[36:37], v[12:13]
	s_nop 0
	v_mov_b32_e32 v18, v15
	v_pk_add_f32 v[18:19], v[14:15], v[18:19]
	s_nop 0
	v_pk_add_f32 v[16:17], v[16:17], v[18:19]
	v_mov_b32_e32 v13, v18
	v_mov_b32_e32 v15, v16
	v_pk_add_f32 v[30:31], v[14:15], v[32:33] neg_lo:[0,1] neg_hi:[0,1]
	s_nop 0
	v_sub_f32_e32 v14, v14, v30
	v_pk_add_f32 v[12:13], v[12:13], v[30:31] neg_lo:[0,1] neg_hi:[0,1]
	v_sub_f32_e32 v14, v32, v14
	v_add_f32_e32 v12, v12, v14
	v_add_f32_e32 v12, v12, v13
	;; [unrolled: 1-line block ×3, first 2 shown]
	v_cndmask_b32_e32 v76, v12, v38, vcc
.LBB41_24:                              ;   in Loop: Header=BB41_12 Depth=1
	s_or_b64 exec, exec, s[6:7]
	v_lshlrev_b32_e32 v12, 16, v68
	v_add_f32_e32 v77, s33, v12
	v_cmp_ge_f32_e32 vcc, s83, v77
	s_and_b64 s[2:3], s[60:61], vcc
	s_and_saveexec_b64 s[6:7], s[2:3]
	s_cbranch_execz .LBB41_26
; %bb.25:                               ;   in Loop: Header=BB41_12 Depth=1
	v_mul_f32_e32 v12, 0x3fb8aa3b, v77
	v_rndne_f32_e32 v13, v12
	v_sub_f32_e32 v14, v12, v13
	v_fma_f32 v12, v77, s84, -v12
	v_fmac_f32_e32 v12, 0x32a5705f, v77
	v_add_f32_e32 v12, v14, v12
	v_cvt_i32_f32_e32 v13, v13
	v_exp_f32_e32 v12, v12
	v_cmp_ngt_f32_e32 vcc, s85, v77
	v_ldexp_f32 v12, v12, v13
	s_nop 0
	v_cndmask_b32_e32 v12, 0, v12, vcc
	v_cmp_nlt_f32_e32 vcc, s86, v77
	s_nop 1
	v_cndmask_b32_e32 v38, v59, v12, vcc
	v_add_f32_e32 v14, 1.0, v38
	v_add_f32_e32 v12, -1.0, v14
	v_sub_f32_e32 v13, v12, v14
	v_add_f32_e32 v13, 1.0, v13
	v_sub_f32_e32 v12, v38, v12
	v_add_f32_e32 v15, v12, v13
	v_frexp_mant_f32_e32 v16, v14
	v_cvt_f64_f32_e32 v[12:13], v14
	v_frexp_exp_i32_f64_e32 v12, v[12:13]
	v_cmp_gt_f32_e32 vcc, s88, v16
	v_cmp_gt_f32_e64 s[2:3], s90, v38
	s_nop 0
	v_subbrev_co_u32_e32 v30, vcc, 0, v12, vcc
	v_sub_u32_e32 v12, 0, v30
	v_ldexp_f32 v13, v14, v12
	v_add_f32_e32 v14, -1.0, v13
	v_add_f32_e32 v16, 1.0, v13
	v_ldexp_f32 v12, v15, v12
	v_add_f32_e32 v15, 1.0, v14
	v_add_f32_e32 v17, -1.0, v16
	v_sub_f32_e32 v15, v13, v15
	v_sub_f32_e32 v13, v13, v17
	v_add_f32_e32 v15, v12, v15
	v_add_f32_e32 v12, v12, v13
	;; [unrolled: 1-line block ×3, first 2 shown]
	v_rcp_f32_e32 v32, v29
	v_sub_f32_e32 v13, v16, v29
	v_add_f32_e32 v31, v12, v13
	v_add_f32_e32 v13, v14, v15
	v_mul_f32_e32 v34, v13, v32
	v_sub_f32_e32 v12, v14, v13
	v_mul_f32_e32 v14, v29, v34
	v_fma_f32 v16, v34, v29, -v14
	v_fmac_f32_e32 v16, v34, v31
	v_add_f32_e32 v33, v15, v12
	v_add_f32_e32 v12, v14, v16
	v_sub_f32_e32 v15, v13, v12
	v_pk_add_f32 v[18:19], v[12:13], v[14:15] neg_lo:[0,1] neg_hi:[0,1]
	v_mov_b32_e32 v17, v12
	v_pk_add_f32 v[12:13], v[18:19], v[16:17] neg_lo:[0,1] neg_hi:[0,1]
	v_cmp_eq_f32_e32 vcc, s87, v38
	v_add_f32_e32 v13, v33, v13
	v_add_f32_e32 v12, v12, v13
	;; [unrolled: 1-line block ×3, first 2 shown]
	v_mul_f32_e32 v33, v32, v13
	v_mul_f32_e32 v14, v29, v33
	v_fma_f32 v16, v33, v29, -v14
	v_fmac_f32_e32 v16, v33, v31
	v_sub_f32_e32 v15, v15, v13
	v_add_f32_e32 v29, v12, v15
	v_add_f32_e32 v12, v14, v16
	v_sub_f32_e32 v15, v13, v12
	v_pk_add_f32 v[18:19], v[12:13], v[14:15] neg_lo:[0,1] neg_hi:[0,1]
	v_mov_b32_e32 v17, v12
	v_pk_add_f32 v[12:13], v[18:19], v[16:17] neg_lo:[0,1] neg_hi:[0,1]
	s_or_b64 vcc, s[2:3], vcc
	v_add_f32_e32 v13, v29, v13
	v_add_f32_e32 v12, v12, v13
	;; [unrolled: 1-line block ×4, first 2 shown]
	v_sub_f32_e32 v14, v13, v34
	v_mul_f32_e32 v12, v32, v12
	v_sub_f32_e32 v14, v33, v14
	v_add_f32_e32 v14, v14, v12
	v_add_f32_e32 v16, v13, v14
	v_mul_f32_e32 v17, v16, v16
	v_fmamk_f32 v12, v17, 0x3e9b6dac, v58
	v_fmaak_f32 v29, v17, v12, 0x3f2aaada
	v_cvt_f32_i32_e32 v12, v30
	v_sub_f32_e32 v13, v16, v13
	v_sub_f32_e32 v13, v14, v13
	v_ldexp_f32 v18, v13, 1
	v_mul_f32_e32 v13, v16, v17
	v_ldexp_f32 v15, v16, 1
	v_pk_mul_f32 v[16:17], v[12:13], v[28:29]
	s_nop 0
	v_fma_f32 v14, v12, s89, -v16
	v_fmac_f32_e32 v14, 0xb102e308, v12
	v_pk_add_f32 v[12:13], v[16:17], v[14:15]
	s_nop 0
	v_sub_f32_e32 v15, v13, v15
	v_sub_f32_e32 v15, v17, v15
	v_add_f32_e32 v19, v18, v15
	v_mov_b32_e32 v18, v16
	v_pk_add_f32 v[16:17], v[12:13], v[16:17] neg_lo:[0,1] neg_hi:[0,1]
	v_pk_add_f32 v[30:31], v[12:13], v[18:19]
	v_mov_b32_e32 v15, v12
	v_mov_b32_e32 v17, v31
	v_pk_add_f32 v[32:33], v[14:15], v[16:17] neg_lo:[0,1] neg_hi:[0,1]
	v_pk_add_f32 v[14:15], v[14:15], v[16:17]
	v_mov_b32_e32 v18, v19
	v_mov_b32_e32 v16, v15
	v_pk_add_f32 v[34:35], v[16:17], v[12:13] neg_lo:[0,1] neg_hi:[0,1]
	v_mov_b32_e32 v14, v31
	v_mov_b32_e32 v17, v34
	v_pk_add_f32 v[36:37], v[30:31], v[16:17] neg_lo:[0,1] neg_hi:[0,1]
	v_mov_b32_e32 v30, v13
	v_mov_b32_e32 v31, v34
	;; [unrolled: 1-line block ×3, first 2 shown]
	v_pk_add_f32 v[14:15], v[14:15], v[30:31] neg_lo:[0,1] neg_hi:[0,1]
	v_mov_b32_e32 v19, v12
	v_pk_add_f32 v[12:13], v[18:19], v[14:15] neg_lo:[0,1] neg_hi:[0,1]
	v_mov_b32_e32 v36, v32
	v_pk_add_f32 v[14:15], v[36:37], v[12:13]
	s_nop 0
	v_mov_b32_e32 v18, v15
	v_pk_add_f32 v[18:19], v[14:15], v[18:19]
	s_nop 0
	v_pk_add_f32 v[16:17], v[16:17], v[18:19]
	v_mov_b32_e32 v13, v18
	v_mov_b32_e32 v15, v16
	v_pk_add_f32 v[30:31], v[14:15], v[32:33] neg_lo:[0,1] neg_hi:[0,1]
	s_nop 0
	v_sub_f32_e32 v14, v14, v30
	v_pk_add_f32 v[12:13], v[12:13], v[30:31] neg_lo:[0,1] neg_hi:[0,1]
	v_sub_f32_e32 v14, v32, v14
	v_add_f32_e32 v12, v12, v14
	v_add_f32_e32 v12, v12, v13
	;; [unrolled: 1-line block ×3, first 2 shown]
	v_cndmask_b32_e32 v77, v12, v38, vcc
.LBB41_26:                              ;   in Loop: Header=BB41_12 Depth=1
	s_or_b64 exec, exec, s[6:7]
	v_lshlrev_b32_e32 v12, 16, v7
	v_add_f32_e32 v78, s33, v12
	v_cmp_ge_f32_e32 vcc, s83, v78
	s_and_b64 s[2:3], s[60:61], vcc
	s_and_saveexec_b64 s[6:7], s[2:3]
	s_cbranch_execz .LBB41_28
; %bb.27:                               ;   in Loop: Header=BB41_12 Depth=1
	v_mul_f32_e32 v12, 0x3fb8aa3b, v78
	v_rndne_f32_e32 v13, v12
	v_sub_f32_e32 v14, v12, v13
	v_fma_f32 v12, v78, s84, -v12
	v_fmac_f32_e32 v12, 0x32a5705f, v78
	v_add_f32_e32 v12, v14, v12
	v_cvt_i32_f32_e32 v13, v13
	v_exp_f32_e32 v12, v12
	v_cmp_ngt_f32_e32 vcc, s85, v78
	v_ldexp_f32 v12, v12, v13
	s_nop 0
	v_cndmask_b32_e32 v12, 0, v12, vcc
	v_cmp_nlt_f32_e32 vcc, s86, v78
	s_nop 1
	v_cndmask_b32_e32 v38, v59, v12, vcc
	v_add_f32_e32 v14, 1.0, v38
	v_add_f32_e32 v12, -1.0, v14
	v_sub_f32_e32 v13, v12, v14
	v_add_f32_e32 v13, 1.0, v13
	v_sub_f32_e32 v12, v38, v12
	v_add_f32_e32 v15, v12, v13
	v_frexp_mant_f32_e32 v16, v14
	v_cvt_f64_f32_e32 v[12:13], v14
	v_frexp_exp_i32_f64_e32 v12, v[12:13]
	v_cmp_gt_f32_e32 vcc, s88, v16
	v_cmp_gt_f32_e64 s[2:3], s90, v38
	s_nop 0
	v_subbrev_co_u32_e32 v30, vcc, 0, v12, vcc
	v_sub_u32_e32 v12, 0, v30
	v_ldexp_f32 v13, v14, v12
	v_add_f32_e32 v14, -1.0, v13
	v_add_f32_e32 v16, 1.0, v13
	v_ldexp_f32 v12, v15, v12
	v_add_f32_e32 v15, 1.0, v14
	v_add_f32_e32 v17, -1.0, v16
	v_sub_f32_e32 v15, v13, v15
	v_sub_f32_e32 v13, v13, v17
	v_add_f32_e32 v15, v12, v15
	v_add_f32_e32 v12, v12, v13
	;; [unrolled: 1-line block ×3, first 2 shown]
	v_rcp_f32_e32 v32, v29
	v_sub_f32_e32 v13, v16, v29
	v_add_f32_e32 v31, v12, v13
	v_add_f32_e32 v13, v14, v15
	v_mul_f32_e32 v34, v13, v32
	v_sub_f32_e32 v12, v14, v13
	v_mul_f32_e32 v14, v29, v34
	v_fma_f32 v16, v34, v29, -v14
	v_fmac_f32_e32 v16, v34, v31
	v_add_f32_e32 v33, v15, v12
	v_add_f32_e32 v12, v14, v16
	v_sub_f32_e32 v15, v13, v12
	v_pk_add_f32 v[18:19], v[12:13], v[14:15] neg_lo:[0,1] neg_hi:[0,1]
	v_mov_b32_e32 v17, v12
	v_pk_add_f32 v[12:13], v[18:19], v[16:17] neg_lo:[0,1] neg_hi:[0,1]
	v_cmp_eq_f32_e32 vcc, s87, v38
	v_add_f32_e32 v13, v33, v13
	v_add_f32_e32 v12, v12, v13
	;; [unrolled: 1-line block ×3, first 2 shown]
	v_mul_f32_e32 v33, v32, v13
	v_mul_f32_e32 v14, v29, v33
	v_fma_f32 v16, v33, v29, -v14
	v_fmac_f32_e32 v16, v33, v31
	v_sub_f32_e32 v15, v15, v13
	v_add_f32_e32 v29, v12, v15
	v_add_f32_e32 v12, v14, v16
	v_sub_f32_e32 v15, v13, v12
	v_pk_add_f32 v[18:19], v[12:13], v[14:15] neg_lo:[0,1] neg_hi:[0,1]
	v_mov_b32_e32 v17, v12
	v_pk_add_f32 v[12:13], v[18:19], v[16:17] neg_lo:[0,1] neg_hi:[0,1]
	s_or_b64 vcc, s[2:3], vcc
	v_add_f32_e32 v13, v29, v13
	v_add_f32_e32 v12, v12, v13
	;; [unrolled: 1-line block ×4, first 2 shown]
	v_sub_f32_e32 v14, v13, v34
	v_mul_f32_e32 v12, v32, v12
	v_sub_f32_e32 v14, v33, v14
	v_add_f32_e32 v14, v14, v12
	v_add_f32_e32 v16, v13, v14
	v_mul_f32_e32 v17, v16, v16
	v_fmamk_f32 v12, v17, 0x3e9b6dac, v58
	v_fmaak_f32 v29, v17, v12, 0x3f2aaada
	v_cvt_f32_i32_e32 v12, v30
	v_sub_f32_e32 v13, v16, v13
	v_sub_f32_e32 v13, v14, v13
	v_ldexp_f32 v18, v13, 1
	v_mul_f32_e32 v13, v16, v17
	v_ldexp_f32 v15, v16, 1
	v_pk_mul_f32 v[16:17], v[12:13], v[28:29]
	s_nop 0
	v_fma_f32 v14, v12, s89, -v16
	v_fmac_f32_e32 v14, 0xb102e308, v12
	v_pk_add_f32 v[12:13], v[16:17], v[14:15]
	s_nop 0
	v_sub_f32_e32 v15, v13, v15
	v_sub_f32_e32 v15, v17, v15
	v_add_f32_e32 v19, v18, v15
	v_mov_b32_e32 v18, v16
	v_pk_add_f32 v[16:17], v[12:13], v[16:17] neg_lo:[0,1] neg_hi:[0,1]
	v_pk_add_f32 v[30:31], v[12:13], v[18:19]
	v_mov_b32_e32 v15, v12
	v_mov_b32_e32 v17, v31
	v_pk_add_f32 v[32:33], v[14:15], v[16:17] neg_lo:[0,1] neg_hi:[0,1]
	v_pk_add_f32 v[14:15], v[14:15], v[16:17]
	v_mov_b32_e32 v18, v19
	v_mov_b32_e32 v16, v15
	v_pk_add_f32 v[34:35], v[16:17], v[12:13] neg_lo:[0,1] neg_hi:[0,1]
	v_mov_b32_e32 v14, v31
	v_mov_b32_e32 v17, v34
	v_pk_add_f32 v[36:37], v[30:31], v[16:17] neg_lo:[0,1] neg_hi:[0,1]
	v_mov_b32_e32 v30, v13
	v_mov_b32_e32 v31, v34
	;; [unrolled: 1-line block ×3, first 2 shown]
	v_pk_add_f32 v[14:15], v[14:15], v[30:31] neg_lo:[0,1] neg_hi:[0,1]
	v_mov_b32_e32 v19, v12
	v_pk_add_f32 v[12:13], v[18:19], v[14:15] neg_lo:[0,1] neg_hi:[0,1]
	v_mov_b32_e32 v36, v32
	v_pk_add_f32 v[14:15], v[36:37], v[12:13]
	s_nop 0
	v_mov_b32_e32 v18, v15
	v_pk_add_f32 v[18:19], v[14:15], v[18:19]
	s_nop 0
	v_pk_add_f32 v[16:17], v[16:17], v[18:19]
	v_mov_b32_e32 v13, v18
	v_mov_b32_e32 v15, v16
	v_pk_add_f32 v[30:31], v[14:15], v[32:33] neg_lo:[0,1] neg_hi:[0,1]
	s_nop 0
	v_sub_f32_e32 v14, v14, v30
	v_pk_add_f32 v[12:13], v[12:13], v[30:31] neg_lo:[0,1] neg_hi:[0,1]
	v_sub_f32_e32 v14, v32, v14
	v_add_f32_e32 v12, v12, v14
	v_add_f32_e32 v12, v12, v13
	;; [unrolled: 1-line block ×3, first 2 shown]
	v_cndmask_b32_e32 v78, v12, v38, vcc
.LBB41_28:                              ;   in Loop: Header=BB41_12 Depth=1
	s_or_b64 exec, exec, s[6:7]
	v_lshlrev_b32_e32 v12, 16, v69
	v_add_f32_e32 v29, s33, v12
	v_cmp_ge_f32_e32 vcc, s83, v29
	s_and_b64 s[2:3], s[60:61], vcc
	s_and_saveexec_b64 s[6:7], s[2:3]
	s_cbranch_execz .LBB41_30
; %bb.29:                               ;   in Loop: Header=BB41_12 Depth=1
	v_mul_f32_e32 v12, 0x3fb8aa3b, v29
	v_rndne_f32_e32 v13, v12
	v_sub_f32_e32 v14, v12, v13
	v_fma_f32 v12, v29, s84, -v12
	v_fmac_f32_e32 v12, 0x32a5705f, v29
	v_add_f32_e32 v12, v14, v12
	v_cvt_i32_f32_e32 v13, v13
	v_exp_f32_e32 v12, v12
	v_cmp_ngt_f32_e32 vcc, s85, v29
	v_ldexp_f32 v12, v12, v13
	s_nop 0
	v_cndmask_b32_e32 v12, 0, v12, vcc
	v_cmp_nlt_f32_e32 vcc, s86, v29
	s_nop 1
	v_cndmask_b32_e32 v38, v59, v12, vcc
	v_add_f32_e32 v14, 1.0, v38
	v_add_f32_e32 v12, -1.0, v14
	v_sub_f32_e32 v13, v12, v14
	v_add_f32_e32 v13, 1.0, v13
	v_sub_f32_e32 v12, v38, v12
	v_add_f32_e32 v15, v12, v13
	v_frexp_mant_f32_e32 v16, v14
	v_cvt_f64_f32_e32 v[12:13], v14
	v_frexp_exp_i32_f64_e32 v12, v[12:13]
	v_cmp_gt_f32_e32 vcc, s88, v16
	v_cmp_gt_f32_e64 s[2:3], s90, v38
	s_nop 0
	v_subbrev_co_u32_e32 v30, vcc, 0, v12, vcc
	v_sub_u32_e32 v12, 0, v30
	v_ldexp_f32 v13, v14, v12
	v_add_f32_e32 v14, -1.0, v13
	v_add_f32_e32 v16, 1.0, v13
	v_ldexp_f32 v12, v15, v12
	v_add_f32_e32 v15, 1.0, v14
	v_add_f32_e32 v17, -1.0, v16
	v_sub_f32_e32 v15, v13, v15
	v_sub_f32_e32 v13, v13, v17
	v_add_f32_e32 v15, v12, v15
	v_add_f32_e32 v12, v12, v13
	;; [unrolled: 1-line block ×3, first 2 shown]
	v_rcp_f32_e32 v32, v29
	v_sub_f32_e32 v13, v16, v29
	v_add_f32_e32 v31, v12, v13
	v_add_f32_e32 v13, v14, v15
	v_mul_f32_e32 v34, v13, v32
	v_sub_f32_e32 v12, v14, v13
	v_mul_f32_e32 v14, v29, v34
	v_fma_f32 v16, v34, v29, -v14
	v_fmac_f32_e32 v16, v34, v31
	v_add_f32_e32 v33, v15, v12
	v_add_f32_e32 v12, v14, v16
	v_sub_f32_e32 v15, v13, v12
	v_pk_add_f32 v[18:19], v[12:13], v[14:15] neg_lo:[0,1] neg_hi:[0,1]
	v_mov_b32_e32 v17, v12
	v_pk_add_f32 v[12:13], v[18:19], v[16:17] neg_lo:[0,1] neg_hi:[0,1]
	v_cmp_eq_f32_e32 vcc, s87, v38
	v_add_f32_e32 v13, v33, v13
	v_add_f32_e32 v12, v12, v13
	;; [unrolled: 1-line block ×3, first 2 shown]
	v_mul_f32_e32 v33, v32, v13
	v_mul_f32_e32 v14, v29, v33
	v_fma_f32 v16, v33, v29, -v14
	v_fmac_f32_e32 v16, v33, v31
	v_sub_f32_e32 v15, v15, v13
	v_add_f32_e32 v29, v12, v15
	v_add_f32_e32 v12, v14, v16
	v_sub_f32_e32 v15, v13, v12
	v_pk_add_f32 v[18:19], v[12:13], v[14:15] neg_lo:[0,1] neg_hi:[0,1]
	v_mov_b32_e32 v17, v12
	v_pk_add_f32 v[12:13], v[18:19], v[16:17] neg_lo:[0,1] neg_hi:[0,1]
	s_or_b64 vcc, s[2:3], vcc
	v_add_f32_e32 v13, v29, v13
	v_add_f32_e32 v12, v12, v13
	;; [unrolled: 1-line block ×4, first 2 shown]
	v_sub_f32_e32 v14, v13, v34
	v_mul_f32_e32 v12, v32, v12
	v_sub_f32_e32 v14, v33, v14
	v_add_f32_e32 v14, v14, v12
	v_add_f32_e32 v16, v13, v14
	v_mul_f32_e32 v17, v16, v16
	v_fmamk_f32 v12, v17, 0x3e9b6dac, v58
	v_fmaak_f32 v29, v17, v12, 0x3f2aaada
	v_cvt_f32_i32_e32 v12, v30
	v_sub_f32_e32 v13, v16, v13
	v_sub_f32_e32 v13, v14, v13
	v_ldexp_f32 v18, v13, 1
	v_mul_f32_e32 v13, v16, v17
	v_ldexp_f32 v15, v16, 1
	v_pk_mul_f32 v[16:17], v[12:13], v[28:29]
	s_nop 0
	v_fma_f32 v14, v12, s89, -v16
	v_fmac_f32_e32 v14, 0xb102e308, v12
	v_pk_add_f32 v[12:13], v[16:17], v[14:15]
	s_nop 0
	v_sub_f32_e32 v15, v13, v15
	v_sub_f32_e32 v15, v17, v15
	v_add_f32_e32 v19, v18, v15
	v_mov_b32_e32 v18, v16
	v_pk_add_f32 v[16:17], v[12:13], v[16:17] neg_lo:[0,1] neg_hi:[0,1]
	v_pk_add_f32 v[30:31], v[12:13], v[18:19]
	v_mov_b32_e32 v15, v12
	v_mov_b32_e32 v17, v31
	v_pk_add_f32 v[32:33], v[14:15], v[16:17] neg_lo:[0,1] neg_hi:[0,1]
	v_pk_add_f32 v[14:15], v[14:15], v[16:17]
	v_mov_b32_e32 v18, v19
	v_mov_b32_e32 v16, v15
	v_pk_add_f32 v[34:35], v[16:17], v[12:13] neg_lo:[0,1] neg_hi:[0,1]
	v_mov_b32_e32 v14, v31
	v_mov_b32_e32 v17, v34
	v_pk_add_f32 v[36:37], v[30:31], v[16:17] neg_lo:[0,1] neg_hi:[0,1]
	v_mov_b32_e32 v30, v13
	v_mov_b32_e32 v31, v34
	;; [unrolled: 1-line block ×3, first 2 shown]
	v_pk_add_f32 v[14:15], v[14:15], v[30:31] neg_lo:[0,1] neg_hi:[0,1]
	v_mov_b32_e32 v19, v12
	v_pk_add_f32 v[12:13], v[18:19], v[14:15] neg_lo:[0,1] neg_hi:[0,1]
	v_mov_b32_e32 v36, v32
	v_pk_add_f32 v[14:15], v[36:37], v[12:13]
	s_nop 0
	v_mov_b32_e32 v18, v15
	v_pk_add_f32 v[18:19], v[14:15], v[18:19]
	s_nop 0
	v_pk_add_f32 v[16:17], v[16:17], v[18:19]
	v_mov_b32_e32 v13, v18
	v_mov_b32_e32 v15, v16
	v_pk_add_f32 v[30:31], v[14:15], v[32:33] neg_lo:[0,1] neg_hi:[0,1]
	s_nop 0
	v_sub_f32_e32 v14, v14, v30
	v_pk_add_f32 v[12:13], v[12:13], v[30:31] neg_lo:[0,1] neg_hi:[0,1]
	v_sub_f32_e32 v14, v32, v14
	v_add_f32_e32 v12, v12, v14
	v_add_f32_e32 v12, v12, v13
	;; [unrolled: 1-line block ×3, first 2 shown]
	v_cndmask_b32_e32 v29, v12, v38, vcc
.LBB41_30:                              ;   in Loop: Header=BB41_12 Depth=1
	s_or_b64 exec, exec, s[6:7]
	v_lshlrev_b32_e32 v12, 16, v3
	v_lshlrev_b32_e32 v14, 16, v71
	;; [unrolled: 1-line block ×8, first 2 shown]
	v_mul_f32_e32 v32, s78, v12
	v_mul_f32_e32 v31, s78, v13
	;; [unrolled: 1-line block ×7, first 2 shown]
	s_lshl_b32 s2, s98, 9
	v_mul_f32_e32 v33, s78, v14
	s_and_b64 vcc, exec, s[62:63]
	s_waitcnt lgkmcnt(0)
	; wave barrier
	s_cbranch_vccz .LBB41_58
; %bb.31:                               ;   in Loop: Header=BB41_12 Depth=1
	v_mul_f32_e32 v80, v78, v12
	v_and_b32_e32 v12, 15, v60
	v_cmp_ne_u32_e64 s[6:7], 0, v12
	v_cmp_lt_u32_e64 s[8:9], 1, v12
	v_cmp_lt_u32_e64 s[10:11], 3, v12
	;; [unrolled: 1-line block ×3, first 2 shown]
	v_and_b32_e32 v12, 16, v60
	v_mul_f32_e32 v81, v77, v13
	v_cmp_ne_u32_e64 s[14:15], 0, v12
	v_add_u32_e32 v12, -1, v60
	v_and_b32_e32 v13, 64, v60
	s_sub_i32 s3, s56, s2
	v_cmp_lt_i32_e32 vcc, v12, v13
	s_cmp_lg_u32 s98, 0
	s_cselect_b64 s[54:55], -1, 0
	v_cndmask_b32_e32 v12, v12, v60, vcc
	v_lshlrev_b32_e32 v87, 2, v12
	s_cmp_eq_u32 s98, s82
	v_cmp_gt_u32_e32 vcc, s3, v50
	v_or_b32_e32 v12, 1, v50
	s_cselect_b64 s[66:67], -1, 0
	s_or_b64 s[18:19], s[64:65], vcc
	v_cmp_gt_u32_e32 vcc, s3, v12
	v_or_b32_e32 v12, 2, v50
	s_or_b64 s[20:21], s[64:65], vcc
	v_cmp_gt_u32_e32 vcc, s3, v12
	v_or_b32_e32 v12, 3, v50
	s_or_b64 s[22:23], s[64:65], vcc
	v_cmp_gt_u32_e32 vcc, s3, v12
	s_or_b64 s[24:25], s[64:65], vcc
	v_cmp_gt_u32_e32 vcc, s3, v54
	s_or_b64 s[26:27], s[64:65], vcc
	v_cmp_gt_u32_e32 vcc, s3, v55
	s_or_b64 s[28:29], s[64:65], vcc
	v_cmp_gt_u32_e32 vcc, s3, v56
	s_mov_b32 s58, 0
	s_or_b64 s[30:31], s[64:65], vcc
	v_cmp_gt_u32_e32 vcc, s3, v57
	v_mul_f32_e32 v79, v29, v14
	v_mul_f32_e32 v82, v76, v15
	;; [unrolled: 1-line block ×6, first 2 shown]
	v_lshl_add_u64 v[38:39], s[42:43], 0, v[20:21]
	v_lshl_add_u64 v[40:41], s[46:47], 0, v[20:21]
	v_cmp_lt_u32_e64 s[16:17], 31, v60
	s_or_b64 s[34:35], s[64:65], vcc
	s_mov_b32 s68, s58
	s_mov_b32 s70, s58
	;; [unrolled: 1-line block ×5, first 2 shown]
	s_branch .LBB41_33
.LBB41_32:                              ;   in Loop: Header=BB41_33 Depth=2
	s_or_b64 exec, exec, s[74:75]
	v_mul_f32_e32 v42, v88, v51
	v_fma_f32 v43, v88, v52, v16
	v_cndmask_b32_e64 v16, v43, v16, s[4:5]
	v_cndmask_b32_e64 v42, v42, v88, s[4:5]
	s_waitcnt lgkmcnt(0)
	v_fmac_f32_e32 v16, v48, v42
	v_fmac_f32_e32 v17, v16, v89
	;; [unrolled: 1-line block ×8, first 2 shown]
	v_and_b32_e32 v43, 0xffff0000, v12
	v_and_b32_e32 v49, 0xffff0000, v13
	v_lshlrev_b32_e32 v42, 16, v12
	v_lshlrev_b32_e32 v48, 16, v13
	v_and_b32_e32 v13, 0xffff0000, v14
	v_and_b32_e32 v89, 0xffff0000, v15
	v_lshlrev_b32_e32 v12, 16, v14
	v_lshlrev_b32_e32 v88, 16, v15
	s_add_i32 s99, s99, 8
	s_add_i32 s3, s3, -1
	s_add_i32 s72, s72, s79
	s_add_i32 s70, s70, s48
	;; [unrolled: 1-line block ×4, first 2 shown]
	v_pk_fma_f32 v[34:35], v[44:45], v[48:49], v[34:35]
	v_pk_fma_f32 v[36:37], v[16:17], v[42:43], v[36:37]
	;; [unrolled: 1-line block ×3, first 2 shown]
	s_cmp_eq_u32 s3, 0
	v_pk_fma_f32 v[30:31], v[18:19], v[12:13], v[30:31]
	s_cbranch_scc1 .LBB41_58
.LBB41_33:                              ;   Parent Loop BB41_12 Depth=1
                                        ; =>  This Inner Loop Header: Depth=2
	s_lshl_b64 s[74:75], s[58:59], 2
	s_mov_b32 s69, s59
	s_add_u32 s74, s40, s74
	v_lshl_add_u64 v[12:13], s[68:69], 1, v[38:39]
	s_mov_b32 s71, s59
	s_addc_u32 s75, s80, s75
	global_load_dwordx4 v[16:19], v[12:13], off
	v_lshl_add_u64 v[12:13], s[70:71], 1, v[40:41]
	global_load_dword v44, v21, s[74:75]
	s_andn2_b64 vcc, exec, s[54:55]
	global_load_dwordx4 v[12:15], v[12:13], off
	s_cbranch_vccnz .LBB41_35
; %bb.34:                               ;   in Loop: Header=BB41_33 Depth=2
	v_mov_b32_e32 v42, s99
	ds_read_b64 v[42:43], v42
	s_cbranch_execz .LBB41_36
	s_branch .LBB41_39
.LBB41_35:                              ;   in Loop: Header=BB41_33 Depth=2
                                        ; implicit-def: $vgpr43
.LBB41_36:                              ;   in Loop: Header=BB41_33 Depth=2
	s_andn2_b64 vcc, exec, s[38:39]
	s_waitcnt lgkmcnt(0)
	v_mov_b32_e32 v43, 0
	s_cbranch_vccnz .LBB41_38
; %bb.37:                               ;   in Loop: Header=BB41_33 Depth=2
	s_mov_b32 s73, s59
	s_lshl_b64 s[74:75], s[72:73], 2
	s_add_u32 s74, s45, s74
	s_addc_u32 s75, s49, s75
	global_load_dword v43, v21, s[74:75]
.LBB41_38:                              ;   in Loop: Header=BB41_33 Depth=2
	v_mov_b32_e32 v42, 1.0
.LBB41_39:                              ;   in Loop: Header=BB41_33 Depth=2
	s_waitcnt vmcnt(1)
	v_mul_f32_e32 v46, 0x3fb8aa3b, v44
	v_lshlrev_b32_e32 v44, 16, v16
	v_and_b32_e32 v45, 0xffff0000, v16
	v_mul_f32_e32 v16, v46, v72
	v_cmp_gt_f32_e32 vcc, s92, v16
	v_lshlrev_b32_e32 v49, 16, v18
	v_and_b32_e32 v51, 0xffff0000, v18
	v_cndmask_b32_e32 v16, 0, v61, vcc
	v_mul_f32_e32 v18, v46, v73
	v_lshlrev_b32_e32 v47, 16, v17
	v_and_b32_e32 v48, 0xffff0000, v17
	v_fmac_f32_e32 v16, v46, v72
	v_cndmask_b32_e32 v17, 1.0, v62, vcc
	v_cmp_gt_f32_e32 vcc, s92, v18
	v_exp_f32_e32 v16, v16
	v_lshlrev_b32_e32 v52, 16, v19
	v_cndmask_b32_e32 v18, 0, v61, vcc
	v_fmac_f32_e32 v18, v46, v73
	v_exp_f32_e32 v18, v18
	v_and_b32_e32 v95, 0xffff0000, v19
	v_mul_f32_e32 v17, v16, v17
	v_mul_f32_e32 v19, v46, v74
	v_cndmask_b32_e64 v88, 1.0, v17, s[18:19]
	v_cndmask_b32_e32 v17, 1.0, v62, vcc
	v_cmp_gt_f32_e32 vcc, s92, v19
	v_mul_f32_e32 v16, v86, v44
	v_mul_f32_e32 v18, v18, v17
	v_cndmask_b32_e32 v19, 0, v61, vcc
	v_mul_f32_e32 v44, v46, v75
	v_fmac_f32_e32 v19, v46, v74
	v_cndmask_b32_e64 v89, 1.0, v18, s[20:21]
	v_cndmask_b32_e32 v18, 1.0, v62, vcc
	v_cmp_gt_f32_e32 vcc, s92, v44
	v_exp_f32_e32 v19, v19
	v_mul_f32_e32 v17, v85, v45
	v_cndmask_b32_e32 v44, 0, v61, vcc
	v_fmac_f32_e32 v44, v46, v75
	v_exp_f32_e32 v45, v44
	v_mul_f32_e32 v18, v19, v18
	v_cndmask_b32_e64 v90, 1.0, v18, s[22:23]
	v_cndmask_b32_e32 v18, 1.0, v62, vcc
	v_mul_f32_e32 v18, v45, v18
	v_mul_f32_e32 v45, v46, v76
	v_cmp_gt_f32_e32 vcc, s92, v45
	v_mul_f32_e32 v19, v84, v47
	v_cndmask_b32_e64 v44, 0, v19, s[22:23]
	v_cndmask_b32_e32 v45, 0, v61, vcc
	v_fmac_f32_e32 v45, v46, v76
	v_exp_f32_e32 v47, v45
	v_mul_f32_e32 v19, v83, v48
	v_cndmask_b32_e64 v91, 1.0, v18, s[24:25]
	v_cndmask_b32_e32 v18, 1.0, v62, vcc
	v_cndmask_b32_e64 v45, 0, v19, s[24:25]
	v_mul_f32_e32 v19, v47, v18
	v_mul_f32_e32 v47, v46, v77
	v_cmp_gt_f32_e32 vcc, s92, v47
	v_mul_f32_e32 v48, v46, v78
	v_cndmask_b32_e64 v92, 1.0, v19, s[26:27]
	v_cndmask_b32_e32 v47, 0, v61, vcc
	v_fmac_f32_e32 v47, v46, v77
	v_exp_f32_e32 v47, v47
	v_cndmask_b32_e32 v19, 1.0, v62, vcc
	v_cmp_gt_f32_e32 vcc, s92, v48
	v_mul_f32_e32 v18, v82, v49
	v_mul_f32_e32 v47, v47, v19
	v_cndmask_b32_e32 v48, 0, v61, vcc
	v_mul_f32_e32 v49, v46, v29
	v_fmac_f32_e32 v48, v46, v78
	v_cndmask_b32_e64 v93, 1.0, v47, s[28:29]
	v_cndmask_b32_e32 v47, 1.0, v62, vcc
	v_cmp_gt_f32_e32 vcc, s92, v49
	v_exp_f32_e32 v48, v48
	v_cndmask_b32_e64 v16, 0, v16, s[18:19]
	v_cndmask_b32_e32 v49, 0, v61, vcc
	v_fmac_f32_e32 v49, v46, v29
	v_exp_f32_e32 v49, v49
	v_mul_f32_e32 v47, v48, v47
	v_mul_f32_e32 v48, v80, v52
	v_cndmask_b32_e64 v94, 1.0, v47, s[30:31]
	v_cndmask_b32_e32 v47, 1.0, v62, vcc
	v_cndmask_b32_e64 v17, 0, v17, s[20:21]
	v_cndmask_b32_e64 v46, 0, v48, s[30:31]
	v_mul_f32_e32 v48, v49, v47
	v_mul_f32_e32 v47, v79, v95
	v_cndmask_b32_e64 v95, 1.0, v48, s[34:35]
	v_mul_f32_e32 v48, v89, v88
	v_fma_f32 v49, v89, v16, v17
	v_mul_f32_e32 v48, v48, v90
	v_fma_f32 v49, v49, v90, v44
	v_cndmask_b32_e64 v18, 0, v18, s[26:27]
	v_mul_f32_e32 v19, v81, v51
	v_mul_f32_e32 v48, v48, v91
	v_fma_f32 v49, v49, v91, v45
	v_cndmask_b32_e64 v19, 0, v19, s[28:29]
	v_mul_f32_e32 v48, v48, v92
	v_fma_f32 v49, v49, v92, v18
	v_mul_f32_e32 v48, v48, v93
	v_fma_f32 v49, v49, v93, v19
	v_cndmask_b32_e64 v47, 0, v47, s[34:35]
	v_mul_f32_e32 v48, v48, v94
	v_fma_f32 v49, v49, v94, v46
	v_mul_f32_e32 v48, v48, v95
	v_fma_f32 v53, v49, v95, v47
	s_nop 0
	v_mov_b32_dpp v52, v48 row_shr:1 row_mask:0xf bank_mask:0xf
	v_mov_b32_dpp v51, v53 row_shr:1 row_mask:0xf bank_mask:0xf
	s_and_saveexec_b64 s[74:75], s[6:7]
; %bb.40:                               ;   in Loop: Header=BB41_33 Depth=2
	v_mul_f32_e32 v52, v48, v52
	v_fmac_f32_e32 v53, v48, v51
	v_mov_b32_e32 v48, v52
; %bb.41:                               ;   in Loop: Header=BB41_33 Depth=2
	s_or_b64 exec, exec, s[74:75]
	s_nop 0
	v_mov_b32_dpp v51, v48 row_shr:2 row_mask:0xf bank_mask:0xf
	v_mov_b32_dpp v52, v53 row_shr:2 row_mask:0xf bank_mask:0xf
	s_and_saveexec_b64 s[74:75], s[8:9]
; %bb.42:                               ;   in Loop: Header=BB41_33 Depth=2
	v_fmac_f32_e32 v53, v48, v52
	v_mul_f32_e32 v48, v48, v51
; %bb.43:                               ;   in Loop: Header=BB41_33 Depth=2
	s_or_b64 exec, exec, s[74:75]
	s_nop 0
	v_mov_b32_dpp v51, v48 row_shr:4 row_mask:0xf bank_mask:0xf
	v_mov_b32_dpp v52, v53 row_shr:4 row_mask:0xf bank_mask:0xf
	s_and_saveexec_b64 s[74:75], s[10:11]
; %bb.44:                               ;   in Loop: Header=BB41_33 Depth=2
	v_fmac_f32_e32 v53, v48, v52
	v_mul_f32_e32 v48, v48, v51
; %bb.45:                               ;   in Loop: Header=BB41_33 Depth=2
	s_or_b64 exec, exec, s[74:75]
	s_nop 0
	v_mov_b32_dpp v51, v48 row_shr:8 row_mask:0xf bank_mask:0xf
	v_mov_b32_dpp v52, v53 row_shr:8 row_mask:0xf bank_mask:0xf
	s_and_saveexec_b64 s[74:75], s[12:13]
; %bb.46:                               ;   in Loop: Header=BB41_33 Depth=2
	v_fmac_f32_e32 v53, v48, v52
	v_mul_f32_e32 v48, v48, v51
; %bb.47:                               ;   in Loop: Header=BB41_33 Depth=2
	s_or_b64 exec, exec, s[74:75]
	s_nop 0
	v_mov_b32_dpp v51, v48 row_bcast:15 row_mask:0xf bank_mask:0xf
	v_mov_b32_dpp v52, v53 row_bcast:15 row_mask:0xf bank_mask:0xf
	s_and_saveexec_b64 s[74:75], s[14:15]
; %bb.48:                               ;   in Loop: Header=BB41_33 Depth=2
	v_fmac_f32_e32 v53, v48, v52
	v_mul_f32_e32 v48, v48, v51
; %bb.49:                               ;   in Loop: Header=BB41_33 Depth=2
	s_or_b64 exec, exec, s[74:75]
	s_nop 0
	v_mov_b32_dpp v51, v48 row_bcast:31 row_mask:0xf bank_mask:0xf
	v_mov_b32_dpp v52, v53 row_bcast:31 row_mask:0xf bank_mask:0xf
	v_mov_b32_e32 v49, v53
	v_mul_f32_e32 v51, v48, v51
	v_fmac_f32_e32 v49, v48, v52
	v_cndmask_b32_e64 v48, v48, v51, s[16:17]
	v_cndmask_b32_e64 v49, v53, v49, s[16:17]
	s_and_saveexec_b64 s[74:75], s[36:37]
	s_cbranch_execz .LBB41_51
; %bb.50:                               ;   in Loop: Header=BB41_33 Depth=2
	ds_write_b64 v21, v[48:49] offset:2112
.LBB41_51:                              ;   in Loop: Header=BB41_33 Depth=2
	s_or_b64 exec, exec, s[74:75]
	ds_bpermute_b32 v51, v87, v48
	ds_bpermute_b32 v52, v87, v49
	s_waitcnt vmcnt(0) lgkmcnt(2)
	v_mov_b32_e32 v49, v43
	s_waitcnt lgkmcnt(0)
	; wave barrier
	s_waitcnt lgkmcnt(0)
	s_and_saveexec_b64 s[74:75], s[0:1]
	s_cbranch_execz .LBB41_55
; %bb.52:                               ;   in Loop: Header=BB41_33 Depth=2
	ds_read_b64 v[48:49], v21 offset:2112
	s_and_saveexec_b64 s[76:77], s[4:5]
	s_cbranch_execz .LBB41_54
; %bb.53:                               ;   in Loop: Header=BB41_33 Depth=2
	ds_write_b64 v21, v[42:43] offset:2112
.LBB41_54:                              ;   in Loop: Header=BB41_33 Depth=2
	s_or_b64 exec, exec, s[76:77]
	s_waitcnt lgkmcnt(0)
	v_fmac_f32_e32 v49, v43, v48
	v_mul_f32_e32 v42, v42, v48
	v_mov_b32_e32 v43, v49
.LBB41_55:                              ;   in Loop: Header=BB41_33 Depth=2
	s_or_b64 exec, exec, s[74:75]
	s_waitcnt lgkmcnt(0)
	; wave barrier
	ds_read_b32 v48, v21 offset:2116
	s_and_saveexec_b64 s[74:75], s[4:5]
	s_cbranch_execz .LBB41_32
; %bb.56:                               ;   in Loop: Header=BB41_33 Depth=2
	v_mov_b32_e32 v53, s99
	s_andn2_b64 vcc, exec, s[66:67]
	ds_write_b64 v53, v[42:43]
	s_cbranch_vccnz .LBB41_32
; %bb.57:                               ;   in Loop: Header=BB41_33 Depth=2
	s_mov_b32 s73, s59
	s_lshl_b64 s[76:77], s[72:73], 2
	s_add_u32 s76, s45, s76
	s_addc_u32 s77, s49, s77
	global_store_dword v21, v49, s[76:77]
	s_branch .LBB41_32
.LBB41_58:                              ;   in Loop: Header=BB41_12 Depth=1
	v_bfe_u32 v12, v36, 16, 1
	v_bfe_u32 v13, v37, 16, 1
	v_add3_u32 v12, v36, v12, s93
	v_bfe_u32 v14, v34, 16, 1
	v_add3_u32 v13, v37, v13, s93
	v_lshrrev_b32_e32 v12, 16, v12
	v_cmp_o_f32_e32 vcc, v36, v36
	v_bfe_u32 v15, v35, 16, 1
	v_add3_u32 v14, v34, v14, s93
	v_lshrrev_b32_e32 v13, 16, v13
	v_cndmask_b32_e32 v12, v63, v12, vcc
	v_cmp_o_f32_e32 vcc, v37, v37
	v_add3_u32 v15, v35, v15, s93
	v_lshrrev_b32_e32 v14, 16, v14
	v_cndmask_b32_e32 v18, v63, v13, vcc
	v_cmp_o_f32_e32 vcc, v34, v34
	v_lshrrev_b32_e32 v15, 16, v15
	v_bfe_u32 v29, v32, 16, 1
	v_cndmask_b32_e32 v13, v63, v14, vcc
	v_cmp_o_f32_e32 vcc, v35, v35
	v_bfe_u32 v14, v30, 16, 1
	v_add3_u32 v14, v30, v14, s93
	v_cndmask_b32_e32 v19, v63, v15, vcc
	v_bfe_u32 v15, v31, 16, 1
	v_add3_u32 v15, v31, v15, s93
	v_lshrrev_b32_e32 v14, 16, v14
	v_cmp_o_f32_e32 vcc, v30, v30
	v_bfe_u32 v38, v33, 16, 1
	v_add3_u32 v29, v32, v29, s93
	v_lshrrev_b32_e32 v15, 16, v15
	v_cndmask_b32_e32 v14, v63, v14, vcc
	v_cmp_o_f32_e32 vcc, v31, v31
	v_add3_u32 v38, v33, v38, s93
	v_lshrrev_b32_e32 v29, 16, v29
	v_cndmask_b32_e32 v39, v63, v15, vcc
	v_cmp_o_f32_e32 vcc, v32, v32
	v_lshrrev_b32_e32 v38, 16, v38
	s_mov_b32 s3, s59
	v_cndmask_b32_e32 v15, v63, v29, vcc
	v_cmp_o_f32_e32 vcc, v33, v33
	v_lshl_add_u64 v[16:17], s[2:3], 1, v[22:23]
	v_perm_b32 v14, v39, v14, s94
	v_cndmask_b32_e32 v29, v63, v38, vcc
	v_perm_b32 v15, v29, v15, s94
	v_perm_b32 v13, v19, v13, s94
	;; [unrolled: 1-line block ×3, first 2 shown]
	s_waitcnt lgkmcnt(0)
	; wave barrier
	global_store_dwordx4 v[16:17], v[12:15], off
	s_waitcnt lgkmcnt(0)
	; wave barrier
	s_and_saveexec_b64 s[6:7], s[0:1]
	s_cbranch_execz .LBB41_11
; %bb.59:                               ;   in Loop: Header=BB41_12 Depth=1
	v_lshl_add_u64 v[8:9], s[2:3], 1, v[24:25]
	global_load_dwordx4 v[8:11], v[8:9], off
	s_branch .LBB41_11
.LBB41_60:
	s_endpgm
	.section	.rodata,"a",@progbits
	.p2align	6, 0x0
	.amdhsa_kernel _Z25selective_scan_fwd_kernelI32Selective_Scan_fwd_kernel_traitsILi64ELi8ELi1ELb1ELb1ELb1ELb1ELb0EN3c108BFloat16EffEEv13SSMParamsBase
		.amdhsa_group_segment_fixed_size 0
		.amdhsa_private_segment_fixed_size 0
		.amdhsa_kernarg_size 248
		.amdhsa_user_sgpr_count 2
		.amdhsa_user_sgpr_dispatch_ptr 0
		.amdhsa_user_sgpr_queue_ptr 0
		.amdhsa_user_sgpr_kernarg_segment_ptr 1
		.amdhsa_user_sgpr_dispatch_id 0
		.amdhsa_user_sgpr_kernarg_preload_length 0
		.amdhsa_user_sgpr_kernarg_preload_offset 0
		.amdhsa_user_sgpr_private_segment_size 0
		.amdhsa_uses_dynamic_stack 0
		.amdhsa_enable_private_segment 0
		.amdhsa_system_sgpr_workgroup_id_x 1
		.amdhsa_system_sgpr_workgroup_id_y 1
		.amdhsa_system_sgpr_workgroup_id_z 0
		.amdhsa_system_sgpr_workgroup_info 0
		.amdhsa_system_vgpr_workitem_id 0
		.amdhsa_next_free_vgpr 96
		.amdhsa_next_free_sgpr 100
		.amdhsa_accum_offset 96
		.amdhsa_reserve_vcc 1
		.amdhsa_float_round_mode_32 0
		.amdhsa_float_round_mode_16_64 0
		.amdhsa_float_denorm_mode_32 3
		.amdhsa_float_denorm_mode_16_64 3
		.amdhsa_dx10_clamp 1
		.amdhsa_ieee_mode 1
		.amdhsa_fp16_overflow 0
		.amdhsa_tg_split 0
		.amdhsa_exception_fp_ieee_invalid_op 0
		.amdhsa_exception_fp_denorm_src 0
		.amdhsa_exception_fp_ieee_div_zero 0
		.amdhsa_exception_fp_ieee_overflow 0
		.amdhsa_exception_fp_ieee_underflow 0
		.amdhsa_exception_fp_ieee_inexact 0
		.amdhsa_exception_int_div_zero 0
	.end_amdhsa_kernel
	.section	.text._Z25selective_scan_fwd_kernelI32Selective_Scan_fwd_kernel_traitsILi64ELi8ELi1ELb1ELb1ELb1ELb1ELb0EN3c108BFloat16EffEEv13SSMParamsBase,"axG",@progbits,_Z25selective_scan_fwd_kernelI32Selective_Scan_fwd_kernel_traitsILi64ELi8ELi1ELb1ELb1ELb1ELb1ELb0EN3c108BFloat16EffEEv13SSMParamsBase,comdat
.Lfunc_end41:
	.size	_Z25selective_scan_fwd_kernelI32Selective_Scan_fwd_kernel_traitsILi64ELi8ELi1ELb1ELb1ELb1ELb1ELb0EN3c108BFloat16EffEEv13SSMParamsBase, .Lfunc_end41-_Z25selective_scan_fwd_kernelI32Selective_Scan_fwd_kernel_traitsILi64ELi8ELi1ELb1ELb1ELb1ELb1ELb0EN3c108BFloat16EffEEv13SSMParamsBase
                                        ; -- End function
	.section	.AMDGPU.csdata,"",@progbits
; Kernel info:
; codeLenInByte = 10244
; NumSgprs: 106
; NumVgprs: 96
; NumAgprs: 0
; TotalNumVgprs: 96
; ScratchSize: 0
; MemoryBound: 1
; FloatMode: 240
; IeeeMode: 1
; LDSByteSize: 0 bytes/workgroup (compile time only)
; SGPRBlocks: 13
; VGPRBlocks: 11
; NumSGPRsForWavesPerEU: 106
; NumVGPRsForWavesPerEU: 96
; AccumOffset: 96
; Occupancy: 5
; WaveLimiterHint : 0
; COMPUTE_PGM_RSRC2:SCRATCH_EN: 0
; COMPUTE_PGM_RSRC2:USER_SGPR: 2
; COMPUTE_PGM_RSRC2:TRAP_HANDLER: 0
; COMPUTE_PGM_RSRC2:TGID_X_EN: 1
; COMPUTE_PGM_RSRC2:TGID_Y_EN: 1
; COMPUTE_PGM_RSRC2:TGID_Z_EN: 0
; COMPUTE_PGM_RSRC2:TIDIG_COMP_CNT: 0
; COMPUTE_PGM_RSRC3_GFX90A:ACCUM_OFFSET: 23
; COMPUTE_PGM_RSRC3_GFX90A:TG_SPLIT: 0
	.section	.text._Z25selective_scan_fwd_kernelI32Selective_Scan_fwd_kernel_traitsILi64ELi8ELi1ELb1ELb1ELb1ELb0ELb1EN3c108BFloat16EffEEv13SSMParamsBase,"axG",@progbits,_Z25selective_scan_fwd_kernelI32Selective_Scan_fwd_kernel_traitsILi64ELi8ELi1ELb1ELb1ELb1ELb0ELb1EN3c108BFloat16EffEEv13SSMParamsBase,comdat
	.protected	_Z25selective_scan_fwd_kernelI32Selective_Scan_fwd_kernel_traitsILi64ELi8ELi1ELb1ELb1ELb1ELb0ELb1EN3c108BFloat16EffEEv13SSMParamsBase ; -- Begin function _Z25selective_scan_fwd_kernelI32Selective_Scan_fwd_kernel_traitsILi64ELi8ELi1ELb1ELb1ELb1ELb0ELb1EN3c108BFloat16EffEEv13SSMParamsBase
	.globl	_Z25selective_scan_fwd_kernelI32Selective_Scan_fwd_kernel_traitsILi64ELi8ELi1ELb1ELb1ELb1ELb0ELb1EN3c108BFloat16EffEEv13SSMParamsBase
	.p2align	8
	.type	_Z25selective_scan_fwd_kernelI32Selective_Scan_fwd_kernel_traitsILi64ELi8ELi1ELb1ELb1ELb1ELb0ELb1EN3c108BFloat16EffEEv13SSMParamsBase,@function
_Z25selective_scan_fwd_kernelI32Selective_Scan_fwd_kernel_traitsILi64ELi8ELi1ELb1ELb1ELb1ELb0ELb1EN3c108BFloat16EffEEv13SSMParamsBase: ; @_Z25selective_scan_fwd_kernelI32Selective_Scan_fwd_kernel_traitsILi64ELi8ELi1ELb1ELb1ELb1ELb0ELb1EN3c108BFloat16EffEEv13SSMParamsBase
; %bb.0:
	s_load_dword s27, s[0:1], 0x18
	s_load_dwordx4 s[4:7], s[0:1], 0xe0
	s_load_dwordx2 s[10:11], s[0:1], 0xf0
	s_mov_b32 s20, s3
	s_ashr_i32 s3, s2, 31
	s_waitcnt lgkmcnt(0)
	s_abs_i32 s26, s27
	v_cvt_f32_u32_e32 v1, s26
	s_lshl_b64 s[8:9], s[2:3], 2
	s_add_u32 s24, s4, s8
	s_addc_u32 s25, s5, s9
	v_rcp_iflag_f32_e32 v1, v1
	s_cmp_eq_u64 s[10:11], 0
	v_mul_f32_e32 v1, 0x4f7ffffe, v1
	v_cvt_u32_f32_e32 v1, v1
	s_nop 0
	v_readfirstlane_b32 s28, v1
	s_cbranch_scc1 .LBB42_137
; %bb.1:
	s_add_u32 s4, s10, s2
	s_addc_u32 s5, s11, s3
	v_mov_b32_e32 v1, 0
	global_load_ubyte v1, v1, s[4:5]
	s_waitcnt vmcnt(0)
	v_and_b32_e32 v1, 1, v1
	v_cmp_eq_u32_e64 s[68:69], 1, v1
	s_load_dwordx2 s[4:5], s[0:1], 0x20
	s_cmp_eq_u64 s[6:7], 0
	s_cbranch_scc1 .LBB42_3
.LBB42_2:
	s_add_u32 s2, s6, s8
	s_addc_u32 s3, s7, s9
	s_load_dword s2, s[2:3], 0x0
	s_waitcnt lgkmcnt(0)
	s_ashr_i32 s3, s2, 31
.LBB42_3:
	s_waitcnt lgkmcnt(0)
	s_cmp_eq_u64 s[4:5], s[2:3]
	s_cbranch_scc1 .LBB42_136
; %bb.4:
	s_load_dwordx16 s[4:19], s[0:1], 0x88
	s_load_dwordx2 s[22:23], s[24:25], 0x0
	s_mov_b32 s33, 0
	s_mov_b32 s94, 0
	s_waitcnt lgkmcnt(0)
	s_cmp_eq_u64 s[10:11], 0
	s_cbranch_scc1 .LBB42_6
; %bb.5:
	s_ashr_i32 s21, s20, 31
	s_lshl_b64 s[24:25], s[20:21], 2
	s_add_u32 s10, s10, s24
	s_addc_u32 s11, s11, s25
	s_load_dword s94, s[10:11], 0x0
.LBB42_6:
	s_cmp_eq_u64 s[16:17], 0
	s_cbranch_scc1 .LBB42_8
; %bb.7:
	s_ashr_i32 s21, s20, 31
	s_lshl_b64 s[10:11], s[20:21], 2
	s_add_u32 s10, s16, s10
	s_addc_u32 s11, s17, s11
	s_load_dword s33, s[10:11], 0x0
.LBB42_8:
	s_sub_i32 s29, s23, s22
	s_cmp_lt_i32 s29, 1
	s_cbranch_scc1 .LBB42_136
; %bb.9:
	s_sub_i32 s3, 0, s26
	s_mul_i32 s3, s3, s28
	s_mul_hi_u32 s3, s28, s3
	s_abs_i32 s21, s20
	s_add_i32 s28, s28, s3
	s_load_dwordx8 s[52:59], s[0:1], 0x2c
	s_load_dwordx2 s[10:11], s[0:1], 0x5c
	s_load_dwordx4 s[60:63], s[0:1], 0x4c
	s_load_dwordx4 s[64:67], s[0:1], 0x7c
	s_load_dwordx2 s[24:25], s[0:1], 0x6c
	s_load_dwordx2 s[16:17], s[0:1], 0xc8
	s_mul_hi_u32 s3, s21, s28
	s_load_dword s28, s[0:1], 0xc
	s_load_dword s23, s[0:1], 0x28
	s_ashr_i32 s0, s20, 31
	s_ashr_i32 s1, s27, 31
	s_xor_b32 s0, s0, s1
	s_mul_i32 s1, s3, s26
	s_sub_i32 s1, s21, s1
	s_add_i32 s21, s3, 1
	s_sub_i32 s27, s1, s26
	s_cmp_ge_u32 s1, s26
	s_cselect_b32 s3, s21, s3
	s_cselect_b32 s1, s27, s1
	s_add_i32 s21, s3, 1
	s_cmp_ge_u32 s1, s26
	s_cselect_b32 s1, s21, s3
	s_xor_b32 s1, s1, s0
	s_waitcnt lgkmcnt(0)
	s_mul_i32 s70, s22, s62
	s_mov_b32 s71, 0
	s_sub_i32 s3, s1, s0
	s_lshl_b64 s[0:1], s[70:71], 1
	s_add_u32 s12, s12, s0
	s_mul_i32 s70, s63, s20
	s_addc_u32 s13, s13, s1
	s_lshl_b64 s[0:1], s[70:71], 1
	s_add_u32 s62, s12, s0
	s_mul_i32 s70, s22, s10
	s_addc_u32 s63, s13, s1
	;; [unrolled: 4-line block ×10, first 2 shown]
	s_lshl_b64 s[0:1], s[70:71], 2
	s_add_u32 s57, s2, s0
	v_mbcnt_lo_u32_b32 v1, -1, 0
	s_addc_u32 s61, s3, s1
	s_add_i32 s0, s29, 0x7ff
	v_mbcnt_hi_u32_b32 v10, -1, v1
	s_lshr_b32 s12, s0, 11
	v_lshrrev_b32_e32 v1, 5, v10
	v_and_b32_e32 v1, 2, v1
	s_bitcmp1_b32 s23, 0
	v_add_u32_e32 v36, 64, v10
	v_or_b32_e32 v37, 0x80, v10
	v_add_u32_e32 v38, 0xc0, v10
	v_or_b32_e32 v39, 0x100, v10
	v_add_u32_e32 v40, 0x140, v10
	v_or_b32_e32 v41, 0x180, v10
	v_add_u32_e32 v42, 0x1c0, v10
	v_add_u32_e32 v1, v1, v10
	s_cselect_b64 s[64:65], -1, 0
                                        ; implicit-def: $vgpr95 : SGPR spill to VGPR lane
	s_cmp_gt_i32 s28, 0
	v_lshl_add_u32 v43, v1, 1, 0
	v_lshrrev_b32_e32 v1, 5, v36
	v_lshrrev_b32_e32 v2, 5, v37
	;; [unrolled: 1-line block ×7, first 2 shown]
	v_writelane_b32 v95, s28, 0
	s_cselect_b64 s[0:1], -1, 0
	v_and_b32_e32 v1, 6, v1
	v_and_b32_e32 v2, 6, v2
	;; [unrolled: 1-line block ×7, first 2 shown]
	v_writelane_b32 v95, s0, 1
	v_add_lshl_u32 v1, v1, v10, 1
	v_add_lshl_u32 v2, v2, v10, 1
	;; [unrolled: 1-line block ×7, first 2 shown]
	v_writelane_b32 v95, s1, 2
	s_add_i32 s0, 0, 0x420
	v_add_u32_e32 v52, s0, v1
	v_add_u32_e32 v53, s0, v2
	;; [unrolled: 1-line block ×7, first 2 shown]
	s_and_b32 s0, s29, 0x1ff
	v_writelane_b32 v95, s29, 3
	s_cmp_eq_u32 s0, 0
	s_cselect_b64 s[76:77], -1, 0
	v_writelane_b32 v95, s12, 4
	s_add_i32 s12, s12, -1
	s_mul_i32 s70, s22, s24
	v_writelane_b32 v95, s12, 5
	s_lshl_b64 s[12:13], s[70:71], 1
	v_add_u32_e32 v44, 0, v1
	v_lshrrev_b32_e32 v8, 2, v10
	v_and_b32_e32 v1, 15, v10
	s_add_u32 s21, s18, s12
	s_mul_i32 s70, s25, s20
	v_and_b32_e32 v8, 30, v8
	v_cmp_ne_u32_e64 s[0:1], 0, v1
	v_cmp_lt_u32_e64 s[2:3], 1, v1
	v_cmp_lt_u32_e64 s[4:5], 3, v1
	;; [unrolled: 1-line block ×3, first 2 shown]
	v_and_b32_e32 v1, 16, v10
	s_addc_u32 s22, s19, s13
	s_lshl_b64 s[18:19], s[70:71], 1
	v_add_u32_e32 v45, 0, v2
	v_lshl_add_u32 v8, v10, 3, v8
	v_cmp_ne_u32_e64 s[8:9], 0, v1
	v_add_u32_e32 v1, -1, v10
	v_and_b32_e32 v2, 64, v10
	s_add_u32 s18, s21, s18
	v_mov_b32_e32 v9, 0
	v_lshl_add_u32 v51, v8, 1, 0
	v_cmp_lt_i32_e32 vcc, v1, v2
	s_addc_u32 s19, s22, s19
	v_lshlrev_b32_e32 v8, 1, v10
	v_lshlrev_b32_e32 v11, 3, v0
	v_cndmask_b32_e32 v1, v1, v10, vcc
	v_lshl_add_u64 v[12:13], s[18:19], 0, v[8:9]
	s_add_i32 s18, 0, 0x848
	v_add_u32_e32 v46, 0, v3
	v_add_u32_e32 v47, 0, v4
	;; [unrolled: 1-line block ×5, first 2 shown]
	v_cmp_lt_u32_e64 s[10:11], 31, v10
	v_cmp_eq_u32_e64 s[12:13], 63, v0
	v_lshlrev_b32_e32 v59, 2, v1
	v_cmp_gt_u32_e64 s[14:15], 64, v0
	v_cmp_eq_u32_e64 s[16:17], 0, v0
	v_or_b32_e32 v63, 4, v11
	v_or_b32_e32 v64, 5, v11
	;; [unrolled: 1-line block ×4, first 2 shown]
	v_lshlrev_b32_e32 v8, 1, v10
	s_mov_b32 s99, 0x41a00000
	s_mov_b32 s40, 0x3fb8aa3b
	;; [unrolled: 1-line block ×6, first 2 shown]
	v_mov_b32_e32 v67, 0x3ecc95a3
	s_mov_b32 s45, 0x3f317218
	s_mov_b32 s67, 0x33800000
	v_writelane_b32 v95, s18, 6
	s_mov_b32 s98, 0xc2fc0000
	s_movk_i32 s74, 0x7fff
	s_mov_b32 s75, 0x5040100
	v_mov_b32_e32 v68, 0x7f800000
	v_mov_b32_e32 v14, 0x3f317218
	;; [unrolled: 1-line block ×5, first 2 shown]
	s_mov_b32 s97, 0
                                        ; implicit-def: $vgpr0
	s_branch .LBB42_11
.LBB42_10:                              ;   in Loop: Header=BB42_11 Depth=1
	s_or_b64 exec, exec, s[18:19]
	s_add_u32 s72, s72, 0x400
	s_addc_u32 s73, s73, 0
	s_add_u32 s62, s62, 0x400
	s_addc_u32 s63, s63, 0
	;; [unrolled: 2-line block ×4, first 2 shown]
	s_add_i32 s97, s97, 1
	v_readlane_b32 s18, v95, 4
	s_cmp_eq_u32 s97, s18
	s_cbranch_scc1 .LBB42_136
.LBB42_11:                              ; =>This Loop Header: Depth=1
                                        ;     Child Loop BB42_60 Depth 2
	s_lshl_b32 s78, s97, 9
	v_readlane_b32 s18, v95, 3
	s_sub_i32 s50, s18, s78
	v_lshl_add_u64 v[0:1], s[62:63], 0, v[8:9]
	v_cmp_gt_u32_e64 s[18:19], s50, v10
	s_waitcnt lgkmcnt(0)
	v_mov_b32_e32 v2, 0
	s_waitcnt lgkmcnt(0)
	; wave barrier
	s_and_saveexec_b64 s[20:21], s[18:19]
	s_cbranch_execz .LBB42_13
; %bb.12:                               ;   in Loop: Header=BB42_11 Depth=1
	global_load_ushort v2, v[0:1], off
.LBB42_13:                              ;   in Loop: Header=BB42_11 Depth=1
	s_or_b64 exec, exec, s[20:21]
	v_cmp_gt_u32_e64 s[20:21], s50, v36
	v_mov_b32_e32 v3, 0
	v_mov_b32_e32 v4, 0
	s_and_saveexec_b64 s[22:23], s[20:21]
	s_cbranch_execz .LBB42_15
; %bb.14:                               ;   in Loop: Header=BB42_11 Depth=1
	global_load_ushort v4, v[0:1], off offset:128
.LBB42_15:                              ;   in Loop: Header=BB42_11 Depth=1
	s_or_b64 exec, exec, s[22:23]
	v_cmp_gt_u32_e64 s[22:23], s50, v37
	s_and_saveexec_b64 s[24:25], s[22:23]
	s_cbranch_execz .LBB42_17
; %bb.16:                               ;   in Loop: Header=BB42_11 Depth=1
	global_load_ushort v3, v[0:1], off offset:256
.LBB42_17:                              ;   in Loop: Header=BB42_11 Depth=1
	s_or_b64 exec, exec, s[24:25]
	v_cmp_gt_u32_e64 s[24:25], s50, v38
	v_mov_b32_e32 v5, 0
	v_mov_b32_e32 v7, 0
	s_and_saveexec_b64 s[26:27], s[24:25]
	s_cbranch_execz .LBB42_19
; %bb.18:                               ;   in Loop: Header=BB42_11 Depth=1
	global_load_ushort v7, v[0:1], off offset:384
.LBB42_19:                              ;   in Loop: Header=BB42_11 Depth=1
	s_or_b64 exec, exec, s[26:27]
	v_cmp_gt_u32_e64 s[26:27], s50, v39
	s_and_saveexec_b64 s[28:29], s[26:27]
	s_cbranch_execz .LBB42_21
; %bb.20:                               ;   in Loop: Header=BB42_11 Depth=1
	global_load_ushort v5, v[0:1], off offset:512
.LBB42_21:                              ;   in Loop: Header=BB42_11 Depth=1
	;; [unrolled: 16-line block ×3, first 2 shown]
	s_or_b64 exec, exec, s[34:35]
	v_cmp_gt_u32_e64 s[34:35], s50, v42
	v_mov_b32_e32 v6, 0
	v_mov_b32_e32 v17, 0
	s_and_saveexec_b64 s[36:37], s[34:35]
	s_cbranch_execz .LBB42_27
; %bb.26:                               ;   in Loop: Header=BB42_11 Depth=1
	global_load_ushort v17, v[0:1], off offset:896
.LBB42_27:                              ;   in Loop: Header=BB42_11 Depth=1
	s_or_b64 exec, exec, s[36:37]
	s_waitcnt vmcnt(0)
	ds_write_b16 v43, v2
	ds_write_b16 v44, v4 offset:128
	ds_write_b16 v45, v3 offset:256
	;; [unrolled: 1-line block ×7, first 2 shown]
	; wave barrier
	ds_read_b128 v[0:3], v51
	v_lshl_add_u64 v[4:5], s[72:73], 0, v[8:9]
	s_waitcnt lgkmcnt(0)
	; wave barrier
	s_waitcnt lgkmcnt(0)
	s_and_saveexec_b64 s[36:37], s[18:19]
	s_cbranch_execz .LBB42_29
; %bb.28:                               ;   in Loop: Header=BB42_11 Depth=1
	global_load_ushort v6, v[4:5], off
.LBB42_29:                              ;   in Loop: Header=BB42_11 Depth=1
	s_or_b64 exec, exec, s[36:37]
	v_mov_b32_e32 v7, 0
	v_mov_b32_e32 v15, 0
	s_and_saveexec_b64 s[36:37], s[20:21]
	s_cbranch_execz .LBB42_31
; %bb.30:                               ;   in Loop: Header=BB42_11 Depth=1
	global_load_ushort v15, v[4:5], off offset:128
.LBB42_31:                              ;   in Loop: Header=BB42_11 Depth=1
	s_or_b64 exec, exec, s[36:37]
	s_and_saveexec_b64 s[36:37], s[22:23]
	s_cbranch_execz .LBB42_33
; %bb.32:                               ;   in Loop: Header=BB42_11 Depth=1
	global_load_ushort v7, v[4:5], off offset:256
.LBB42_33:                              ;   in Loop: Header=BB42_11 Depth=1
	s_or_b64 exec, exec, s[36:37]
	v_mov_b32_e32 v16, 0
	v_mov_b32_e32 v17, 0
	s_and_saveexec_b64 s[36:37], s[24:25]
	s_cbranch_execz .LBB42_35
; %bb.34:                               ;   in Loop: Header=BB42_11 Depth=1
	global_load_ushort v17, v[4:5], off offset:384
.LBB42_35:                              ;   in Loop: Header=BB42_11 Depth=1
	s_or_b64 exec, exec, s[36:37]
	s_and_saveexec_b64 s[36:37], s[26:27]
	s_cbranch_execz .LBB42_37
; %bb.36:                               ;   in Loop: Header=BB42_11 Depth=1
	global_load_ushort v16, v[4:5], off offset:512
.LBB42_37:                              ;   in Loop: Header=BB42_11 Depth=1
	s_or_b64 exec, exec, s[36:37]
	v_mov_b32_e32 v18, 0
	v_mov_b32_e32 v19, 0
	s_and_saveexec_b64 s[36:37], s[28:29]
	s_cbranch_execnz .LBB42_126
; %bb.38:                               ;   in Loop: Header=BB42_11 Depth=1
	s_or_b64 exec, exec, s[36:37]
	s_and_saveexec_b64 s[36:37], s[30:31]
	s_cbranch_execnz .LBB42_127
.LBB42_39:                              ;   in Loop: Header=BB42_11 Depth=1
	s_or_b64 exec, exec, s[36:37]
	v_mov_b32_e32 v20, 0
	s_and_saveexec_b64 s[36:37], s[34:35]
	s_cbranch_execz .LBB42_41
.LBB42_40:                              ;   in Loop: Header=BB42_11 Depth=1
	global_load_ushort v20, v[4:5], off offset:896
.LBB42_41:                              ;   in Loop: Header=BB42_11 Depth=1
	s_or_b64 exec, exec, s[36:37]
	s_waitcnt vmcnt(0)
	ds_write_b16 v43, v6
	ds_write_b16 v44, v15 offset:128
	ds_write_b16 v45, v7 offset:256
	ds_write_b16 v46, v17 offset:384
	ds_write_b16 v47, v16 offset:512
	ds_write_b16 v48, v19 offset:640
	ds_write_b16 v49, v18 offset:768
	ds_write_b16 v50, v20 offset:896
	; wave barrier
	ds_read_b128 v[4:7], v51
	s_waitcnt lgkmcnt(0)
	v_lshlrev_b32_e32 v15, 16, v4
	v_add_f32_e32 v72, s33, v15
	v_cmp_ge_f32_e32 vcc, s99, v72
	s_and_b64 s[36:37], s[64:65], vcc
	s_and_saveexec_b64 s[38:39], s[36:37]
	s_cbranch_execz .LBB42_43
; %bb.42:                               ;   in Loop: Header=BB42_11 Depth=1
	v_mul_f32_e32 v15, 0x3fb8aa3b, v72
	v_rndne_f32_e32 v16, v15
	v_sub_f32_e32 v17, v15, v16
	v_fma_f32 v15, v72, s40, -v15
	v_fmac_f32_e32 v15, 0x32a5705f, v72
	v_add_f32_e32 v15, v17, v15
	v_cvt_i32_f32_e32 v16, v16
	v_exp_f32_e32 v15, v15
	v_cmp_ngt_f32_e32 vcc, s41, v72
	v_ldexp_f32 v15, v15, v16
	s_nop 0
	v_cndmask_b32_e32 v15, 0, v15, vcc
	v_cmp_nlt_f32_e32 vcc, s42, v72
	s_nop 1
	v_cndmask_b32_e32 v32, v68, v15, vcc
	v_add_f32_e32 v15, 1.0, v32
	v_add_f32_e32 v16, -1.0, v15
	v_sub_f32_e32 v17, v16, v15
	v_add_f32_e32 v17, 1.0, v17
	v_sub_f32_e32 v16, v32, v16
	v_add_f32_e32 v18, v16, v17
	v_frexp_mant_f32_e32 v19, v15
	v_cvt_f64_f32_e32 v[16:17], v15
	v_frexp_exp_i32_f64_e32 v16, v[16:17]
	v_cmp_gt_f32_e32 vcc, s44, v19
	v_cmp_gt_f32_e64 s[36:37], s67, v32
	s_nop 0
	v_subbrev_co_u32_e32 v24, vcc, 0, v16, vcc
	v_sub_u32_e32 v16, 0, v24
	v_ldexp_f32 v15, v15, v16
	v_ldexp_f32 v16, v18, v16
	v_add_f32_e32 v18, -1.0, v15
	v_add_f32_e32 v17, 1.0, v18
	v_sub_f32_e32 v17, v15, v17
	v_add_f32_e32 v19, v16, v17
	v_add_f32_e32 v17, 1.0, v15
	v_add_f32_e32 v20, -1.0, v17
	v_sub_f32_e32 v15, v15, v20
	v_add_f32_e32 v15, v16, v15
	v_add_f32_e32 v25, v17, v15
	v_rcp_f32_e32 v26, v25
	v_sub_f32_e32 v16, v17, v25
	v_add_f32_e32 v17, v18, v19
	v_add_f32_e32 v15, v15, v16
	v_mul_f32_e32 v28, v17, v26
	v_sub_f32_e32 v16, v18, v17
	v_mul_f32_e32 v18, v25, v28
	v_fma_f32 v20, v28, v25, -v18
	v_fmac_f32_e32 v20, v28, v15
	v_add_f32_e32 v27, v19, v16
	v_add_f32_e32 v16, v18, v20
	v_sub_f32_e32 v19, v17, v16
	v_pk_add_f32 v[22:23], v[16:17], v[18:19] neg_lo:[0,1] neg_hi:[0,1]
	v_mov_b32_e32 v21, v16
	v_pk_add_f32 v[16:17], v[22:23], v[20:21] neg_lo:[0,1] neg_hi:[0,1]
	v_cmp_eq_f32_e32 vcc, s43, v32
	v_add_f32_e32 v17, v27, v17
	v_add_f32_e32 v16, v16, v17
	;; [unrolled: 1-line block ×3, first 2 shown]
	v_mul_f32_e32 v27, v26, v17
	v_mul_f32_e32 v18, v25, v27
	v_fma_f32 v20, v27, v25, -v18
	v_fmac_f32_e32 v20, v27, v15
	v_sub_f32_e32 v15, v19, v17
	v_add_f32_e32 v15, v16, v15
	v_add_f32_e32 v16, v18, v20
	v_sub_f32_e32 v19, v17, v16
	v_pk_add_f32 v[22:23], v[16:17], v[18:19] neg_lo:[0,1] neg_hi:[0,1]
	v_mov_b32_e32 v21, v16
	v_pk_add_f32 v[16:17], v[22:23], v[20:21] neg_lo:[0,1] neg_hi:[0,1]
	s_or_b64 vcc, s[36:37], vcc
	v_add_f32_e32 v15, v15, v17
	v_add_f32_e32 v15, v16, v15
	;; [unrolled: 1-line block ×4, first 2 shown]
	v_sub_f32_e32 v16, v17, v28
	v_mul_f32_e32 v15, v26, v15
	v_sub_f32_e32 v16, v27, v16
	v_add_f32_e32 v18, v16, v15
	v_add_f32_e32 v20, v17, v18
	v_cvt_f32_i32_e32 v16, v24
	v_mul_f32_e32 v21, v20, v20
	v_sub_f32_e32 v17, v20, v17
	v_fmamk_f32 v15, v21, 0x3e9b6dac, v67
	v_sub_f32_e32 v17, v18, v17
	v_fmaak_f32 v15, v21, v15, 0x3f2aaada
	v_ldexp_f32 v22, v17, 1
	v_mul_f32_e32 v17, v20, v21
	v_ldexp_f32 v19, v20, 1
	v_pk_mul_f32 v[20:21], v[16:17], v[14:15]
	s_nop 0
	v_fma_f32 v18, v16, s45, -v20
	v_fmac_f32_e32 v18, 0xb102e308, v16
	v_pk_add_f32 v[16:17], v[20:21], v[18:19]
	s_nop 0
	v_sub_f32_e32 v15, v17, v19
	v_sub_f32_e32 v15, v21, v15
	v_add_f32_e32 v23, v22, v15
	v_mov_b32_e32 v22, v20
	v_pk_add_f32 v[20:21], v[16:17], v[20:21] neg_lo:[0,1] neg_hi:[0,1]
	v_pk_add_f32 v[24:25], v[16:17], v[22:23]
	v_mov_b32_e32 v19, v16
	v_mov_b32_e32 v21, v25
	v_pk_add_f32 v[26:27], v[18:19], v[20:21] neg_lo:[0,1] neg_hi:[0,1]
	v_pk_add_f32 v[18:19], v[18:19], v[20:21]
	v_mov_b32_e32 v22, v23
	v_mov_b32_e32 v20, v19
	v_pk_add_f32 v[28:29], v[20:21], v[16:17] neg_lo:[0,1] neg_hi:[0,1]
	v_mov_b32_e32 v18, v25
	v_mov_b32_e32 v15, v28
	v_pk_add_f32 v[30:31], v[24:25], v[14:15] neg_lo:[0,1] neg_hi:[0,1]
	v_mov_b32_e32 v24, v17
	v_mov_b32_e32 v25, v28
	v_mov_b32_e32 v27, v19
	v_pk_add_f32 v[18:19], v[18:19], v[24:25] neg_lo:[0,1] neg_hi:[0,1]
	v_mov_b32_e32 v23, v16
	v_pk_add_f32 v[16:17], v[22:23], v[18:19] neg_lo:[0,1] neg_hi:[0,1]
	v_mov_b32_e32 v30, v26
	v_pk_add_f32 v[18:19], v[30:31], v[16:17]
	s_nop 0
	v_mov_b32_e32 v22, v19
	v_pk_add_f32 v[22:23], v[18:19], v[22:23]
	s_nop 0
	v_pk_add_f32 v[20:21], v[20:21], v[22:23]
	v_mov_b32_e32 v17, v22
	v_mov_b32_e32 v19, v20
	v_pk_add_f32 v[24:25], v[18:19], v[26:27] neg_lo:[0,1] neg_hi:[0,1]
	s_nop 0
	v_sub_f32_e32 v15, v18, v24
	v_pk_add_f32 v[16:17], v[16:17], v[24:25] neg_lo:[0,1] neg_hi:[0,1]
	v_sub_f32_e32 v15, v26, v15
	v_add_f32_e32 v15, v16, v15
	v_add_f32_e32 v15, v15, v17
	;; [unrolled: 1-line block ×3, first 2 shown]
	v_cndmask_b32_e32 v72, v15, v32, vcc
.LBB42_43:                              ;   in Loop: Header=BB42_11 Depth=1
	s_or_b64 exec, exec, s[38:39]
	v_and_b32_e32 v4, 0xffff0000, v4
	v_add_f32_e32 v73, s33, v4
	v_cmp_ge_f32_e32 vcc, s99, v73
	s_and_b64 s[36:37], s[64:65], vcc
	s_and_saveexec_b64 s[38:39], s[36:37]
	s_cbranch_execz .LBB42_45
; %bb.44:                               ;   in Loop: Header=BB42_11 Depth=1
	v_mul_f32_e32 v4, 0x3fb8aa3b, v73
	v_rndne_f32_e32 v15, v4
	v_sub_f32_e32 v16, v4, v15
	v_fma_f32 v4, v73, s40, -v4
	v_fmac_f32_e32 v4, 0x32a5705f, v73
	v_add_f32_e32 v4, v16, v4
	v_cvt_i32_f32_e32 v15, v15
	v_exp_f32_e32 v4, v4
	v_cmp_ngt_f32_e32 vcc, s41, v73
	v_ldexp_f32 v4, v4, v15
	s_nop 0
	v_cndmask_b32_e32 v4, 0, v4, vcc
	v_cmp_nlt_f32_e32 vcc, s42, v73
	s_nop 1
	v_cndmask_b32_e32 v30, v68, v4, vcc
	v_add_f32_e32 v4, 1.0, v30
	v_add_f32_e32 v15, -1.0, v4
	v_sub_f32_e32 v16, v15, v4
	v_add_f32_e32 v16, 1.0, v16
	v_sub_f32_e32 v15, v30, v15
	v_add_f32_e32 v15, v15, v16
	v_frexp_mant_f32_e32 v18, v4
	v_cvt_f64_f32_e32 v[16:17], v4
	v_frexp_exp_i32_f64_e32 v16, v[16:17]
	v_cmp_gt_f32_e32 vcc, s44, v18
	v_cmp_gt_f32_e64 s[36:37], s67, v30
	s_nop 0
	v_subbrev_co_u32_e32 v24, vcc, 0, v16, vcc
	v_sub_u32_e32 v16, 0, v24
	v_ldexp_f32 v4, v4, v16
	v_ldexp_f32 v15, v15, v16
	v_add_f32_e32 v16, -1.0, v4
	v_add_f32_e32 v17, 1.0, v16
	v_sub_f32_e32 v17, v4, v17
	v_add_f32_e32 v18, v15, v17
	v_add_f32_e32 v17, 1.0, v4
	v_add_f32_e32 v19, -1.0, v17
	v_sub_f32_e32 v4, v4, v19
	v_add_f32_e32 v4, v15, v4
	v_add_f32_e32 v15, v17, v4
	v_rcp_f32_e32 v25, v15
	v_sub_f32_e32 v17, v17, v15
	v_add_f32_e32 v4, v4, v17
	v_add_f32_e32 v17, v16, v18
	v_sub_f32_e32 v16, v16, v17
	v_mul_f32_e32 v27, v17, v25
	v_add_f32_e32 v26, v18, v16
	v_mul_f32_e32 v18, v15, v27
	v_fma_f32 v20, v27, v15, -v18
	v_fmac_f32_e32 v20, v27, v4
	v_add_f32_e32 v16, v18, v20
	v_sub_f32_e32 v19, v17, v16
	v_pk_add_f32 v[22:23], v[16:17], v[18:19] neg_lo:[0,1] neg_hi:[0,1]
	v_mov_b32_e32 v21, v16
	v_pk_add_f32 v[16:17], v[22:23], v[20:21] neg_lo:[0,1] neg_hi:[0,1]
	v_cmp_eq_f32_e32 vcc, s43, v30
	v_add_f32_e32 v17, v26, v17
	v_add_f32_e32 v16, v16, v17
	;; [unrolled: 1-line block ×3, first 2 shown]
	v_mul_f32_e32 v26, v25, v17
	v_mul_f32_e32 v18, v15, v26
	v_fma_f32 v20, v26, v15, -v18
	v_fmac_f32_e32 v20, v26, v4
	v_sub_f32_e32 v4, v19, v17
	v_add_f32_e32 v4, v16, v4
	v_add_f32_e32 v16, v18, v20
	v_sub_f32_e32 v19, v17, v16
	v_pk_add_f32 v[22:23], v[16:17], v[18:19] neg_lo:[0,1] neg_hi:[0,1]
	v_mov_b32_e32 v21, v16
	v_pk_add_f32 v[16:17], v[22:23], v[20:21] neg_lo:[0,1] neg_hi:[0,1]
	s_or_b64 vcc, s[36:37], vcc
	v_add_f32_e32 v4, v4, v17
	v_add_f32_e32 v4, v16, v4
	;; [unrolled: 1-line block ×4, first 2 shown]
	v_sub_f32_e32 v15, v17, v27
	v_mul_f32_e32 v4, v25, v4
	v_sub_f32_e32 v15, v26, v15
	v_add_f32_e32 v4, v15, v4
	v_add_f32_e32 v18, v17, v4
	v_cvt_f32_i32_e32 v16, v24
	v_mul_f32_e32 v20, v18, v18
	v_fmamk_f32 v15, v20, 0x3e9b6dac, v67
	v_sub_f32_e32 v17, v18, v17
	v_fmaak_f32 v15, v20, v15, 0x3f2aaada
	v_sub_f32_e32 v4, v4, v17
	v_mul_f32_e32 v17, v18, v20
	v_pk_mul_f32 v[20:21], v[16:17], v[14:15]
	v_ldexp_f32 v19, v18, 1
	v_fma_f32 v18, v16, s45, -v20
	v_fmac_f32_e32 v18, 0xb102e308, v16
	v_pk_add_f32 v[16:17], v[20:21], v[18:19]
	v_ldexp_f32 v4, v4, 1
	v_sub_f32_e32 v15, v17, v19
	v_sub_f32_e32 v15, v21, v15
	v_add_f32_e32 v23, v4, v15
	v_mov_b32_e32 v22, v20
	v_pk_add_f32 v[20:21], v[16:17], v[20:21] neg_lo:[0,1] neg_hi:[0,1]
	v_pk_add_f32 v[24:25], v[16:17], v[22:23]
	v_mov_b32_e32 v19, v16
	v_mov_b32_e32 v21, v25
	v_pk_add_f32 v[26:27], v[18:19], v[20:21] neg_lo:[0,1] neg_hi:[0,1]
	v_pk_add_f32 v[18:19], v[18:19], v[20:21]
	s_nop 0
	v_mov_b32_e32 v4, v19
	v_pk_add_f32 v[20:21], v[4:5], v[16:17] neg_lo:[0,1] neg_hi:[0,1]
	v_mov_b32_e32 v18, v25
	v_mov_b32_e32 v15, v20
	v_pk_add_f32 v[28:29], v[24:25], v[14:15] neg_lo:[0,1] neg_hi:[0,1]
	v_mov_b32_e32 v24, v17
	v_mov_b32_e32 v25, v20
	;; [unrolled: 1-line block ×3, first 2 shown]
	v_pk_add_f32 v[18:19], v[18:19], v[24:25] neg_lo:[0,1] neg_hi:[0,1]
	v_mov_b32_e32 v20, v23
	v_mov_b32_e32 v21, v16
	v_pk_add_f32 v[16:17], v[20:21], v[18:19] neg_lo:[0,1] neg_hi:[0,1]
	v_mov_b32_e32 v28, v26
	v_pk_add_f32 v[18:19], v[28:29], v[16:17]
	s_nop 0
	v_mov_b32_e32 v20, v19
	v_pk_add_f32 v[20:21], v[18:19], v[20:21]
	s_nop 0
	v_pk_add_f32 v[22:23], v[4:5], v[20:21]
	v_mov_b32_e32 v17, v20
	v_mov_b32_e32 v19, v22
	v_pk_add_f32 v[24:25], v[18:19], v[26:27] neg_lo:[0,1] neg_hi:[0,1]
	s_nop 0
	v_sub_f32_e32 v4, v18, v24
	v_pk_add_f32 v[16:17], v[16:17], v[24:25] neg_lo:[0,1] neg_hi:[0,1]
	v_sub_f32_e32 v4, v26, v4
	v_add_f32_e32 v4, v16, v4
	v_add_f32_e32 v4, v4, v17
	;; [unrolled: 1-line block ×3, first 2 shown]
	v_cndmask_b32_e32 v73, v4, v30, vcc
.LBB42_45:                              ;   in Loop: Header=BB42_11 Depth=1
	s_or_b64 exec, exec, s[38:39]
	v_lshlrev_b32_e32 v4, 16, v5
	v_add_f32_e32 v74, s33, v4
	v_cmp_ge_f32_e32 vcc, s99, v74
	s_and_b64 s[36:37], s[64:65], vcc
	s_and_saveexec_b64 s[38:39], s[36:37]
	s_cbranch_execz .LBB42_47
; %bb.46:                               ;   in Loop: Header=BB42_11 Depth=1
	v_mul_f32_e32 v4, 0x3fb8aa3b, v74
	v_rndne_f32_e32 v15, v4
	v_sub_f32_e32 v16, v4, v15
	v_fma_f32 v4, v74, s40, -v4
	v_fmac_f32_e32 v4, 0x32a5705f, v74
	v_add_f32_e32 v4, v16, v4
	v_cvt_i32_f32_e32 v15, v15
	v_exp_f32_e32 v4, v4
	v_cmp_ngt_f32_e32 vcc, s41, v74
	v_ldexp_f32 v4, v4, v15
	s_nop 0
	v_cndmask_b32_e32 v4, 0, v4, vcc
	v_cmp_nlt_f32_e32 vcc, s42, v74
	s_nop 1
	v_cndmask_b32_e32 v30, v68, v4, vcc
	v_add_f32_e32 v4, 1.0, v30
	v_add_f32_e32 v15, -1.0, v4
	v_sub_f32_e32 v16, v15, v4
	v_add_f32_e32 v16, 1.0, v16
	v_sub_f32_e32 v15, v30, v15
	v_add_f32_e32 v15, v15, v16
	v_frexp_mant_f32_e32 v18, v4
	v_cvt_f64_f32_e32 v[16:17], v4
	v_frexp_exp_i32_f64_e32 v16, v[16:17]
	v_cmp_gt_f32_e32 vcc, s44, v18
	v_cmp_gt_f32_e64 s[36:37], s67, v30
	s_nop 0
	v_subbrev_co_u32_e32 v24, vcc, 0, v16, vcc
	v_sub_u32_e32 v16, 0, v24
	v_ldexp_f32 v4, v4, v16
	v_ldexp_f32 v15, v15, v16
	v_add_f32_e32 v16, -1.0, v4
	v_add_f32_e32 v17, 1.0, v16
	v_sub_f32_e32 v17, v4, v17
	v_add_f32_e32 v18, v15, v17
	v_add_f32_e32 v17, 1.0, v4
	v_add_f32_e32 v19, -1.0, v17
	v_sub_f32_e32 v4, v4, v19
	v_add_f32_e32 v4, v15, v4
	v_add_f32_e32 v15, v17, v4
	v_rcp_f32_e32 v25, v15
	v_sub_f32_e32 v17, v17, v15
	v_add_f32_e32 v4, v4, v17
	v_add_f32_e32 v17, v16, v18
	v_sub_f32_e32 v16, v16, v17
	v_mul_f32_e32 v27, v17, v25
	v_add_f32_e32 v26, v18, v16
	v_mul_f32_e32 v18, v15, v27
	v_fma_f32 v20, v27, v15, -v18
	v_fmac_f32_e32 v20, v27, v4
	v_add_f32_e32 v16, v18, v20
	v_sub_f32_e32 v19, v17, v16
	v_pk_add_f32 v[22:23], v[16:17], v[18:19] neg_lo:[0,1] neg_hi:[0,1]
	v_mov_b32_e32 v21, v16
	v_pk_add_f32 v[16:17], v[22:23], v[20:21] neg_lo:[0,1] neg_hi:[0,1]
	v_cmp_eq_f32_e32 vcc, s43, v30
	v_add_f32_e32 v17, v26, v17
	v_add_f32_e32 v16, v16, v17
	;; [unrolled: 1-line block ×3, first 2 shown]
	v_mul_f32_e32 v26, v25, v17
	v_mul_f32_e32 v18, v15, v26
	v_fma_f32 v20, v26, v15, -v18
	v_fmac_f32_e32 v20, v26, v4
	v_sub_f32_e32 v4, v19, v17
	v_add_f32_e32 v4, v16, v4
	v_add_f32_e32 v16, v18, v20
	v_sub_f32_e32 v19, v17, v16
	v_pk_add_f32 v[22:23], v[16:17], v[18:19] neg_lo:[0,1] neg_hi:[0,1]
	v_mov_b32_e32 v21, v16
	v_pk_add_f32 v[16:17], v[22:23], v[20:21] neg_lo:[0,1] neg_hi:[0,1]
	s_or_b64 vcc, s[36:37], vcc
	v_add_f32_e32 v4, v4, v17
	v_add_f32_e32 v4, v16, v4
	;; [unrolled: 1-line block ×4, first 2 shown]
	v_sub_f32_e32 v15, v17, v27
	v_mul_f32_e32 v4, v25, v4
	v_sub_f32_e32 v15, v26, v15
	v_add_f32_e32 v4, v15, v4
	v_add_f32_e32 v18, v17, v4
	v_cvt_f32_i32_e32 v16, v24
	v_mul_f32_e32 v20, v18, v18
	v_fmamk_f32 v15, v20, 0x3e9b6dac, v67
	v_sub_f32_e32 v17, v18, v17
	v_fmaak_f32 v15, v20, v15, 0x3f2aaada
	v_sub_f32_e32 v4, v4, v17
	v_mul_f32_e32 v17, v18, v20
	v_pk_mul_f32 v[20:21], v[16:17], v[14:15]
	v_ldexp_f32 v19, v18, 1
	v_fma_f32 v18, v16, s45, -v20
	v_fmac_f32_e32 v18, 0xb102e308, v16
	v_pk_add_f32 v[16:17], v[20:21], v[18:19]
	v_ldexp_f32 v4, v4, 1
	v_sub_f32_e32 v15, v17, v19
	v_sub_f32_e32 v15, v21, v15
	v_add_f32_e32 v23, v4, v15
	v_mov_b32_e32 v22, v20
	v_pk_add_f32 v[20:21], v[16:17], v[20:21] neg_lo:[0,1] neg_hi:[0,1]
	v_pk_add_f32 v[24:25], v[16:17], v[22:23]
	v_mov_b32_e32 v19, v16
	v_mov_b32_e32 v21, v25
	v_pk_add_f32 v[26:27], v[18:19], v[20:21] neg_lo:[0,1] neg_hi:[0,1]
	v_pk_add_f32 v[18:19], v[18:19], v[20:21]
	s_nop 0
	v_mov_b32_e32 v4, v19
	v_pk_add_f32 v[20:21], v[4:5], v[16:17] neg_lo:[0,1] neg_hi:[0,1]
	v_mov_b32_e32 v18, v25
	v_mov_b32_e32 v15, v20
	v_pk_add_f32 v[28:29], v[24:25], v[14:15] neg_lo:[0,1] neg_hi:[0,1]
	v_mov_b32_e32 v24, v17
	v_mov_b32_e32 v25, v20
	;; [unrolled: 1-line block ×3, first 2 shown]
	v_pk_add_f32 v[18:19], v[18:19], v[24:25] neg_lo:[0,1] neg_hi:[0,1]
	v_mov_b32_e32 v20, v23
	v_mov_b32_e32 v21, v16
	v_pk_add_f32 v[16:17], v[20:21], v[18:19] neg_lo:[0,1] neg_hi:[0,1]
	v_mov_b32_e32 v28, v26
	v_pk_add_f32 v[18:19], v[28:29], v[16:17]
	s_nop 0
	v_mov_b32_e32 v20, v19
	v_pk_add_f32 v[20:21], v[18:19], v[20:21]
	s_nop 0
	v_pk_add_f32 v[22:23], v[4:5], v[20:21]
	v_mov_b32_e32 v17, v20
	v_mov_b32_e32 v19, v22
	v_pk_add_f32 v[24:25], v[18:19], v[26:27] neg_lo:[0,1] neg_hi:[0,1]
	s_nop 0
	v_sub_f32_e32 v4, v18, v24
	v_pk_add_f32 v[16:17], v[16:17], v[24:25] neg_lo:[0,1] neg_hi:[0,1]
	v_sub_f32_e32 v4, v26, v4
	v_add_f32_e32 v4, v16, v4
	v_add_f32_e32 v4, v4, v17
	;; [unrolled: 1-line block ×3, first 2 shown]
	v_cndmask_b32_e32 v74, v4, v30, vcc
.LBB42_47:                              ;   in Loop: Header=BB42_11 Depth=1
	s_or_b64 exec, exec, s[38:39]
	v_and_b32_e32 v4, 0xffff0000, v5
	v_add_f32_e32 v75, s33, v4
	v_cmp_ge_f32_e32 vcc, s99, v75
	s_and_b64 s[36:37], s[64:65], vcc
	s_and_saveexec_b64 s[38:39], s[36:37]
	s_cbranch_execz .LBB42_49
; %bb.48:                               ;   in Loop: Header=BB42_11 Depth=1
	v_mul_f32_e32 v4, 0x3fb8aa3b, v75
	v_rndne_f32_e32 v5, v4
	v_sub_f32_e32 v15, v4, v5
	v_fma_f32 v4, v75, s40, -v4
	v_fmac_f32_e32 v4, 0x32a5705f, v75
	v_add_f32_e32 v4, v15, v4
	v_cvt_i32_f32_e32 v5, v5
	v_exp_f32_e32 v4, v4
	v_cmp_ngt_f32_e32 vcc, s41, v75
	v_ldexp_f32 v4, v4, v5
	s_nop 0
	v_cndmask_b32_e32 v4, 0, v4, vcc
	v_cmp_nlt_f32_e32 vcc, s42, v75
	s_nop 1
	v_cndmask_b32_e32 v30, v68, v4, vcc
	v_add_f32_e32 v15, 1.0, v30
	v_add_f32_e32 v4, -1.0, v15
	v_sub_f32_e32 v5, v4, v15
	v_add_f32_e32 v5, 1.0, v5
	v_sub_f32_e32 v4, v30, v4
	v_add_f32_e32 v16, v4, v5
	v_frexp_mant_f32_e32 v17, v15
	v_cvt_f64_f32_e32 v[4:5], v15
	v_frexp_exp_i32_f64_e32 v4, v[4:5]
	v_cmp_gt_f32_e32 vcc, s44, v17
	v_cmp_gt_f32_e64 s[36:37], s67, v30
	s_nop 0
	v_subbrev_co_u32_e32 v22, vcc, 0, v4, vcc
	v_sub_u32_e32 v4, 0, v22
	v_ldexp_f32 v5, v15, v4
	v_add_f32_e32 v15, -1.0, v5
	v_add_f32_e32 v17, 1.0, v5
	v_ldexp_f32 v4, v16, v4
	v_add_f32_e32 v16, 1.0, v15
	v_add_f32_e32 v18, -1.0, v17
	v_sub_f32_e32 v16, v5, v16
	v_sub_f32_e32 v5, v5, v18
	v_add_f32_e32 v16, v4, v16
	v_add_f32_e32 v4, v4, v5
	v_add_f32_e32 v23, v17, v4
	v_rcp_f32_e32 v25, v23
	v_sub_f32_e32 v5, v17, v23
	v_add_f32_e32 v24, v4, v5
	v_add_f32_e32 v5, v15, v16
	v_sub_f32_e32 v4, v15, v5
	v_mul_f32_e32 v26, v5, v25
	v_add_f32_e32 v15, v16, v4
	v_mul_f32_e32 v16, v23, v26
	v_fma_f32 v18, v26, v23, -v16
	v_fmac_f32_e32 v18, v26, v24
	v_add_f32_e32 v4, v16, v18
	v_sub_f32_e32 v17, v5, v4
	v_pk_add_f32 v[20:21], v[4:5], v[16:17] neg_lo:[0,1] neg_hi:[0,1]
	v_mov_b32_e32 v19, v4
	v_pk_add_f32 v[4:5], v[20:21], v[18:19] neg_lo:[0,1] neg_hi:[0,1]
	v_cmp_eq_f32_e32 vcc, s43, v30
	v_add_f32_e32 v5, v15, v5
	v_add_f32_e32 v4, v4, v5
	;; [unrolled: 1-line block ×3, first 2 shown]
	v_mul_f32_e32 v15, v25, v5
	v_mul_f32_e32 v16, v23, v15
	v_fma_f32 v18, v15, v23, -v16
	v_fmac_f32_e32 v18, v15, v24
	v_sub_f32_e32 v17, v17, v5
	v_add_f32_e32 v23, v4, v17
	v_add_f32_e32 v4, v16, v18
	v_sub_f32_e32 v17, v5, v4
	v_pk_add_f32 v[20:21], v[4:5], v[16:17] neg_lo:[0,1] neg_hi:[0,1]
	v_mov_b32_e32 v19, v4
	v_pk_add_f32 v[4:5], v[20:21], v[18:19] neg_lo:[0,1] neg_hi:[0,1]
	s_or_b64 vcc, s[36:37], vcc
	v_add_f32_e32 v5, v23, v5
	v_add_f32_e32 v4, v4, v5
	;; [unrolled: 1-line block ×4, first 2 shown]
	v_sub_f32_e32 v16, v5, v26
	v_mul_f32_e32 v4, v25, v4
	v_sub_f32_e32 v15, v15, v16
	v_add_f32_e32 v16, v15, v4
	v_add_f32_e32 v18, v5, v16
	v_mul_f32_e32 v19, v18, v18
	v_fmamk_f32 v4, v19, 0x3e9b6dac, v67
	v_fmaak_f32 v15, v19, v4, 0x3f2aaada
	v_cvt_f32_i32_e32 v4, v22
	v_sub_f32_e32 v5, v18, v5
	v_sub_f32_e32 v5, v16, v5
	v_ldexp_f32 v20, v5, 1
	v_mul_f32_e32 v5, v18, v19
	v_ldexp_f32 v17, v18, 1
	v_pk_mul_f32 v[18:19], v[4:5], v[14:15]
	s_nop 0
	v_fma_f32 v16, v4, s45, -v18
	v_fmac_f32_e32 v16, 0xb102e308, v4
	v_pk_add_f32 v[4:5], v[18:19], v[16:17]
	s_nop 0
	v_sub_f32_e32 v15, v5, v17
	v_sub_f32_e32 v15, v19, v15
	v_add_f32_e32 v21, v20, v15
	v_mov_b32_e32 v20, v18
	v_pk_add_f32 v[18:19], v[4:5], v[18:19] neg_lo:[0,1] neg_hi:[0,1]
	v_pk_add_f32 v[22:23], v[4:5], v[20:21]
	v_mov_b32_e32 v17, v4
	v_mov_b32_e32 v19, v23
	v_pk_add_f32 v[24:25], v[16:17], v[18:19] neg_lo:[0,1] neg_hi:[0,1]
	v_pk_add_f32 v[16:17], v[16:17], v[18:19]
	v_mov_b32_e32 v20, v21
	v_mov_b32_e32 v18, v17
	v_pk_add_f32 v[26:27], v[18:19], v[4:5] neg_lo:[0,1] neg_hi:[0,1]
	v_mov_b32_e32 v16, v23
	v_mov_b32_e32 v15, v26
	v_pk_add_f32 v[28:29], v[22:23], v[14:15] neg_lo:[0,1] neg_hi:[0,1]
	v_mov_b32_e32 v22, v5
	v_mov_b32_e32 v23, v26
	;; [unrolled: 1-line block ×3, first 2 shown]
	v_pk_add_f32 v[16:17], v[16:17], v[22:23] neg_lo:[0,1] neg_hi:[0,1]
	v_mov_b32_e32 v21, v4
	v_pk_add_f32 v[4:5], v[20:21], v[16:17] neg_lo:[0,1] neg_hi:[0,1]
	v_mov_b32_e32 v28, v24
	v_pk_add_f32 v[16:17], v[28:29], v[4:5]
	s_nop 0
	v_mov_b32_e32 v20, v17
	v_pk_add_f32 v[20:21], v[16:17], v[20:21]
	s_nop 0
	v_pk_add_f32 v[18:19], v[18:19], v[20:21]
	v_mov_b32_e32 v5, v20
	v_mov_b32_e32 v17, v18
	v_pk_add_f32 v[22:23], v[16:17], v[24:25] neg_lo:[0,1] neg_hi:[0,1]
	s_nop 0
	v_sub_f32_e32 v15, v16, v22
	v_pk_add_f32 v[4:5], v[4:5], v[22:23] neg_lo:[0,1] neg_hi:[0,1]
	v_sub_f32_e32 v15, v24, v15
	v_add_f32_e32 v4, v4, v15
	v_add_f32_e32 v4, v4, v5
	;; [unrolled: 1-line block ×3, first 2 shown]
	v_cndmask_b32_e32 v75, v4, v30, vcc
.LBB42_49:                              ;   in Loop: Header=BB42_11 Depth=1
	s_or_b64 exec, exec, s[38:39]
	v_lshlrev_b32_e32 v4, 16, v6
	v_add_f32_e32 v76, s33, v4
	v_cmp_ge_f32_e32 vcc, s99, v76
	s_and_b64 s[36:37], s[64:65], vcc
	s_and_saveexec_b64 s[38:39], s[36:37]
	s_cbranch_execz .LBB42_51
; %bb.50:                               ;   in Loop: Header=BB42_11 Depth=1
	v_mul_f32_e32 v4, 0x3fb8aa3b, v76
	v_rndne_f32_e32 v5, v4
	v_sub_f32_e32 v15, v4, v5
	v_fma_f32 v4, v76, s40, -v4
	v_fmac_f32_e32 v4, 0x32a5705f, v76
	v_add_f32_e32 v4, v15, v4
	v_cvt_i32_f32_e32 v5, v5
	v_exp_f32_e32 v4, v4
	v_cmp_ngt_f32_e32 vcc, s41, v76
	v_ldexp_f32 v4, v4, v5
	s_nop 0
	v_cndmask_b32_e32 v4, 0, v4, vcc
	v_cmp_nlt_f32_e32 vcc, s42, v76
	s_nop 1
	v_cndmask_b32_e32 v30, v68, v4, vcc
	v_add_f32_e32 v15, 1.0, v30
	v_add_f32_e32 v4, -1.0, v15
	v_sub_f32_e32 v5, v4, v15
	v_add_f32_e32 v5, 1.0, v5
	v_sub_f32_e32 v4, v30, v4
	v_add_f32_e32 v16, v4, v5
	v_frexp_mant_f32_e32 v17, v15
	v_cvt_f64_f32_e32 v[4:5], v15
	v_frexp_exp_i32_f64_e32 v4, v[4:5]
	v_cmp_gt_f32_e32 vcc, s44, v17
	v_cmp_gt_f32_e64 s[36:37], s67, v30
	s_nop 0
	v_subbrev_co_u32_e32 v22, vcc, 0, v4, vcc
	v_sub_u32_e32 v4, 0, v22
	v_ldexp_f32 v5, v15, v4
	v_add_f32_e32 v15, -1.0, v5
	v_add_f32_e32 v17, 1.0, v5
	v_ldexp_f32 v4, v16, v4
	v_add_f32_e32 v16, 1.0, v15
	v_add_f32_e32 v18, -1.0, v17
	v_sub_f32_e32 v16, v5, v16
	v_sub_f32_e32 v5, v5, v18
	v_add_f32_e32 v16, v4, v16
	v_add_f32_e32 v4, v4, v5
	;; [unrolled: 1-line block ×3, first 2 shown]
	v_rcp_f32_e32 v25, v23
	v_sub_f32_e32 v5, v17, v23
	v_add_f32_e32 v24, v4, v5
	v_add_f32_e32 v5, v15, v16
	v_sub_f32_e32 v4, v15, v5
	v_mul_f32_e32 v26, v5, v25
	v_add_f32_e32 v15, v16, v4
	v_mul_f32_e32 v16, v23, v26
	v_fma_f32 v18, v26, v23, -v16
	v_fmac_f32_e32 v18, v26, v24
	v_add_f32_e32 v4, v16, v18
	v_sub_f32_e32 v17, v5, v4
	v_pk_add_f32 v[20:21], v[4:5], v[16:17] neg_lo:[0,1] neg_hi:[0,1]
	v_mov_b32_e32 v19, v4
	v_pk_add_f32 v[4:5], v[20:21], v[18:19] neg_lo:[0,1] neg_hi:[0,1]
	v_cmp_eq_f32_e32 vcc, s43, v30
	v_add_f32_e32 v5, v15, v5
	v_add_f32_e32 v4, v4, v5
	;; [unrolled: 1-line block ×3, first 2 shown]
	v_mul_f32_e32 v15, v25, v5
	v_mul_f32_e32 v16, v23, v15
	v_fma_f32 v18, v15, v23, -v16
	v_fmac_f32_e32 v18, v15, v24
	v_sub_f32_e32 v17, v17, v5
	v_add_f32_e32 v23, v4, v17
	v_add_f32_e32 v4, v16, v18
	v_sub_f32_e32 v17, v5, v4
	v_pk_add_f32 v[20:21], v[4:5], v[16:17] neg_lo:[0,1] neg_hi:[0,1]
	v_mov_b32_e32 v19, v4
	v_pk_add_f32 v[4:5], v[20:21], v[18:19] neg_lo:[0,1] neg_hi:[0,1]
	s_or_b64 vcc, s[36:37], vcc
	v_add_f32_e32 v5, v23, v5
	v_add_f32_e32 v4, v4, v5
	;; [unrolled: 1-line block ×4, first 2 shown]
	v_sub_f32_e32 v16, v5, v26
	v_mul_f32_e32 v4, v25, v4
	v_sub_f32_e32 v15, v15, v16
	v_add_f32_e32 v16, v15, v4
	v_add_f32_e32 v18, v5, v16
	v_mul_f32_e32 v19, v18, v18
	v_fmamk_f32 v4, v19, 0x3e9b6dac, v67
	v_fmaak_f32 v15, v19, v4, 0x3f2aaada
	v_cvt_f32_i32_e32 v4, v22
	v_sub_f32_e32 v5, v18, v5
	v_sub_f32_e32 v5, v16, v5
	v_ldexp_f32 v20, v5, 1
	v_mul_f32_e32 v5, v18, v19
	v_ldexp_f32 v17, v18, 1
	v_pk_mul_f32 v[18:19], v[4:5], v[14:15]
	s_nop 0
	v_fma_f32 v16, v4, s45, -v18
	v_fmac_f32_e32 v16, 0xb102e308, v4
	v_pk_add_f32 v[4:5], v[18:19], v[16:17]
	s_nop 0
	v_sub_f32_e32 v15, v5, v17
	v_sub_f32_e32 v15, v19, v15
	v_add_f32_e32 v21, v20, v15
	v_mov_b32_e32 v20, v18
	v_pk_add_f32 v[18:19], v[4:5], v[18:19] neg_lo:[0,1] neg_hi:[0,1]
	v_pk_add_f32 v[22:23], v[4:5], v[20:21]
	v_mov_b32_e32 v17, v4
	v_mov_b32_e32 v19, v23
	v_pk_add_f32 v[24:25], v[16:17], v[18:19] neg_lo:[0,1] neg_hi:[0,1]
	v_pk_add_f32 v[16:17], v[16:17], v[18:19]
	v_mov_b32_e32 v20, v21
	v_mov_b32_e32 v18, v17
	v_pk_add_f32 v[26:27], v[18:19], v[4:5] neg_lo:[0,1] neg_hi:[0,1]
	v_mov_b32_e32 v16, v23
	v_mov_b32_e32 v15, v26
	v_pk_add_f32 v[28:29], v[22:23], v[14:15] neg_lo:[0,1] neg_hi:[0,1]
	v_mov_b32_e32 v22, v5
	v_mov_b32_e32 v23, v26
	;; [unrolled: 1-line block ×3, first 2 shown]
	v_pk_add_f32 v[16:17], v[16:17], v[22:23] neg_lo:[0,1] neg_hi:[0,1]
	v_mov_b32_e32 v21, v4
	v_pk_add_f32 v[4:5], v[20:21], v[16:17] neg_lo:[0,1] neg_hi:[0,1]
	v_mov_b32_e32 v28, v24
	v_pk_add_f32 v[16:17], v[28:29], v[4:5]
	s_nop 0
	v_mov_b32_e32 v20, v17
	v_pk_add_f32 v[20:21], v[16:17], v[20:21]
	s_nop 0
	v_pk_add_f32 v[18:19], v[18:19], v[20:21]
	v_mov_b32_e32 v5, v20
	v_mov_b32_e32 v17, v18
	v_pk_add_f32 v[22:23], v[16:17], v[24:25] neg_lo:[0,1] neg_hi:[0,1]
	s_nop 0
	v_sub_f32_e32 v15, v16, v22
	v_pk_add_f32 v[4:5], v[4:5], v[22:23] neg_lo:[0,1] neg_hi:[0,1]
	v_sub_f32_e32 v15, v24, v15
	v_add_f32_e32 v4, v4, v15
	v_add_f32_e32 v4, v4, v5
	;; [unrolled: 1-line block ×3, first 2 shown]
	v_cndmask_b32_e32 v76, v4, v30, vcc
.LBB42_51:                              ;   in Loop: Header=BB42_11 Depth=1
	s_or_b64 exec, exec, s[38:39]
	v_and_b32_e32 v4, 0xffff0000, v6
	v_add_f32_e32 v77, s33, v4
	v_cmp_ge_f32_e32 vcc, s99, v77
	s_and_b64 s[36:37], s[64:65], vcc
	s_and_saveexec_b64 s[38:39], s[36:37]
	s_cbranch_execz .LBB42_53
; %bb.52:                               ;   in Loop: Header=BB42_11 Depth=1
	v_mul_f32_e32 v4, 0x3fb8aa3b, v77
	v_rndne_f32_e32 v5, v4
	v_sub_f32_e32 v6, v4, v5
	v_fma_f32 v4, v77, s40, -v4
	v_fmac_f32_e32 v4, 0x32a5705f, v77
	v_add_f32_e32 v4, v6, v4
	v_cvt_i32_f32_e32 v5, v5
	v_exp_f32_e32 v4, v4
	v_cmp_ngt_f32_e32 vcc, s41, v77
	v_ldexp_f32 v4, v4, v5
	s_nop 0
	v_cndmask_b32_e32 v4, 0, v4, vcc
	v_cmp_nlt_f32_e32 vcc, s42, v77
	s_nop 1
	v_cndmask_b32_e32 v28, v68, v4, vcc
	v_add_f32_e32 v6, 1.0, v28
	v_add_f32_e32 v4, -1.0, v6
	v_sub_f32_e32 v5, v4, v6
	v_add_f32_e32 v5, 1.0, v5
	v_sub_f32_e32 v4, v28, v4
	v_add_f32_e32 v15, v4, v5
	v_frexp_mant_f32_e32 v16, v6
	v_cvt_f64_f32_e32 v[4:5], v6
	v_frexp_exp_i32_f64_e32 v4, v[4:5]
	v_cmp_gt_f32_e32 vcc, s44, v16
	v_cmp_gt_f32_e64 s[36:37], s67, v28
	s_nop 0
	v_subbrev_co_u32_e32 v22, vcc, 0, v4, vcc
	v_sub_u32_e32 v4, 0, v22
	v_ldexp_f32 v5, v6, v4
	v_add_f32_e32 v6, -1.0, v5
	v_add_f32_e32 v16, 1.0, v5
	v_ldexp_f32 v4, v15, v4
	v_add_f32_e32 v15, 1.0, v6
	v_add_f32_e32 v17, -1.0, v16
	v_sub_f32_e32 v15, v5, v15
	v_sub_f32_e32 v5, v5, v17
	v_add_f32_e32 v15, v4, v15
	v_add_f32_e32 v4, v4, v5
	;; [unrolled: 1-line block ×3, first 2 shown]
	v_rcp_f32_e32 v25, v23
	v_sub_f32_e32 v5, v16, v23
	v_add_f32_e32 v24, v4, v5
	v_add_f32_e32 v5, v6, v15
	v_sub_f32_e32 v4, v6, v5
	v_add_f32_e32 v6, v15, v4
	v_mul_f32_e32 v15, v5, v25
	v_mul_f32_e32 v16, v23, v15
	v_fma_f32 v18, v15, v23, -v16
	v_fmac_f32_e32 v18, v15, v24
	v_add_f32_e32 v4, v16, v18
	v_sub_f32_e32 v17, v5, v4
	v_pk_add_f32 v[20:21], v[4:5], v[16:17] neg_lo:[0,1] neg_hi:[0,1]
	v_mov_b32_e32 v19, v4
	v_pk_add_f32 v[4:5], v[20:21], v[18:19] neg_lo:[0,1] neg_hi:[0,1]
	v_cmp_eq_f32_e32 vcc, s43, v28
	v_add_f32_e32 v5, v6, v5
	v_add_f32_e32 v4, v4, v5
	;; [unrolled: 1-line block ×3, first 2 shown]
	v_mul_f32_e32 v6, v25, v5
	v_mul_f32_e32 v16, v23, v6
	v_fma_f32 v18, v6, v23, -v16
	v_fmac_f32_e32 v18, v6, v24
	v_sub_f32_e32 v17, v17, v5
	v_add_f32_e32 v23, v4, v17
	v_add_f32_e32 v4, v16, v18
	v_sub_f32_e32 v17, v5, v4
	v_pk_add_f32 v[20:21], v[4:5], v[16:17] neg_lo:[0,1] neg_hi:[0,1]
	v_mov_b32_e32 v19, v4
	v_pk_add_f32 v[4:5], v[20:21], v[18:19] neg_lo:[0,1] neg_hi:[0,1]
	s_or_b64 vcc, s[36:37], vcc
	v_add_f32_e32 v5, v23, v5
	v_add_f32_e32 v4, v4, v5
	;; [unrolled: 1-line block ×4, first 2 shown]
	v_sub_f32_e32 v15, v5, v15
	v_mul_f32_e32 v4, v25, v4
	v_sub_f32_e32 v6, v6, v15
	v_add_f32_e32 v6, v6, v4
	v_add_f32_e32 v16, v5, v6
	v_mul_f32_e32 v18, v16, v16
	v_fmamk_f32 v4, v18, 0x3e9b6dac, v67
	v_fmaak_f32 v15, v18, v4, 0x3f2aaada
	v_cvt_f32_i32_e32 v4, v22
	v_sub_f32_e32 v5, v16, v5
	v_sub_f32_e32 v5, v6, v5
	v_ldexp_f32 v6, v5, 1
	v_mul_f32_e32 v5, v16, v18
	v_pk_mul_f32 v[18:19], v[4:5], v[14:15]
	v_ldexp_f32 v17, v16, 1
	v_fma_f32 v16, v4, s45, -v18
	v_fmac_f32_e32 v16, 0xb102e308, v4
	v_pk_add_f32 v[4:5], v[18:19], v[16:17]
	v_mov_b32_e32 v20, v18
	v_sub_f32_e32 v15, v5, v17
	v_sub_f32_e32 v15, v19, v15
	v_add_f32_e32 v21, v6, v15
	v_pk_add_f32 v[18:19], v[4:5], v[18:19] neg_lo:[0,1] neg_hi:[0,1]
	v_pk_add_f32 v[22:23], v[4:5], v[20:21]
	v_mov_b32_e32 v17, v4
	v_mov_b32_e32 v19, v23
	v_pk_add_f32 v[24:25], v[16:17], v[18:19] neg_lo:[0,1] neg_hi:[0,1]
	v_pk_add_f32 v[16:17], v[16:17], v[18:19]
	s_nop 0
	v_mov_b32_e32 v6, v17
	v_pk_add_f32 v[18:19], v[6:7], v[4:5] neg_lo:[0,1] neg_hi:[0,1]
	v_mov_b32_e32 v16, v23
	v_mov_b32_e32 v15, v18
	v_pk_add_f32 v[26:27], v[22:23], v[14:15] neg_lo:[0,1] neg_hi:[0,1]
	v_mov_b32_e32 v22, v5
	v_mov_b32_e32 v23, v18
	;; [unrolled: 1-line block ×3, first 2 shown]
	v_pk_add_f32 v[16:17], v[16:17], v[22:23] neg_lo:[0,1] neg_hi:[0,1]
	v_mov_b32_e32 v18, v21
	v_mov_b32_e32 v19, v4
	v_pk_add_f32 v[4:5], v[18:19], v[16:17] neg_lo:[0,1] neg_hi:[0,1]
	v_mov_b32_e32 v26, v24
	v_pk_add_f32 v[16:17], v[26:27], v[4:5]
	s_nop 0
	v_mov_b32_e32 v18, v17
	v_pk_add_f32 v[18:19], v[16:17], v[18:19]
	s_nop 0
	v_pk_add_f32 v[20:21], v[6:7], v[18:19]
	v_mov_b32_e32 v5, v18
	v_mov_b32_e32 v17, v20
	v_pk_add_f32 v[22:23], v[16:17], v[24:25] neg_lo:[0,1] neg_hi:[0,1]
	s_nop 0
	v_sub_f32_e32 v6, v16, v22
	v_pk_add_f32 v[4:5], v[4:5], v[22:23] neg_lo:[0,1] neg_hi:[0,1]
	v_sub_f32_e32 v6, v24, v6
	v_add_f32_e32 v4, v4, v6
	v_add_f32_e32 v4, v4, v5
	v_add_f32_e32 v4, v20, v4
	v_cndmask_b32_e32 v77, v4, v28, vcc
.LBB42_53:                              ;   in Loop: Header=BB42_11 Depth=1
	s_or_b64 exec, exec, s[38:39]
	v_lshlrev_b32_e32 v4, 16, v7
	v_add_f32_e32 v78, s33, v4
	v_cmp_ge_f32_e32 vcc, s99, v78
	s_and_b64 s[36:37], s[64:65], vcc
	s_and_saveexec_b64 s[38:39], s[36:37]
	s_cbranch_execz .LBB42_55
; %bb.54:                               ;   in Loop: Header=BB42_11 Depth=1
	v_mul_f32_e32 v4, 0x3fb8aa3b, v78
	v_rndne_f32_e32 v5, v4
	v_sub_f32_e32 v6, v4, v5
	v_fma_f32 v4, v78, s40, -v4
	v_fmac_f32_e32 v4, 0x32a5705f, v78
	v_add_f32_e32 v4, v6, v4
	v_cvt_i32_f32_e32 v5, v5
	v_exp_f32_e32 v4, v4
	v_cmp_ngt_f32_e32 vcc, s41, v78
	v_ldexp_f32 v4, v4, v5
	s_nop 0
	v_cndmask_b32_e32 v4, 0, v4, vcc
	v_cmp_nlt_f32_e32 vcc, s42, v78
	s_nop 1
	v_cndmask_b32_e32 v28, v68, v4, vcc
	v_add_f32_e32 v6, 1.0, v28
	v_add_f32_e32 v4, -1.0, v6
	v_sub_f32_e32 v5, v4, v6
	v_add_f32_e32 v5, 1.0, v5
	v_sub_f32_e32 v4, v28, v4
	v_add_f32_e32 v15, v4, v5
	v_frexp_mant_f32_e32 v16, v6
	v_cvt_f64_f32_e32 v[4:5], v6
	v_frexp_exp_i32_f64_e32 v4, v[4:5]
	v_cmp_gt_f32_e32 vcc, s44, v16
	v_cmp_gt_f32_e64 s[36:37], s67, v28
	s_nop 0
	v_subbrev_co_u32_e32 v22, vcc, 0, v4, vcc
	v_sub_u32_e32 v4, 0, v22
	v_ldexp_f32 v5, v6, v4
	v_add_f32_e32 v6, -1.0, v5
	v_add_f32_e32 v16, 1.0, v5
	v_ldexp_f32 v4, v15, v4
	v_add_f32_e32 v15, 1.0, v6
	v_add_f32_e32 v17, -1.0, v16
	v_sub_f32_e32 v15, v5, v15
	v_sub_f32_e32 v5, v5, v17
	v_add_f32_e32 v15, v4, v15
	v_add_f32_e32 v4, v4, v5
	;; [unrolled: 1-line block ×3, first 2 shown]
	v_rcp_f32_e32 v25, v23
	v_sub_f32_e32 v5, v16, v23
	v_add_f32_e32 v24, v4, v5
	v_add_f32_e32 v5, v6, v15
	v_sub_f32_e32 v4, v6, v5
	v_add_f32_e32 v6, v15, v4
	v_mul_f32_e32 v15, v5, v25
	v_mul_f32_e32 v16, v23, v15
	v_fma_f32 v18, v15, v23, -v16
	v_fmac_f32_e32 v18, v15, v24
	v_add_f32_e32 v4, v16, v18
	v_sub_f32_e32 v17, v5, v4
	v_pk_add_f32 v[20:21], v[4:5], v[16:17] neg_lo:[0,1] neg_hi:[0,1]
	v_mov_b32_e32 v19, v4
	v_pk_add_f32 v[4:5], v[20:21], v[18:19] neg_lo:[0,1] neg_hi:[0,1]
	v_cmp_eq_f32_e32 vcc, s43, v28
	v_add_f32_e32 v5, v6, v5
	v_add_f32_e32 v4, v4, v5
	v_add_f32_e32 v5, v17, v4
	v_mul_f32_e32 v6, v25, v5
	v_mul_f32_e32 v16, v23, v6
	v_fma_f32 v18, v6, v23, -v16
	v_fmac_f32_e32 v18, v6, v24
	v_sub_f32_e32 v17, v17, v5
	v_add_f32_e32 v23, v4, v17
	v_add_f32_e32 v4, v16, v18
	v_sub_f32_e32 v17, v5, v4
	v_pk_add_f32 v[20:21], v[4:5], v[16:17] neg_lo:[0,1] neg_hi:[0,1]
	v_mov_b32_e32 v19, v4
	v_pk_add_f32 v[4:5], v[20:21], v[18:19] neg_lo:[0,1] neg_hi:[0,1]
	s_or_b64 vcc, s[36:37], vcc
	v_add_f32_e32 v5, v23, v5
	v_add_f32_e32 v4, v4, v5
	;; [unrolled: 1-line block ×4, first 2 shown]
	v_sub_f32_e32 v15, v5, v15
	v_mul_f32_e32 v4, v25, v4
	v_sub_f32_e32 v6, v6, v15
	v_add_f32_e32 v6, v6, v4
	v_add_f32_e32 v16, v5, v6
	v_mul_f32_e32 v18, v16, v16
	v_fmamk_f32 v4, v18, 0x3e9b6dac, v67
	v_fmaak_f32 v15, v18, v4, 0x3f2aaada
	v_cvt_f32_i32_e32 v4, v22
	v_sub_f32_e32 v5, v16, v5
	v_sub_f32_e32 v5, v6, v5
	v_ldexp_f32 v6, v5, 1
	v_mul_f32_e32 v5, v16, v18
	v_pk_mul_f32 v[18:19], v[4:5], v[14:15]
	v_ldexp_f32 v17, v16, 1
	v_fma_f32 v16, v4, s45, -v18
	v_fmac_f32_e32 v16, 0xb102e308, v4
	v_pk_add_f32 v[4:5], v[18:19], v[16:17]
	v_mov_b32_e32 v20, v18
	v_sub_f32_e32 v15, v5, v17
	v_sub_f32_e32 v15, v19, v15
	v_add_f32_e32 v21, v6, v15
	v_pk_add_f32 v[18:19], v[4:5], v[18:19] neg_lo:[0,1] neg_hi:[0,1]
	v_pk_add_f32 v[22:23], v[4:5], v[20:21]
	v_mov_b32_e32 v17, v4
	v_mov_b32_e32 v19, v23
	v_pk_add_f32 v[24:25], v[16:17], v[18:19] neg_lo:[0,1] neg_hi:[0,1]
	v_pk_add_f32 v[16:17], v[16:17], v[18:19]
	s_nop 0
	v_mov_b32_e32 v6, v17
	v_pk_add_f32 v[18:19], v[6:7], v[4:5] neg_lo:[0,1] neg_hi:[0,1]
	v_mov_b32_e32 v16, v23
	v_mov_b32_e32 v15, v18
	v_pk_add_f32 v[26:27], v[22:23], v[14:15] neg_lo:[0,1] neg_hi:[0,1]
	v_mov_b32_e32 v22, v5
	v_mov_b32_e32 v23, v18
	;; [unrolled: 1-line block ×3, first 2 shown]
	v_pk_add_f32 v[16:17], v[16:17], v[22:23] neg_lo:[0,1] neg_hi:[0,1]
	v_mov_b32_e32 v18, v21
	v_mov_b32_e32 v19, v4
	v_pk_add_f32 v[4:5], v[18:19], v[16:17] neg_lo:[0,1] neg_hi:[0,1]
	v_mov_b32_e32 v26, v24
	v_pk_add_f32 v[16:17], v[26:27], v[4:5]
	s_nop 0
	v_mov_b32_e32 v18, v17
	v_pk_add_f32 v[18:19], v[16:17], v[18:19]
	s_nop 0
	v_pk_add_f32 v[20:21], v[6:7], v[18:19]
	v_mov_b32_e32 v5, v18
	v_mov_b32_e32 v17, v20
	v_pk_add_f32 v[22:23], v[16:17], v[24:25] neg_lo:[0,1] neg_hi:[0,1]
	s_nop 0
	v_sub_f32_e32 v6, v16, v22
	v_pk_add_f32 v[4:5], v[4:5], v[22:23] neg_lo:[0,1] neg_hi:[0,1]
	v_sub_f32_e32 v6, v24, v6
	v_add_f32_e32 v4, v4, v6
	v_add_f32_e32 v4, v4, v5
	;; [unrolled: 1-line block ×3, first 2 shown]
	v_cndmask_b32_e32 v78, v4, v28, vcc
.LBB42_55:                              ;   in Loop: Header=BB42_11 Depth=1
	s_or_b64 exec, exec, s[38:39]
	v_and_b32_e32 v4, 0xffff0000, v7
	v_add_f32_e32 v15, s33, v4
	v_cmp_ge_f32_e32 vcc, s99, v15
	s_and_b64 s[36:37], s[64:65], vcc
	s_and_saveexec_b64 s[38:39], s[36:37]
	s_cbranch_execz .LBB42_57
; %bb.56:                               ;   in Loop: Header=BB42_11 Depth=1
	v_mul_f32_e32 v4, 0x3fb8aa3b, v15
	v_rndne_f32_e32 v5, v4
	v_sub_f32_e32 v6, v4, v5
	v_fma_f32 v4, v15, s40, -v4
	v_fmac_f32_e32 v4, 0x32a5705f, v15
	v_add_f32_e32 v4, v6, v4
	v_cvt_i32_f32_e32 v5, v5
	v_exp_f32_e32 v4, v4
	v_cmp_ngt_f32_e32 vcc, s41, v15
	v_ldexp_f32 v4, v4, v5
	s_nop 0
	v_cndmask_b32_e32 v4, 0, v4, vcc
	v_cmp_nlt_f32_e32 vcc, s42, v15
	s_nop 1
	v_cndmask_b32_e32 v28, v68, v4, vcc
	v_add_f32_e32 v6, 1.0, v28
	v_add_f32_e32 v4, -1.0, v6
	v_sub_f32_e32 v5, v4, v6
	v_add_f32_e32 v5, 1.0, v5
	v_sub_f32_e32 v4, v28, v4
	v_add_f32_e32 v7, v4, v5
	v_frexp_mant_f32_e32 v15, v6
	v_cvt_f64_f32_e32 v[4:5], v6
	v_frexp_exp_i32_f64_e32 v4, v[4:5]
	v_cmp_gt_f32_e32 vcc, s44, v15
	v_cmp_gt_f32_e64 s[36:37], s67, v28
	s_nop 0
	v_subbrev_co_u32_e32 v20, vcc, 0, v4, vcc
	v_sub_u32_e32 v4, 0, v20
	v_ldexp_f32 v5, v6, v4
	v_add_f32_e32 v6, -1.0, v5
	v_add_f32_e32 v15, 1.0, v5
	v_ldexp_f32 v4, v7, v4
	v_add_f32_e32 v7, 1.0, v6
	v_add_f32_e32 v16, -1.0, v15
	v_sub_f32_e32 v7, v5, v7
	v_sub_f32_e32 v5, v5, v16
	v_add_f32_e32 v7, v4, v7
	v_add_f32_e32 v4, v4, v5
	;; [unrolled: 1-line block ×3, first 2 shown]
	v_rcp_f32_e32 v22, v21
	v_sub_f32_e32 v5, v15, v21
	v_add_f32_e32 v15, v4, v5
	v_add_f32_e32 v5, v6, v7
	v_mul_f32_e32 v24, v5, v22
	v_sub_f32_e32 v4, v6, v5
	v_mul_f32_e32 v6, v21, v24
	v_fma_f32 v16, v24, v21, -v6
	v_fmac_f32_e32 v16, v24, v15
	v_add_f32_e32 v23, v7, v4
	v_add_f32_e32 v4, v6, v16
	v_sub_f32_e32 v7, v5, v4
	v_pk_add_f32 v[18:19], v[4:5], v[6:7] neg_lo:[0,1] neg_hi:[0,1]
	v_mov_b32_e32 v17, v4
	v_pk_add_f32 v[4:5], v[18:19], v[16:17] neg_lo:[0,1] neg_hi:[0,1]
	v_cmp_eq_f32_e32 vcc, s43, v28
	v_add_f32_e32 v5, v23, v5
	v_add_f32_e32 v4, v4, v5
	;; [unrolled: 1-line block ×3, first 2 shown]
	v_mul_f32_e32 v23, v22, v5
	v_mul_f32_e32 v6, v21, v23
	v_fma_f32 v16, v23, v21, -v6
	v_fmac_f32_e32 v16, v23, v15
	v_sub_f32_e32 v7, v7, v5
	v_add_f32_e32 v15, v4, v7
	v_add_f32_e32 v4, v6, v16
	v_sub_f32_e32 v7, v5, v4
	v_pk_add_f32 v[18:19], v[4:5], v[6:7] neg_lo:[0,1] neg_hi:[0,1]
	v_mov_b32_e32 v17, v4
	v_pk_add_f32 v[4:5], v[18:19], v[16:17] neg_lo:[0,1] neg_hi:[0,1]
	s_or_b64 vcc, s[36:37], vcc
	v_add_f32_e32 v5, v15, v5
	v_add_f32_e32 v4, v4, v5
	;; [unrolled: 1-line block ×4, first 2 shown]
	v_sub_f32_e32 v6, v5, v24
	v_mul_f32_e32 v4, v22, v4
	v_sub_f32_e32 v6, v23, v6
	v_add_f32_e32 v6, v6, v4
	v_add_f32_e32 v16, v5, v6
	v_mul_f32_e32 v17, v16, v16
	v_fmamk_f32 v4, v17, 0x3e9b6dac, v67
	v_fmaak_f32 v15, v17, v4, 0x3f2aaada
	v_cvt_f32_i32_e32 v4, v20
	v_sub_f32_e32 v5, v16, v5
	v_sub_f32_e32 v5, v6, v5
	v_ldexp_f32 v18, v5, 1
	v_mul_f32_e32 v5, v16, v17
	v_ldexp_f32 v7, v16, 1
	v_pk_mul_f32 v[16:17], v[4:5], v[14:15]
	s_nop 0
	v_fma_f32 v6, v4, s45, -v16
	v_fmac_f32_e32 v6, 0xb102e308, v4
	v_pk_add_f32 v[4:5], v[16:17], v[6:7]
	s_nop 0
	v_sub_f32_e32 v7, v5, v7
	v_sub_f32_e32 v7, v17, v7
	v_add_f32_e32 v19, v18, v7
	v_mov_b32_e32 v18, v16
	v_pk_add_f32 v[16:17], v[4:5], v[16:17] neg_lo:[0,1] neg_hi:[0,1]
	v_pk_add_f32 v[20:21], v[4:5], v[18:19]
	v_mov_b32_e32 v7, v4
	v_mov_b32_e32 v17, v21
	v_pk_add_f32 v[22:23], v[6:7], v[16:17] neg_lo:[0,1] neg_hi:[0,1]
	v_pk_add_f32 v[6:7], v[6:7], v[16:17]
	v_mov_b32_e32 v18, v19
	v_mov_b32_e32 v16, v7
	v_pk_add_f32 v[24:25], v[16:17], v[4:5] neg_lo:[0,1] neg_hi:[0,1]
	v_mov_b32_e32 v6, v21
	v_mov_b32_e32 v15, v24
	v_pk_add_f32 v[26:27], v[20:21], v[14:15] neg_lo:[0,1] neg_hi:[0,1]
	v_mov_b32_e32 v20, v5
	v_mov_b32_e32 v21, v24
	;; [unrolled: 1-line block ×3, first 2 shown]
	v_pk_add_f32 v[6:7], v[6:7], v[20:21] neg_lo:[0,1] neg_hi:[0,1]
	v_mov_b32_e32 v19, v4
	v_pk_add_f32 v[4:5], v[18:19], v[6:7] neg_lo:[0,1] neg_hi:[0,1]
	v_mov_b32_e32 v26, v22
	v_pk_add_f32 v[6:7], v[26:27], v[4:5]
	s_nop 0
	v_mov_b32_e32 v18, v7
	v_pk_add_f32 v[18:19], v[6:7], v[18:19]
	s_nop 0
	v_pk_add_f32 v[16:17], v[16:17], v[18:19]
	v_mov_b32_e32 v5, v18
	v_mov_b32_e32 v7, v16
	v_pk_add_f32 v[20:21], v[6:7], v[22:23] neg_lo:[0,1] neg_hi:[0,1]
	s_nop 0
	v_sub_f32_e32 v6, v6, v20
	v_pk_add_f32 v[4:5], v[4:5], v[20:21] neg_lo:[0,1] neg_hi:[0,1]
	v_sub_f32_e32 v6, v22, v6
	v_add_f32_e32 v4, v4, v6
	v_add_f32_e32 v4, v4, v5
	;; [unrolled: 1-line block ×3, first 2 shown]
	v_cndmask_b32_e32 v15, v4, v28, vcc
.LBB42_57:                              ;   in Loop: Header=BB42_11 Depth=1
	s_or_b64 exec, exec, s[38:39]
	v_readlane_b32 s36, v95, 1
	v_lshlrev_b32_e32 v4, 16, v3
	v_and_b32_e32 v7, 0xffff0000, v3
	v_and_b32_e32 v3, 0xffff0000, v2
	v_lshlrev_b32_e32 v2, 16, v2
	v_and_b32_e32 v5, 0xffff0000, v1
	v_lshlrev_b32_e32 v1, 16, v1
	;; [unrolled: 2-line block ×3, first 2 shown]
	v_readlane_b32 s37, v95, 2
	v_mul_f32_e32 v16, s94, v4
	v_mul_f32_e32 v19, s94, v3
	;; [unrolled: 1-line block ×8, first 2 shown]
	s_and_b64 vcc, exec, s[36:37]
	s_waitcnt lgkmcnt(0)
	; wave barrier
	s_cbranch_vccz .LBB42_118
; %bb.58:                               ;   in Loop: Header=BB42_11 Depth=1
	s_cmp_lg_u32 s97, 0
	v_readlane_b32 s36, v95, 5
	v_mul_f32_e32 v86, v72, v0
	s_cselect_b64 s[80:81], -1, 0
	s_cmp_eq_u32 s97, s36
	v_cmp_gt_u32_e32 vcc, s50, v11
	v_or_b32_e32 v0, 1, v11
	s_cselect_b64 s[82:83], -1, 0
	s_or_b64 s[36:37], s[76:77], vcc
	v_cmp_gt_u32_e32 vcc, s50, v0
	v_or_b32_e32 v0, 2, v11
	s_or_b64 s[38:39], s[76:77], vcc
	v_cmp_gt_u32_e32 vcc, s50, v0
	v_or_b32_e32 v0, 3, v11
	s_or_b64 s[40:41], s[76:77], vcc
	v_cmp_gt_u32_e32 vcc, s50, v0
	s_or_b64 s[42:43], s[76:77], vcc
	v_cmp_gt_u32_e32 vcc, s50, v63
	s_or_b64 s[44:45], s[76:77], vcc
	v_cmp_gt_u32_e32 vcc, s50, v64
	s_or_b64 s[46:47], s[76:77], vcc
	v_cmp_gt_u32_e32 vcc, s50, v65
	s_mov_b32 s70, 0
	s_or_b64 s[48:49], s[76:77], vcc
	v_cmp_gt_u32_e32 vcc, s50, v66
	v_mul_f32_e32 v79, v15, v7
	v_lshl_add_u64 v[24:25], s[54:55], 0, v[8:9]
	v_lshl_add_u64 v[26:27], s[58:59], 0, v[8:9]
	v_mul_f32_e32 v80, v78, v4
	v_mul_f32_e32 v81, v77, v3
	;; [unrolled: 1-line block ×6, first 2 shown]
	s_or_b64 s[50:51], s[76:77], vcc
	s_mov_b32 s84, s70
	s_mov_b32 s86, s70
	;; [unrolled: 1-line block ×3, first 2 shown]
	v_readlane_b32 s79, v95, 0
	v_readlane_b32 s95, v95, 6
	s_branch .LBB42_60
.LBB42_59:                              ;   in Loop: Header=BB42_60 Depth=2
	s_or_b64 exec, exec, s[90:91]
	v_mul_f32_e32 v28, v87, v60
	v_fma_f32 v29, v87, v61, v4
	v_cndmask_b32_e64 v4, v29, v4, s[16:17]
	v_cndmask_b32_e64 v28, v28, v87, s[16:17]
	s_waitcnt lgkmcnt(0)
	v_fmac_f32_e32 v4, v34, v28
	v_fmac_f32_e32 v5, v4, v88
	;; [unrolled: 1-line block ×8, first 2 shown]
	v_and_b32_e32 v29, 0xffff0000, v0
	v_and_b32_e32 v35, 0xffff0000, v1
	v_lshlrev_b32_e32 v28, 16, v0
	v_lshlrev_b32_e32 v34, 16, v1
	v_and_b32_e32 v1, 0xffff0000, v2
	v_and_b32_e32 v61, 0xffff0000, v3
	v_lshlrev_b32_e32 v0, 16, v2
	v_lshlrev_b32_e32 v60, 16, v3
	s_add_i32 s95, s95, 8
	s_add_i32 s79, s79, -1
	s_add_i32 s88, s88, s66
	s_add_i32 s86, s86, s60
	;; [unrolled: 1-line block ×4, first 2 shown]
	v_pk_fma_f32 v[20:21], v[30:31], v[34:35], v[20:21]
	v_pk_fma_f32 v[22:23], v[4:5], v[28:29], v[22:23]
	;; [unrolled: 1-line block ×3, first 2 shown]
	s_cmp_eq_u32 s79, 0
	v_pk_fma_f32 v[18:19], v[6:7], v[0:1], v[18:19]
	s_cbranch_scc1 .LBB42_117
.LBB42_60:                              ;   Parent Loop BB42_11 Depth=1
                                        ; =>  This Inner Loop Header: Depth=2
	s_lshl_b64 s[90:91], s[70:71], 2
	s_add_u32 s90, s52, s90
	s_addc_u32 s91, s96, s91
	global_load_dword v30, v9, s[90:91]
	s_mov_b32 s85, s71
	v_lshl_add_u64 v[0:1], s[84:85], 1, v[24:25]
	v_mov_b32_e32 v2, 0
	v_mov_b32_e32 v3, 0
	s_and_saveexec_b64 s[90:91], s[18:19]
	s_cbranch_execz .LBB42_62
; %bb.61:                               ;   in Loop: Header=BB42_60 Depth=2
	global_load_ushort v3, v[0:1], off
.LBB42_62:                              ;   in Loop: Header=BB42_60 Depth=2
	s_or_b64 exec, exec, s[90:91]
	s_and_saveexec_b64 s[90:91], s[20:21]
	s_cbranch_execz .LBB42_64
; %bb.63:                               ;   in Loop: Header=BB42_60 Depth=2
	global_load_ushort v2, v[0:1], off offset:128
.LBB42_64:                              ;   in Loop: Header=BB42_60 Depth=2
	s_or_b64 exec, exec, s[90:91]
	v_mov_b32_e32 v4, 0
	v_mov_b32_e32 v5, 0
	s_and_saveexec_b64 s[90:91], s[22:23]
	s_cbranch_execz .LBB42_66
; %bb.65:                               ;   in Loop: Header=BB42_60 Depth=2
	global_load_ushort v5, v[0:1], off offset:256
.LBB42_66:                              ;   in Loop: Header=BB42_60 Depth=2
	s_or_b64 exec, exec, s[90:91]
	s_and_saveexec_b64 s[90:91], s[24:25]
	s_cbranch_execz .LBB42_68
; %bb.67:                               ;   in Loop: Header=BB42_60 Depth=2
	global_load_ushort v4, v[0:1], off offset:384
.LBB42_68:                              ;   in Loop: Header=BB42_60 Depth=2
	s_or_b64 exec, exec, s[90:91]
	v_mov_b32_e32 v6, 0
	v_mov_b32_e32 v7, 0
	s_and_saveexec_b64 s[90:91], s[26:27]
	s_cbranch_execz .LBB42_70
; %bb.69:                               ;   in Loop: Header=BB42_60 Depth=2
	global_load_ushort v7, v[0:1], off offset:512
.LBB42_70:                              ;   in Loop: Header=BB42_60 Depth=2
	;; [unrolled: 14-line block ×3, first 2 shown]
	s_or_b64 exec, exec, s[90:91]
	s_and_saveexec_b64 s[90:91], s[34:35]
	s_cbranch_execz .LBB42_76
; %bb.75:                               ;   in Loop: Header=BB42_60 Depth=2
	global_load_ushort v28, v[0:1], off offset:896
.LBB42_76:                              ;   in Loop: Header=BB42_60 Depth=2
	s_or_b64 exec, exec, s[90:91]
	s_waitcnt vmcnt(0)
	ds_write_b16 v43, v3
	ds_write_b16 v44, v2 offset:128
	ds_write_b16 v45, v5 offset:256
	;; [unrolled: 1-line block ×7, first 2 shown]
	; wave barrier
	ds_read_b128 v[4:7], v51
	s_mov_b32 s87, s71
	v_lshl_add_u64 v[0:1], s[86:87], 1, v[26:27]
	v_mov_b32_e32 v2, 0
	v_mov_b32_e32 v3, 0
	s_and_saveexec_b64 s[90:91], s[18:19]
	s_cbranch_execz .LBB42_78
; %bb.77:                               ;   in Loop: Header=BB42_60 Depth=2
	global_load_ushort v3, v[0:1], off
.LBB42_78:                              ;   in Loop: Header=BB42_60 Depth=2
	s_or_b64 exec, exec, s[90:91]
	s_and_saveexec_b64 s[90:91], s[20:21]
	s_cbranch_execz .LBB42_80
; %bb.79:                               ;   in Loop: Header=BB42_60 Depth=2
	global_load_ushort v2, v[0:1], off offset:128
.LBB42_80:                              ;   in Loop: Header=BB42_60 Depth=2
	s_or_b64 exec, exec, s[90:91]
	v_mov_b32_e32 v28, 0
	v_mov_b32_e32 v29, 0
	s_and_saveexec_b64 s[90:91], s[22:23]
	s_cbranch_execz .LBB42_82
; %bb.81:                               ;   in Loop: Header=BB42_60 Depth=2
	global_load_ushort v29, v[0:1], off offset:256
.LBB42_82:                              ;   in Loop: Header=BB42_60 Depth=2
	s_or_b64 exec, exec, s[90:91]
	s_and_saveexec_b64 s[90:91], s[24:25]
	s_cbranch_execz .LBB42_84
; %bb.83:                               ;   in Loop: Header=BB42_60 Depth=2
	global_load_ushort v28, v[0:1], off offset:384
.LBB42_84:                              ;   in Loop: Header=BB42_60 Depth=2
	s_or_b64 exec, exec, s[90:91]
	v_mov_b32_e32 v31, 0
	v_mov_b32_e32 v32, 0
	s_and_saveexec_b64 s[90:91], s[26:27]
	s_cbranch_execz .LBB42_86
; %bb.85:                               ;   in Loop: Header=BB42_60 Depth=2
	global_load_ushort v32, v[0:1], off offset:512
.LBB42_86:                              ;   in Loop: Header=BB42_60 Depth=2
	;; [unrolled: 14-line block ×3, first 2 shown]
	s_or_b64 exec, exec, s[90:91]
	s_and_saveexec_b64 s[90:91], s[34:35]
	s_cbranch_execz .LBB42_92
; %bb.91:                               ;   in Loop: Header=BB42_60 Depth=2
	global_load_ushort v33, v[0:1], off offset:896
.LBB42_92:                              ;   in Loop: Header=BB42_60 Depth=2
	s_or_b64 exec, exec, s[90:91]
	s_waitcnt vmcnt(0)
	ds_write_b16 v43, v3 offset:1056
	ds_write_b16 v52, v2 offset:128
	;; [unrolled: 1-line block ×8, first 2 shown]
	; wave barrier
	ds_read_b128 v[0:3], v51 offset:1056
	s_andn2_b64 vcc, exec, s[80:81]
	s_cbranch_vccnz .LBB42_94
; %bb.93:                               ;   in Loop: Header=BB42_60 Depth=2
	v_mov_b32_e32 v28, s95
	ds_read_b64 v[28:29], v28
	s_cbranch_execz .LBB42_95
	s_branch .LBB42_98
.LBB42_94:                              ;   in Loop: Header=BB42_60 Depth=2
                                        ; implicit-def: $vgpr29
.LBB42_95:                              ;   in Loop: Header=BB42_60 Depth=2
	s_andn2_b64 vcc, exec, s[68:69]
	s_waitcnt lgkmcnt(0)
	v_mov_b32_e32 v29, 0
	s_cbranch_vccnz .LBB42_97
; %bb.96:                               ;   in Loop: Header=BB42_60 Depth=2
	s_mov_b32 s89, s71
	s_lshl_b64 s[90:91], s[88:89], 2
	s_add_u32 s90, s57, s90
	s_addc_u32 s91, s61, s91
	global_load_dword v29, v9, s[90:91]
.LBB42_97:                              ;   in Loop: Header=BB42_60 Depth=2
	v_mov_b32_e32 v28, 1.0
.LBB42_98:                              ;   in Loop: Header=BB42_60 Depth=2
	v_mul_f32_e32 v61, 0x3fb8aa3b, v30
	s_waitcnt lgkmcnt(9)
	v_lshlrev_b32_e32 v31, 16, v4
	v_and_b32_e32 v32, 0xffff0000, v4
	v_mul_f32_e32 v4, v61, v72
	v_cmp_gt_f32_e32 vcc, s98, v4
	v_lshlrev_b32_e32 v35, 16, v6
	v_and_b32_e32 v60, 0xffff0000, v6
	v_cndmask_b32_e32 v4, 0, v69, vcc
	v_mul_f32_e32 v6, v61, v73
	v_lshlrev_b32_e32 v33, 16, v5
	v_and_b32_e32 v34, 0xffff0000, v5
	v_fmac_f32_e32 v4, v61, v72
	v_cndmask_b32_e32 v5, 1.0, v70, vcc
	v_cmp_gt_f32_e32 vcc, s98, v6
	v_exp_f32_e32 v4, v4
	v_lshlrev_b32_e32 v93, 16, v7
	v_cndmask_b32_e32 v6, 0, v69, vcc
	v_fmac_f32_e32 v6, v61, v73
	v_exp_f32_e32 v6, v6
	v_and_b32_e32 v94, 0xffff0000, v7
	v_mul_f32_e32 v5, v4, v5
	v_mul_f32_e32 v7, v61, v74
	v_cndmask_b32_e64 v87, 1.0, v5, s[36:37]
	v_cndmask_b32_e32 v5, 1.0, v70, vcc
	v_cmp_gt_f32_e32 vcc, s98, v7
	v_mul_f32_e32 v6, v6, v5
	v_mul_f32_e32 v30, v61, v75
	v_cndmask_b32_e32 v7, 0, v69, vcc
	v_fmac_f32_e32 v7, v61, v74
	v_cndmask_b32_e64 v88, 1.0, v6, s[38:39]
	v_cndmask_b32_e32 v6, 1.0, v70, vcc
	v_cmp_gt_f32_e32 vcc, s98, v30
	v_exp_f32_e32 v7, v7
	v_mul_f32_e32 v4, v86, v31
	v_cndmask_b32_e32 v30, 0, v69, vcc
	v_fmac_f32_e32 v30, v61, v75
	v_exp_f32_e32 v31, v30
	v_mul_f32_e32 v6, v7, v6
	v_cndmask_b32_e64 v89, 1.0, v6, s[40:41]
	v_cndmask_b32_e32 v6, 1.0, v70, vcc
	v_mul_f32_e32 v6, v31, v6
	v_mul_f32_e32 v31, v61, v76
	v_cmp_gt_f32_e32 vcc, s98, v31
	v_mul_f32_e32 v5, v85, v32
	v_mul_f32_e32 v7, v84, v33
	v_cndmask_b32_e32 v31, 0, v69, vcc
	v_fmac_f32_e32 v31, v61, v76
	v_exp_f32_e32 v32, v31
	v_cndmask_b32_e64 v30, 0, v7, s[40:41]
	v_mul_f32_e32 v7, v83, v34
	v_cndmask_b32_e64 v90, 1.0, v6, s[42:43]
	v_cndmask_b32_e32 v6, 1.0, v70, vcc
	v_cndmask_b32_e64 v31, 0, v7, s[42:43]
	v_mul_f32_e32 v7, v32, v6
	v_mul_f32_e32 v32, v61, v77
	v_cmp_gt_f32_e32 vcc, s98, v32
	v_mul_f32_e32 v33, v61, v78
	v_cndmask_b32_e64 v91, 1.0, v7, s[44:45]
	v_cndmask_b32_e32 v32, 0, v69, vcc
	v_fmac_f32_e32 v32, v61, v77
	v_exp_f32_e32 v32, v32
	v_cndmask_b32_e32 v7, 1.0, v70, vcc
	v_cmp_gt_f32_e32 vcc, s98, v33
	v_mul_f32_e32 v34, v61, v15
	v_mul_f32_e32 v32, v32, v7
	v_cndmask_b32_e32 v33, 0, v69, vcc
	v_fmac_f32_e32 v33, v61, v78
	v_cndmask_b32_e64 v92, 1.0, v32, s[46:47]
	v_cndmask_b32_e32 v32, 1.0, v70, vcc
	v_cmp_gt_f32_e32 vcc, s98, v34
	v_exp_f32_e32 v33, v33
	v_cndmask_b32_e64 v4, 0, v4, s[36:37]
	v_cndmask_b32_e32 v34, 0, v69, vcc
	v_fmac_f32_e32 v34, v61, v15
	v_exp_f32_e32 v34, v34
	v_mul_f32_e32 v33, v33, v32
	v_mul_f32_e32 v32, v80, v93
	v_cndmask_b32_e64 v93, 1.0, v33, s[48:49]
	v_cndmask_b32_e32 v33, 1.0, v70, vcc
	v_cndmask_b32_e64 v5, 0, v5, s[38:39]
	v_mul_f32_e32 v34, v34, v33
	v_mul_f32_e32 v6, v82, v35
	;; [unrolled: 1-line block ×3, first 2 shown]
	v_cndmask_b32_e64 v94, 1.0, v34, s[50:51]
	v_mul_f32_e32 v34, v88, v87
	v_fma_f32 v35, v88, v4, v5
	v_mul_f32_e32 v34, v34, v89
	v_fma_f32 v35, v35, v89, v30
	v_cndmask_b32_e64 v6, 0, v6, s[44:45]
	v_mul_f32_e32 v7, v81, v60
	v_mul_f32_e32 v34, v34, v90
	v_fma_f32 v35, v35, v90, v31
	v_cndmask_b32_e64 v7, 0, v7, s[46:47]
	v_mul_f32_e32 v34, v34, v91
	v_fma_f32 v35, v35, v91, v6
	v_cndmask_b32_e64 v32, 0, v32, s[48:49]
	;; [unrolled: 3-line block ×3, first 2 shown]
	v_mul_f32_e32 v34, v34, v93
	v_fma_f32 v35, v35, v93, v32
	v_mul_f32_e32 v34, v34, v94
	v_fma_f32 v62, v35, v94, v33
	s_nop 0
	v_mov_b32_dpp v61, v34 row_shr:1 row_mask:0xf bank_mask:0xf
	v_mov_b32_dpp v60, v62 row_shr:1 row_mask:0xf bank_mask:0xf
	s_and_saveexec_b64 s[90:91], s[0:1]
; %bb.99:                               ;   in Loop: Header=BB42_60 Depth=2
	v_mul_f32_e32 v61, v34, v61
	v_fmac_f32_e32 v62, v34, v60
	v_mov_b32_e32 v34, v61
; %bb.100:                              ;   in Loop: Header=BB42_60 Depth=2
	s_or_b64 exec, exec, s[90:91]
	s_nop 0
	v_mov_b32_dpp v60, v34 row_shr:2 row_mask:0xf bank_mask:0xf
	v_mov_b32_dpp v61, v62 row_shr:2 row_mask:0xf bank_mask:0xf
	s_and_saveexec_b64 s[90:91], s[2:3]
; %bb.101:                              ;   in Loop: Header=BB42_60 Depth=2
	v_fmac_f32_e32 v62, v34, v61
	v_mul_f32_e32 v34, v34, v60
; %bb.102:                              ;   in Loop: Header=BB42_60 Depth=2
	s_or_b64 exec, exec, s[90:91]
	s_nop 0
	v_mov_b32_dpp v60, v34 row_shr:4 row_mask:0xf bank_mask:0xf
	v_mov_b32_dpp v61, v62 row_shr:4 row_mask:0xf bank_mask:0xf
	s_and_saveexec_b64 s[90:91], s[4:5]
; %bb.103:                              ;   in Loop: Header=BB42_60 Depth=2
	v_fmac_f32_e32 v62, v34, v61
	v_mul_f32_e32 v34, v34, v60
	;; [unrolled: 9-line block ×3, first 2 shown]
; %bb.106:                              ;   in Loop: Header=BB42_60 Depth=2
	s_or_b64 exec, exec, s[90:91]
	s_nop 0
	v_mov_b32_dpp v60, v34 row_bcast:15 row_mask:0xf bank_mask:0xf
	v_mov_b32_dpp v61, v62 row_bcast:15 row_mask:0xf bank_mask:0xf
	s_and_saveexec_b64 s[90:91], s[8:9]
; %bb.107:                              ;   in Loop: Header=BB42_60 Depth=2
	v_fmac_f32_e32 v62, v34, v61
	v_mul_f32_e32 v34, v34, v60
; %bb.108:                              ;   in Loop: Header=BB42_60 Depth=2
	s_or_b64 exec, exec, s[90:91]
	s_nop 0
	v_mov_b32_dpp v60, v34 row_bcast:31 row_mask:0xf bank_mask:0xf
	v_mov_b32_dpp v61, v62 row_bcast:31 row_mask:0xf bank_mask:0xf
	v_mov_b32_e32 v35, v62
	v_mul_f32_e32 v60, v34, v60
	v_fmac_f32_e32 v35, v34, v61
	v_cndmask_b32_e64 v34, v34, v60, s[10:11]
	v_cndmask_b32_e64 v35, v62, v35, s[10:11]
	s_and_saveexec_b64 s[90:91], s[12:13]
	s_cbranch_execz .LBB42_110
; %bb.109:                              ;   in Loop: Header=BB42_60 Depth=2
	ds_write_b64 v9, v[34:35] offset:2112
.LBB42_110:                             ;   in Loop: Header=BB42_60 Depth=2
	s_or_b64 exec, exec, s[90:91]
	ds_bpermute_b32 v60, v59, v34
	ds_bpermute_b32 v61, v59, v35
	s_waitcnt vmcnt(0) lgkmcnt(2)
	v_mov_b32_e32 v35, v29
	s_waitcnt lgkmcnt(0)
	; wave barrier
	s_waitcnt lgkmcnt(0)
	s_and_saveexec_b64 s[90:91], s[14:15]
	s_cbranch_execz .LBB42_114
; %bb.111:                              ;   in Loop: Header=BB42_60 Depth=2
	ds_read_b64 v[34:35], v9 offset:2112
	s_and_saveexec_b64 s[92:93], s[16:17]
	s_cbranch_execz .LBB42_113
; %bb.112:                              ;   in Loop: Header=BB42_60 Depth=2
	ds_write_b64 v9, v[28:29] offset:2112
.LBB42_113:                             ;   in Loop: Header=BB42_60 Depth=2
	s_or_b64 exec, exec, s[92:93]
	s_waitcnt lgkmcnt(0)
	v_fmac_f32_e32 v35, v29, v34
	v_mul_f32_e32 v28, v28, v34
	v_mov_b32_e32 v29, v35
.LBB42_114:                             ;   in Loop: Header=BB42_60 Depth=2
	s_or_b64 exec, exec, s[90:91]
	s_waitcnt lgkmcnt(0)
	; wave barrier
	ds_read_b32 v34, v9 offset:2116
	s_and_saveexec_b64 s[90:91], s[16:17]
	s_cbranch_execz .LBB42_59
; %bb.115:                              ;   in Loop: Header=BB42_60 Depth=2
	v_mov_b32_e32 v62, s95
	s_andn2_b64 vcc, exec, s[82:83]
	ds_write_b64 v62, v[28:29]
	s_cbranch_vccnz .LBB42_59
; %bb.116:                              ;   in Loop: Header=BB42_60 Depth=2
	s_mov_b32 s89, s71
	s_lshl_b64 s[92:93], s[88:89], 2
	s_add_u32 s92, s57, s92
	s_addc_u32 s93, s61, s93
	global_store_dword v9, v35, s[92:93]
	s_branch .LBB42_59
.LBB42_117:                             ;   in Loop: Header=BB42_11 Depth=1
	s_mov_b32 s40, 0x3fb8aa3b
	s_mov_b32 s41, 0xc2ce8ed0
	;; [unrolled: 1-line block ×6, first 2 shown]
.LBB42_118:                             ;   in Loop: Header=BB42_11 Depth=1
	v_bfe_u32 v0, v22, 16, 1
	v_bfe_u32 v1, v23, 16, 1
	v_add3_u32 v0, v22, v0, s74
	v_bfe_u32 v2, v20, 16, 1
	v_add3_u32 v1, v23, v1, s74
	v_lshrrev_b32_e32 v0, 16, v0
	v_cmp_o_f32_e32 vcc, v22, v22
	v_bfe_u32 v3, v21, 16, 1
	v_add3_u32 v2, v20, v2, s74
	v_lshrrev_b32_e32 v1, 16, v1
	v_cndmask_b32_e32 v0, v71, v0, vcc
	v_cmp_o_f32_e32 vcc, v23, v23
	v_add3_u32 v3, v21, v3, s74
	v_lshrrev_b32_e32 v2, 16, v2
	v_cndmask_b32_e32 v4, v71, v1, vcc
	v_cmp_o_f32_e32 vcc, v20, v20
	v_lshrrev_b32_e32 v3, 16, v3
	v_bfe_u32 v6, v16, 16, 1
	v_cndmask_b32_e32 v1, v71, v2, vcc
	v_cmp_o_f32_e32 vcc, v21, v21
	v_bfe_u32 v2, v18, 16, 1
	v_add3_u32 v2, v18, v2, s74
	v_cndmask_b32_e32 v5, v71, v3, vcc
	v_bfe_u32 v3, v19, 16, 1
	v_add3_u32 v3, v19, v3, s74
	v_lshrrev_b32_e32 v2, 16, v2
	v_cmp_o_f32_e32 vcc, v18, v18
	v_bfe_u32 v7, v17, 16, 1
	v_add3_u32 v6, v16, v6, s74
	v_lshrrev_b32_e32 v3, 16, v3
	v_cndmask_b32_e32 v2, v71, v2, vcc
	v_cmp_o_f32_e32 vcc, v19, v19
	v_add3_u32 v7, v17, v7, s74
	v_lshrrev_b32_e32 v6, 16, v6
	v_cndmask_b32_e32 v15, v71, v3, vcc
	v_cmp_o_f32_e32 vcc, v16, v16
	v_lshrrev_b32_e32 v7, 16, v7
	v_perm_b32 v2, v15, v2, s75
	v_cndmask_b32_e32 v3, v71, v6, vcc
	v_cmp_o_f32_e32 vcc, v17, v17
	v_perm_b32 v1, v5, v1, s75
	v_perm_b32 v0, v4, v0, s75
	v_cndmask_b32_e32 v6, v71, v7, vcc
	v_perm_b32 v3, v6, v3, s75
	s_waitcnt lgkmcnt(0)
	; wave barrier
	ds_write_b128 v51, v[0:3]
	; wave barrier
	ds_read_u16 v15, v44 offset:128
	ds_read_u16 v7, v45 offset:256
	;; [unrolled: 1-line block ×7, first 2 shown]
	s_mov_b32 s79, s71
	v_lshl_add_u64 v[0:1], s[78:79], 1, v[12:13]
	s_and_saveexec_b64 s[36:37], s[18:19]
	s_cbranch_execnz .LBB42_128
; %bb.119:                              ;   in Loop: Header=BB42_11 Depth=1
	s_or_b64 exec, exec, s[36:37]
	s_and_saveexec_b64 s[18:19], s[20:21]
	s_cbranch_execnz .LBB42_129
.LBB42_120:                             ;   in Loop: Header=BB42_11 Depth=1
	s_or_b64 exec, exec, s[18:19]
	s_and_saveexec_b64 s[18:19], s[22:23]
	s_cbranch_execnz .LBB42_130
.LBB42_121:                             ;   in Loop: Header=BB42_11 Depth=1
	s_or_b64 exec, exec, s[18:19]
	s_and_saveexec_b64 s[18:19], s[24:25]
	s_cbranch_execnz .LBB42_131
.LBB42_122:                             ;   in Loop: Header=BB42_11 Depth=1
	s_or_b64 exec, exec, s[18:19]
	s_and_saveexec_b64 s[18:19], s[26:27]
	s_cbranch_execnz .LBB42_132
.LBB42_123:                             ;   in Loop: Header=BB42_11 Depth=1
	s_or_b64 exec, exec, s[18:19]
	s_and_saveexec_b64 s[18:19], s[28:29]
	s_cbranch_execnz .LBB42_133
.LBB42_124:                             ;   in Loop: Header=BB42_11 Depth=1
	s_or_b64 exec, exec, s[18:19]
	s_and_saveexec_b64 s[18:19], s[30:31]
	s_cbranch_execnz .LBB42_134
.LBB42_125:                             ;   in Loop: Header=BB42_11 Depth=1
	s_or_b64 exec, exec, s[18:19]
	s_and_saveexec_b64 s[18:19], s[34:35]
	s_cbranch_execz .LBB42_10
	s_branch .LBB42_135
.LBB42_126:                             ;   in Loop: Header=BB42_11 Depth=1
	global_load_ushort v19, v[4:5], off offset:640
	s_or_b64 exec, exec, s[36:37]
	s_and_saveexec_b64 s[36:37], s[30:31]
	s_cbranch_execz .LBB42_39
.LBB42_127:                             ;   in Loop: Header=BB42_11 Depth=1
	global_load_ushort v18, v[4:5], off offset:768
	s_or_b64 exec, exec, s[36:37]
	v_mov_b32_e32 v20, 0
	s_and_saveexec_b64 s[36:37], s[34:35]
	s_cbranch_execnz .LBB42_40
	s_branch .LBB42_41
.LBB42_128:                             ;   in Loop: Header=BB42_11 Depth=1
	ds_read_u16 v16, v43
	s_waitcnt lgkmcnt(0)
	global_store_short v[0:1], v16, off
	s_or_b64 exec, exec, s[36:37]
	s_and_saveexec_b64 s[18:19], s[20:21]
	s_cbranch_execz .LBB42_120
.LBB42_129:                             ;   in Loop: Header=BB42_11 Depth=1
	s_waitcnt lgkmcnt(6)
	global_store_short v[0:1], v15, off offset:128
	s_or_b64 exec, exec, s[18:19]
	s_and_saveexec_b64 s[18:19], s[22:23]
	s_cbranch_execz .LBB42_121
.LBB42_130:                             ;   in Loop: Header=BB42_11 Depth=1
	s_waitcnt lgkmcnt(5)
	global_store_short v[0:1], v7, off offset:256
	s_or_b64 exec, exec, s[18:19]
	s_and_saveexec_b64 s[18:19], s[24:25]
	s_cbranch_execz .LBB42_122
.LBB42_131:                             ;   in Loop: Header=BB42_11 Depth=1
	s_waitcnt lgkmcnt(4)
	global_store_short v[0:1], v6, off offset:384
	s_or_b64 exec, exec, s[18:19]
	s_and_saveexec_b64 s[18:19], s[26:27]
	s_cbranch_execz .LBB42_123
.LBB42_132:                             ;   in Loop: Header=BB42_11 Depth=1
	s_waitcnt lgkmcnt(3)
	global_store_short v[0:1], v5, off offset:512
	s_or_b64 exec, exec, s[18:19]
	s_and_saveexec_b64 s[18:19], s[28:29]
	s_cbranch_execz .LBB42_124
.LBB42_133:                             ;   in Loop: Header=BB42_11 Depth=1
	s_waitcnt lgkmcnt(2)
	global_store_short v[0:1], v4, off offset:640
	s_or_b64 exec, exec, s[18:19]
	s_and_saveexec_b64 s[18:19], s[30:31]
	s_cbranch_execz .LBB42_125
.LBB42_134:                             ;   in Loop: Header=BB42_11 Depth=1
	s_waitcnt lgkmcnt(1)
	global_store_short v[0:1], v3, off offset:768
	s_or_b64 exec, exec, s[18:19]
	s_and_saveexec_b64 s[18:19], s[34:35]
	s_cbranch_execz .LBB42_10
.LBB42_135:                             ;   in Loop: Header=BB42_11 Depth=1
	s_waitcnt lgkmcnt(0)
	global_store_short v[0:1], v2, off offset:896
	s_branch .LBB42_10
.LBB42_136:
	s_endpgm
.LBB42_137:
	s_mov_b64 s[68:69], 0
	s_load_dwordx2 s[4:5], s[0:1], 0x20
	s_cmp_eq_u64 s[6:7], 0
	s_cbranch_scc0 .LBB42_2
	s_branch .LBB42_3
	.section	.rodata,"a",@progbits
	.p2align	6, 0x0
	.amdhsa_kernel _Z25selective_scan_fwd_kernelI32Selective_Scan_fwd_kernel_traitsILi64ELi8ELi1ELb1ELb1ELb1ELb0ELb1EN3c108BFloat16EffEEv13SSMParamsBase
		.amdhsa_group_segment_fixed_size 0
		.amdhsa_private_segment_fixed_size 0
		.amdhsa_kernarg_size 248
		.amdhsa_user_sgpr_count 2
		.amdhsa_user_sgpr_dispatch_ptr 0
		.amdhsa_user_sgpr_queue_ptr 0
		.amdhsa_user_sgpr_kernarg_segment_ptr 1
		.amdhsa_user_sgpr_dispatch_id 0
		.amdhsa_user_sgpr_kernarg_preload_length 0
		.amdhsa_user_sgpr_kernarg_preload_offset 0
		.amdhsa_user_sgpr_private_segment_size 0
		.amdhsa_uses_dynamic_stack 0
		.amdhsa_enable_private_segment 0
		.amdhsa_system_sgpr_workgroup_id_x 1
		.amdhsa_system_sgpr_workgroup_id_y 1
		.amdhsa_system_sgpr_workgroup_id_z 0
		.amdhsa_system_sgpr_workgroup_info 0
		.amdhsa_system_vgpr_workitem_id 0
		.amdhsa_next_free_vgpr 96
		.amdhsa_next_free_sgpr 100
		.amdhsa_accum_offset 96
		.amdhsa_reserve_vcc 1
		.amdhsa_float_round_mode_32 0
		.amdhsa_float_round_mode_16_64 0
		.amdhsa_float_denorm_mode_32 3
		.amdhsa_float_denorm_mode_16_64 3
		.amdhsa_dx10_clamp 1
		.amdhsa_ieee_mode 1
		.amdhsa_fp16_overflow 0
		.amdhsa_tg_split 0
		.amdhsa_exception_fp_ieee_invalid_op 0
		.amdhsa_exception_fp_denorm_src 0
		.amdhsa_exception_fp_ieee_div_zero 0
		.amdhsa_exception_fp_ieee_overflow 0
		.amdhsa_exception_fp_ieee_underflow 0
		.amdhsa_exception_fp_ieee_inexact 0
		.amdhsa_exception_int_div_zero 0
	.end_amdhsa_kernel
	.section	.text._Z25selective_scan_fwd_kernelI32Selective_Scan_fwd_kernel_traitsILi64ELi8ELi1ELb1ELb1ELb1ELb0ELb1EN3c108BFloat16EffEEv13SSMParamsBase,"axG",@progbits,_Z25selective_scan_fwd_kernelI32Selective_Scan_fwd_kernel_traitsILi64ELi8ELi1ELb1ELb1ELb1ELb0ELb1EN3c108BFloat16EffEEv13SSMParamsBase,comdat
.Lfunc_end42:
	.size	_Z25selective_scan_fwd_kernelI32Selective_Scan_fwd_kernel_traitsILi64ELi8ELi1ELb1ELb1ELb1ELb0ELb1EN3c108BFloat16EffEEv13SSMParamsBase, .Lfunc_end42-_Z25selective_scan_fwd_kernelI32Selective_Scan_fwd_kernel_traitsILi64ELi8ELi1ELb1ELb1ELb1ELb0ELb1EN3c108BFloat16EffEEv13SSMParamsBase
                                        ; -- End function
	.section	.AMDGPU.csdata,"",@progbits
; Kernel info:
; codeLenInByte = 10472
; NumSgprs: 106
; NumVgprs: 96
; NumAgprs: 0
; TotalNumVgprs: 96
; ScratchSize: 0
; MemoryBound: 0
; FloatMode: 240
; IeeeMode: 1
; LDSByteSize: 0 bytes/workgroup (compile time only)
; SGPRBlocks: 13
; VGPRBlocks: 11
; NumSGPRsForWavesPerEU: 106
; NumVGPRsForWavesPerEU: 96
; AccumOffset: 96
; Occupancy: 5
; WaveLimiterHint : 1
; COMPUTE_PGM_RSRC2:SCRATCH_EN: 0
; COMPUTE_PGM_RSRC2:USER_SGPR: 2
; COMPUTE_PGM_RSRC2:TRAP_HANDLER: 0
; COMPUTE_PGM_RSRC2:TGID_X_EN: 1
; COMPUTE_PGM_RSRC2:TGID_Y_EN: 1
; COMPUTE_PGM_RSRC2:TGID_Z_EN: 0
; COMPUTE_PGM_RSRC2:TIDIG_COMP_CNT: 0
; COMPUTE_PGM_RSRC3_GFX90A:ACCUM_OFFSET: 23
; COMPUTE_PGM_RSRC3_GFX90A:TG_SPLIT: 0
	.section	.text._Z25selective_scan_fwd_kernelI32Selective_Scan_fwd_kernel_traitsILi64ELi8ELi1ELb1ELb1ELb1ELb0ELb0EN3c108BFloat16EffEEv13SSMParamsBase,"axG",@progbits,_Z25selective_scan_fwd_kernelI32Selective_Scan_fwd_kernel_traitsILi64ELi8ELi1ELb1ELb1ELb1ELb0ELb0EN3c108BFloat16EffEEv13SSMParamsBase,comdat
	.protected	_Z25selective_scan_fwd_kernelI32Selective_Scan_fwd_kernel_traitsILi64ELi8ELi1ELb1ELb1ELb1ELb0ELb0EN3c108BFloat16EffEEv13SSMParamsBase ; -- Begin function _Z25selective_scan_fwd_kernelI32Selective_Scan_fwd_kernel_traitsILi64ELi8ELi1ELb1ELb1ELb1ELb0ELb0EN3c108BFloat16EffEEv13SSMParamsBase
	.globl	_Z25selective_scan_fwd_kernelI32Selective_Scan_fwd_kernel_traitsILi64ELi8ELi1ELb1ELb1ELb1ELb0ELb0EN3c108BFloat16EffEEv13SSMParamsBase
	.p2align	8
	.type	_Z25selective_scan_fwd_kernelI32Selective_Scan_fwd_kernel_traitsILi64ELi8ELi1ELb1ELb1ELb1ELb0ELb0EN3c108BFloat16EffEEv13SSMParamsBase,@function
_Z25selective_scan_fwd_kernelI32Selective_Scan_fwd_kernel_traitsILi64ELi8ELi1ELb1ELb1ELb1ELb0ELb0EN3c108BFloat16EffEEv13SSMParamsBase: ; @_Z25selective_scan_fwd_kernelI32Selective_Scan_fwd_kernel_traitsILi64ELi8ELi1ELb1ELb1ELb1ELb0ELb0EN3c108BFloat16EffEEv13SSMParamsBase
; %bb.0:
	s_load_dword s25, s[0:1], 0x18
	s_load_dwordx4 s[4:7], s[0:1], 0xe8
	s_mov_b32 s20, s3
	s_waitcnt lgkmcnt(0)
	s_abs_i32 s24, s25
	v_cvt_f32_u32_e32 v1, s24
	s_cmp_eq_u64 s[6:7], 0
	v_rcp_iflag_f32_e32 v1, v1
	s_nop 0
	v_mul_f32_e32 v1, 0x4f7ffffe, v1
	v_cvt_u32_f32_e32 v1, v1
	s_nop 0
	v_readfirstlane_b32 s26, v1
	s_cbranch_scc1 .LBB43_3
; %bb.1:
	s_ashr_i32 s3, s2, 31
	s_add_u32 s6, s6, s2
	s_addc_u32 s7, s7, s3
	v_mov_b32_e32 v1, 0
	global_load_ubyte v1, v1, s[6:7]
	s_waitcnt vmcnt(0)
	v_and_b32_e32 v1, 1, v1
	v_cmp_eq_u32_e64 s[52:53], 1, v1
	s_load_dwordx2 s[6:7], s[0:1], 0x20
	s_cmp_eq_u64 s[4:5], 0
	s_cbranch_scc1 .LBB43_4
.LBB43_2:
	s_ashr_i32 s3, s2, 31
	s_lshl_b64 s[8:9], s[2:3], 2
	s_add_u32 s4, s4, s8
	s_addc_u32 s5, s5, s9
	s_load_dword s22, s[4:5], 0x0
	s_waitcnt lgkmcnt(0)
	s_ashr_i32 s23, s22, 31
	s_cmp_eq_u64 s[6:7], s[22:23]
	s_cbranch_scc0 .LBB43_5
	s_branch .LBB43_58
.LBB43_3:
	s_mov_b64 s[52:53], 0
	s_load_dwordx2 s[6:7], s[0:1], 0x20
	s_cmp_eq_u64 s[4:5], 0
	s_cbranch_scc0 .LBB43_2
.LBB43_4:
	s_mov_b32 s22, s2
	s_ashr_i32 s23, s22, 31
	s_waitcnt lgkmcnt(0)
	s_cmp_eq_u64 s[6:7], s[22:23]
	s_cbranch_scc1 .LBB43_58
.LBB43_5:
	s_load_dwordx16 s[4:19], s[0:1], 0x88
	s_load_dwordx2 s[54:55], s[0:1], 0x8
	s_mov_b32 s33, 0
	s_mov_b32 s80, 0
	s_waitcnt lgkmcnt(0)
	s_cmp_eq_u64 s[10:11], 0
	s_cbranch_scc1 .LBB43_7
; %bb.6:
	s_ashr_i32 s21, s20, 31
	s_lshl_b64 s[28:29], s[20:21], 2
	s_add_u32 s10, s10, s28
	s_addc_u32 s11, s11, s29
	s_load_dword s80, s[10:11], 0x0
.LBB43_7:
	s_cmp_eq_u64 s[16:17], 0
	s_cbranch_scc1 .LBB43_9
; %bb.8:
	s_ashr_i32 s21, s20, 31
	s_lshl_b64 s[10:11], s[20:21], 2
	s_add_u32 s10, s16, s10
	s_addc_u32 s11, s17, s11
	s_load_dword s33, s[10:11], 0x0
.LBB43_9:
	s_cmp_lt_i32 s54, 1
	s_cbranch_scc1 .LBB43_58
; %bb.10:
	s_sub_i32 s3, 0, s24
	s_mul_i32 s3, s3, s26
	s_mul_hi_u32 s3, s26, s3
	s_abs_i32 s21, s20
	s_add_i32 s3, s26, s3
	s_load_dwordx8 s[40:47], s[0:1], 0x2c
	s_load_dwordx2 s[16:17], s[0:1], 0x5c
	s_load_dwordx4 s[48:51], s[0:1], 0x4c
	s_load_dwordx4 s[36:39], s[0:1], 0x7c
	s_load_dwordx2 s[10:11], s[0:1], 0x6c
	s_load_dwordx2 s[26:27], s[0:1], 0xc8
	s_mul_hi_u32 s3, s21, s3
	s_load_dword s23, s[0:1], 0x28
	s_ashr_i32 s0, s20, 31
	s_ashr_i32 s1, s25, 31
	s_xor_b32 s0, s0, s1
	s_mul_i32 s1, s3, s24
	s_sub_i32 s1, s21, s1
	s_add_i32 s21, s3, 1
	s_sub_i32 s25, s1, s24
	s_cmp_ge_u32 s1, s24
	s_cselect_b32 s3, s21, s3
	s_cselect_b32 s1, s25, s1
	s_add_i32 s21, s3, 1
	s_cmp_ge_u32 s1, s24
	s_cselect_b32 s1, s21, s3
	s_xor_b32 s1, s1, s0
	s_waitcnt lgkmcnt(0)
	s_mul_i32 s56, s50, s2
	s_mov_b32 s57, 0
	s_sub_i32 s3, s1, s0
	s_lshl_b64 s[0:1], s[56:57], 1
	s_add_u32 s12, s12, s0
	s_mul_i32 s56, s51, s20
	s_addc_u32 s13, s13, s1
	s_lshl_b64 s[0:1], s[56:57], 1
	s_add_u32 s50, s12, s0
	s_mul_i32 s56, s16, s2
	s_addc_u32 s51, s13, s1
	;; [unrolled: 4-line block ×10, first 2 shown]
	s_lshl_b64 s[0:1], s[56:57], 2
	s_add_u32 s45, s3, s0
	s_addc_u32 s49, s4, s1
	s_add_i32 s0, s54, 0x7ff
	s_lshr_b32 s81, s0, 11
	s_bitcmp1_b32 s23, 0
	s_cselect_b64 s[60:61], -1, 0
	s_cmp_gt_i32 s55, 0
	s_cselect_b64 s[62:63], -1, 0
	s_and_b32 s3, s54, 0x1ff
	s_cmp_eq_u32 s3, 0
	s_mul_i32 s56, s10, s2
	s_cselect_b64 s[64:65], -1, 0
	s_add_i32 s82, s81, -1
	s_lshl_b64 s[2:3], s[56:57], 1
	s_add_u32 s6, s18, s2
	s_mul_i32 s56, s11, s20
	s_addc_u32 s7, s19, s3
	s_lshl_b64 s[2:3], s[56:57], 1
	s_add_u32 s2, s6, s2
	v_mov_b32_e32 v17, 0
	s_addc_u32 s3, s7, s3
	v_lshlrev_b32_e32 v16, 4, v0
	v_cmp_gt_u32_e64 s[0:1], 64, v0
	v_lshlrev_b32_e32 v42, 3, v0
	v_cmp_eq_u32_e64 s[36:37], 63, v0
	v_cmp_eq_u32_e64 s[4:5], 0, v0
	v_lshl_add_u64 v[18:19], s[2:3], 0, v[16:17]
	v_lshlrev_b32_e32 v16, 4, v0
	v_mbcnt_lo_u32_b32 v0, -1, 0
	v_or_b32_e32 v43, 1, v42
	v_or_b32_e32 v44, 2, v42
	;; [unrolled: 1-line block ×7, first 2 shown]
	s_mov_b32 s83, 0x41a00000
	s_mov_b32 s84, 0x3fb8aa3b
	;; [unrolled: 1-line block ×6, first 2 shown]
	v_mov_b32_e32 v50, 0x3ecc95a3
	s_mov_b32 s89, 0x3f317218
	s_mov_b32 s90, 0x33800000
	s_add_i32 s91, 0, 0x848
	s_mov_b32 s92, 0xc2fc0000
	s_movk_i32 s93, 0x7fff
	s_mov_b32 s94, 0x5040100
	v_mov_b32_e32 v51, 0x7f800000
	v_mov_b32_e32 v20, 0x3f317218
	v_mbcnt_hi_u32_b32 v52, -1, v0
	v_mov_b32_e32 v53, 0x42800000
	v_mov_b32_e32 v54, 0x1f800000
	;; [unrolled: 1-line block ×3, first 2 shown]
	s_mov_b32 s95, 0
                                        ; implicit-def: $vgpr1
                                        ; implicit-def: $vgpr61
                                        ; implicit-def: $vgpr7
                                        ; implicit-def: $vgpr60
                                        ; implicit-def: $vgpr58
                                        ; implicit-def: $vgpr57
                                        ; implicit-def: $vgpr0
                                        ; implicit-def: $vgpr56
                                        ; implicit-def: $vgpr59
                                        ; implicit-def: $vgpr62
                                        ; implicit-def: $vgpr63
	s_branch .LBB43_12
.LBB43_11:                              ;   in Loop: Header=BB43_12 Depth=1
	v_bfe_u32 v8, v28, 16, 1
	v_bfe_u32 v9, v29, 16, 1
	v_add3_u32 v8, v28, v8, s93
	v_bfe_u32 v10, v26, 16, 1
	v_add3_u32 v9, v29, v9, s93
	v_lshrrev_b32_e32 v8, 16, v8
	v_cmp_o_f32_e32 vcc, v28, v28
	v_bfe_u32 v11, v27, 16, 1
	v_add3_u32 v10, v26, v10, s93
	v_lshrrev_b32_e32 v9, 16, v9
	v_cndmask_b32_e32 v8, v55, v8, vcc
	v_cmp_o_f32_e32 vcc, v29, v29
	s_add_u32 s58, s58, 0x400
	v_add3_u32 v11, v27, v11, s93
	v_lshrrev_b32_e32 v10, 16, v10
	v_cndmask_b32_e32 v14, v55, v9, vcc
	v_cmp_o_f32_e32 vcc, v26, v26
	s_addc_u32 s59, s59, 0
	v_lshrrev_b32_e32 v11, 16, v11
	v_cndmask_b32_e32 v9, v55, v10, vcc
	v_cmp_o_f32_e32 vcc, v27, v27
	v_bfe_u32 v10, v24, 16, 1
	s_add_u32 s50, s50, 0x400
	v_cndmask_b32_e32 v15, v55, v11, vcc
	v_bfe_u32 v11, v25, 16, 1
	v_add3_u32 v10, v24, v10, s93
	s_addc_u32 s51, s51, 0
	v_bfe_u32 v21, v22, 16, 1
	v_add3_u32 v11, v25, v11, s93
	v_lshrrev_b32_e32 v10, 16, v10
	v_cmp_o_f32_e32 vcc, v24, v24
	v_bfe_u32 v26, v23, 16, 1
	v_add3_u32 v21, v22, v21, s93
	v_lshrrev_b32_e32 v11, 16, v11
	v_cndmask_b32_e32 v10, v55, v10, vcc
	v_cmp_o_f32_e32 vcc, v25, v25
	s_add_u32 s42, s42, 0x400
	v_add3_u32 v26, v23, v26, s93
	v_lshrrev_b32_e32 v21, 16, v21
	v_cndmask_b32_e32 v24, v55, v11, vcc
	v_cmp_o_f32_e32 vcc, v22, v22
	s_addc_u32 s43, s43, 0
	v_lshrrev_b32_e32 v26, 16, v26
	v_cndmask_b32_e32 v11, v55, v21, vcc
	v_cmp_o_f32_e32 vcc, v23, v23
	s_add_u32 s46, s46, 0x400
	s_mov_b32 s3, s57
	v_cndmask_b32_e32 v21, v55, v26, vcc
	s_addc_u32 s47, s47, 0
	s_add_i32 s95, s95, 1
	v_lshl_add_u64 v[12:13], s[2:3], 1, v[18:19]
	v_perm_b32 v11, v21, v11, s94
	v_perm_b32 v10, v24, v10, s94
	;; [unrolled: 1-line block ×4, first 2 shown]
	s_cmp_eq_u32 s95, s81
	s_waitcnt lgkmcnt(0)
	; wave barrier
	global_store_dwordx4 v[12:13], v[8:11], off
	s_cbranch_scc1 .LBB43_58
.LBB43_12:                              ; =>This Loop Header: Depth=1
                                        ;     Child Loop BB43_33 Depth 2
	s_waitcnt lgkmcnt(0)
	; wave barrier
	s_and_saveexec_b64 s[2:3], s[0:1]
	s_cbranch_execz .LBB43_14
; %bb.13:                               ;   in Loop: Header=BB43_12 Depth=1
	global_load_dwordx4 v[0:3], v16, s[50:51]
	global_load_dwordx4 v[4:7], v16, s[58:59]
	s_waitcnt vmcnt(1)
	v_lshrrev_b32_e32 v56, 16, v0
	v_lshrrev_b32_e32 v59, 16, v1
	;; [unrolled: 1-line block ×4, first 2 shown]
	s_waitcnt vmcnt(0)
	v_lshrrev_b32_e32 v57, 16, v4
	v_lshrrev_b32_e32 v58, 16, v5
	;; [unrolled: 1-line block ×4, first 2 shown]
.LBB43_14:                              ;   in Loop: Header=BB43_12 Depth=1
	s_or_b64 exec, exec, s[2:3]
	v_lshlrev_b32_e32 v8, 16, v4
	v_add_f32_e32 v64, s33, v8
	v_cmp_ge_f32_e32 vcc, s83, v64
	s_and_b64 s[2:3], s[60:61], vcc
	s_and_saveexec_b64 s[6:7], s[2:3]
	s_cbranch_execz .LBB43_16
; %bb.15:                               ;   in Loop: Header=BB43_12 Depth=1
	v_mul_f32_e32 v8, 0x3fb8aa3b, v64
	v_rndne_f32_e32 v9, v8
	v_sub_f32_e32 v10, v8, v9
	v_fma_f32 v8, v64, s84, -v8
	v_fmac_f32_e32 v8, 0x32a5705f, v64
	v_add_f32_e32 v8, v10, v8
	v_cvt_i32_f32_e32 v9, v9
	v_exp_f32_e32 v8, v8
	v_cmp_ngt_f32_e32 vcc, s85, v64
	v_ldexp_f32 v8, v8, v9
	s_nop 0
	v_cndmask_b32_e32 v8, 0, v8, vcc
	v_cmp_nlt_f32_e32 vcc, s86, v64
	s_nop 1
	v_cndmask_b32_e32 v30, v51, v8, vcc
	v_add_f32_e32 v10, 1.0, v30
	v_add_f32_e32 v8, -1.0, v10
	v_sub_f32_e32 v9, v8, v10
	v_add_f32_e32 v9, 1.0, v9
	v_sub_f32_e32 v8, v30, v8
	v_add_f32_e32 v11, v8, v9
	v_frexp_mant_f32_e32 v12, v10
	v_cvt_f64_f32_e32 v[8:9], v10
	v_frexp_exp_i32_f64_e32 v8, v[8:9]
	v_cmp_gt_f32_e32 vcc, s88, v12
	v_cmp_gt_f32_e64 s[2:3], s90, v30
	s_nop 0
	v_subbrev_co_u32_e32 v22, vcc, 0, v8, vcc
	v_sub_u32_e32 v8, 0, v22
	v_ldexp_f32 v9, v10, v8
	v_add_f32_e32 v10, -1.0, v9
	v_add_f32_e32 v12, 1.0, v9
	v_ldexp_f32 v8, v11, v8
	v_add_f32_e32 v11, 1.0, v10
	v_add_f32_e32 v13, -1.0, v12
	v_sub_f32_e32 v11, v9, v11
	v_sub_f32_e32 v9, v9, v13
	v_add_f32_e32 v11, v8, v11
	v_add_f32_e32 v8, v8, v9
	;; [unrolled: 1-line block ×3, first 2 shown]
	v_rcp_f32_e32 v24, v21
	v_sub_f32_e32 v9, v12, v21
	v_add_f32_e32 v23, v8, v9
	v_add_f32_e32 v9, v10, v11
	v_mul_f32_e32 v26, v9, v24
	v_sub_f32_e32 v8, v10, v9
	v_mul_f32_e32 v10, v21, v26
	v_fma_f32 v12, v26, v21, -v10
	v_fmac_f32_e32 v12, v26, v23
	v_add_f32_e32 v25, v11, v8
	v_add_f32_e32 v8, v10, v12
	v_sub_f32_e32 v11, v9, v8
	v_pk_add_f32 v[14:15], v[8:9], v[10:11] neg_lo:[0,1] neg_hi:[0,1]
	v_mov_b32_e32 v13, v8
	v_pk_add_f32 v[8:9], v[14:15], v[12:13] neg_lo:[0,1] neg_hi:[0,1]
	v_cmp_eq_f32_e32 vcc, s87, v30
	v_add_f32_e32 v9, v25, v9
	v_add_f32_e32 v8, v8, v9
	;; [unrolled: 1-line block ×3, first 2 shown]
	v_mul_f32_e32 v25, v24, v9
	v_mul_f32_e32 v10, v21, v25
	v_fma_f32 v12, v25, v21, -v10
	v_fmac_f32_e32 v12, v25, v23
	v_sub_f32_e32 v11, v11, v9
	v_add_f32_e32 v21, v8, v11
	v_add_f32_e32 v8, v10, v12
	v_sub_f32_e32 v11, v9, v8
	v_pk_add_f32 v[14:15], v[8:9], v[10:11] neg_lo:[0,1] neg_hi:[0,1]
	v_mov_b32_e32 v13, v8
	v_pk_add_f32 v[8:9], v[14:15], v[12:13] neg_lo:[0,1] neg_hi:[0,1]
	s_or_b64 vcc, s[2:3], vcc
	v_add_f32_e32 v9, v21, v9
	v_add_f32_e32 v8, v8, v9
	;; [unrolled: 1-line block ×4, first 2 shown]
	v_sub_f32_e32 v10, v9, v26
	v_mul_f32_e32 v8, v24, v8
	v_sub_f32_e32 v10, v25, v10
	v_add_f32_e32 v10, v10, v8
	v_add_f32_e32 v12, v9, v10
	v_mul_f32_e32 v13, v12, v12
	v_fmamk_f32 v8, v13, 0x3e9b6dac, v50
	v_fmaak_f32 v21, v13, v8, 0x3f2aaada
	v_cvt_f32_i32_e32 v8, v22
	v_sub_f32_e32 v9, v12, v9
	v_sub_f32_e32 v9, v10, v9
	v_ldexp_f32 v14, v9, 1
	v_mul_f32_e32 v9, v12, v13
	v_ldexp_f32 v11, v12, 1
	v_pk_mul_f32 v[12:13], v[8:9], v[20:21]
	s_nop 0
	v_fma_f32 v10, v8, s89, -v12
	v_fmac_f32_e32 v10, 0xb102e308, v8
	v_pk_add_f32 v[8:9], v[12:13], v[10:11]
	s_nop 0
	v_sub_f32_e32 v11, v9, v11
	v_sub_f32_e32 v11, v13, v11
	v_add_f32_e32 v15, v14, v11
	v_mov_b32_e32 v14, v12
	v_pk_add_f32 v[12:13], v[8:9], v[12:13] neg_lo:[0,1] neg_hi:[0,1]
	v_pk_add_f32 v[22:23], v[8:9], v[14:15]
	v_mov_b32_e32 v11, v8
	v_mov_b32_e32 v13, v23
	v_pk_add_f32 v[24:25], v[10:11], v[12:13] neg_lo:[0,1] neg_hi:[0,1]
	v_pk_add_f32 v[10:11], v[10:11], v[12:13]
	v_mov_b32_e32 v14, v15
	v_mov_b32_e32 v12, v11
	v_pk_add_f32 v[26:27], v[12:13], v[8:9] neg_lo:[0,1] neg_hi:[0,1]
	v_mov_b32_e32 v10, v23
	v_mov_b32_e32 v13, v26
	v_pk_add_f32 v[28:29], v[22:23], v[12:13] neg_lo:[0,1] neg_hi:[0,1]
	v_mov_b32_e32 v22, v9
	v_mov_b32_e32 v23, v26
	;; [unrolled: 1-line block ×3, first 2 shown]
	v_pk_add_f32 v[10:11], v[10:11], v[22:23] neg_lo:[0,1] neg_hi:[0,1]
	v_mov_b32_e32 v15, v8
	v_pk_add_f32 v[8:9], v[14:15], v[10:11] neg_lo:[0,1] neg_hi:[0,1]
	v_mov_b32_e32 v28, v24
	v_pk_add_f32 v[10:11], v[28:29], v[8:9]
	s_nop 0
	v_mov_b32_e32 v14, v11
	v_pk_add_f32 v[14:15], v[10:11], v[14:15]
	s_nop 0
	v_pk_add_f32 v[12:13], v[12:13], v[14:15]
	v_mov_b32_e32 v9, v14
	v_mov_b32_e32 v11, v12
	v_pk_add_f32 v[22:23], v[10:11], v[24:25] neg_lo:[0,1] neg_hi:[0,1]
	s_nop 0
	v_sub_f32_e32 v10, v10, v22
	v_pk_add_f32 v[8:9], v[8:9], v[22:23] neg_lo:[0,1] neg_hi:[0,1]
	v_sub_f32_e32 v10, v24, v10
	v_add_f32_e32 v8, v8, v10
	v_add_f32_e32 v8, v8, v9
	;; [unrolled: 1-line block ×3, first 2 shown]
	v_cndmask_b32_e32 v64, v8, v30, vcc
.LBB43_16:                              ;   in Loop: Header=BB43_12 Depth=1
	s_or_b64 exec, exec, s[6:7]
	v_lshlrev_b32_e32 v8, 16, v57
	v_add_f32_e32 v65, s33, v8
	v_cmp_ge_f32_e32 vcc, s83, v65
	s_and_b64 s[2:3], s[60:61], vcc
	s_and_saveexec_b64 s[6:7], s[2:3]
	s_cbranch_execz .LBB43_18
; %bb.17:                               ;   in Loop: Header=BB43_12 Depth=1
	v_mul_f32_e32 v8, 0x3fb8aa3b, v65
	v_rndne_f32_e32 v9, v8
	v_sub_f32_e32 v10, v8, v9
	v_fma_f32 v8, v65, s84, -v8
	v_fmac_f32_e32 v8, 0x32a5705f, v65
	v_add_f32_e32 v8, v10, v8
	v_cvt_i32_f32_e32 v9, v9
	v_exp_f32_e32 v8, v8
	v_cmp_ngt_f32_e32 vcc, s85, v65
	v_ldexp_f32 v8, v8, v9
	s_nop 0
	v_cndmask_b32_e32 v8, 0, v8, vcc
	v_cmp_nlt_f32_e32 vcc, s86, v65
	s_nop 1
	v_cndmask_b32_e32 v30, v51, v8, vcc
	v_add_f32_e32 v10, 1.0, v30
	v_add_f32_e32 v8, -1.0, v10
	v_sub_f32_e32 v9, v8, v10
	v_add_f32_e32 v9, 1.0, v9
	v_sub_f32_e32 v8, v30, v8
	v_add_f32_e32 v11, v8, v9
	v_frexp_mant_f32_e32 v12, v10
	v_cvt_f64_f32_e32 v[8:9], v10
	v_frexp_exp_i32_f64_e32 v8, v[8:9]
	v_cmp_gt_f32_e32 vcc, s88, v12
	v_cmp_gt_f32_e64 s[2:3], s90, v30
	s_nop 0
	v_subbrev_co_u32_e32 v22, vcc, 0, v8, vcc
	v_sub_u32_e32 v8, 0, v22
	v_ldexp_f32 v9, v10, v8
	v_add_f32_e32 v10, -1.0, v9
	v_add_f32_e32 v12, 1.0, v9
	v_ldexp_f32 v8, v11, v8
	v_add_f32_e32 v11, 1.0, v10
	v_add_f32_e32 v13, -1.0, v12
	v_sub_f32_e32 v11, v9, v11
	v_sub_f32_e32 v9, v9, v13
	v_add_f32_e32 v11, v8, v11
	v_add_f32_e32 v8, v8, v9
	;; [unrolled: 1-line block ×3, first 2 shown]
	v_rcp_f32_e32 v24, v21
	v_sub_f32_e32 v9, v12, v21
	v_add_f32_e32 v23, v8, v9
	v_add_f32_e32 v9, v10, v11
	v_mul_f32_e32 v26, v9, v24
	v_sub_f32_e32 v8, v10, v9
	v_mul_f32_e32 v10, v21, v26
	v_fma_f32 v12, v26, v21, -v10
	v_fmac_f32_e32 v12, v26, v23
	v_add_f32_e32 v25, v11, v8
	v_add_f32_e32 v8, v10, v12
	v_sub_f32_e32 v11, v9, v8
	v_pk_add_f32 v[14:15], v[8:9], v[10:11] neg_lo:[0,1] neg_hi:[0,1]
	v_mov_b32_e32 v13, v8
	v_pk_add_f32 v[8:9], v[14:15], v[12:13] neg_lo:[0,1] neg_hi:[0,1]
	v_cmp_eq_f32_e32 vcc, s87, v30
	v_add_f32_e32 v9, v25, v9
	v_add_f32_e32 v8, v8, v9
	;; [unrolled: 1-line block ×3, first 2 shown]
	v_mul_f32_e32 v25, v24, v9
	v_mul_f32_e32 v10, v21, v25
	v_fma_f32 v12, v25, v21, -v10
	v_fmac_f32_e32 v12, v25, v23
	v_sub_f32_e32 v11, v11, v9
	v_add_f32_e32 v21, v8, v11
	v_add_f32_e32 v8, v10, v12
	v_sub_f32_e32 v11, v9, v8
	v_pk_add_f32 v[14:15], v[8:9], v[10:11] neg_lo:[0,1] neg_hi:[0,1]
	v_mov_b32_e32 v13, v8
	v_pk_add_f32 v[8:9], v[14:15], v[12:13] neg_lo:[0,1] neg_hi:[0,1]
	s_or_b64 vcc, s[2:3], vcc
	v_add_f32_e32 v9, v21, v9
	v_add_f32_e32 v8, v8, v9
	;; [unrolled: 1-line block ×4, first 2 shown]
	v_sub_f32_e32 v10, v9, v26
	v_mul_f32_e32 v8, v24, v8
	v_sub_f32_e32 v10, v25, v10
	v_add_f32_e32 v10, v10, v8
	v_add_f32_e32 v12, v9, v10
	v_mul_f32_e32 v13, v12, v12
	v_fmamk_f32 v8, v13, 0x3e9b6dac, v50
	v_fmaak_f32 v21, v13, v8, 0x3f2aaada
	v_cvt_f32_i32_e32 v8, v22
	v_sub_f32_e32 v9, v12, v9
	v_sub_f32_e32 v9, v10, v9
	v_ldexp_f32 v14, v9, 1
	v_mul_f32_e32 v9, v12, v13
	v_ldexp_f32 v11, v12, 1
	v_pk_mul_f32 v[12:13], v[8:9], v[20:21]
	s_nop 0
	v_fma_f32 v10, v8, s89, -v12
	v_fmac_f32_e32 v10, 0xb102e308, v8
	v_pk_add_f32 v[8:9], v[12:13], v[10:11]
	s_nop 0
	v_sub_f32_e32 v11, v9, v11
	v_sub_f32_e32 v11, v13, v11
	v_add_f32_e32 v15, v14, v11
	v_mov_b32_e32 v14, v12
	v_pk_add_f32 v[12:13], v[8:9], v[12:13] neg_lo:[0,1] neg_hi:[0,1]
	v_pk_add_f32 v[22:23], v[8:9], v[14:15]
	v_mov_b32_e32 v11, v8
	v_mov_b32_e32 v13, v23
	v_pk_add_f32 v[24:25], v[10:11], v[12:13] neg_lo:[0,1] neg_hi:[0,1]
	v_pk_add_f32 v[10:11], v[10:11], v[12:13]
	v_mov_b32_e32 v14, v15
	v_mov_b32_e32 v12, v11
	v_pk_add_f32 v[26:27], v[12:13], v[8:9] neg_lo:[0,1] neg_hi:[0,1]
	v_mov_b32_e32 v10, v23
	v_mov_b32_e32 v13, v26
	v_pk_add_f32 v[28:29], v[22:23], v[12:13] neg_lo:[0,1] neg_hi:[0,1]
	v_mov_b32_e32 v22, v9
	v_mov_b32_e32 v23, v26
	;; [unrolled: 1-line block ×3, first 2 shown]
	v_pk_add_f32 v[10:11], v[10:11], v[22:23] neg_lo:[0,1] neg_hi:[0,1]
	v_mov_b32_e32 v15, v8
	v_pk_add_f32 v[8:9], v[14:15], v[10:11] neg_lo:[0,1] neg_hi:[0,1]
	v_mov_b32_e32 v28, v24
	v_pk_add_f32 v[10:11], v[28:29], v[8:9]
	s_nop 0
	v_mov_b32_e32 v14, v11
	v_pk_add_f32 v[14:15], v[10:11], v[14:15]
	s_nop 0
	v_pk_add_f32 v[12:13], v[12:13], v[14:15]
	v_mov_b32_e32 v9, v14
	v_mov_b32_e32 v11, v12
	v_pk_add_f32 v[22:23], v[10:11], v[24:25] neg_lo:[0,1] neg_hi:[0,1]
	s_nop 0
	v_sub_f32_e32 v10, v10, v22
	v_pk_add_f32 v[8:9], v[8:9], v[22:23] neg_lo:[0,1] neg_hi:[0,1]
	v_sub_f32_e32 v10, v24, v10
	v_add_f32_e32 v8, v8, v10
	v_add_f32_e32 v8, v8, v9
	;; [unrolled: 1-line block ×3, first 2 shown]
	v_cndmask_b32_e32 v65, v8, v30, vcc
.LBB43_18:                              ;   in Loop: Header=BB43_12 Depth=1
	s_or_b64 exec, exec, s[6:7]
	v_lshlrev_b32_e32 v8, 16, v5
	v_add_f32_e32 v66, s33, v8
	v_cmp_ge_f32_e32 vcc, s83, v66
	s_and_b64 s[2:3], s[60:61], vcc
	s_and_saveexec_b64 s[6:7], s[2:3]
	s_cbranch_execz .LBB43_20
; %bb.19:                               ;   in Loop: Header=BB43_12 Depth=1
	v_mul_f32_e32 v8, 0x3fb8aa3b, v66
	v_rndne_f32_e32 v9, v8
	v_sub_f32_e32 v10, v8, v9
	v_fma_f32 v8, v66, s84, -v8
	v_fmac_f32_e32 v8, 0x32a5705f, v66
	v_add_f32_e32 v8, v10, v8
	v_cvt_i32_f32_e32 v9, v9
	v_exp_f32_e32 v8, v8
	v_cmp_ngt_f32_e32 vcc, s85, v66
	v_ldexp_f32 v8, v8, v9
	s_nop 0
	v_cndmask_b32_e32 v8, 0, v8, vcc
	v_cmp_nlt_f32_e32 vcc, s86, v66
	s_nop 1
	v_cndmask_b32_e32 v30, v51, v8, vcc
	v_add_f32_e32 v10, 1.0, v30
	v_add_f32_e32 v8, -1.0, v10
	v_sub_f32_e32 v9, v8, v10
	v_add_f32_e32 v9, 1.0, v9
	v_sub_f32_e32 v8, v30, v8
	v_add_f32_e32 v11, v8, v9
	v_frexp_mant_f32_e32 v12, v10
	v_cvt_f64_f32_e32 v[8:9], v10
	v_frexp_exp_i32_f64_e32 v8, v[8:9]
	v_cmp_gt_f32_e32 vcc, s88, v12
	v_cmp_gt_f32_e64 s[2:3], s90, v30
	s_nop 0
	v_subbrev_co_u32_e32 v22, vcc, 0, v8, vcc
	v_sub_u32_e32 v8, 0, v22
	v_ldexp_f32 v9, v10, v8
	v_add_f32_e32 v10, -1.0, v9
	v_add_f32_e32 v12, 1.0, v9
	v_ldexp_f32 v8, v11, v8
	v_add_f32_e32 v11, 1.0, v10
	v_add_f32_e32 v13, -1.0, v12
	v_sub_f32_e32 v11, v9, v11
	v_sub_f32_e32 v9, v9, v13
	v_add_f32_e32 v11, v8, v11
	v_add_f32_e32 v8, v8, v9
	v_add_f32_e32 v21, v12, v8
	v_rcp_f32_e32 v24, v21
	v_sub_f32_e32 v9, v12, v21
	v_add_f32_e32 v23, v8, v9
	v_add_f32_e32 v9, v10, v11
	v_mul_f32_e32 v26, v9, v24
	v_sub_f32_e32 v8, v10, v9
	v_mul_f32_e32 v10, v21, v26
	v_fma_f32 v12, v26, v21, -v10
	v_fmac_f32_e32 v12, v26, v23
	v_add_f32_e32 v25, v11, v8
	v_add_f32_e32 v8, v10, v12
	v_sub_f32_e32 v11, v9, v8
	v_pk_add_f32 v[14:15], v[8:9], v[10:11] neg_lo:[0,1] neg_hi:[0,1]
	v_mov_b32_e32 v13, v8
	v_pk_add_f32 v[8:9], v[14:15], v[12:13] neg_lo:[0,1] neg_hi:[0,1]
	v_cmp_eq_f32_e32 vcc, s87, v30
	v_add_f32_e32 v9, v25, v9
	v_add_f32_e32 v8, v8, v9
	;; [unrolled: 1-line block ×3, first 2 shown]
	v_mul_f32_e32 v25, v24, v9
	v_mul_f32_e32 v10, v21, v25
	v_fma_f32 v12, v25, v21, -v10
	v_fmac_f32_e32 v12, v25, v23
	v_sub_f32_e32 v11, v11, v9
	v_add_f32_e32 v21, v8, v11
	v_add_f32_e32 v8, v10, v12
	v_sub_f32_e32 v11, v9, v8
	v_pk_add_f32 v[14:15], v[8:9], v[10:11] neg_lo:[0,1] neg_hi:[0,1]
	v_mov_b32_e32 v13, v8
	v_pk_add_f32 v[8:9], v[14:15], v[12:13] neg_lo:[0,1] neg_hi:[0,1]
	s_or_b64 vcc, s[2:3], vcc
	v_add_f32_e32 v9, v21, v9
	v_add_f32_e32 v8, v8, v9
	;; [unrolled: 1-line block ×4, first 2 shown]
	v_sub_f32_e32 v10, v9, v26
	v_mul_f32_e32 v8, v24, v8
	v_sub_f32_e32 v10, v25, v10
	v_add_f32_e32 v10, v10, v8
	v_add_f32_e32 v12, v9, v10
	v_mul_f32_e32 v13, v12, v12
	v_fmamk_f32 v8, v13, 0x3e9b6dac, v50
	v_fmaak_f32 v21, v13, v8, 0x3f2aaada
	v_cvt_f32_i32_e32 v8, v22
	v_sub_f32_e32 v9, v12, v9
	v_sub_f32_e32 v9, v10, v9
	v_ldexp_f32 v14, v9, 1
	v_mul_f32_e32 v9, v12, v13
	v_ldexp_f32 v11, v12, 1
	v_pk_mul_f32 v[12:13], v[8:9], v[20:21]
	s_nop 0
	v_fma_f32 v10, v8, s89, -v12
	v_fmac_f32_e32 v10, 0xb102e308, v8
	v_pk_add_f32 v[8:9], v[12:13], v[10:11]
	s_nop 0
	v_sub_f32_e32 v11, v9, v11
	v_sub_f32_e32 v11, v13, v11
	v_add_f32_e32 v15, v14, v11
	v_mov_b32_e32 v14, v12
	v_pk_add_f32 v[12:13], v[8:9], v[12:13] neg_lo:[0,1] neg_hi:[0,1]
	v_pk_add_f32 v[22:23], v[8:9], v[14:15]
	v_mov_b32_e32 v11, v8
	v_mov_b32_e32 v13, v23
	v_pk_add_f32 v[24:25], v[10:11], v[12:13] neg_lo:[0,1] neg_hi:[0,1]
	v_pk_add_f32 v[10:11], v[10:11], v[12:13]
	v_mov_b32_e32 v14, v15
	v_mov_b32_e32 v12, v11
	v_pk_add_f32 v[26:27], v[12:13], v[8:9] neg_lo:[0,1] neg_hi:[0,1]
	v_mov_b32_e32 v10, v23
	v_mov_b32_e32 v13, v26
	v_pk_add_f32 v[28:29], v[22:23], v[12:13] neg_lo:[0,1] neg_hi:[0,1]
	v_mov_b32_e32 v22, v9
	v_mov_b32_e32 v23, v26
	;; [unrolled: 1-line block ×3, first 2 shown]
	v_pk_add_f32 v[10:11], v[10:11], v[22:23] neg_lo:[0,1] neg_hi:[0,1]
	v_mov_b32_e32 v15, v8
	v_pk_add_f32 v[8:9], v[14:15], v[10:11] neg_lo:[0,1] neg_hi:[0,1]
	v_mov_b32_e32 v28, v24
	v_pk_add_f32 v[10:11], v[28:29], v[8:9]
	s_nop 0
	v_mov_b32_e32 v14, v11
	v_pk_add_f32 v[14:15], v[10:11], v[14:15]
	s_nop 0
	v_pk_add_f32 v[12:13], v[12:13], v[14:15]
	v_mov_b32_e32 v9, v14
	v_mov_b32_e32 v11, v12
	v_pk_add_f32 v[22:23], v[10:11], v[24:25] neg_lo:[0,1] neg_hi:[0,1]
	s_nop 0
	v_sub_f32_e32 v10, v10, v22
	v_pk_add_f32 v[8:9], v[8:9], v[22:23] neg_lo:[0,1] neg_hi:[0,1]
	v_sub_f32_e32 v10, v24, v10
	v_add_f32_e32 v8, v8, v10
	v_add_f32_e32 v8, v8, v9
	;; [unrolled: 1-line block ×3, first 2 shown]
	v_cndmask_b32_e32 v66, v8, v30, vcc
.LBB43_20:                              ;   in Loop: Header=BB43_12 Depth=1
	s_or_b64 exec, exec, s[6:7]
	v_lshlrev_b32_e32 v8, 16, v58
	v_add_f32_e32 v67, s33, v8
	v_cmp_ge_f32_e32 vcc, s83, v67
	s_and_b64 s[2:3], s[60:61], vcc
	s_and_saveexec_b64 s[6:7], s[2:3]
	s_cbranch_execz .LBB43_22
; %bb.21:                               ;   in Loop: Header=BB43_12 Depth=1
	v_mul_f32_e32 v8, 0x3fb8aa3b, v67
	v_rndne_f32_e32 v9, v8
	v_sub_f32_e32 v10, v8, v9
	v_fma_f32 v8, v67, s84, -v8
	v_fmac_f32_e32 v8, 0x32a5705f, v67
	v_add_f32_e32 v8, v10, v8
	v_cvt_i32_f32_e32 v9, v9
	v_exp_f32_e32 v8, v8
	v_cmp_ngt_f32_e32 vcc, s85, v67
	v_ldexp_f32 v8, v8, v9
	s_nop 0
	v_cndmask_b32_e32 v8, 0, v8, vcc
	v_cmp_nlt_f32_e32 vcc, s86, v67
	s_nop 1
	v_cndmask_b32_e32 v30, v51, v8, vcc
	v_add_f32_e32 v10, 1.0, v30
	v_add_f32_e32 v8, -1.0, v10
	v_sub_f32_e32 v9, v8, v10
	v_add_f32_e32 v9, 1.0, v9
	v_sub_f32_e32 v8, v30, v8
	v_add_f32_e32 v11, v8, v9
	v_frexp_mant_f32_e32 v12, v10
	v_cvt_f64_f32_e32 v[8:9], v10
	v_frexp_exp_i32_f64_e32 v8, v[8:9]
	v_cmp_gt_f32_e32 vcc, s88, v12
	v_cmp_gt_f32_e64 s[2:3], s90, v30
	s_nop 0
	v_subbrev_co_u32_e32 v22, vcc, 0, v8, vcc
	v_sub_u32_e32 v8, 0, v22
	v_ldexp_f32 v9, v10, v8
	v_add_f32_e32 v10, -1.0, v9
	v_add_f32_e32 v12, 1.0, v9
	v_ldexp_f32 v8, v11, v8
	v_add_f32_e32 v11, 1.0, v10
	v_add_f32_e32 v13, -1.0, v12
	v_sub_f32_e32 v11, v9, v11
	v_sub_f32_e32 v9, v9, v13
	v_add_f32_e32 v11, v8, v11
	v_add_f32_e32 v8, v8, v9
	;; [unrolled: 1-line block ×3, first 2 shown]
	v_rcp_f32_e32 v24, v21
	v_sub_f32_e32 v9, v12, v21
	v_add_f32_e32 v23, v8, v9
	v_add_f32_e32 v9, v10, v11
	v_mul_f32_e32 v26, v9, v24
	v_sub_f32_e32 v8, v10, v9
	v_mul_f32_e32 v10, v21, v26
	v_fma_f32 v12, v26, v21, -v10
	v_fmac_f32_e32 v12, v26, v23
	v_add_f32_e32 v25, v11, v8
	v_add_f32_e32 v8, v10, v12
	v_sub_f32_e32 v11, v9, v8
	v_pk_add_f32 v[14:15], v[8:9], v[10:11] neg_lo:[0,1] neg_hi:[0,1]
	v_mov_b32_e32 v13, v8
	v_pk_add_f32 v[8:9], v[14:15], v[12:13] neg_lo:[0,1] neg_hi:[0,1]
	v_cmp_eq_f32_e32 vcc, s87, v30
	v_add_f32_e32 v9, v25, v9
	v_add_f32_e32 v8, v8, v9
	;; [unrolled: 1-line block ×3, first 2 shown]
	v_mul_f32_e32 v25, v24, v9
	v_mul_f32_e32 v10, v21, v25
	v_fma_f32 v12, v25, v21, -v10
	v_fmac_f32_e32 v12, v25, v23
	v_sub_f32_e32 v11, v11, v9
	v_add_f32_e32 v21, v8, v11
	v_add_f32_e32 v8, v10, v12
	v_sub_f32_e32 v11, v9, v8
	v_pk_add_f32 v[14:15], v[8:9], v[10:11] neg_lo:[0,1] neg_hi:[0,1]
	v_mov_b32_e32 v13, v8
	v_pk_add_f32 v[8:9], v[14:15], v[12:13] neg_lo:[0,1] neg_hi:[0,1]
	s_or_b64 vcc, s[2:3], vcc
	v_add_f32_e32 v9, v21, v9
	v_add_f32_e32 v8, v8, v9
	;; [unrolled: 1-line block ×4, first 2 shown]
	v_sub_f32_e32 v10, v9, v26
	v_mul_f32_e32 v8, v24, v8
	v_sub_f32_e32 v10, v25, v10
	v_add_f32_e32 v10, v10, v8
	v_add_f32_e32 v12, v9, v10
	v_mul_f32_e32 v13, v12, v12
	v_fmamk_f32 v8, v13, 0x3e9b6dac, v50
	v_fmaak_f32 v21, v13, v8, 0x3f2aaada
	v_cvt_f32_i32_e32 v8, v22
	v_sub_f32_e32 v9, v12, v9
	v_sub_f32_e32 v9, v10, v9
	v_ldexp_f32 v14, v9, 1
	v_mul_f32_e32 v9, v12, v13
	v_ldexp_f32 v11, v12, 1
	v_pk_mul_f32 v[12:13], v[8:9], v[20:21]
	s_nop 0
	v_fma_f32 v10, v8, s89, -v12
	v_fmac_f32_e32 v10, 0xb102e308, v8
	v_pk_add_f32 v[8:9], v[12:13], v[10:11]
	s_nop 0
	v_sub_f32_e32 v11, v9, v11
	v_sub_f32_e32 v11, v13, v11
	v_add_f32_e32 v15, v14, v11
	v_mov_b32_e32 v14, v12
	v_pk_add_f32 v[12:13], v[8:9], v[12:13] neg_lo:[0,1] neg_hi:[0,1]
	v_pk_add_f32 v[22:23], v[8:9], v[14:15]
	v_mov_b32_e32 v11, v8
	v_mov_b32_e32 v13, v23
	v_pk_add_f32 v[24:25], v[10:11], v[12:13] neg_lo:[0,1] neg_hi:[0,1]
	v_pk_add_f32 v[10:11], v[10:11], v[12:13]
	v_mov_b32_e32 v14, v15
	v_mov_b32_e32 v12, v11
	v_pk_add_f32 v[26:27], v[12:13], v[8:9] neg_lo:[0,1] neg_hi:[0,1]
	v_mov_b32_e32 v10, v23
	v_mov_b32_e32 v13, v26
	v_pk_add_f32 v[28:29], v[22:23], v[12:13] neg_lo:[0,1] neg_hi:[0,1]
	v_mov_b32_e32 v22, v9
	v_mov_b32_e32 v23, v26
	;; [unrolled: 1-line block ×3, first 2 shown]
	v_pk_add_f32 v[10:11], v[10:11], v[22:23] neg_lo:[0,1] neg_hi:[0,1]
	v_mov_b32_e32 v15, v8
	v_pk_add_f32 v[8:9], v[14:15], v[10:11] neg_lo:[0,1] neg_hi:[0,1]
	v_mov_b32_e32 v28, v24
	v_pk_add_f32 v[10:11], v[28:29], v[8:9]
	s_nop 0
	v_mov_b32_e32 v14, v11
	v_pk_add_f32 v[14:15], v[10:11], v[14:15]
	s_nop 0
	v_pk_add_f32 v[12:13], v[12:13], v[14:15]
	v_mov_b32_e32 v9, v14
	v_mov_b32_e32 v11, v12
	v_pk_add_f32 v[22:23], v[10:11], v[24:25] neg_lo:[0,1] neg_hi:[0,1]
	s_nop 0
	v_sub_f32_e32 v10, v10, v22
	v_pk_add_f32 v[8:9], v[8:9], v[22:23] neg_lo:[0,1] neg_hi:[0,1]
	v_sub_f32_e32 v10, v24, v10
	v_add_f32_e32 v8, v8, v10
	v_add_f32_e32 v8, v8, v9
	;; [unrolled: 1-line block ×3, first 2 shown]
	v_cndmask_b32_e32 v67, v8, v30, vcc
.LBB43_22:                              ;   in Loop: Header=BB43_12 Depth=1
	s_or_b64 exec, exec, s[6:7]
	v_lshlrev_b32_e32 v8, 16, v6
	v_add_f32_e32 v68, s33, v8
	v_cmp_ge_f32_e32 vcc, s83, v68
	s_and_b64 s[2:3], s[60:61], vcc
	s_and_saveexec_b64 s[6:7], s[2:3]
	s_cbranch_execz .LBB43_24
; %bb.23:                               ;   in Loop: Header=BB43_12 Depth=1
	v_mul_f32_e32 v8, 0x3fb8aa3b, v68
	v_rndne_f32_e32 v9, v8
	v_sub_f32_e32 v10, v8, v9
	v_fma_f32 v8, v68, s84, -v8
	v_fmac_f32_e32 v8, 0x32a5705f, v68
	v_add_f32_e32 v8, v10, v8
	v_cvt_i32_f32_e32 v9, v9
	v_exp_f32_e32 v8, v8
	v_cmp_ngt_f32_e32 vcc, s85, v68
	v_ldexp_f32 v8, v8, v9
	s_nop 0
	v_cndmask_b32_e32 v8, 0, v8, vcc
	v_cmp_nlt_f32_e32 vcc, s86, v68
	s_nop 1
	v_cndmask_b32_e32 v30, v51, v8, vcc
	v_add_f32_e32 v10, 1.0, v30
	v_add_f32_e32 v8, -1.0, v10
	v_sub_f32_e32 v9, v8, v10
	v_add_f32_e32 v9, 1.0, v9
	v_sub_f32_e32 v8, v30, v8
	v_add_f32_e32 v11, v8, v9
	v_frexp_mant_f32_e32 v12, v10
	v_cvt_f64_f32_e32 v[8:9], v10
	v_frexp_exp_i32_f64_e32 v8, v[8:9]
	v_cmp_gt_f32_e32 vcc, s88, v12
	v_cmp_gt_f32_e64 s[2:3], s90, v30
	s_nop 0
	v_subbrev_co_u32_e32 v22, vcc, 0, v8, vcc
	v_sub_u32_e32 v8, 0, v22
	v_ldexp_f32 v9, v10, v8
	v_add_f32_e32 v10, -1.0, v9
	v_add_f32_e32 v12, 1.0, v9
	v_ldexp_f32 v8, v11, v8
	v_add_f32_e32 v11, 1.0, v10
	v_add_f32_e32 v13, -1.0, v12
	v_sub_f32_e32 v11, v9, v11
	v_sub_f32_e32 v9, v9, v13
	v_add_f32_e32 v11, v8, v11
	v_add_f32_e32 v8, v8, v9
	;; [unrolled: 1-line block ×3, first 2 shown]
	v_rcp_f32_e32 v24, v21
	v_sub_f32_e32 v9, v12, v21
	v_add_f32_e32 v23, v8, v9
	v_add_f32_e32 v9, v10, v11
	v_mul_f32_e32 v26, v9, v24
	v_sub_f32_e32 v8, v10, v9
	v_mul_f32_e32 v10, v21, v26
	v_fma_f32 v12, v26, v21, -v10
	v_fmac_f32_e32 v12, v26, v23
	v_add_f32_e32 v25, v11, v8
	v_add_f32_e32 v8, v10, v12
	v_sub_f32_e32 v11, v9, v8
	v_pk_add_f32 v[14:15], v[8:9], v[10:11] neg_lo:[0,1] neg_hi:[0,1]
	v_mov_b32_e32 v13, v8
	v_pk_add_f32 v[8:9], v[14:15], v[12:13] neg_lo:[0,1] neg_hi:[0,1]
	v_cmp_eq_f32_e32 vcc, s87, v30
	v_add_f32_e32 v9, v25, v9
	v_add_f32_e32 v8, v8, v9
	;; [unrolled: 1-line block ×3, first 2 shown]
	v_mul_f32_e32 v25, v24, v9
	v_mul_f32_e32 v10, v21, v25
	v_fma_f32 v12, v25, v21, -v10
	v_fmac_f32_e32 v12, v25, v23
	v_sub_f32_e32 v11, v11, v9
	v_add_f32_e32 v21, v8, v11
	v_add_f32_e32 v8, v10, v12
	v_sub_f32_e32 v11, v9, v8
	v_pk_add_f32 v[14:15], v[8:9], v[10:11] neg_lo:[0,1] neg_hi:[0,1]
	v_mov_b32_e32 v13, v8
	v_pk_add_f32 v[8:9], v[14:15], v[12:13] neg_lo:[0,1] neg_hi:[0,1]
	s_or_b64 vcc, s[2:3], vcc
	v_add_f32_e32 v9, v21, v9
	v_add_f32_e32 v8, v8, v9
	;; [unrolled: 1-line block ×4, first 2 shown]
	v_sub_f32_e32 v10, v9, v26
	v_mul_f32_e32 v8, v24, v8
	v_sub_f32_e32 v10, v25, v10
	v_add_f32_e32 v10, v10, v8
	v_add_f32_e32 v12, v9, v10
	v_mul_f32_e32 v13, v12, v12
	v_fmamk_f32 v8, v13, 0x3e9b6dac, v50
	v_fmaak_f32 v21, v13, v8, 0x3f2aaada
	v_cvt_f32_i32_e32 v8, v22
	v_sub_f32_e32 v9, v12, v9
	v_sub_f32_e32 v9, v10, v9
	v_ldexp_f32 v14, v9, 1
	v_mul_f32_e32 v9, v12, v13
	v_ldexp_f32 v11, v12, 1
	v_pk_mul_f32 v[12:13], v[8:9], v[20:21]
	s_nop 0
	v_fma_f32 v10, v8, s89, -v12
	v_fmac_f32_e32 v10, 0xb102e308, v8
	v_pk_add_f32 v[8:9], v[12:13], v[10:11]
	s_nop 0
	v_sub_f32_e32 v11, v9, v11
	v_sub_f32_e32 v11, v13, v11
	v_add_f32_e32 v15, v14, v11
	v_mov_b32_e32 v14, v12
	v_pk_add_f32 v[12:13], v[8:9], v[12:13] neg_lo:[0,1] neg_hi:[0,1]
	v_pk_add_f32 v[22:23], v[8:9], v[14:15]
	v_mov_b32_e32 v11, v8
	v_mov_b32_e32 v13, v23
	v_pk_add_f32 v[24:25], v[10:11], v[12:13] neg_lo:[0,1] neg_hi:[0,1]
	v_pk_add_f32 v[10:11], v[10:11], v[12:13]
	v_mov_b32_e32 v14, v15
	v_mov_b32_e32 v12, v11
	v_pk_add_f32 v[26:27], v[12:13], v[8:9] neg_lo:[0,1] neg_hi:[0,1]
	v_mov_b32_e32 v10, v23
	v_mov_b32_e32 v13, v26
	v_pk_add_f32 v[28:29], v[22:23], v[12:13] neg_lo:[0,1] neg_hi:[0,1]
	v_mov_b32_e32 v22, v9
	v_mov_b32_e32 v23, v26
	;; [unrolled: 1-line block ×3, first 2 shown]
	v_pk_add_f32 v[10:11], v[10:11], v[22:23] neg_lo:[0,1] neg_hi:[0,1]
	v_mov_b32_e32 v15, v8
	v_pk_add_f32 v[8:9], v[14:15], v[10:11] neg_lo:[0,1] neg_hi:[0,1]
	v_mov_b32_e32 v28, v24
	v_pk_add_f32 v[10:11], v[28:29], v[8:9]
	s_nop 0
	v_mov_b32_e32 v14, v11
	v_pk_add_f32 v[14:15], v[10:11], v[14:15]
	s_nop 0
	v_pk_add_f32 v[12:13], v[12:13], v[14:15]
	v_mov_b32_e32 v9, v14
	v_mov_b32_e32 v11, v12
	v_pk_add_f32 v[22:23], v[10:11], v[24:25] neg_lo:[0,1] neg_hi:[0,1]
	s_nop 0
	v_sub_f32_e32 v10, v10, v22
	v_pk_add_f32 v[8:9], v[8:9], v[22:23] neg_lo:[0,1] neg_hi:[0,1]
	v_sub_f32_e32 v10, v24, v10
	v_add_f32_e32 v8, v8, v10
	v_add_f32_e32 v8, v8, v9
	;; [unrolled: 1-line block ×3, first 2 shown]
	v_cndmask_b32_e32 v68, v8, v30, vcc
.LBB43_24:                              ;   in Loop: Header=BB43_12 Depth=1
	s_or_b64 exec, exec, s[6:7]
	v_lshlrev_b32_e32 v8, 16, v60
	v_add_f32_e32 v69, s33, v8
	v_cmp_ge_f32_e32 vcc, s83, v69
	s_and_b64 s[2:3], s[60:61], vcc
	s_and_saveexec_b64 s[6:7], s[2:3]
	s_cbranch_execz .LBB43_26
; %bb.25:                               ;   in Loop: Header=BB43_12 Depth=1
	v_mul_f32_e32 v8, 0x3fb8aa3b, v69
	v_rndne_f32_e32 v9, v8
	v_sub_f32_e32 v10, v8, v9
	v_fma_f32 v8, v69, s84, -v8
	v_fmac_f32_e32 v8, 0x32a5705f, v69
	v_add_f32_e32 v8, v10, v8
	v_cvt_i32_f32_e32 v9, v9
	v_exp_f32_e32 v8, v8
	v_cmp_ngt_f32_e32 vcc, s85, v69
	v_ldexp_f32 v8, v8, v9
	s_nop 0
	v_cndmask_b32_e32 v8, 0, v8, vcc
	v_cmp_nlt_f32_e32 vcc, s86, v69
	s_nop 1
	v_cndmask_b32_e32 v30, v51, v8, vcc
	v_add_f32_e32 v10, 1.0, v30
	v_add_f32_e32 v8, -1.0, v10
	v_sub_f32_e32 v9, v8, v10
	v_add_f32_e32 v9, 1.0, v9
	v_sub_f32_e32 v8, v30, v8
	v_add_f32_e32 v11, v8, v9
	v_frexp_mant_f32_e32 v12, v10
	v_cvt_f64_f32_e32 v[8:9], v10
	v_frexp_exp_i32_f64_e32 v8, v[8:9]
	v_cmp_gt_f32_e32 vcc, s88, v12
	v_cmp_gt_f32_e64 s[2:3], s90, v30
	s_nop 0
	v_subbrev_co_u32_e32 v22, vcc, 0, v8, vcc
	v_sub_u32_e32 v8, 0, v22
	v_ldexp_f32 v9, v10, v8
	v_add_f32_e32 v10, -1.0, v9
	v_add_f32_e32 v12, 1.0, v9
	v_ldexp_f32 v8, v11, v8
	v_add_f32_e32 v11, 1.0, v10
	v_add_f32_e32 v13, -1.0, v12
	v_sub_f32_e32 v11, v9, v11
	v_sub_f32_e32 v9, v9, v13
	v_add_f32_e32 v11, v8, v11
	v_add_f32_e32 v8, v8, v9
	;; [unrolled: 1-line block ×3, first 2 shown]
	v_rcp_f32_e32 v24, v21
	v_sub_f32_e32 v9, v12, v21
	v_add_f32_e32 v23, v8, v9
	v_add_f32_e32 v9, v10, v11
	v_mul_f32_e32 v26, v9, v24
	v_sub_f32_e32 v8, v10, v9
	v_mul_f32_e32 v10, v21, v26
	v_fma_f32 v12, v26, v21, -v10
	v_fmac_f32_e32 v12, v26, v23
	v_add_f32_e32 v25, v11, v8
	v_add_f32_e32 v8, v10, v12
	v_sub_f32_e32 v11, v9, v8
	v_pk_add_f32 v[14:15], v[8:9], v[10:11] neg_lo:[0,1] neg_hi:[0,1]
	v_mov_b32_e32 v13, v8
	v_pk_add_f32 v[8:9], v[14:15], v[12:13] neg_lo:[0,1] neg_hi:[0,1]
	v_cmp_eq_f32_e32 vcc, s87, v30
	v_add_f32_e32 v9, v25, v9
	v_add_f32_e32 v8, v8, v9
	;; [unrolled: 1-line block ×3, first 2 shown]
	v_mul_f32_e32 v25, v24, v9
	v_mul_f32_e32 v10, v21, v25
	v_fma_f32 v12, v25, v21, -v10
	v_fmac_f32_e32 v12, v25, v23
	v_sub_f32_e32 v11, v11, v9
	v_add_f32_e32 v21, v8, v11
	v_add_f32_e32 v8, v10, v12
	v_sub_f32_e32 v11, v9, v8
	v_pk_add_f32 v[14:15], v[8:9], v[10:11] neg_lo:[0,1] neg_hi:[0,1]
	v_mov_b32_e32 v13, v8
	v_pk_add_f32 v[8:9], v[14:15], v[12:13] neg_lo:[0,1] neg_hi:[0,1]
	s_or_b64 vcc, s[2:3], vcc
	v_add_f32_e32 v9, v21, v9
	v_add_f32_e32 v8, v8, v9
	;; [unrolled: 1-line block ×4, first 2 shown]
	v_sub_f32_e32 v10, v9, v26
	v_mul_f32_e32 v8, v24, v8
	v_sub_f32_e32 v10, v25, v10
	v_add_f32_e32 v10, v10, v8
	v_add_f32_e32 v12, v9, v10
	v_mul_f32_e32 v13, v12, v12
	v_fmamk_f32 v8, v13, 0x3e9b6dac, v50
	v_fmaak_f32 v21, v13, v8, 0x3f2aaada
	v_cvt_f32_i32_e32 v8, v22
	v_sub_f32_e32 v9, v12, v9
	v_sub_f32_e32 v9, v10, v9
	v_ldexp_f32 v14, v9, 1
	v_mul_f32_e32 v9, v12, v13
	v_ldexp_f32 v11, v12, 1
	v_pk_mul_f32 v[12:13], v[8:9], v[20:21]
	s_nop 0
	v_fma_f32 v10, v8, s89, -v12
	v_fmac_f32_e32 v10, 0xb102e308, v8
	v_pk_add_f32 v[8:9], v[12:13], v[10:11]
	s_nop 0
	v_sub_f32_e32 v11, v9, v11
	v_sub_f32_e32 v11, v13, v11
	v_add_f32_e32 v15, v14, v11
	v_mov_b32_e32 v14, v12
	v_pk_add_f32 v[12:13], v[8:9], v[12:13] neg_lo:[0,1] neg_hi:[0,1]
	v_pk_add_f32 v[22:23], v[8:9], v[14:15]
	v_mov_b32_e32 v11, v8
	v_mov_b32_e32 v13, v23
	v_pk_add_f32 v[24:25], v[10:11], v[12:13] neg_lo:[0,1] neg_hi:[0,1]
	v_pk_add_f32 v[10:11], v[10:11], v[12:13]
	v_mov_b32_e32 v14, v15
	v_mov_b32_e32 v12, v11
	v_pk_add_f32 v[26:27], v[12:13], v[8:9] neg_lo:[0,1] neg_hi:[0,1]
	v_mov_b32_e32 v10, v23
	v_mov_b32_e32 v13, v26
	v_pk_add_f32 v[28:29], v[22:23], v[12:13] neg_lo:[0,1] neg_hi:[0,1]
	v_mov_b32_e32 v22, v9
	v_mov_b32_e32 v23, v26
	;; [unrolled: 1-line block ×3, first 2 shown]
	v_pk_add_f32 v[10:11], v[10:11], v[22:23] neg_lo:[0,1] neg_hi:[0,1]
	v_mov_b32_e32 v15, v8
	v_pk_add_f32 v[8:9], v[14:15], v[10:11] neg_lo:[0,1] neg_hi:[0,1]
	v_mov_b32_e32 v28, v24
	v_pk_add_f32 v[10:11], v[28:29], v[8:9]
	s_nop 0
	v_mov_b32_e32 v14, v11
	v_pk_add_f32 v[14:15], v[10:11], v[14:15]
	s_nop 0
	v_pk_add_f32 v[12:13], v[12:13], v[14:15]
	v_mov_b32_e32 v9, v14
	v_mov_b32_e32 v11, v12
	v_pk_add_f32 v[22:23], v[10:11], v[24:25] neg_lo:[0,1] neg_hi:[0,1]
	s_nop 0
	v_sub_f32_e32 v10, v10, v22
	v_pk_add_f32 v[8:9], v[8:9], v[22:23] neg_lo:[0,1] neg_hi:[0,1]
	v_sub_f32_e32 v10, v24, v10
	v_add_f32_e32 v8, v8, v10
	v_add_f32_e32 v8, v8, v9
	;; [unrolled: 1-line block ×3, first 2 shown]
	v_cndmask_b32_e32 v69, v8, v30, vcc
.LBB43_26:                              ;   in Loop: Header=BB43_12 Depth=1
	s_or_b64 exec, exec, s[6:7]
	v_lshlrev_b32_e32 v8, 16, v7
	v_add_f32_e32 v70, s33, v8
	v_cmp_ge_f32_e32 vcc, s83, v70
	s_and_b64 s[2:3], s[60:61], vcc
	s_and_saveexec_b64 s[6:7], s[2:3]
	s_cbranch_execz .LBB43_28
; %bb.27:                               ;   in Loop: Header=BB43_12 Depth=1
	v_mul_f32_e32 v8, 0x3fb8aa3b, v70
	v_rndne_f32_e32 v9, v8
	v_sub_f32_e32 v10, v8, v9
	v_fma_f32 v8, v70, s84, -v8
	v_fmac_f32_e32 v8, 0x32a5705f, v70
	v_add_f32_e32 v8, v10, v8
	v_cvt_i32_f32_e32 v9, v9
	v_exp_f32_e32 v8, v8
	v_cmp_ngt_f32_e32 vcc, s85, v70
	v_ldexp_f32 v8, v8, v9
	s_nop 0
	v_cndmask_b32_e32 v8, 0, v8, vcc
	v_cmp_nlt_f32_e32 vcc, s86, v70
	s_nop 1
	v_cndmask_b32_e32 v30, v51, v8, vcc
	v_add_f32_e32 v10, 1.0, v30
	v_add_f32_e32 v8, -1.0, v10
	v_sub_f32_e32 v9, v8, v10
	v_add_f32_e32 v9, 1.0, v9
	v_sub_f32_e32 v8, v30, v8
	v_add_f32_e32 v11, v8, v9
	v_frexp_mant_f32_e32 v12, v10
	v_cvt_f64_f32_e32 v[8:9], v10
	v_frexp_exp_i32_f64_e32 v8, v[8:9]
	v_cmp_gt_f32_e32 vcc, s88, v12
	v_cmp_gt_f32_e64 s[2:3], s90, v30
	s_nop 0
	v_subbrev_co_u32_e32 v22, vcc, 0, v8, vcc
	v_sub_u32_e32 v8, 0, v22
	v_ldexp_f32 v9, v10, v8
	v_add_f32_e32 v10, -1.0, v9
	v_add_f32_e32 v12, 1.0, v9
	v_ldexp_f32 v8, v11, v8
	v_add_f32_e32 v11, 1.0, v10
	v_add_f32_e32 v13, -1.0, v12
	v_sub_f32_e32 v11, v9, v11
	v_sub_f32_e32 v9, v9, v13
	v_add_f32_e32 v11, v8, v11
	v_add_f32_e32 v8, v8, v9
	;; [unrolled: 1-line block ×3, first 2 shown]
	v_rcp_f32_e32 v24, v21
	v_sub_f32_e32 v9, v12, v21
	v_add_f32_e32 v23, v8, v9
	v_add_f32_e32 v9, v10, v11
	v_mul_f32_e32 v26, v9, v24
	v_sub_f32_e32 v8, v10, v9
	v_mul_f32_e32 v10, v21, v26
	v_fma_f32 v12, v26, v21, -v10
	v_fmac_f32_e32 v12, v26, v23
	v_add_f32_e32 v25, v11, v8
	v_add_f32_e32 v8, v10, v12
	v_sub_f32_e32 v11, v9, v8
	v_pk_add_f32 v[14:15], v[8:9], v[10:11] neg_lo:[0,1] neg_hi:[0,1]
	v_mov_b32_e32 v13, v8
	v_pk_add_f32 v[8:9], v[14:15], v[12:13] neg_lo:[0,1] neg_hi:[0,1]
	v_cmp_eq_f32_e32 vcc, s87, v30
	v_add_f32_e32 v9, v25, v9
	v_add_f32_e32 v8, v8, v9
	;; [unrolled: 1-line block ×3, first 2 shown]
	v_mul_f32_e32 v25, v24, v9
	v_mul_f32_e32 v10, v21, v25
	v_fma_f32 v12, v25, v21, -v10
	v_fmac_f32_e32 v12, v25, v23
	v_sub_f32_e32 v11, v11, v9
	v_add_f32_e32 v21, v8, v11
	v_add_f32_e32 v8, v10, v12
	v_sub_f32_e32 v11, v9, v8
	v_pk_add_f32 v[14:15], v[8:9], v[10:11] neg_lo:[0,1] neg_hi:[0,1]
	v_mov_b32_e32 v13, v8
	v_pk_add_f32 v[8:9], v[14:15], v[12:13] neg_lo:[0,1] neg_hi:[0,1]
	s_or_b64 vcc, s[2:3], vcc
	v_add_f32_e32 v9, v21, v9
	v_add_f32_e32 v8, v8, v9
	;; [unrolled: 1-line block ×4, first 2 shown]
	v_sub_f32_e32 v10, v9, v26
	v_mul_f32_e32 v8, v24, v8
	v_sub_f32_e32 v10, v25, v10
	v_add_f32_e32 v10, v10, v8
	v_add_f32_e32 v12, v9, v10
	v_mul_f32_e32 v13, v12, v12
	v_fmamk_f32 v8, v13, 0x3e9b6dac, v50
	v_fmaak_f32 v21, v13, v8, 0x3f2aaada
	v_cvt_f32_i32_e32 v8, v22
	v_sub_f32_e32 v9, v12, v9
	v_sub_f32_e32 v9, v10, v9
	v_ldexp_f32 v14, v9, 1
	v_mul_f32_e32 v9, v12, v13
	v_ldexp_f32 v11, v12, 1
	v_pk_mul_f32 v[12:13], v[8:9], v[20:21]
	s_nop 0
	v_fma_f32 v10, v8, s89, -v12
	v_fmac_f32_e32 v10, 0xb102e308, v8
	v_pk_add_f32 v[8:9], v[12:13], v[10:11]
	s_nop 0
	v_sub_f32_e32 v11, v9, v11
	v_sub_f32_e32 v11, v13, v11
	v_add_f32_e32 v15, v14, v11
	v_mov_b32_e32 v14, v12
	v_pk_add_f32 v[12:13], v[8:9], v[12:13] neg_lo:[0,1] neg_hi:[0,1]
	v_pk_add_f32 v[22:23], v[8:9], v[14:15]
	v_mov_b32_e32 v11, v8
	v_mov_b32_e32 v13, v23
	v_pk_add_f32 v[24:25], v[10:11], v[12:13] neg_lo:[0,1] neg_hi:[0,1]
	v_pk_add_f32 v[10:11], v[10:11], v[12:13]
	v_mov_b32_e32 v14, v15
	v_mov_b32_e32 v12, v11
	v_pk_add_f32 v[26:27], v[12:13], v[8:9] neg_lo:[0,1] neg_hi:[0,1]
	v_mov_b32_e32 v10, v23
	v_mov_b32_e32 v13, v26
	v_pk_add_f32 v[28:29], v[22:23], v[12:13] neg_lo:[0,1] neg_hi:[0,1]
	v_mov_b32_e32 v22, v9
	v_mov_b32_e32 v23, v26
	;; [unrolled: 1-line block ×3, first 2 shown]
	v_pk_add_f32 v[10:11], v[10:11], v[22:23] neg_lo:[0,1] neg_hi:[0,1]
	v_mov_b32_e32 v15, v8
	v_pk_add_f32 v[8:9], v[14:15], v[10:11] neg_lo:[0,1] neg_hi:[0,1]
	v_mov_b32_e32 v28, v24
	v_pk_add_f32 v[10:11], v[28:29], v[8:9]
	s_nop 0
	v_mov_b32_e32 v14, v11
	v_pk_add_f32 v[14:15], v[10:11], v[14:15]
	s_nop 0
	v_pk_add_f32 v[12:13], v[12:13], v[14:15]
	v_mov_b32_e32 v9, v14
	v_mov_b32_e32 v11, v12
	v_pk_add_f32 v[22:23], v[10:11], v[24:25] neg_lo:[0,1] neg_hi:[0,1]
	s_nop 0
	v_sub_f32_e32 v10, v10, v22
	v_pk_add_f32 v[8:9], v[8:9], v[22:23] neg_lo:[0,1] neg_hi:[0,1]
	v_sub_f32_e32 v10, v24, v10
	v_add_f32_e32 v8, v8, v10
	v_add_f32_e32 v8, v8, v9
	;; [unrolled: 1-line block ×3, first 2 shown]
	v_cndmask_b32_e32 v70, v8, v30, vcc
.LBB43_28:                              ;   in Loop: Header=BB43_12 Depth=1
	s_or_b64 exec, exec, s[6:7]
	v_lshlrev_b32_e32 v8, 16, v61
	v_add_f32_e32 v21, s33, v8
	v_cmp_ge_f32_e32 vcc, s83, v21
	s_and_b64 s[2:3], s[60:61], vcc
	s_and_saveexec_b64 s[6:7], s[2:3]
	s_cbranch_execz .LBB43_30
; %bb.29:                               ;   in Loop: Header=BB43_12 Depth=1
	v_mul_f32_e32 v8, 0x3fb8aa3b, v21
	v_rndne_f32_e32 v9, v8
	v_sub_f32_e32 v10, v8, v9
	v_fma_f32 v8, v21, s84, -v8
	v_fmac_f32_e32 v8, 0x32a5705f, v21
	v_add_f32_e32 v8, v10, v8
	v_cvt_i32_f32_e32 v9, v9
	v_exp_f32_e32 v8, v8
	v_cmp_ngt_f32_e32 vcc, s85, v21
	v_ldexp_f32 v8, v8, v9
	s_nop 0
	v_cndmask_b32_e32 v8, 0, v8, vcc
	v_cmp_nlt_f32_e32 vcc, s86, v21
	s_nop 1
	v_cndmask_b32_e32 v30, v51, v8, vcc
	v_add_f32_e32 v10, 1.0, v30
	v_add_f32_e32 v8, -1.0, v10
	v_sub_f32_e32 v9, v8, v10
	v_add_f32_e32 v9, 1.0, v9
	v_sub_f32_e32 v8, v30, v8
	v_add_f32_e32 v11, v8, v9
	v_frexp_mant_f32_e32 v12, v10
	v_cvt_f64_f32_e32 v[8:9], v10
	v_frexp_exp_i32_f64_e32 v8, v[8:9]
	v_cmp_gt_f32_e32 vcc, s88, v12
	v_cmp_gt_f32_e64 s[2:3], s90, v30
	s_nop 0
	v_subbrev_co_u32_e32 v22, vcc, 0, v8, vcc
	v_sub_u32_e32 v8, 0, v22
	v_ldexp_f32 v9, v10, v8
	v_add_f32_e32 v10, -1.0, v9
	v_add_f32_e32 v12, 1.0, v9
	v_ldexp_f32 v8, v11, v8
	v_add_f32_e32 v11, 1.0, v10
	v_add_f32_e32 v13, -1.0, v12
	v_sub_f32_e32 v11, v9, v11
	v_sub_f32_e32 v9, v9, v13
	v_add_f32_e32 v11, v8, v11
	v_add_f32_e32 v8, v8, v9
	;; [unrolled: 1-line block ×3, first 2 shown]
	v_rcp_f32_e32 v24, v21
	v_sub_f32_e32 v9, v12, v21
	v_add_f32_e32 v23, v8, v9
	v_add_f32_e32 v9, v10, v11
	v_mul_f32_e32 v26, v9, v24
	v_sub_f32_e32 v8, v10, v9
	v_mul_f32_e32 v10, v21, v26
	v_fma_f32 v12, v26, v21, -v10
	v_fmac_f32_e32 v12, v26, v23
	v_add_f32_e32 v25, v11, v8
	v_add_f32_e32 v8, v10, v12
	v_sub_f32_e32 v11, v9, v8
	v_pk_add_f32 v[14:15], v[8:9], v[10:11] neg_lo:[0,1] neg_hi:[0,1]
	v_mov_b32_e32 v13, v8
	v_pk_add_f32 v[8:9], v[14:15], v[12:13] neg_lo:[0,1] neg_hi:[0,1]
	v_cmp_eq_f32_e32 vcc, s87, v30
	v_add_f32_e32 v9, v25, v9
	v_add_f32_e32 v8, v8, v9
	;; [unrolled: 1-line block ×3, first 2 shown]
	v_mul_f32_e32 v25, v24, v9
	v_mul_f32_e32 v10, v21, v25
	v_fma_f32 v12, v25, v21, -v10
	v_fmac_f32_e32 v12, v25, v23
	v_sub_f32_e32 v11, v11, v9
	v_add_f32_e32 v21, v8, v11
	v_add_f32_e32 v8, v10, v12
	v_sub_f32_e32 v11, v9, v8
	v_pk_add_f32 v[14:15], v[8:9], v[10:11] neg_lo:[0,1] neg_hi:[0,1]
	v_mov_b32_e32 v13, v8
	v_pk_add_f32 v[8:9], v[14:15], v[12:13] neg_lo:[0,1] neg_hi:[0,1]
	s_or_b64 vcc, s[2:3], vcc
	v_add_f32_e32 v9, v21, v9
	v_add_f32_e32 v8, v8, v9
	;; [unrolled: 1-line block ×4, first 2 shown]
	v_sub_f32_e32 v10, v9, v26
	v_mul_f32_e32 v8, v24, v8
	v_sub_f32_e32 v10, v25, v10
	v_add_f32_e32 v10, v10, v8
	v_add_f32_e32 v12, v9, v10
	v_mul_f32_e32 v13, v12, v12
	v_fmamk_f32 v8, v13, 0x3e9b6dac, v50
	v_fmaak_f32 v21, v13, v8, 0x3f2aaada
	v_cvt_f32_i32_e32 v8, v22
	v_sub_f32_e32 v9, v12, v9
	v_sub_f32_e32 v9, v10, v9
	v_ldexp_f32 v14, v9, 1
	v_mul_f32_e32 v9, v12, v13
	v_ldexp_f32 v11, v12, 1
	v_pk_mul_f32 v[12:13], v[8:9], v[20:21]
	s_nop 0
	v_fma_f32 v10, v8, s89, -v12
	v_fmac_f32_e32 v10, 0xb102e308, v8
	v_pk_add_f32 v[8:9], v[12:13], v[10:11]
	s_nop 0
	v_sub_f32_e32 v11, v9, v11
	v_sub_f32_e32 v11, v13, v11
	v_add_f32_e32 v15, v14, v11
	v_mov_b32_e32 v14, v12
	v_pk_add_f32 v[12:13], v[8:9], v[12:13] neg_lo:[0,1] neg_hi:[0,1]
	v_pk_add_f32 v[22:23], v[8:9], v[14:15]
	v_mov_b32_e32 v11, v8
	v_mov_b32_e32 v13, v23
	v_pk_add_f32 v[24:25], v[10:11], v[12:13] neg_lo:[0,1] neg_hi:[0,1]
	v_pk_add_f32 v[10:11], v[10:11], v[12:13]
	v_mov_b32_e32 v14, v15
	v_mov_b32_e32 v12, v11
	v_pk_add_f32 v[26:27], v[12:13], v[8:9] neg_lo:[0,1] neg_hi:[0,1]
	v_mov_b32_e32 v10, v23
	v_mov_b32_e32 v13, v26
	v_pk_add_f32 v[28:29], v[22:23], v[12:13] neg_lo:[0,1] neg_hi:[0,1]
	v_mov_b32_e32 v22, v9
	v_mov_b32_e32 v23, v26
	;; [unrolled: 1-line block ×3, first 2 shown]
	v_pk_add_f32 v[10:11], v[10:11], v[22:23] neg_lo:[0,1] neg_hi:[0,1]
	v_mov_b32_e32 v15, v8
	v_pk_add_f32 v[8:9], v[14:15], v[10:11] neg_lo:[0,1] neg_hi:[0,1]
	v_mov_b32_e32 v28, v24
	v_pk_add_f32 v[10:11], v[28:29], v[8:9]
	s_nop 0
	v_mov_b32_e32 v14, v11
	v_pk_add_f32 v[14:15], v[10:11], v[14:15]
	s_nop 0
	v_pk_add_f32 v[12:13], v[12:13], v[14:15]
	v_mov_b32_e32 v9, v14
	v_mov_b32_e32 v11, v12
	v_pk_add_f32 v[22:23], v[10:11], v[24:25] neg_lo:[0,1] neg_hi:[0,1]
	s_nop 0
	v_sub_f32_e32 v10, v10, v22
	v_pk_add_f32 v[8:9], v[8:9], v[22:23] neg_lo:[0,1] neg_hi:[0,1]
	v_sub_f32_e32 v10, v24, v10
	v_add_f32_e32 v8, v8, v10
	v_add_f32_e32 v8, v8, v9
	;; [unrolled: 1-line block ×3, first 2 shown]
	v_cndmask_b32_e32 v21, v8, v30, vcc
.LBB43_30:                              ;   in Loop: Header=BB43_12 Depth=1
	s_or_b64 exec, exec, s[6:7]
	v_lshlrev_b32_e32 v8, 16, v3
	v_lshlrev_b32_e32 v10, 16, v63
	;; [unrolled: 1-line block ×8, first 2 shown]
	v_mul_f32_e32 v22, s80, v8
	v_mul_f32_e32 v25, s80, v9
	;; [unrolled: 1-line block ×7, first 2 shown]
	s_lshl_b32 s2, s95, 9
	v_mul_f32_e32 v23, s80, v10
	s_and_b64 vcc, exec, s[62:63]
	s_waitcnt lgkmcnt(0)
	; wave barrier
	s_cbranch_vccz .LBB43_11
; %bb.31:                               ;   in Loop: Header=BB43_12 Depth=1
	v_mul_f32_e32 v72, v70, v8
	v_and_b32_e32 v8, 15, v52
	v_cmp_ne_u32_e64 s[6:7], 0, v8
	v_cmp_lt_u32_e64 s[8:9], 1, v8
	v_cmp_lt_u32_e64 s[10:11], 3, v8
	;; [unrolled: 1-line block ×3, first 2 shown]
	v_and_b32_e32 v8, 16, v52
	v_mul_f32_e32 v73, v69, v9
	s_sub_i32 s3, s54, s2
	v_cmp_ne_u32_e64 s[14:15], 0, v8
	v_add_u32_e32 v8, -1, v52
	v_and_b32_e32 v9, 64, v52
	s_cmp_lg_u32 s95, 0
	v_cmp_lt_i32_e32 vcc, v8, v9
	s_cselect_b64 s[66:67], -1, 0
	s_cmp_eq_u32 s95, s82
	v_cndmask_b32_e32 v8, v8, v52, vcc
	v_cmp_gt_u32_e32 vcc, s3, v42
	s_cselect_b64 s[68:69], -1, 0
	s_or_b64 s[18:19], s[64:65], vcc
	v_cmp_gt_u32_e32 vcc, s3, v43
	s_or_b64 s[20:21], s[64:65], vcc
	v_cmp_gt_u32_e32 vcc, s3, v44
	;; [unrolled: 2-line block ×6, first 2 shown]
	s_mov_b32 s56, 0
	s_or_b64 s[30:31], s[64:65], vcc
	v_cmp_gt_u32_e32 vcc, s3, v49
	v_mul_f32_e32 v71, v21, v10
	v_mul_f32_e32 v74, v68, v11
	;; [unrolled: 1-line block ×6, first 2 shown]
	v_lshl_add_u64 v[30:31], s[42:43], 0, v[16:17]
	v_lshl_add_u64 v[32:33], s[46:47], 0, v[16:17]
	v_cmp_lt_u32_e64 s[16:17], 31, v52
	v_lshlrev_b32_e32 v79, 2, v8
	s_or_b64 s[34:35], s[64:65], vcc
	s_mov_b32 s70, s56
	s_mov_b32 s72, s56
	;; [unrolled: 1-line block ×5, first 2 shown]
	s_branch .LBB43_33
.LBB43_32:                              ;   in Loop: Header=BB43_33 Depth=2
	s_or_b64 exec, exec, s[76:77]
	v_mul_f32_e32 v34, v80, v88
	v_fma_f32 v35, v80, v89, v12
	v_cndmask_b32_e64 v12, v35, v12, s[4:5]
	v_cndmask_b32_e64 v34, v34, v80, s[4:5]
	s_waitcnt lgkmcnt(0)
	v_fmac_f32_e32 v12, v40, v34
	v_fmac_f32_e32 v13, v12, v81
	;; [unrolled: 1-line block ×8, first 2 shown]
	v_and_b32_e32 v35, 0xffff0000, v8
	v_and_b32_e32 v41, 0xffff0000, v9
	v_lshlrev_b32_e32 v34, 16, v8
	v_lshlrev_b32_e32 v40, 16, v9
	v_and_b32_e32 v9, 0xffff0000, v10
	v_and_b32_e32 v81, 0xffff0000, v11
	v_lshlrev_b32_e32 v8, 16, v10
	v_lshlrev_b32_e32 v80, 16, v11
	s_add_i32 s96, s96, 8
	s_add_i32 s3, s3, -1
	s_add_i32 s74, s74, s38
	s_add_i32 s72, s72, s48
	;; [unrolled: 1-line block ×4, first 2 shown]
	v_pk_fma_f32 v[26:27], v[36:37], v[40:41], v[26:27]
	v_pk_fma_f32 v[28:29], v[12:13], v[34:35], v[28:29]
	v_pk_fma_f32 v[22:23], v[38:39], v[80:81], v[22:23]
	s_cmp_eq_u32 s3, 0
	v_pk_fma_f32 v[24:25], v[14:15], v[8:9], v[24:25]
	s_cbranch_scc1 .LBB43_11
.LBB43_33:                              ;   Parent Loop BB43_12 Depth=1
                                        ; =>  This Inner Loop Header: Depth=2
	s_lshl_b64 s[76:77], s[56:57], 2
	s_mov_b32 s71, s57
	s_add_u32 s76, s39, s76
	v_lshl_add_u64 v[8:9], s[70:71], 1, v[30:31]
	s_mov_b32 s73, s57
	s_addc_u32 s77, s40, s77
	global_load_dwordx4 v[12:15], v[8:9], off
	v_lshl_add_u64 v[8:9], s[72:73], 1, v[32:33]
	global_load_dword v36, v17, s[76:77]
	s_andn2_b64 vcc, exec, s[66:67]
	global_load_dwordx4 v[8:11], v[8:9], off
	s_cbranch_vccnz .LBB43_35
; %bb.34:                               ;   in Loop: Header=BB43_33 Depth=2
	v_mov_b32_e32 v34, s96
	ds_read_b64 v[34:35], v34
	s_cbranch_execz .LBB43_36
	s_branch .LBB43_39
.LBB43_35:                              ;   in Loop: Header=BB43_33 Depth=2
                                        ; implicit-def: $vgpr35
.LBB43_36:                              ;   in Loop: Header=BB43_33 Depth=2
	s_andn2_b64 vcc, exec, s[52:53]
	s_waitcnt lgkmcnt(0)
	v_mov_b32_e32 v35, 0
	s_cbranch_vccnz .LBB43_38
; %bb.37:                               ;   in Loop: Header=BB43_33 Depth=2
	s_mov_b32 s75, s57
	s_lshl_b64 s[76:77], s[74:75], 2
	s_add_u32 s76, s45, s76
	s_addc_u32 s77, s49, s77
	global_load_dword v35, v17, s[76:77]
.LBB43_38:                              ;   in Loop: Header=BB43_33 Depth=2
	v_mov_b32_e32 v34, 1.0
.LBB43_39:                              ;   in Loop: Header=BB43_33 Depth=2
	s_waitcnt vmcnt(1)
	v_mul_f32_e32 v38, 0x3fb8aa3b, v36
	v_lshlrev_b32_e32 v36, 16, v12
	v_and_b32_e32 v37, 0xffff0000, v12
	v_mul_f32_e32 v12, v38, v64
	v_cmp_gt_f32_e32 vcc, s92, v12
	v_lshlrev_b32_e32 v41, 16, v14
	v_and_b32_e32 v85, 0xffff0000, v14
	v_cndmask_b32_e32 v12, 0, v53, vcc
	v_mul_f32_e32 v14, v38, v65
	v_lshlrev_b32_e32 v39, 16, v13
	v_and_b32_e32 v40, 0xffff0000, v13
	v_fmac_f32_e32 v12, v38, v64
	v_cndmask_b32_e32 v13, 1.0, v54, vcc
	v_cmp_gt_f32_e32 vcc, s92, v14
	v_exp_f32_e32 v12, v12
	v_lshlrev_b32_e32 v86, 16, v15
	v_cndmask_b32_e32 v14, 0, v53, vcc
	v_fmac_f32_e32 v14, v38, v65
	v_exp_f32_e32 v14, v14
	v_and_b32_e32 v87, 0xffff0000, v15
	v_mul_f32_e32 v13, v12, v13
	v_mul_f32_e32 v15, v38, v66
	v_cndmask_b32_e64 v80, 1.0, v13, s[18:19]
	v_cndmask_b32_e32 v13, 1.0, v54, vcc
	v_cmp_gt_f32_e32 vcc, s92, v15
	v_mul_f32_e32 v12, v78, v36
	v_mul_f32_e32 v14, v14, v13
	v_cndmask_b32_e32 v15, 0, v53, vcc
	v_mul_f32_e32 v36, v38, v67
	v_fmac_f32_e32 v15, v38, v66
	v_cndmask_b32_e64 v81, 1.0, v14, s[20:21]
	v_cndmask_b32_e32 v14, 1.0, v54, vcc
	v_cmp_gt_f32_e32 vcc, s92, v36
	v_exp_f32_e32 v15, v15
	v_mul_f32_e32 v13, v77, v37
	v_cndmask_b32_e32 v36, 0, v53, vcc
	v_fmac_f32_e32 v36, v38, v67
	v_exp_f32_e32 v37, v36
	v_mul_f32_e32 v14, v15, v14
	v_cndmask_b32_e64 v82, 1.0, v14, s[22:23]
	v_cndmask_b32_e32 v14, 1.0, v54, vcc
	v_mul_f32_e32 v14, v37, v14
	v_mul_f32_e32 v37, v38, v68
	v_cmp_gt_f32_e32 vcc, s92, v37
	v_mul_f32_e32 v15, v76, v39
	v_cndmask_b32_e64 v36, 0, v15, s[22:23]
	v_cndmask_b32_e32 v37, 0, v53, vcc
	v_fmac_f32_e32 v37, v38, v68
	v_exp_f32_e32 v39, v37
	v_mul_f32_e32 v15, v75, v40
	v_cndmask_b32_e64 v83, 1.0, v14, s[24:25]
	v_cndmask_b32_e32 v14, 1.0, v54, vcc
	v_cndmask_b32_e64 v37, 0, v15, s[24:25]
	v_mul_f32_e32 v15, v39, v14
	v_mul_f32_e32 v39, v38, v69
	v_cmp_gt_f32_e32 vcc, s92, v39
	v_mul_f32_e32 v40, v38, v70
	v_cndmask_b32_e64 v84, 1.0, v15, s[26:27]
	v_cndmask_b32_e32 v39, 0, v53, vcc
	v_fmac_f32_e32 v39, v38, v69
	v_exp_f32_e32 v39, v39
	v_cndmask_b32_e32 v15, 1.0, v54, vcc
	v_cmp_gt_f32_e32 vcc, s92, v40
	v_mul_f32_e32 v14, v74, v41
	v_mul_f32_e32 v39, v39, v15
	v_cndmask_b32_e32 v40, 0, v53, vcc
	v_mul_f32_e32 v41, v38, v21
	v_mul_f32_e32 v15, v73, v85
	v_fmac_f32_e32 v40, v38, v70
	v_cndmask_b32_e64 v85, 1.0, v39, s[28:29]
	v_cndmask_b32_e32 v39, 1.0, v54, vcc
	v_cmp_gt_f32_e32 vcc, s92, v41
	v_exp_f32_e32 v40, v40
	v_cndmask_b32_e64 v12, 0, v12, s[18:19]
	v_cndmask_b32_e32 v41, 0, v53, vcc
	v_fmac_f32_e32 v41, v38, v21
	v_exp_f32_e32 v41, v41
	v_mul_f32_e32 v39, v40, v39
	v_mul_f32_e32 v40, v72, v86
	v_cndmask_b32_e64 v86, 1.0, v39, s[30:31]
	v_cndmask_b32_e32 v39, 1.0, v54, vcc
	v_cndmask_b32_e64 v13, 0, v13, s[20:21]
	v_cndmask_b32_e64 v38, 0, v40, s[30:31]
	v_mul_f32_e32 v40, v41, v39
	v_mul_f32_e32 v39, v71, v87
	v_cndmask_b32_e64 v87, 1.0, v40, s[34:35]
	v_mul_f32_e32 v40, v81, v80
	v_fma_f32 v41, v81, v12, v13
	v_mul_f32_e32 v40, v40, v82
	v_fma_f32 v41, v41, v82, v36
	v_cndmask_b32_e64 v14, 0, v14, s[26:27]
	v_mul_f32_e32 v40, v40, v83
	v_fma_f32 v41, v41, v83, v37
	v_cndmask_b32_e64 v15, 0, v15, s[28:29]
	v_mul_f32_e32 v40, v40, v84
	v_fma_f32 v41, v41, v84, v14
	v_mul_f32_e32 v40, v40, v85
	v_fma_f32 v41, v41, v85, v15
	v_cndmask_b32_e64 v39, 0, v39, s[34:35]
	v_mul_f32_e32 v40, v40, v86
	v_fma_f32 v41, v41, v86, v38
	v_mul_f32_e32 v40, v40, v87
	v_fma_f32 v41, v41, v87, v39
	s_nop 0
	v_mov_b32_dpp v89, v40 row_shr:1 row_mask:0xf bank_mask:0xf
	v_mov_b32_dpp v88, v41 row_shr:1 row_mask:0xf bank_mask:0xf
	s_and_saveexec_b64 s[76:77], s[6:7]
; %bb.40:                               ;   in Loop: Header=BB43_33 Depth=2
	v_mul_f32_e32 v89, v40, v89
	v_fmac_f32_e32 v41, v40, v88
	v_mov_b32_e32 v40, v89
; %bb.41:                               ;   in Loop: Header=BB43_33 Depth=2
	s_or_b64 exec, exec, s[76:77]
	s_nop 0
	v_mov_b32_dpp v88, v40 row_shr:2 row_mask:0xf bank_mask:0xf
	v_mov_b32_dpp v89, v41 row_shr:2 row_mask:0xf bank_mask:0xf
	s_and_saveexec_b64 s[76:77], s[8:9]
; %bb.42:                               ;   in Loop: Header=BB43_33 Depth=2
	v_fmac_f32_e32 v41, v40, v89
	v_mul_f32_e32 v40, v40, v88
; %bb.43:                               ;   in Loop: Header=BB43_33 Depth=2
	s_or_b64 exec, exec, s[76:77]
	s_nop 0
	v_mov_b32_dpp v88, v40 row_shr:4 row_mask:0xf bank_mask:0xf
	v_mov_b32_dpp v89, v41 row_shr:4 row_mask:0xf bank_mask:0xf
	s_and_saveexec_b64 s[76:77], s[10:11]
; %bb.44:                               ;   in Loop: Header=BB43_33 Depth=2
	v_fmac_f32_e32 v41, v40, v89
	v_mul_f32_e32 v40, v40, v88
	;; [unrolled: 9-line block ×3, first 2 shown]
; %bb.47:                               ;   in Loop: Header=BB43_33 Depth=2
	s_or_b64 exec, exec, s[76:77]
	s_nop 0
	v_mov_b32_dpp v88, v40 row_bcast:15 row_mask:0xf bank_mask:0xf
	v_mov_b32_dpp v89, v41 row_bcast:15 row_mask:0xf bank_mask:0xf
	s_and_saveexec_b64 s[76:77], s[14:15]
; %bb.48:                               ;   in Loop: Header=BB43_33 Depth=2
	v_fmac_f32_e32 v41, v40, v89
	v_mul_f32_e32 v40, v40, v88
; %bb.49:                               ;   in Loop: Header=BB43_33 Depth=2
	s_or_b64 exec, exec, s[76:77]
	s_nop 0
	v_mov_b32_dpp v88, v40 row_bcast:31 row_mask:0xf bank_mask:0xf
	v_mov_b32_dpp v89, v41 row_bcast:31 row_mask:0xf bank_mask:0xf
	v_mov_b32_e32 v90, v41
	v_mul_f32_e32 v88, v40, v88
	v_fmac_f32_e32 v90, v40, v89
	v_cndmask_b32_e64 v40, v40, v88, s[16:17]
	v_cndmask_b32_e64 v41, v41, v90, s[16:17]
	s_and_saveexec_b64 s[76:77], s[36:37]
	s_cbranch_execz .LBB43_51
; %bb.50:                               ;   in Loop: Header=BB43_33 Depth=2
	ds_write_b64 v17, v[40:41] offset:2112
.LBB43_51:                              ;   in Loop: Header=BB43_33 Depth=2
	s_or_b64 exec, exec, s[76:77]
	ds_bpermute_b32 v88, v79, v40
	ds_bpermute_b32 v89, v79, v41
	s_waitcnt vmcnt(0) lgkmcnt(2)
	v_mov_b32_e32 v41, v35
	s_waitcnt lgkmcnt(0)
	; wave barrier
	s_waitcnt lgkmcnt(0)
	s_and_saveexec_b64 s[76:77], s[0:1]
	s_cbranch_execz .LBB43_55
; %bb.52:                               ;   in Loop: Header=BB43_33 Depth=2
	ds_read_b64 v[40:41], v17 offset:2112
	s_and_saveexec_b64 s[78:79], s[4:5]
	s_cbranch_execz .LBB43_54
; %bb.53:                               ;   in Loop: Header=BB43_33 Depth=2
	ds_write_b64 v17, v[34:35] offset:2112
.LBB43_54:                              ;   in Loop: Header=BB43_33 Depth=2
	s_or_b64 exec, exec, s[78:79]
	s_waitcnt lgkmcnt(0)
	v_fmac_f32_e32 v41, v35, v40
	v_mul_f32_e32 v34, v34, v40
	v_mov_b32_e32 v35, v41
.LBB43_55:                              ;   in Loop: Header=BB43_33 Depth=2
	s_or_b64 exec, exec, s[76:77]
	s_waitcnt lgkmcnt(0)
	; wave barrier
	ds_read_b32 v40, v17 offset:2116
	s_and_saveexec_b64 s[76:77], s[4:5]
	s_cbranch_execz .LBB43_32
; %bb.56:                               ;   in Loop: Header=BB43_33 Depth=2
	v_mov_b32_e32 v90, s96
	s_andn2_b64 vcc, exec, s[68:69]
	ds_write_b64 v90, v[34:35]
	s_cbranch_vccnz .LBB43_32
; %bb.57:                               ;   in Loop: Header=BB43_33 Depth=2
	s_mov_b32 s75, s57
	s_lshl_b64 s[78:79], s[74:75], 2
	s_add_u32 s78, s45, s78
	s_addc_u32 s79, s49, s79
	global_store_dword v17, v41, s[78:79]
	s_branch .LBB43_32
.LBB43_58:
	s_endpgm
	.section	.rodata,"a",@progbits
	.p2align	6, 0x0
	.amdhsa_kernel _Z25selective_scan_fwd_kernelI32Selective_Scan_fwd_kernel_traitsILi64ELi8ELi1ELb1ELb1ELb1ELb0ELb0EN3c108BFloat16EffEEv13SSMParamsBase
		.amdhsa_group_segment_fixed_size 0
		.amdhsa_private_segment_fixed_size 0
		.amdhsa_kernarg_size 248
		.amdhsa_user_sgpr_count 2
		.amdhsa_user_sgpr_dispatch_ptr 0
		.amdhsa_user_sgpr_queue_ptr 0
		.amdhsa_user_sgpr_kernarg_segment_ptr 1
		.amdhsa_user_sgpr_dispatch_id 0
		.amdhsa_user_sgpr_kernarg_preload_length 0
		.amdhsa_user_sgpr_kernarg_preload_offset 0
		.amdhsa_user_sgpr_private_segment_size 0
		.amdhsa_uses_dynamic_stack 0
		.amdhsa_enable_private_segment 0
		.amdhsa_system_sgpr_workgroup_id_x 1
		.amdhsa_system_sgpr_workgroup_id_y 1
		.amdhsa_system_sgpr_workgroup_id_z 0
		.amdhsa_system_sgpr_workgroup_info 0
		.amdhsa_system_vgpr_workitem_id 0
		.amdhsa_next_free_vgpr 91
		.amdhsa_next_free_sgpr 97
		.amdhsa_accum_offset 92
		.amdhsa_reserve_vcc 1
		.amdhsa_float_round_mode_32 0
		.amdhsa_float_round_mode_16_64 0
		.amdhsa_float_denorm_mode_32 3
		.amdhsa_float_denorm_mode_16_64 3
		.amdhsa_dx10_clamp 1
		.amdhsa_ieee_mode 1
		.amdhsa_fp16_overflow 0
		.amdhsa_tg_split 0
		.amdhsa_exception_fp_ieee_invalid_op 0
		.amdhsa_exception_fp_denorm_src 0
		.amdhsa_exception_fp_ieee_div_zero 0
		.amdhsa_exception_fp_ieee_overflow 0
		.amdhsa_exception_fp_ieee_underflow 0
		.amdhsa_exception_fp_ieee_inexact 0
		.amdhsa_exception_int_div_zero 0
	.end_amdhsa_kernel
	.section	.text._Z25selective_scan_fwd_kernelI32Selective_Scan_fwd_kernel_traitsILi64ELi8ELi1ELb1ELb1ELb1ELb0ELb0EN3c108BFloat16EffEEv13SSMParamsBase,"axG",@progbits,_Z25selective_scan_fwd_kernelI32Selective_Scan_fwd_kernel_traitsILi64ELi8ELi1ELb1ELb1ELb1ELb0ELb0EN3c108BFloat16EffEEv13SSMParamsBase,comdat
.Lfunc_end43:
	.size	_Z25selective_scan_fwd_kernelI32Selective_Scan_fwd_kernel_traitsILi64ELi8ELi1ELb1ELb1ELb1ELb0ELb0EN3c108BFloat16EffEEv13SSMParamsBase, .Lfunc_end43-_Z25selective_scan_fwd_kernelI32Selective_Scan_fwd_kernel_traitsILi64ELi8ELi1ELb1ELb1ELb1ELb0ELb0EN3c108BFloat16EffEEv13SSMParamsBase
                                        ; -- End function
	.section	.AMDGPU.csdata,"",@progbits
; Kernel info:
; codeLenInByte = 8564
; NumSgprs: 103
; NumVgprs: 91
; NumAgprs: 0
; TotalNumVgprs: 91
; ScratchSize: 0
; MemoryBound: 0
; FloatMode: 240
; IeeeMode: 1
; LDSByteSize: 0 bytes/workgroup (compile time only)
; SGPRBlocks: 12
; VGPRBlocks: 11
; NumSGPRsForWavesPerEU: 103
; NumVGPRsForWavesPerEU: 91
; AccumOffset: 92
; Occupancy: 5
; WaveLimiterHint : 0
; COMPUTE_PGM_RSRC2:SCRATCH_EN: 0
; COMPUTE_PGM_RSRC2:USER_SGPR: 2
; COMPUTE_PGM_RSRC2:TRAP_HANDLER: 0
; COMPUTE_PGM_RSRC2:TGID_X_EN: 1
; COMPUTE_PGM_RSRC2:TGID_Y_EN: 1
; COMPUTE_PGM_RSRC2:TGID_Z_EN: 0
; COMPUTE_PGM_RSRC2:TIDIG_COMP_CNT: 0
; COMPUTE_PGM_RSRC3_GFX90A:ACCUM_OFFSET: 22
; COMPUTE_PGM_RSRC3_GFX90A:TG_SPLIT: 0
	.section	.text._Z25selective_scan_fwd_kernelI32Selective_Scan_fwd_kernel_traitsILi64ELi8ELi1ELb0ELb1ELb1ELb1ELb1EN3c108BFloat16EffEEv13SSMParamsBase,"axG",@progbits,_Z25selective_scan_fwd_kernelI32Selective_Scan_fwd_kernel_traitsILi64ELi8ELi1ELb0ELb1ELb1ELb1ELb1EN3c108BFloat16EffEEv13SSMParamsBase,comdat
	.protected	_Z25selective_scan_fwd_kernelI32Selective_Scan_fwd_kernel_traitsILi64ELi8ELi1ELb0ELb1ELb1ELb1ELb1EN3c108BFloat16EffEEv13SSMParamsBase ; -- Begin function _Z25selective_scan_fwd_kernelI32Selective_Scan_fwd_kernel_traitsILi64ELi8ELi1ELb0ELb1ELb1ELb1ELb1EN3c108BFloat16EffEEv13SSMParamsBase
	.globl	_Z25selective_scan_fwd_kernelI32Selective_Scan_fwd_kernel_traitsILi64ELi8ELi1ELb0ELb1ELb1ELb1ELb1EN3c108BFloat16EffEEv13SSMParamsBase
	.p2align	8
	.type	_Z25selective_scan_fwd_kernelI32Selective_Scan_fwd_kernel_traitsILi64ELi8ELi1ELb0ELb1ELb1ELb1ELb1EN3c108BFloat16EffEEv13SSMParamsBase,@function
_Z25selective_scan_fwd_kernelI32Selective_Scan_fwd_kernel_traitsILi64ELi8ELi1ELb0ELb1ELb1ELb1ELb1EN3c108BFloat16EffEEv13SSMParamsBase: ; @_Z25selective_scan_fwd_kernelI32Selective_Scan_fwd_kernel_traitsILi64ELi8ELi1ELb0ELb1ELb1ELb1ELb1EN3c108BFloat16EffEEv13SSMParamsBase
; %bb.0:
	s_load_dword s37, s[0:1], 0x18
	s_load_dwordx4 s[4:7], s[0:1], 0xe8
	s_load_dwordx8 s[20:27], s[0:1], 0xc8
	s_mov_b32 s34, s3
	s_ashr_i32 s3, s2, 31
	s_lshl_b64 s[8:9], s[2:3], 2
	s_waitcnt lgkmcnt(0)
	s_abs_i32 s36, s37
	v_cvt_f32_u32_e32 v1, s36
	s_add_u32 s28, s26, s8
	s_addc_u32 s29, s27, s9
	s_cmp_eq_u64 s[6:7], 0
	v_rcp_iflag_f32_e32 v1, v1
	s_nop 0
	v_mul_f32_e32 v1, 0x4f7ffffe, v1
	v_cvt_u32_f32_e32 v1, v1
	s_nop 0
	v_readfirstlane_b32 s38, v1
	s_cbranch_scc1 .LBB44_169
; %bb.1:
	s_add_u32 s6, s6, s2
	s_addc_u32 s7, s7, s3
	v_mov_b32_e32 v1, 0
	global_load_ubyte v1, v1, s[6:7]
	s_waitcnt vmcnt(0)
	v_and_b32_e32 v1, 1, v1
	v_cmp_eq_u32_e64 s[68:69], 1, v1
	s_load_dwordx2 s[6:7], s[0:1], 0x20
	s_cmp_eq_u64 s[4:5], 0
	s_cbranch_scc1 .LBB44_3
.LBB44_2:
	s_add_u32 s2, s4, s8
	s_addc_u32 s3, s5, s9
	s_load_dword s2, s[2:3], 0x0
	s_waitcnt lgkmcnt(0)
	s_ashr_i32 s3, s2, 31
.LBB44_3:
	s_waitcnt lgkmcnt(0)
	s_cmp_eq_u64 s[6:7], s[2:3]
	s_cbranch_scc1 .LBB44_168
; %bb.4:
	s_load_dwordx16 s[4:19], s[0:1], 0x88
	s_load_dwordx2 s[26:27], s[28:29], 0x0
	s_mov_b32 s33, 0
	s_mov_b32 s92, 0
	s_waitcnt lgkmcnt(0)
	s_cmp_eq_u64 s[10:11], 0
	s_cbranch_scc1 .LBB44_6
; %bb.5:
	s_ashr_i32 s35, s34, 31
	s_lshl_b64 s[28:29], s[34:35], 2
	s_add_u32 s10, s10, s28
	s_addc_u32 s11, s11, s29
	s_load_dword s92, s[10:11], 0x0
.LBB44_6:
	s_cmp_eq_u64 s[16:17], 0
	s_cbranch_scc1 .LBB44_8
; %bb.7:
	s_ashr_i32 s35, s34, 31
	s_lshl_b64 s[10:11], s[34:35], 2
	s_add_u32 s10, s16, s10
	s_addc_u32 s11, s17, s11
	s_load_dword s33, s[10:11], 0x0
.LBB44_8:
	s_sub_i32 s35, s27, s26
	s_cmp_lt_i32 s35, 1
	s_cbranch_scc1 .LBB44_168
; %bb.9:
	s_sub_i32 s3, 0, s36
	s_mul_i32 s3, s3, s38
	s_mul_hi_u32 s3, s38, s3
	s_abs_i32 s16, s34
	s_add_i32 s38, s38, s3
	s_load_dwordx8 s[52:59], s[0:1], 0x2c
	s_load_dwordx2 s[10:11], s[0:1], 0x7c
	s_load_dwordx4 s[28:31], s[0:1], 0x6c
	s_load_dwordx8 s[60:67], s[0:1], 0x4c
	s_load_dword s94, s[0:1], 0x84
	s_mul_hi_u32 s3, s16, s38
	s_load_dword s38, s[0:1], 0xc
	s_load_dword s17, s[0:1], 0x28
	s_ashr_i32 s0, s34, 31
	s_ashr_i32 s1, s37, 31
	s_xor_b32 s0, s0, s1
	s_mul_i32 s1, s3, s36
	s_sub_i32 s1, s16, s1
	s_add_i32 s16, s3, 1
	s_sub_i32 s27, s1, s36
	s_cmp_ge_u32 s1, s36
	s_cselect_b32 s3, s16, s3
	s_cselect_b32 s1, s27, s1
	s_add_i32 s16, s3, 1
	s_cmp_ge_u32 s1, s36
	s_cselect_b32 s1, s16, s3
	s_xor_b32 s1, s1, s0
	s_waitcnt lgkmcnt(0)
	s_mul_i32 s70, s26, s62
	s_mov_b32 s71, 0
	s_sub_i32 s3, s1, s0
	s_lshl_b64 s[0:1], s[70:71], 1
	s_add_u32 s12, s12, s0
	s_mul_i32 s70, s63, s34
	s_addc_u32 s13, s13, s1
	s_lshl_b64 s[0:1], s[70:71], 1
	s_add_u32 s62, s12, s0
	s_mul_i32 s70, s26, s64
	s_addc_u32 s63, s13, s1
	;; [unrolled: 4-line block ×10, first 2 shown]
	s_lshl_b64 s[0:1], s[70:71], 2
	v_mbcnt_lo_u32_b32 v1, -1, 0
	s_add_u32 s57, s2, s0
	v_mbcnt_hi_u32_b32 v10, -1, v1
	s_addc_u32 s61, s3, s1
	s_add_i32 s0, s35, 0x7ff
	v_lshrrev_b32_e32 v1, 5, v10
	s_lshr_b32 s1, s0, 11
	v_and_b32_e32 v1, 2, v1
	v_add_u32_e32 v40, 64, v10
	v_or_b32_e32 v41, 0x80, v10
	v_add_u32_e32 v42, 0xc0, v10
	v_or_b32_e32 v43, 0x100, v10
	;; [unrolled: 2-line block ×3, first 2 shown]
	v_add_u32_e32 v46, 0x1c0, v10
	v_add_u32_e32 v1, v1, v10
	s_bitcmp1_b32 s17, 0
	v_lshl_add_u32 v47, v1, 1, 0
	v_lshrrev_b32_e32 v1, 5, v40
	v_lshrrev_b32_e32 v2, 5, v41
	;; [unrolled: 1-line block ×7, first 2 shown]
	s_cselect_b64 s[72:73], -1, 0
                                        ; implicit-def: $vgpr95 : SGPR spill to VGPR lane
	s_cmp_gt_i32 s38, 0
	v_and_b32_e32 v1, 6, v1
	v_and_b32_e32 v2, 6, v2
	v_and_b32_e32 v3, 14, v3
	v_and_b32_e32 v4, 10, v4
	v_and_b32_e32 v5, 14, v5
	v_and_b32_e32 v6, 14, v6
	v_and_b32_e32 v7, 30, v7
	v_writelane_b32 v95, s38, 0
	s_cselect_b64 s[2:3], -1, 0
	v_add_lshl_u32 v1, v1, v10, 1
	v_add_lshl_u32 v2, v2, v10, 1
	;; [unrolled: 1-line block ×7, first 2 shown]
	v_writelane_b32 v95, s2, 1
	s_add_i32 s0, 0, 0x420
	v_add_u32_e32 v56, s0, v1
	v_writelane_b32 v95, s3, 2
	v_add_u32_e32 v57, s0, v2
	v_add_u32_e32 v58, s0, v3
	;; [unrolled: 1-line block ×6, first 2 shown]
	s_and_b32 s0, s35, 0x1ff
	v_writelane_b32 v95, s35, 3
	s_cmp_eq_u32 s0, 0
	s_cselect_b64 s[76:77], -1, 0
	v_writelane_b32 v95, s1, 4
	s_add_i32 s0, s1, -1
	s_mul_i32 s70, s26, s28
	v_writelane_b32 v95, s0, 5
	s_lshl_b64 s[0:1], s[70:71], 1
	s_add_u32 s14, s18, s0
	s_mul_i32 s70, s29, s34
	s_addc_u32 s15, s19, s1
	s_lshl_b64 s[12:13], s[70:71], 1
	s_add_u32 s18, s14, s12
	s_mul_i32 s70, s26, s66
	s_addc_u32 s19, s15, s13
	s_lshl_b64 s[12:13], s[70:71], 1
	s_add_u32 s14, s22, s12
	s_mul_i32 s70, s67, s34
	v_lshrrev_b32_e32 v8, 2, v10
	s_addc_u32 s15, s23, s13
	s_lshl_b64 s[12:13], s[70:71], 1
	v_and_b32_e32 v8, 30, v8
	s_add_u32 s20, s14, s12
	s_mul_i32 s70, s26, s30
	v_lshl_add_u32 v8, v10, 3, v8
	s_addc_u32 s21, s15, s13
	s_lshl_b64 s[14:15], s[70:71], 1
	v_mov_b32_e32 v9, 0
	v_add_u32_e32 v48, 0, v1
	v_lshl_add_u32 v55, v8, 1, 0
	v_and_b32_e32 v1, 15, v10
	s_add_u32 s22, s24, s14
	v_lshlrev_b32_e32 v8, 1, v10
	s_mul_i32 s70, s31, s34
	v_cmp_ne_u32_e64 s[0:1], 0, v1
	v_cmp_lt_u32_e64 s[2:3], 1, v1
	v_cmp_lt_u32_e64 s[4:5], 3, v1
	v_cmp_lt_u32_e64 s[6:7], 7, v1
	v_and_b32_e32 v1, 16, v10
	s_addc_u32 s23, s25, s15
	v_lshl_add_u64 v[12:13], s[18:19], 0, v[8:9]
	s_lshl_b64 s[18:19], s[70:71], 1
	v_add_u32_e32 v49, 0, v2
	v_cmp_ne_u32_e64 s[8:9], 0, v1
	v_add_u32_e32 v1, -1, v10
	v_and_b32_e32 v2, 64, v10
	s_add_u32 s18, s22, s18
	v_cmp_lt_i32_e32 vcc, v1, v2
	s_addc_u32 s19, s23, s19
	v_lshl_add_u64 v[16:17], s[18:19], 0, v[8:9]
	v_cndmask_b32_e32 v1, v1, v10, vcc
	s_add_i32 s18, 0, 0x848
	v_lshlrev_b32_e32 v11, 3, v0
	v_add_u32_e32 v50, 0, v3
	v_add_u32_e32 v51, 0, v4
	;; [unrolled: 1-line block ×5, first 2 shown]
	v_cmp_lt_u32_e64 s[10:11], 31, v10
	v_cmp_eq_u32_e64 s[12:13], 63, v0
	v_lshlrev_b32_e32 v63, 2, v1
	v_cmp_gt_u32_e64 s[14:15], 64, v0
	v_cmp_eq_u32_e64 s[16:17], 0, v0
	v_lshl_add_u64 v[14:15], s[20:21], 0, v[8:9]
	v_lshlrev_b32_e32 v8, 1, v10
	s_mov_b32 s40, 0x41a00000
	s_mov_b32 s41, 0x3fb8aa3b
	;; [unrolled: 1-line block ×6, first 2 shown]
	v_mov_b32_e32 v71, 0x3ecc95a3
	s_mov_b32 s46, 0x3f317218
	s_mov_b32 s47, 0x33800000
	v_writelane_b32 v95, s18, 6
	s_mov_b32 s98, 0xc2fc0000
	s_movk_i32 s74, 0x7fff
	s_mov_b32 s97, 0xbfb8aa3b
	s_mov_b32 s93, 0x42ce8ed0
	;; [unrolled: 1-line block ×3, first 2 shown]
	v_mov_b32_e32 v72, 0x7f800000
	v_mov_b32_e32 v18, 0x3f317218
	;; [unrolled: 1-line block ×5, first 2 shown]
	s_mov_b32 s99, 0
                                        ; implicit-def: $vgpr0
	s_branch .LBB44_11
.LBB44_10:                              ;   in Loop: Header=BB44_11 Depth=1
	s_or_b64 exec, exec, s[18:19]
	s_add_u32 s64, s64, 0x400
	s_addc_u32 s65, s65, 0
	s_add_u32 s62, s62, 0x400
	s_addc_u32 s63, s63, 0
	s_add_u32 s54, s54, 0x400
	s_addc_u32 s55, s55, 0
	s_add_u32 s58, s58, 0x400
	s_addc_u32 s59, s59, 0
	s_add_i32 s99, s99, 1
	v_readlane_b32 s18, v95, 4
	s_cmp_lg_u32 s99, s18
	s_cbranch_scc0 .LBB44_168
.LBB44_11:                              ; =>This Loop Header: Depth=1
                                        ;     Child Loop BB44_60 Depth 2
	s_lshl_b32 s66, s99, 9
	v_readlane_b32 s18, v95, 3
	s_sub_i32 s50, s18, s66
	v_lshl_add_u64 v[0:1], s[62:63], 0, v[8:9]
	v_cmp_gt_u32_e64 s[18:19], s50, v10
	s_waitcnt lgkmcnt(0)
	v_mov_b32_e32 v2, 0
	s_waitcnt lgkmcnt(0)
	; wave barrier
	s_and_saveexec_b64 s[20:21], s[18:19]
	s_cbranch_execz .LBB44_13
; %bb.12:                               ;   in Loop: Header=BB44_11 Depth=1
	global_load_ushort v2, v[0:1], off
.LBB44_13:                              ;   in Loop: Header=BB44_11 Depth=1
	s_or_b64 exec, exec, s[20:21]
	v_cmp_gt_u32_e64 s[20:21], s50, v40
	v_mov_b32_e32 v3, 0
	v_mov_b32_e32 v4, 0
	s_and_saveexec_b64 s[22:23], s[20:21]
	s_cbranch_execz .LBB44_15
; %bb.14:                               ;   in Loop: Header=BB44_11 Depth=1
	global_load_ushort v4, v[0:1], off offset:128
.LBB44_15:                              ;   in Loop: Header=BB44_11 Depth=1
	s_or_b64 exec, exec, s[22:23]
	v_cmp_gt_u32_e64 s[22:23], s50, v41
	s_and_saveexec_b64 s[24:25], s[22:23]
	s_cbranch_execz .LBB44_17
; %bb.16:                               ;   in Loop: Header=BB44_11 Depth=1
	global_load_ushort v3, v[0:1], off offset:256
.LBB44_17:                              ;   in Loop: Header=BB44_11 Depth=1
	s_or_b64 exec, exec, s[24:25]
	v_cmp_gt_u32_e64 s[24:25], s50, v42
	v_mov_b32_e32 v5, 0
	v_mov_b32_e32 v7, 0
	s_and_saveexec_b64 s[26:27], s[24:25]
	s_cbranch_execz .LBB44_19
; %bb.18:                               ;   in Loop: Header=BB44_11 Depth=1
	global_load_ushort v7, v[0:1], off offset:384
.LBB44_19:                              ;   in Loop: Header=BB44_11 Depth=1
	s_or_b64 exec, exec, s[26:27]
	v_cmp_gt_u32_e64 s[26:27], s50, v43
	s_and_saveexec_b64 s[28:29], s[26:27]
	s_cbranch_execz .LBB44_21
; %bb.20:                               ;   in Loop: Header=BB44_11 Depth=1
	global_load_ushort v5, v[0:1], off offset:512
.LBB44_21:                              ;   in Loop: Header=BB44_11 Depth=1
	;; [unrolled: 16-line block ×3, first 2 shown]
	s_or_b64 exec, exec, s[34:35]
	v_cmp_gt_u32_e64 s[34:35], s50, v46
	v_mov_b32_e32 v6, 0
	v_mov_b32_e32 v21, 0
	s_and_saveexec_b64 s[36:37], s[34:35]
	s_cbranch_execz .LBB44_27
; %bb.26:                               ;   in Loop: Header=BB44_11 Depth=1
	global_load_ushort v21, v[0:1], off offset:896
.LBB44_27:                              ;   in Loop: Header=BB44_11 Depth=1
	s_or_b64 exec, exec, s[36:37]
	s_waitcnt vmcnt(0)
	ds_write_b16 v47, v2
	ds_write_b16 v48, v4 offset:128
	ds_write_b16 v49, v3 offset:256
	;; [unrolled: 1-line block ×7, first 2 shown]
	; wave barrier
	ds_read_b128 v[0:3], v55
	v_lshl_add_u64 v[4:5], s[64:65], 0, v[8:9]
	s_waitcnt lgkmcnt(0)
	; wave barrier
	s_waitcnt lgkmcnt(0)
	s_and_saveexec_b64 s[36:37], s[18:19]
	s_cbranch_execz .LBB44_29
; %bb.28:                               ;   in Loop: Header=BB44_11 Depth=1
	global_load_ushort v6, v[4:5], off
.LBB44_29:                              ;   in Loop: Header=BB44_11 Depth=1
	s_or_b64 exec, exec, s[36:37]
	v_mov_b32_e32 v7, 0
	v_mov_b32_e32 v19, 0
	s_and_saveexec_b64 s[36:37], s[20:21]
	s_cbranch_execz .LBB44_31
; %bb.30:                               ;   in Loop: Header=BB44_11 Depth=1
	global_load_ushort v19, v[4:5], off offset:128
.LBB44_31:                              ;   in Loop: Header=BB44_11 Depth=1
	s_or_b64 exec, exec, s[36:37]
	s_and_saveexec_b64 s[36:37], s[22:23]
	s_cbranch_execz .LBB44_33
; %bb.32:                               ;   in Loop: Header=BB44_11 Depth=1
	global_load_ushort v7, v[4:5], off offset:256
.LBB44_33:                              ;   in Loop: Header=BB44_11 Depth=1
	s_or_b64 exec, exec, s[36:37]
	v_mov_b32_e32 v20, 0
	v_mov_b32_e32 v21, 0
	s_and_saveexec_b64 s[36:37], s[24:25]
	s_cbranch_execz .LBB44_35
; %bb.34:                               ;   in Loop: Header=BB44_11 Depth=1
	global_load_ushort v21, v[4:5], off offset:384
.LBB44_35:                              ;   in Loop: Header=BB44_11 Depth=1
	s_or_b64 exec, exec, s[36:37]
	s_and_saveexec_b64 s[36:37], s[26:27]
	s_cbranch_execz .LBB44_37
; %bb.36:                               ;   in Loop: Header=BB44_11 Depth=1
	global_load_ushort v20, v[4:5], off offset:512
.LBB44_37:                              ;   in Loop: Header=BB44_11 Depth=1
	s_or_b64 exec, exec, s[36:37]
	v_mov_b32_e32 v22, 0
	v_mov_b32_e32 v23, 0
	s_and_saveexec_b64 s[36:37], s[28:29]
	s_cbranch_execnz .LBB44_151
; %bb.38:                               ;   in Loop: Header=BB44_11 Depth=1
	s_or_b64 exec, exec, s[36:37]
	s_and_saveexec_b64 s[36:37], s[30:31]
	s_cbranch_execnz .LBB44_152
.LBB44_39:                              ;   in Loop: Header=BB44_11 Depth=1
	s_or_b64 exec, exec, s[36:37]
	v_mov_b32_e32 v24, 0
	s_and_saveexec_b64 s[36:37], s[34:35]
	s_cbranch_execz .LBB44_41
.LBB44_40:                              ;   in Loop: Header=BB44_11 Depth=1
	global_load_ushort v24, v[4:5], off offset:896
.LBB44_41:                              ;   in Loop: Header=BB44_11 Depth=1
	s_or_b64 exec, exec, s[36:37]
	s_waitcnt vmcnt(0)
	ds_write_b16 v47, v6
	ds_write_b16 v48, v19 offset:128
	ds_write_b16 v49, v7 offset:256
	;; [unrolled: 1-line block ×7, first 2 shown]
	; wave barrier
	ds_read_b128 v[4:7], v55
	s_waitcnt lgkmcnt(0)
	v_lshlrev_b32_e32 v19, 16, v4
	v_add_f32_e32 v76, s33, v19
	v_cmp_ge_f32_e32 vcc, s40, v76
	s_and_b64 s[36:37], s[72:73], vcc
	s_and_saveexec_b64 s[38:39], s[36:37]
	s_cbranch_execz .LBB44_43
; %bb.42:                               ;   in Loop: Header=BB44_11 Depth=1
	v_mul_f32_e32 v19, 0x3fb8aa3b, v76
	v_rndne_f32_e32 v20, v19
	v_sub_f32_e32 v21, v19, v20
	v_fma_f32 v19, v76, s41, -v19
	v_fmac_f32_e32 v19, 0x32a5705f, v76
	v_add_f32_e32 v19, v21, v19
	v_cvt_i32_f32_e32 v20, v20
	v_exp_f32_e32 v19, v19
	v_cmp_ngt_f32_e32 vcc, s42, v76
	v_ldexp_f32 v19, v19, v20
	s_nop 0
	v_cndmask_b32_e32 v19, 0, v19, vcc
	v_cmp_nlt_f32_e32 vcc, s43, v76
	s_nop 1
	v_cndmask_b32_e32 v36, v72, v19, vcc
	v_add_f32_e32 v19, 1.0, v36
	v_add_f32_e32 v20, -1.0, v19
	v_sub_f32_e32 v21, v20, v19
	v_add_f32_e32 v21, 1.0, v21
	v_sub_f32_e32 v20, v36, v20
	v_add_f32_e32 v22, v20, v21
	v_frexp_mant_f32_e32 v23, v19
	v_cvt_f64_f32_e32 v[20:21], v19
	v_frexp_exp_i32_f64_e32 v20, v[20:21]
	v_cmp_gt_f32_e32 vcc, s45, v23
	v_cmp_gt_f32_e64 s[36:37], s47, v36
	s_nop 0
	v_subbrev_co_u32_e32 v28, vcc, 0, v20, vcc
	v_sub_u32_e32 v20, 0, v28
	v_ldexp_f32 v19, v19, v20
	v_ldexp_f32 v20, v22, v20
	v_add_f32_e32 v22, -1.0, v19
	v_add_f32_e32 v21, 1.0, v22
	v_sub_f32_e32 v21, v19, v21
	v_add_f32_e32 v23, v20, v21
	v_add_f32_e32 v21, 1.0, v19
	v_add_f32_e32 v24, -1.0, v21
	v_sub_f32_e32 v19, v19, v24
	v_add_f32_e32 v19, v20, v19
	v_add_f32_e32 v29, v21, v19
	v_rcp_f32_e32 v30, v29
	v_sub_f32_e32 v20, v21, v29
	v_add_f32_e32 v21, v22, v23
	v_add_f32_e32 v19, v19, v20
	v_mul_f32_e32 v32, v21, v30
	v_sub_f32_e32 v20, v22, v21
	v_mul_f32_e32 v22, v29, v32
	v_fma_f32 v24, v32, v29, -v22
	v_fmac_f32_e32 v24, v32, v19
	v_add_f32_e32 v31, v23, v20
	v_add_f32_e32 v20, v22, v24
	v_sub_f32_e32 v23, v21, v20
	v_pk_add_f32 v[26:27], v[20:21], v[22:23] neg_lo:[0,1] neg_hi:[0,1]
	v_mov_b32_e32 v25, v20
	v_pk_add_f32 v[20:21], v[26:27], v[24:25] neg_lo:[0,1] neg_hi:[0,1]
	v_cmp_eq_f32_e32 vcc, s44, v36
	v_add_f32_e32 v21, v31, v21
	v_add_f32_e32 v20, v20, v21
	;; [unrolled: 1-line block ×3, first 2 shown]
	v_mul_f32_e32 v31, v30, v21
	v_mul_f32_e32 v22, v29, v31
	v_fma_f32 v24, v31, v29, -v22
	v_fmac_f32_e32 v24, v31, v19
	v_sub_f32_e32 v19, v23, v21
	v_add_f32_e32 v19, v20, v19
	v_add_f32_e32 v20, v22, v24
	v_sub_f32_e32 v23, v21, v20
	v_pk_add_f32 v[26:27], v[20:21], v[22:23] neg_lo:[0,1] neg_hi:[0,1]
	v_mov_b32_e32 v25, v20
	v_pk_add_f32 v[20:21], v[26:27], v[24:25] neg_lo:[0,1] neg_hi:[0,1]
	s_or_b64 vcc, s[36:37], vcc
	v_add_f32_e32 v19, v19, v21
	v_add_f32_e32 v19, v20, v19
	;; [unrolled: 1-line block ×4, first 2 shown]
	v_sub_f32_e32 v20, v21, v32
	v_mul_f32_e32 v19, v30, v19
	v_sub_f32_e32 v20, v31, v20
	v_add_f32_e32 v22, v20, v19
	v_add_f32_e32 v24, v21, v22
	v_cvt_f32_i32_e32 v20, v28
	v_mul_f32_e32 v25, v24, v24
	v_sub_f32_e32 v21, v24, v21
	v_fmamk_f32 v19, v25, 0x3e9b6dac, v71
	v_sub_f32_e32 v21, v22, v21
	v_fmaak_f32 v19, v25, v19, 0x3f2aaada
	v_ldexp_f32 v26, v21, 1
	v_mul_f32_e32 v21, v24, v25
	v_ldexp_f32 v23, v24, 1
	v_pk_mul_f32 v[24:25], v[20:21], v[18:19]
	s_nop 0
	v_fma_f32 v22, v20, s46, -v24
	v_fmac_f32_e32 v22, 0xb102e308, v20
	v_pk_add_f32 v[20:21], v[24:25], v[22:23]
	s_nop 0
	v_sub_f32_e32 v19, v21, v23
	v_sub_f32_e32 v19, v25, v19
	v_add_f32_e32 v27, v26, v19
	v_mov_b32_e32 v26, v24
	v_pk_add_f32 v[24:25], v[20:21], v[24:25] neg_lo:[0,1] neg_hi:[0,1]
	v_pk_add_f32 v[28:29], v[20:21], v[26:27]
	v_mov_b32_e32 v23, v20
	v_mov_b32_e32 v25, v29
	v_pk_add_f32 v[30:31], v[22:23], v[24:25] neg_lo:[0,1] neg_hi:[0,1]
	v_pk_add_f32 v[22:23], v[22:23], v[24:25]
	v_mov_b32_e32 v26, v27
	v_mov_b32_e32 v24, v23
	v_pk_add_f32 v[32:33], v[24:25], v[20:21] neg_lo:[0,1] neg_hi:[0,1]
	v_mov_b32_e32 v22, v29
	v_mov_b32_e32 v19, v32
	v_pk_add_f32 v[34:35], v[28:29], v[18:19] neg_lo:[0,1] neg_hi:[0,1]
	v_mov_b32_e32 v28, v21
	v_mov_b32_e32 v29, v32
	;; [unrolled: 1-line block ×3, first 2 shown]
	v_pk_add_f32 v[22:23], v[22:23], v[28:29] neg_lo:[0,1] neg_hi:[0,1]
	v_mov_b32_e32 v27, v20
	v_pk_add_f32 v[20:21], v[26:27], v[22:23] neg_lo:[0,1] neg_hi:[0,1]
	v_mov_b32_e32 v34, v30
	v_pk_add_f32 v[22:23], v[34:35], v[20:21]
	s_nop 0
	v_mov_b32_e32 v26, v23
	v_pk_add_f32 v[26:27], v[22:23], v[26:27]
	s_nop 0
	v_pk_add_f32 v[24:25], v[24:25], v[26:27]
	v_mov_b32_e32 v21, v26
	v_mov_b32_e32 v23, v24
	v_pk_add_f32 v[28:29], v[22:23], v[30:31] neg_lo:[0,1] neg_hi:[0,1]
	s_nop 0
	v_sub_f32_e32 v19, v22, v28
	v_pk_add_f32 v[20:21], v[20:21], v[28:29] neg_lo:[0,1] neg_hi:[0,1]
	v_sub_f32_e32 v19, v30, v19
	v_add_f32_e32 v19, v20, v19
	v_add_f32_e32 v19, v19, v21
	;; [unrolled: 1-line block ×3, first 2 shown]
	v_cndmask_b32_e32 v76, v19, v36, vcc
.LBB44_43:                              ;   in Loop: Header=BB44_11 Depth=1
	s_or_b64 exec, exec, s[38:39]
	v_and_b32_e32 v4, 0xffff0000, v4
	v_add_f32_e32 v77, s33, v4
	v_cmp_ge_f32_e32 vcc, s40, v77
	s_and_b64 s[36:37], s[72:73], vcc
	s_and_saveexec_b64 s[38:39], s[36:37]
	s_cbranch_execz .LBB44_45
; %bb.44:                               ;   in Loop: Header=BB44_11 Depth=1
	v_mul_f32_e32 v4, 0x3fb8aa3b, v77
	v_rndne_f32_e32 v19, v4
	v_sub_f32_e32 v20, v4, v19
	v_fma_f32 v4, v77, s41, -v4
	v_fmac_f32_e32 v4, 0x32a5705f, v77
	v_add_f32_e32 v4, v20, v4
	v_cvt_i32_f32_e32 v19, v19
	v_exp_f32_e32 v4, v4
	v_cmp_ngt_f32_e32 vcc, s42, v77
	v_ldexp_f32 v4, v4, v19
	s_nop 0
	v_cndmask_b32_e32 v4, 0, v4, vcc
	v_cmp_nlt_f32_e32 vcc, s43, v77
	s_nop 1
	v_cndmask_b32_e32 v34, v72, v4, vcc
	v_add_f32_e32 v4, 1.0, v34
	v_add_f32_e32 v19, -1.0, v4
	v_sub_f32_e32 v20, v19, v4
	v_add_f32_e32 v20, 1.0, v20
	v_sub_f32_e32 v19, v34, v19
	v_add_f32_e32 v19, v19, v20
	v_frexp_mant_f32_e32 v22, v4
	v_cvt_f64_f32_e32 v[20:21], v4
	v_frexp_exp_i32_f64_e32 v20, v[20:21]
	v_cmp_gt_f32_e32 vcc, s45, v22
	v_cmp_gt_f32_e64 s[36:37], s47, v34
	s_nop 0
	v_subbrev_co_u32_e32 v28, vcc, 0, v20, vcc
	v_sub_u32_e32 v20, 0, v28
	v_ldexp_f32 v4, v4, v20
	v_ldexp_f32 v19, v19, v20
	v_add_f32_e32 v20, -1.0, v4
	v_add_f32_e32 v21, 1.0, v20
	v_sub_f32_e32 v21, v4, v21
	v_add_f32_e32 v22, v19, v21
	v_add_f32_e32 v21, 1.0, v4
	v_add_f32_e32 v23, -1.0, v21
	v_sub_f32_e32 v4, v4, v23
	v_add_f32_e32 v4, v19, v4
	v_add_f32_e32 v19, v21, v4
	v_rcp_f32_e32 v29, v19
	v_sub_f32_e32 v21, v21, v19
	v_add_f32_e32 v4, v4, v21
	v_add_f32_e32 v21, v20, v22
	v_sub_f32_e32 v20, v20, v21
	v_mul_f32_e32 v31, v21, v29
	v_add_f32_e32 v30, v22, v20
	v_mul_f32_e32 v22, v19, v31
	v_fma_f32 v24, v31, v19, -v22
	v_fmac_f32_e32 v24, v31, v4
	v_add_f32_e32 v20, v22, v24
	v_sub_f32_e32 v23, v21, v20
	v_pk_add_f32 v[26:27], v[20:21], v[22:23] neg_lo:[0,1] neg_hi:[0,1]
	v_mov_b32_e32 v25, v20
	v_pk_add_f32 v[20:21], v[26:27], v[24:25] neg_lo:[0,1] neg_hi:[0,1]
	v_cmp_eq_f32_e32 vcc, s44, v34
	v_add_f32_e32 v21, v30, v21
	v_add_f32_e32 v20, v20, v21
	;; [unrolled: 1-line block ×3, first 2 shown]
	v_mul_f32_e32 v30, v29, v21
	v_mul_f32_e32 v22, v19, v30
	v_fma_f32 v24, v30, v19, -v22
	v_fmac_f32_e32 v24, v30, v4
	v_sub_f32_e32 v4, v23, v21
	v_add_f32_e32 v4, v20, v4
	v_add_f32_e32 v20, v22, v24
	v_sub_f32_e32 v23, v21, v20
	v_pk_add_f32 v[26:27], v[20:21], v[22:23] neg_lo:[0,1] neg_hi:[0,1]
	v_mov_b32_e32 v25, v20
	v_pk_add_f32 v[20:21], v[26:27], v[24:25] neg_lo:[0,1] neg_hi:[0,1]
	s_or_b64 vcc, s[36:37], vcc
	v_add_f32_e32 v4, v4, v21
	v_add_f32_e32 v4, v20, v4
	v_add_f32_e32 v21, v31, v30
	v_add_f32_e32 v4, v23, v4
	v_sub_f32_e32 v19, v21, v31
	v_mul_f32_e32 v4, v29, v4
	v_sub_f32_e32 v19, v30, v19
	v_add_f32_e32 v4, v19, v4
	v_add_f32_e32 v22, v21, v4
	v_cvt_f32_i32_e32 v20, v28
	v_mul_f32_e32 v24, v22, v22
	v_fmamk_f32 v19, v24, 0x3e9b6dac, v71
	v_sub_f32_e32 v21, v22, v21
	v_fmaak_f32 v19, v24, v19, 0x3f2aaada
	v_sub_f32_e32 v4, v4, v21
	v_mul_f32_e32 v21, v22, v24
	v_pk_mul_f32 v[24:25], v[20:21], v[18:19]
	v_ldexp_f32 v23, v22, 1
	v_fma_f32 v22, v20, s46, -v24
	v_fmac_f32_e32 v22, 0xb102e308, v20
	v_pk_add_f32 v[20:21], v[24:25], v[22:23]
	v_ldexp_f32 v4, v4, 1
	v_sub_f32_e32 v19, v21, v23
	v_sub_f32_e32 v19, v25, v19
	v_add_f32_e32 v27, v4, v19
	v_mov_b32_e32 v26, v24
	v_pk_add_f32 v[24:25], v[20:21], v[24:25] neg_lo:[0,1] neg_hi:[0,1]
	v_pk_add_f32 v[28:29], v[20:21], v[26:27]
	v_mov_b32_e32 v23, v20
	v_mov_b32_e32 v25, v29
	v_pk_add_f32 v[30:31], v[22:23], v[24:25] neg_lo:[0,1] neg_hi:[0,1]
	v_pk_add_f32 v[22:23], v[22:23], v[24:25]
	s_nop 0
	v_mov_b32_e32 v4, v23
	v_pk_add_f32 v[24:25], v[4:5], v[20:21] neg_lo:[0,1] neg_hi:[0,1]
	v_mov_b32_e32 v22, v29
	v_mov_b32_e32 v19, v24
	v_pk_add_f32 v[32:33], v[28:29], v[18:19] neg_lo:[0,1] neg_hi:[0,1]
	v_mov_b32_e32 v28, v21
	v_mov_b32_e32 v29, v24
	;; [unrolled: 1-line block ×3, first 2 shown]
	v_pk_add_f32 v[22:23], v[22:23], v[28:29] neg_lo:[0,1] neg_hi:[0,1]
	v_mov_b32_e32 v24, v27
	v_mov_b32_e32 v25, v20
	v_pk_add_f32 v[20:21], v[24:25], v[22:23] neg_lo:[0,1] neg_hi:[0,1]
	v_mov_b32_e32 v32, v30
	v_pk_add_f32 v[22:23], v[32:33], v[20:21]
	s_nop 0
	v_mov_b32_e32 v24, v23
	v_pk_add_f32 v[24:25], v[22:23], v[24:25]
	s_nop 0
	v_pk_add_f32 v[26:27], v[4:5], v[24:25]
	v_mov_b32_e32 v21, v24
	v_mov_b32_e32 v23, v26
	v_pk_add_f32 v[28:29], v[22:23], v[30:31] neg_lo:[0,1] neg_hi:[0,1]
	s_nop 0
	v_sub_f32_e32 v4, v22, v28
	v_pk_add_f32 v[20:21], v[20:21], v[28:29] neg_lo:[0,1] neg_hi:[0,1]
	v_sub_f32_e32 v4, v30, v4
	v_add_f32_e32 v4, v20, v4
	v_add_f32_e32 v4, v4, v21
	;; [unrolled: 1-line block ×3, first 2 shown]
	v_cndmask_b32_e32 v77, v4, v34, vcc
.LBB44_45:                              ;   in Loop: Header=BB44_11 Depth=1
	s_or_b64 exec, exec, s[38:39]
	v_lshlrev_b32_e32 v4, 16, v5
	v_add_f32_e32 v78, s33, v4
	v_cmp_ge_f32_e32 vcc, s40, v78
	s_and_b64 s[36:37], s[72:73], vcc
	s_and_saveexec_b64 s[38:39], s[36:37]
	s_cbranch_execz .LBB44_47
; %bb.46:                               ;   in Loop: Header=BB44_11 Depth=1
	v_mul_f32_e32 v4, 0x3fb8aa3b, v78
	v_rndne_f32_e32 v19, v4
	v_sub_f32_e32 v20, v4, v19
	v_fma_f32 v4, v78, s41, -v4
	v_fmac_f32_e32 v4, 0x32a5705f, v78
	v_add_f32_e32 v4, v20, v4
	v_cvt_i32_f32_e32 v19, v19
	v_exp_f32_e32 v4, v4
	v_cmp_ngt_f32_e32 vcc, s42, v78
	v_ldexp_f32 v4, v4, v19
	s_nop 0
	v_cndmask_b32_e32 v4, 0, v4, vcc
	v_cmp_nlt_f32_e32 vcc, s43, v78
	s_nop 1
	v_cndmask_b32_e32 v34, v72, v4, vcc
	v_add_f32_e32 v4, 1.0, v34
	v_add_f32_e32 v19, -1.0, v4
	v_sub_f32_e32 v20, v19, v4
	v_add_f32_e32 v20, 1.0, v20
	v_sub_f32_e32 v19, v34, v19
	v_add_f32_e32 v19, v19, v20
	v_frexp_mant_f32_e32 v22, v4
	v_cvt_f64_f32_e32 v[20:21], v4
	v_frexp_exp_i32_f64_e32 v20, v[20:21]
	v_cmp_gt_f32_e32 vcc, s45, v22
	v_cmp_gt_f32_e64 s[36:37], s47, v34
	s_nop 0
	v_subbrev_co_u32_e32 v28, vcc, 0, v20, vcc
	v_sub_u32_e32 v20, 0, v28
	v_ldexp_f32 v4, v4, v20
	v_ldexp_f32 v19, v19, v20
	v_add_f32_e32 v20, -1.0, v4
	v_add_f32_e32 v21, 1.0, v20
	v_sub_f32_e32 v21, v4, v21
	v_add_f32_e32 v22, v19, v21
	v_add_f32_e32 v21, 1.0, v4
	v_add_f32_e32 v23, -1.0, v21
	v_sub_f32_e32 v4, v4, v23
	v_add_f32_e32 v4, v19, v4
	v_add_f32_e32 v19, v21, v4
	v_rcp_f32_e32 v29, v19
	v_sub_f32_e32 v21, v21, v19
	v_add_f32_e32 v4, v4, v21
	v_add_f32_e32 v21, v20, v22
	v_sub_f32_e32 v20, v20, v21
	v_mul_f32_e32 v31, v21, v29
	v_add_f32_e32 v30, v22, v20
	v_mul_f32_e32 v22, v19, v31
	v_fma_f32 v24, v31, v19, -v22
	v_fmac_f32_e32 v24, v31, v4
	v_add_f32_e32 v20, v22, v24
	v_sub_f32_e32 v23, v21, v20
	v_pk_add_f32 v[26:27], v[20:21], v[22:23] neg_lo:[0,1] neg_hi:[0,1]
	v_mov_b32_e32 v25, v20
	v_pk_add_f32 v[20:21], v[26:27], v[24:25] neg_lo:[0,1] neg_hi:[0,1]
	v_cmp_eq_f32_e32 vcc, s44, v34
	v_add_f32_e32 v21, v30, v21
	v_add_f32_e32 v20, v20, v21
	v_add_f32_e32 v21, v23, v20
	v_mul_f32_e32 v30, v29, v21
	v_mul_f32_e32 v22, v19, v30
	v_fma_f32 v24, v30, v19, -v22
	v_fmac_f32_e32 v24, v30, v4
	v_sub_f32_e32 v4, v23, v21
	v_add_f32_e32 v4, v20, v4
	v_add_f32_e32 v20, v22, v24
	v_sub_f32_e32 v23, v21, v20
	v_pk_add_f32 v[26:27], v[20:21], v[22:23] neg_lo:[0,1] neg_hi:[0,1]
	v_mov_b32_e32 v25, v20
	v_pk_add_f32 v[20:21], v[26:27], v[24:25] neg_lo:[0,1] neg_hi:[0,1]
	s_or_b64 vcc, s[36:37], vcc
	v_add_f32_e32 v4, v4, v21
	v_add_f32_e32 v4, v20, v4
	;; [unrolled: 1-line block ×4, first 2 shown]
	v_sub_f32_e32 v19, v21, v31
	v_mul_f32_e32 v4, v29, v4
	v_sub_f32_e32 v19, v30, v19
	v_add_f32_e32 v4, v19, v4
	v_add_f32_e32 v22, v21, v4
	v_cvt_f32_i32_e32 v20, v28
	v_mul_f32_e32 v24, v22, v22
	v_fmamk_f32 v19, v24, 0x3e9b6dac, v71
	v_sub_f32_e32 v21, v22, v21
	v_fmaak_f32 v19, v24, v19, 0x3f2aaada
	v_sub_f32_e32 v4, v4, v21
	v_mul_f32_e32 v21, v22, v24
	v_pk_mul_f32 v[24:25], v[20:21], v[18:19]
	v_ldexp_f32 v23, v22, 1
	v_fma_f32 v22, v20, s46, -v24
	v_fmac_f32_e32 v22, 0xb102e308, v20
	v_pk_add_f32 v[20:21], v[24:25], v[22:23]
	v_ldexp_f32 v4, v4, 1
	v_sub_f32_e32 v19, v21, v23
	v_sub_f32_e32 v19, v25, v19
	v_add_f32_e32 v27, v4, v19
	v_mov_b32_e32 v26, v24
	v_pk_add_f32 v[24:25], v[20:21], v[24:25] neg_lo:[0,1] neg_hi:[0,1]
	v_pk_add_f32 v[28:29], v[20:21], v[26:27]
	v_mov_b32_e32 v23, v20
	v_mov_b32_e32 v25, v29
	v_pk_add_f32 v[30:31], v[22:23], v[24:25] neg_lo:[0,1] neg_hi:[0,1]
	v_pk_add_f32 v[22:23], v[22:23], v[24:25]
	s_nop 0
	v_mov_b32_e32 v4, v23
	v_pk_add_f32 v[24:25], v[4:5], v[20:21] neg_lo:[0,1] neg_hi:[0,1]
	v_mov_b32_e32 v22, v29
	v_mov_b32_e32 v19, v24
	v_pk_add_f32 v[32:33], v[28:29], v[18:19] neg_lo:[0,1] neg_hi:[0,1]
	v_mov_b32_e32 v28, v21
	v_mov_b32_e32 v29, v24
	;; [unrolled: 1-line block ×3, first 2 shown]
	v_pk_add_f32 v[22:23], v[22:23], v[28:29] neg_lo:[0,1] neg_hi:[0,1]
	v_mov_b32_e32 v24, v27
	v_mov_b32_e32 v25, v20
	v_pk_add_f32 v[20:21], v[24:25], v[22:23] neg_lo:[0,1] neg_hi:[0,1]
	v_mov_b32_e32 v32, v30
	v_pk_add_f32 v[22:23], v[32:33], v[20:21]
	s_nop 0
	v_mov_b32_e32 v24, v23
	v_pk_add_f32 v[24:25], v[22:23], v[24:25]
	s_nop 0
	v_pk_add_f32 v[26:27], v[4:5], v[24:25]
	v_mov_b32_e32 v21, v24
	v_mov_b32_e32 v23, v26
	v_pk_add_f32 v[28:29], v[22:23], v[30:31] neg_lo:[0,1] neg_hi:[0,1]
	s_nop 0
	v_sub_f32_e32 v4, v22, v28
	v_pk_add_f32 v[20:21], v[20:21], v[28:29] neg_lo:[0,1] neg_hi:[0,1]
	v_sub_f32_e32 v4, v30, v4
	v_add_f32_e32 v4, v20, v4
	v_add_f32_e32 v4, v4, v21
	;; [unrolled: 1-line block ×3, first 2 shown]
	v_cndmask_b32_e32 v78, v4, v34, vcc
.LBB44_47:                              ;   in Loop: Header=BB44_11 Depth=1
	s_or_b64 exec, exec, s[38:39]
	v_and_b32_e32 v4, 0xffff0000, v5
	v_add_f32_e32 v79, s33, v4
	v_cmp_ge_f32_e32 vcc, s40, v79
	s_and_b64 s[36:37], s[72:73], vcc
	s_and_saveexec_b64 s[38:39], s[36:37]
	s_cbranch_execz .LBB44_49
; %bb.48:                               ;   in Loop: Header=BB44_11 Depth=1
	v_mul_f32_e32 v4, 0x3fb8aa3b, v79
	v_rndne_f32_e32 v5, v4
	v_sub_f32_e32 v19, v4, v5
	v_fma_f32 v4, v79, s41, -v4
	v_fmac_f32_e32 v4, 0x32a5705f, v79
	v_add_f32_e32 v4, v19, v4
	v_cvt_i32_f32_e32 v5, v5
	v_exp_f32_e32 v4, v4
	v_cmp_ngt_f32_e32 vcc, s42, v79
	v_ldexp_f32 v4, v4, v5
	s_nop 0
	v_cndmask_b32_e32 v4, 0, v4, vcc
	v_cmp_nlt_f32_e32 vcc, s43, v79
	s_nop 1
	v_cndmask_b32_e32 v34, v72, v4, vcc
	v_add_f32_e32 v19, 1.0, v34
	v_add_f32_e32 v4, -1.0, v19
	v_sub_f32_e32 v5, v4, v19
	v_add_f32_e32 v5, 1.0, v5
	v_sub_f32_e32 v4, v34, v4
	v_add_f32_e32 v20, v4, v5
	v_frexp_mant_f32_e32 v21, v19
	v_cvt_f64_f32_e32 v[4:5], v19
	v_frexp_exp_i32_f64_e32 v4, v[4:5]
	v_cmp_gt_f32_e32 vcc, s45, v21
	v_cmp_gt_f32_e64 s[36:37], s47, v34
	s_nop 0
	v_subbrev_co_u32_e32 v26, vcc, 0, v4, vcc
	v_sub_u32_e32 v4, 0, v26
	v_ldexp_f32 v5, v19, v4
	v_add_f32_e32 v19, -1.0, v5
	v_add_f32_e32 v21, 1.0, v5
	v_ldexp_f32 v4, v20, v4
	v_add_f32_e32 v20, 1.0, v19
	v_add_f32_e32 v22, -1.0, v21
	v_sub_f32_e32 v20, v5, v20
	v_sub_f32_e32 v5, v5, v22
	v_add_f32_e32 v20, v4, v20
	v_add_f32_e32 v4, v4, v5
	v_add_f32_e32 v27, v21, v4
	v_rcp_f32_e32 v29, v27
	v_sub_f32_e32 v5, v21, v27
	v_add_f32_e32 v28, v4, v5
	v_add_f32_e32 v5, v19, v20
	v_sub_f32_e32 v4, v19, v5
	v_mul_f32_e32 v30, v5, v29
	v_add_f32_e32 v19, v20, v4
	v_mul_f32_e32 v20, v27, v30
	v_fma_f32 v22, v30, v27, -v20
	v_fmac_f32_e32 v22, v30, v28
	v_add_f32_e32 v4, v20, v22
	v_sub_f32_e32 v21, v5, v4
	v_pk_add_f32 v[24:25], v[4:5], v[20:21] neg_lo:[0,1] neg_hi:[0,1]
	v_mov_b32_e32 v23, v4
	v_pk_add_f32 v[4:5], v[24:25], v[22:23] neg_lo:[0,1] neg_hi:[0,1]
	v_cmp_eq_f32_e32 vcc, s44, v34
	v_add_f32_e32 v5, v19, v5
	v_add_f32_e32 v4, v4, v5
	;; [unrolled: 1-line block ×3, first 2 shown]
	v_mul_f32_e32 v19, v29, v5
	v_mul_f32_e32 v20, v27, v19
	v_fma_f32 v22, v19, v27, -v20
	v_fmac_f32_e32 v22, v19, v28
	v_sub_f32_e32 v21, v21, v5
	v_add_f32_e32 v27, v4, v21
	v_add_f32_e32 v4, v20, v22
	v_sub_f32_e32 v21, v5, v4
	v_pk_add_f32 v[24:25], v[4:5], v[20:21] neg_lo:[0,1] neg_hi:[0,1]
	v_mov_b32_e32 v23, v4
	v_pk_add_f32 v[4:5], v[24:25], v[22:23] neg_lo:[0,1] neg_hi:[0,1]
	s_or_b64 vcc, s[36:37], vcc
	v_add_f32_e32 v5, v27, v5
	v_add_f32_e32 v4, v4, v5
	;; [unrolled: 1-line block ×4, first 2 shown]
	v_sub_f32_e32 v20, v5, v30
	v_mul_f32_e32 v4, v29, v4
	v_sub_f32_e32 v19, v19, v20
	v_add_f32_e32 v20, v19, v4
	v_add_f32_e32 v22, v5, v20
	v_mul_f32_e32 v23, v22, v22
	v_fmamk_f32 v4, v23, 0x3e9b6dac, v71
	v_fmaak_f32 v19, v23, v4, 0x3f2aaada
	v_cvt_f32_i32_e32 v4, v26
	v_sub_f32_e32 v5, v22, v5
	v_sub_f32_e32 v5, v20, v5
	v_ldexp_f32 v24, v5, 1
	v_mul_f32_e32 v5, v22, v23
	v_ldexp_f32 v21, v22, 1
	v_pk_mul_f32 v[22:23], v[4:5], v[18:19]
	s_nop 0
	v_fma_f32 v20, v4, s46, -v22
	v_fmac_f32_e32 v20, 0xb102e308, v4
	v_pk_add_f32 v[4:5], v[22:23], v[20:21]
	s_nop 0
	v_sub_f32_e32 v19, v5, v21
	v_sub_f32_e32 v19, v23, v19
	v_add_f32_e32 v25, v24, v19
	v_mov_b32_e32 v24, v22
	v_pk_add_f32 v[22:23], v[4:5], v[22:23] neg_lo:[0,1] neg_hi:[0,1]
	v_pk_add_f32 v[26:27], v[4:5], v[24:25]
	v_mov_b32_e32 v21, v4
	v_mov_b32_e32 v23, v27
	v_pk_add_f32 v[28:29], v[20:21], v[22:23] neg_lo:[0,1] neg_hi:[0,1]
	v_pk_add_f32 v[20:21], v[20:21], v[22:23]
	v_mov_b32_e32 v24, v25
	v_mov_b32_e32 v22, v21
	v_pk_add_f32 v[30:31], v[22:23], v[4:5] neg_lo:[0,1] neg_hi:[0,1]
	v_mov_b32_e32 v20, v27
	v_mov_b32_e32 v19, v30
	v_pk_add_f32 v[32:33], v[26:27], v[18:19] neg_lo:[0,1] neg_hi:[0,1]
	v_mov_b32_e32 v26, v5
	v_mov_b32_e32 v27, v30
	;; [unrolled: 1-line block ×3, first 2 shown]
	v_pk_add_f32 v[20:21], v[20:21], v[26:27] neg_lo:[0,1] neg_hi:[0,1]
	v_mov_b32_e32 v25, v4
	v_pk_add_f32 v[4:5], v[24:25], v[20:21] neg_lo:[0,1] neg_hi:[0,1]
	v_mov_b32_e32 v32, v28
	v_pk_add_f32 v[20:21], v[32:33], v[4:5]
	s_nop 0
	v_mov_b32_e32 v24, v21
	v_pk_add_f32 v[24:25], v[20:21], v[24:25]
	s_nop 0
	v_pk_add_f32 v[22:23], v[22:23], v[24:25]
	v_mov_b32_e32 v5, v24
	v_mov_b32_e32 v21, v22
	v_pk_add_f32 v[26:27], v[20:21], v[28:29] neg_lo:[0,1] neg_hi:[0,1]
	s_nop 0
	v_sub_f32_e32 v19, v20, v26
	v_pk_add_f32 v[4:5], v[4:5], v[26:27] neg_lo:[0,1] neg_hi:[0,1]
	v_sub_f32_e32 v19, v28, v19
	v_add_f32_e32 v4, v4, v19
	v_add_f32_e32 v4, v4, v5
	;; [unrolled: 1-line block ×3, first 2 shown]
	v_cndmask_b32_e32 v79, v4, v34, vcc
.LBB44_49:                              ;   in Loop: Header=BB44_11 Depth=1
	s_or_b64 exec, exec, s[38:39]
	v_lshlrev_b32_e32 v4, 16, v6
	v_add_f32_e32 v80, s33, v4
	v_cmp_ge_f32_e32 vcc, s40, v80
	s_and_b64 s[36:37], s[72:73], vcc
	s_and_saveexec_b64 s[38:39], s[36:37]
	s_cbranch_execz .LBB44_51
; %bb.50:                               ;   in Loop: Header=BB44_11 Depth=1
	v_mul_f32_e32 v4, 0x3fb8aa3b, v80
	v_rndne_f32_e32 v5, v4
	v_sub_f32_e32 v19, v4, v5
	v_fma_f32 v4, v80, s41, -v4
	v_fmac_f32_e32 v4, 0x32a5705f, v80
	v_add_f32_e32 v4, v19, v4
	v_cvt_i32_f32_e32 v5, v5
	v_exp_f32_e32 v4, v4
	v_cmp_ngt_f32_e32 vcc, s42, v80
	v_ldexp_f32 v4, v4, v5
	s_nop 0
	v_cndmask_b32_e32 v4, 0, v4, vcc
	v_cmp_nlt_f32_e32 vcc, s43, v80
	s_nop 1
	v_cndmask_b32_e32 v34, v72, v4, vcc
	v_add_f32_e32 v19, 1.0, v34
	v_add_f32_e32 v4, -1.0, v19
	v_sub_f32_e32 v5, v4, v19
	v_add_f32_e32 v5, 1.0, v5
	v_sub_f32_e32 v4, v34, v4
	v_add_f32_e32 v20, v4, v5
	v_frexp_mant_f32_e32 v21, v19
	v_cvt_f64_f32_e32 v[4:5], v19
	v_frexp_exp_i32_f64_e32 v4, v[4:5]
	v_cmp_gt_f32_e32 vcc, s45, v21
	v_cmp_gt_f32_e64 s[36:37], s47, v34
	s_nop 0
	v_subbrev_co_u32_e32 v26, vcc, 0, v4, vcc
	v_sub_u32_e32 v4, 0, v26
	v_ldexp_f32 v5, v19, v4
	v_add_f32_e32 v19, -1.0, v5
	v_add_f32_e32 v21, 1.0, v5
	v_ldexp_f32 v4, v20, v4
	v_add_f32_e32 v20, 1.0, v19
	v_add_f32_e32 v22, -1.0, v21
	v_sub_f32_e32 v20, v5, v20
	v_sub_f32_e32 v5, v5, v22
	v_add_f32_e32 v20, v4, v20
	v_add_f32_e32 v4, v4, v5
	;; [unrolled: 1-line block ×3, first 2 shown]
	v_rcp_f32_e32 v29, v27
	v_sub_f32_e32 v5, v21, v27
	v_add_f32_e32 v28, v4, v5
	v_add_f32_e32 v5, v19, v20
	v_sub_f32_e32 v4, v19, v5
	v_mul_f32_e32 v30, v5, v29
	v_add_f32_e32 v19, v20, v4
	v_mul_f32_e32 v20, v27, v30
	v_fma_f32 v22, v30, v27, -v20
	v_fmac_f32_e32 v22, v30, v28
	v_add_f32_e32 v4, v20, v22
	v_sub_f32_e32 v21, v5, v4
	v_pk_add_f32 v[24:25], v[4:5], v[20:21] neg_lo:[0,1] neg_hi:[0,1]
	v_mov_b32_e32 v23, v4
	v_pk_add_f32 v[4:5], v[24:25], v[22:23] neg_lo:[0,1] neg_hi:[0,1]
	v_cmp_eq_f32_e32 vcc, s44, v34
	v_add_f32_e32 v5, v19, v5
	v_add_f32_e32 v4, v4, v5
	;; [unrolled: 1-line block ×3, first 2 shown]
	v_mul_f32_e32 v19, v29, v5
	v_mul_f32_e32 v20, v27, v19
	v_fma_f32 v22, v19, v27, -v20
	v_fmac_f32_e32 v22, v19, v28
	v_sub_f32_e32 v21, v21, v5
	v_add_f32_e32 v27, v4, v21
	v_add_f32_e32 v4, v20, v22
	v_sub_f32_e32 v21, v5, v4
	v_pk_add_f32 v[24:25], v[4:5], v[20:21] neg_lo:[0,1] neg_hi:[0,1]
	v_mov_b32_e32 v23, v4
	v_pk_add_f32 v[4:5], v[24:25], v[22:23] neg_lo:[0,1] neg_hi:[0,1]
	s_or_b64 vcc, s[36:37], vcc
	v_add_f32_e32 v5, v27, v5
	v_add_f32_e32 v4, v4, v5
	;; [unrolled: 1-line block ×4, first 2 shown]
	v_sub_f32_e32 v20, v5, v30
	v_mul_f32_e32 v4, v29, v4
	v_sub_f32_e32 v19, v19, v20
	v_add_f32_e32 v20, v19, v4
	v_add_f32_e32 v22, v5, v20
	v_mul_f32_e32 v23, v22, v22
	v_fmamk_f32 v4, v23, 0x3e9b6dac, v71
	v_fmaak_f32 v19, v23, v4, 0x3f2aaada
	v_cvt_f32_i32_e32 v4, v26
	v_sub_f32_e32 v5, v22, v5
	v_sub_f32_e32 v5, v20, v5
	v_ldexp_f32 v24, v5, 1
	v_mul_f32_e32 v5, v22, v23
	v_ldexp_f32 v21, v22, 1
	v_pk_mul_f32 v[22:23], v[4:5], v[18:19]
	s_nop 0
	v_fma_f32 v20, v4, s46, -v22
	v_fmac_f32_e32 v20, 0xb102e308, v4
	v_pk_add_f32 v[4:5], v[22:23], v[20:21]
	s_nop 0
	v_sub_f32_e32 v19, v5, v21
	v_sub_f32_e32 v19, v23, v19
	v_add_f32_e32 v25, v24, v19
	v_mov_b32_e32 v24, v22
	v_pk_add_f32 v[22:23], v[4:5], v[22:23] neg_lo:[0,1] neg_hi:[0,1]
	v_pk_add_f32 v[26:27], v[4:5], v[24:25]
	v_mov_b32_e32 v21, v4
	v_mov_b32_e32 v23, v27
	v_pk_add_f32 v[28:29], v[20:21], v[22:23] neg_lo:[0,1] neg_hi:[0,1]
	v_pk_add_f32 v[20:21], v[20:21], v[22:23]
	v_mov_b32_e32 v24, v25
	v_mov_b32_e32 v22, v21
	v_pk_add_f32 v[30:31], v[22:23], v[4:5] neg_lo:[0,1] neg_hi:[0,1]
	v_mov_b32_e32 v20, v27
	v_mov_b32_e32 v19, v30
	v_pk_add_f32 v[32:33], v[26:27], v[18:19] neg_lo:[0,1] neg_hi:[0,1]
	v_mov_b32_e32 v26, v5
	v_mov_b32_e32 v27, v30
	;; [unrolled: 1-line block ×3, first 2 shown]
	v_pk_add_f32 v[20:21], v[20:21], v[26:27] neg_lo:[0,1] neg_hi:[0,1]
	v_mov_b32_e32 v25, v4
	v_pk_add_f32 v[4:5], v[24:25], v[20:21] neg_lo:[0,1] neg_hi:[0,1]
	v_mov_b32_e32 v32, v28
	v_pk_add_f32 v[20:21], v[32:33], v[4:5]
	s_nop 0
	v_mov_b32_e32 v24, v21
	v_pk_add_f32 v[24:25], v[20:21], v[24:25]
	s_nop 0
	v_pk_add_f32 v[22:23], v[22:23], v[24:25]
	v_mov_b32_e32 v5, v24
	v_mov_b32_e32 v21, v22
	v_pk_add_f32 v[26:27], v[20:21], v[28:29] neg_lo:[0,1] neg_hi:[0,1]
	s_nop 0
	v_sub_f32_e32 v19, v20, v26
	v_pk_add_f32 v[4:5], v[4:5], v[26:27] neg_lo:[0,1] neg_hi:[0,1]
	v_sub_f32_e32 v19, v28, v19
	v_add_f32_e32 v4, v4, v19
	v_add_f32_e32 v4, v4, v5
	;; [unrolled: 1-line block ×3, first 2 shown]
	v_cndmask_b32_e32 v80, v4, v34, vcc
.LBB44_51:                              ;   in Loop: Header=BB44_11 Depth=1
	s_or_b64 exec, exec, s[38:39]
	v_and_b32_e32 v4, 0xffff0000, v6
	v_add_f32_e32 v81, s33, v4
	v_cmp_ge_f32_e32 vcc, s40, v81
	s_and_b64 s[36:37], s[72:73], vcc
	s_and_saveexec_b64 s[38:39], s[36:37]
	s_cbranch_execz .LBB44_53
; %bb.52:                               ;   in Loop: Header=BB44_11 Depth=1
	v_mul_f32_e32 v4, 0x3fb8aa3b, v81
	v_rndne_f32_e32 v5, v4
	v_sub_f32_e32 v6, v4, v5
	v_fma_f32 v4, v81, s41, -v4
	v_fmac_f32_e32 v4, 0x32a5705f, v81
	v_add_f32_e32 v4, v6, v4
	v_cvt_i32_f32_e32 v5, v5
	v_exp_f32_e32 v4, v4
	v_cmp_ngt_f32_e32 vcc, s42, v81
	v_ldexp_f32 v4, v4, v5
	s_nop 0
	v_cndmask_b32_e32 v4, 0, v4, vcc
	v_cmp_nlt_f32_e32 vcc, s43, v81
	s_nop 1
	v_cndmask_b32_e32 v32, v72, v4, vcc
	v_add_f32_e32 v6, 1.0, v32
	v_add_f32_e32 v4, -1.0, v6
	v_sub_f32_e32 v5, v4, v6
	v_add_f32_e32 v5, 1.0, v5
	v_sub_f32_e32 v4, v32, v4
	v_add_f32_e32 v19, v4, v5
	v_frexp_mant_f32_e32 v20, v6
	v_cvt_f64_f32_e32 v[4:5], v6
	v_frexp_exp_i32_f64_e32 v4, v[4:5]
	v_cmp_gt_f32_e32 vcc, s45, v20
	v_cmp_gt_f32_e64 s[36:37], s47, v32
	s_nop 0
	v_subbrev_co_u32_e32 v26, vcc, 0, v4, vcc
	v_sub_u32_e32 v4, 0, v26
	v_ldexp_f32 v5, v6, v4
	v_add_f32_e32 v6, -1.0, v5
	v_add_f32_e32 v20, 1.0, v5
	v_ldexp_f32 v4, v19, v4
	v_add_f32_e32 v19, 1.0, v6
	v_add_f32_e32 v21, -1.0, v20
	v_sub_f32_e32 v19, v5, v19
	v_sub_f32_e32 v5, v5, v21
	v_add_f32_e32 v19, v4, v19
	v_add_f32_e32 v4, v4, v5
	;; [unrolled: 1-line block ×3, first 2 shown]
	v_rcp_f32_e32 v29, v27
	v_sub_f32_e32 v5, v20, v27
	v_add_f32_e32 v28, v4, v5
	v_add_f32_e32 v5, v6, v19
	v_sub_f32_e32 v4, v6, v5
	v_add_f32_e32 v6, v19, v4
	v_mul_f32_e32 v19, v5, v29
	v_mul_f32_e32 v20, v27, v19
	v_fma_f32 v22, v19, v27, -v20
	v_fmac_f32_e32 v22, v19, v28
	v_add_f32_e32 v4, v20, v22
	v_sub_f32_e32 v21, v5, v4
	v_pk_add_f32 v[24:25], v[4:5], v[20:21] neg_lo:[0,1] neg_hi:[0,1]
	v_mov_b32_e32 v23, v4
	v_pk_add_f32 v[4:5], v[24:25], v[22:23] neg_lo:[0,1] neg_hi:[0,1]
	v_cmp_eq_f32_e32 vcc, s44, v32
	v_add_f32_e32 v5, v6, v5
	v_add_f32_e32 v4, v4, v5
	v_add_f32_e32 v5, v21, v4
	v_mul_f32_e32 v6, v29, v5
	v_mul_f32_e32 v20, v27, v6
	v_fma_f32 v22, v6, v27, -v20
	v_fmac_f32_e32 v22, v6, v28
	v_sub_f32_e32 v21, v21, v5
	v_add_f32_e32 v27, v4, v21
	v_add_f32_e32 v4, v20, v22
	v_sub_f32_e32 v21, v5, v4
	v_pk_add_f32 v[24:25], v[4:5], v[20:21] neg_lo:[0,1] neg_hi:[0,1]
	v_mov_b32_e32 v23, v4
	v_pk_add_f32 v[4:5], v[24:25], v[22:23] neg_lo:[0,1] neg_hi:[0,1]
	s_or_b64 vcc, s[36:37], vcc
	v_add_f32_e32 v5, v27, v5
	v_add_f32_e32 v4, v4, v5
	;; [unrolled: 1-line block ×4, first 2 shown]
	v_sub_f32_e32 v19, v5, v19
	v_mul_f32_e32 v4, v29, v4
	v_sub_f32_e32 v6, v6, v19
	v_add_f32_e32 v6, v6, v4
	v_add_f32_e32 v20, v5, v6
	v_mul_f32_e32 v22, v20, v20
	v_fmamk_f32 v4, v22, 0x3e9b6dac, v71
	v_fmaak_f32 v19, v22, v4, 0x3f2aaada
	v_cvt_f32_i32_e32 v4, v26
	v_sub_f32_e32 v5, v20, v5
	v_sub_f32_e32 v5, v6, v5
	v_ldexp_f32 v6, v5, 1
	v_mul_f32_e32 v5, v20, v22
	v_pk_mul_f32 v[22:23], v[4:5], v[18:19]
	v_ldexp_f32 v21, v20, 1
	v_fma_f32 v20, v4, s46, -v22
	v_fmac_f32_e32 v20, 0xb102e308, v4
	v_pk_add_f32 v[4:5], v[22:23], v[20:21]
	v_mov_b32_e32 v24, v22
	v_sub_f32_e32 v19, v5, v21
	v_sub_f32_e32 v19, v23, v19
	v_add_f32_e32 v25, v6, v19
	v_pk_add_f32 v[22:23], v[4:5], v[22:23] neg_lo:[0,1] neg_hi:[0,1]
	v_pk_add_f32 v[26:27], v[4:5], v[24:25]
	v_mov_b32_e32 v21, v4
	v_mov_b32_e32 v23, v27
	v_pk_add_f32 v[28:29], v[20:21], v[22:23] neg_lo:[0,1] neg_hi:[0,1]
	v_pk_add_f32 v[20:21], v[20:21], v[22:23]
	s_nop 0
	v_mov_b32_e32 v6, v21
	v_pk_add_f32 v[22:23], v[6:7], v[4:5] neg_lo:[0,1] neg_hi:[0,1]
	v_mov_b32_e32 v20, v27
	v_mov_b32_e32 v19, v22
	v_pk_add_f32 v[30:31], v[26:27], v[18:19] neg_lo:[0,1] neg_hi:[0,1]
	v_mov_b32_e32 v26, v5
	v_mov_b32_e32 v27, v22
	;; [unrolled: 1-line block ×3, first 2 shown]
	v_pk_add_f32 v[20:21], v[20:21], v[26:27] neg_lo:[0,1] neg_hi:[0,1]
	v_mov_b32_e32 v22, v25
	v_mov_b32_e32 v23, v4
	v_pk_add_f32 v[4:5], v[22:23], v[20:21] neg_lo:[0,1] neg_hi:[0,1]
	v_mov_b32_e32 v30, v28
	v_pk_add_f32 v[20:21], v[30:31], v[4:5]
	s_nop 0
	v_mov_b32_e32 v22, v21
	v_pk_add_f32 v[22:23], v[20:21], v[22:23]
	s_nop 0
	v_pk_add_f32 v[24:25], v[6:7], v[22:23]
	v_mov_b32_e32 v5, v22
	v_mov_b32_e32 v21, v24
	v_pk_add_f32 v[26:27], v[20:21], v[28:29] neg_lo:[0,1] neg_hi:[0,1]
	s_nop 0
	v_sub_f32_e32 v6, v20, v26
	v_pk_add_f32 v[4:5], v[4:5], v[26:27] neg_lo:[0,1] neg_hi:[0,1]
	v_sub_f32_e32 v6, v28, v6
	v_add_f32_e32 v4, v4, v6
	v_add_f32_e32 v4, v4, v5
	;; [unrolled: 1-line block ×3, first 2 shown]
	v_cndmask_b32_e32 v81, v4, v32, vcc
.LBB44_53:                              ;   in Loop: Header=BB44_11 Depth=1
	s_or_b64 exec, exec, s[38:39]
	v_lshlrev_b32_e32 v4, 16, v7
	v_add_f32_e32 v82, s33, v4
	v_cmp_ge_f32_e32 vcc, s40, v82
	s_and_b64 s[36:37], s[72:73], vcc
	s_and_saveexec_b64 s[38:39], s[36:37]
	s_cbranch_execz .LBB44_55
; %bb.54:                               ;   in Loop: Header=BB44_11 Depth=1
	v_mul_f32_e32 v4, 0x3fb8aa3b, v82
	v_rndne_f32_e32 v5, v4
	v_sub_f32_e32 v6, v4, v5
	v_fma_f32 v4, v82, s41, -v4
	v_fmac_f32_e32 v4, 0x32a5705f, v82
	v_add_f32_e32 v4, v6, v4
	v_cvt_i32_f32_e32 v5, v5
	v_exp_f32_e32 v4, v4
	v_cmp_ngt_f32_e32 vcc, s42, v82
	v_ldexp_f32 v4, v4, v5
	s_nop 0
	v_cndmask_b32_e32 v4, 0, v4, vcc
	v_cmp_nlt_f32_e32 vcc, s43, v82
	s_nop 1
	v_cndmask_b32_e32 v32, v72, v4, vcc
	v_add_f32_e32 v6, 1.0, v32
	v_add_f32_e32 v4, -1.0, v6
	v_sub_f32_e32 v5, v4, v6
	v_add_f32_e32 v5, 1.0, v5
	v_sub_f32_e32 v4, v32, v4
	v_add_f32_e32 v19, v4, v5
	v_frexp_mant_f32_e32 v20, v6
	v_cvt_f64_f32_e32 v[4:5], v6
	v_frexp_exp_i32_f64_e32 v4, v[4:5]
	v_cmp_gt_f32_e32 vcc, s45, v20
	v_cmp_gt_f32_e64 s[36:37], s47, v32
	s_nop 0
	v_subbrev_co_u32_e32 v26, vcc, 0, v4, vcc
	v_sub_u32_e32 v4, 0, v26
	v_ldexp_f32 v5, v6, v4
	v_add_f32_e32 v6, -1.0, v5
	v_add_f32_e32 v20, 1.0, v5
	v_ldexp_f32 v4, v19, v4
	v_add_f32_e32 v19, 1.0, v6
	v_add_f32_e32 v21, -1.0, v20
	v_sub_f32_e32 v19, v5, v19
	v_sub_f32_e32 v5, v5, v21
	v_add_f32_e32 v19, v4, v19
	v_add_f32_e32 v4, v4, v5
	v_add_f32_e32 v27, v20, v4
	v_rcp_f32_e32 v29, v27
	v_sub_f32_e32 v5, v20, v27
	v_add_f32_e32 v28, v4, v5
	v_add_f32_e32 v5, v6, v19
	v_sub_f32_e32 v4, v6, v5
	v_add_f32_e32 v6, v19, v4
	v_mul_f32_e32 v19, v5, v29
	v_mul_f32_e32 v20, v27, v19
	v_fma_f32 v22, v19, v27, -v20
	v_fmac_f32_e32 v22, v19, v28
	v_add_f32_e32 v4, v20, v22
	v_sub_f32_e32 v21, v5, v4
	v_pk_add_f32 v[24:25], v[4:5], v[20:21] neg_lo:[0,1] neg_hi:[0,1]
	v_mov_b32_e32 v23, v4
	v_pk_add_f32 v[4:5], v[24:25], v[22:23] neg_lo:[0,1] neg_hi:[0,1]
	v_cmp_eq_f32_e32 vcc, s44, v32
	v_add_f32_e32 v5, v6, v5
	v_add_f32_e32 v4, v4, v5
	;; [unrolled: 1-line block ×3, first 2 shown]
	v_mul_f32_e32 v6, v29, v5
	v_mul_f32_e32 v20, v27, v6
	v_fma_f32 v22, v6, v27, -v20
	v_fmac_f32_e32 v22, v6, v28
	v_sub_f32_e32 v21, v21, v5
	v_add_f32_e32 v27, v4, v21
	v_add_f32_e32 v4, v20, v22
	v_sub_f32_e32 v21, v5, v4
	v_pk_add_f32 v[24:25], v[4:5], v[20:21] neg_lo:[0,1] neg_hi:[0,1]
	v_mov_b32_e32 v23, v4
	v_pk_add_f32 v[4:5], v[24:25], v[22:23] neg_lo:[0,1] neg_hi:[0,1]
	s_or_b64 vcc, s[36:37], vcc
	v_add_f32_e32 v5, v27, v5
	v_add_f32_e32 v4, v4, v5
	;; [unrolled: 1-line block ×4, first 2 shown]
	v_sub_f32_e32 v19, v5, v19
	v_mul_f32_e32 v4, v29, v4
	v_sub_f32_e32 v6, v6, v19
	v_add_f32_e32 v6, v6, v4
	v_add_f32_e32 v20, v5, v6
	v_mul_f32_e32 v22, v20, v20
	v_fmamk_f32 v4, v22, 0x3e9b6dac, v71
	v_fmaak_f32 v19, v22, v4, 0x3f2aaada
	v_cvt_f32_i32_e32 v4, v26
	v_sub_f32_e32 v5, v20, v5
	v_sub_f32_e32 v5, v6, v5
	v_ldexp_f32 v6, v5, 1
	v_mul_f32_e32 v5, v20, v22
	v_pk_mul_f32 v[22:23], v[4:5], v[18:19]
	v_ldexp_f32 v21, v20, 1
	v_fma_f32 v20, v4, s46, -v22
	v_fmac_f32_e32 v20, 0xb102e308, v4
	v_pk_add_f32 v[4:5], v[22:23], v[20:21]
	v_mov_b32_e32 v24, v22
	v_sub_f32_e32 v19, v5, v21
	v_sub_f32_e32 v19, v23, v19
	v_add_f32_e32 v25, v6, v19
	v_pk_add_f32 v[22:23], v[4:5], v[22:23] neg_lo:[0,1] neg_hi:[0,1]
	v_pk_add_f32 v[26:27], v[4:5], v[24:25]
	v_mov_b32_e32 v21, v4
	v_mov_b32_e32 v23, v27
	v_pk_add_f32 v[28:29], v[20:21], v[22:23] neg_lo:[0,1] neg_hi:[0,1]
	v_pk_add_f32 v[20:21], v[20:21], v[22:23]
	s_nop 0
	v_mov_b32_e32 v6, v21
	v_pk_add_f32 v[22:23], v[6:7], v[4:5] neg_lo:[0,1] neg_hi:[0,1]
	v_mov_b32_e32 v20, v27
	v_mov_b32_e32 v19, v22
	v_pk_add_f32 v[30:31], v[26:27], v[18:19] neg_lo:[0,1] neg_hi:[0,1]
	v_mov_b32_e32 v26, v5
	v_mov_b32_e32 v27, v22
	;; [unrolled: 1-line block ×3, first 2 shown]
	v_pk_add_f32 v[20:21], v[20:21], v[26:27] neg_lo:[0,1] neg_hi:[0,1]
	v_mov_b32_e32 v22, v25
	v_mov_b32_e32 v23, v4
	v_pk_add_f32 v[4:5], v[22:23], v[20:21] neg_lo:[0,1] neg_hi:[0,1]
	v_mov_b32_e32 v30, v28
	v_pk_add_f32 v[20:21], v[30:31], v[4:5]
	s_nop 0
	v_mov_b32_e32 v22, v21
	v_pk_add_f32 v[22:23], v[20:21], v[22:23]
	s_nop 0
	v_pk_add_f32 v[24:25], v[6:7], v[22:23]
	v_mov_b32_e32 v5, v22
	v_mov_b32_e32 v21, v24
	v_pk_add_f32 v[26:27], v[20:21], v[28:29] neg_lo:[0,1] neg_hi:[0,1]
	s_nop 0
	v_sub_f32_e32 v6, v20, v26
	v_pk_add_f32 v[4:5], v[4:5], v[26:27] neg_lo:[0,1] neg_hi:[0,1]
	v_sub_f32_e32 v6, v28, v6
	v_add_f32_e32 v4, v4, v6
	v_add_f32_e32 v4, v4, v5
	v_add_f32_e32 v4, v24, v4
	v_cndmask_b32_e32 v82, v4, v32, vcc
.LBB44_55:                              ;   in Loop: Header=BB44_11 Depth=1
	s_or_b64 exec, exec, s[38:39]
	v_and_b32_e32 v4, 0xffff0000, v7
	v_add_f32_e32 v19, s33, v4
	v_cmp_ge_f32_e32 vcc, s40, v19
	s_and_b64 s[36:37], s[72:73], vcc
	s_and_saveexec_b64 s[38:39], s[36:37]
	s_cbranch_execz .LBB44_57
; %bb.56:                               ;   in Loop: Header=BB44_11 Depth=1
	v_mul_f32_e32 v4, 0x3fb8aa3b, v19
	v_rndne_f32_e32 v5, v4
	v_sub_f32_e32 v6, v4, v5
	v_fma_f32 v4, v19, s41, -v4
	v_fmac_f32_e32 v4, 0x32a5705f, v19
	v_add_f32_e32 v4, v6, v4
	v_cvt_i32_f32_e32 v5, v5
	v_exp_f32_e32 v4, v4
	v_cmp_ngt_f32_e32 vcc, s42, v19
	v_ldexp_f32 v4, v4, v5
	s_nop 0
	v_cndmask_b32_e32 v4, 0, v4, vcc
	v_cmp_nlt_f32_e32 vcc, s43, v19
	s_nop 1
	v_cndmask_b32_e32 v32, v72, v4, vcc
	v_add_f32_e32 v6, 1.0, v32
	v_add_f32_e32 v4, -1.0, v6
	v_sub_f32_e32 v5, v4, v6
	v_add_f32_e32 v5, 1.0, v5
	v_sub_f32_e32 v4, v32, v4
	v_add_f32_e32 v7, v4, v5
	v_frexp_mant_f32_e32 v19, v6
	v_cvt_f64_f32_e32 v[4:5], v6
	v_frexp_exp_i32_f64_e32 v4, v[4:5]
	v_cmp_gt_f32_e32 vcc, s45, v19
	v_cmp_gt_f32_e64 s[36:37], s47, v32
	s_nop 0
	v_subbrev_co_u32_e32 v24, vcc, 0, v4, vcc
	v_sub_u32_e32 v4, 0, v24
	v_ldexp_f32 v5, v6, v4
	v_add_f32_e32 v6, -1.0, v5
	v_add_f32_e32 v19, 1.0, v5
	v_ldexp_f32 v4, v7, v4
	v_add_f32_e32 v7, 1.0, v6
	v_add_f32_e32 v20, -1.0, v19
	v_sub_f32_e32 v7, v5, v7
	v_sub_f32_e32 v5, v5, v20
	v_add_f32_e32 v7, v4, v7
	v_add_f32_e32 v4, v4, v5
	;; [unrolled: 1-line block ×3, first 2 shown]
	v_rcp_f32_e32 v26, v25
	v_sub_f32_e32 v5, v19, v25
	v_add_f32_e32 v19, v4, v5
	v_add_f32_e32 v5, v6, v7
	v_mul_f32_e32 v28, v5, v26
	v_sub_f32_e32 v4, v6, v5
	v_mul_f32_e32 v6, v25, v28
	v_fma_f32 v20, v28, v25, -v6
	v_fmac_f32_e32 v20, v28, v19
	v_add_f32_e32 v27, v7, v4
	v_add_f32_e32 v4, v6, v20
	v_sub_f32_e32 v7, v5, v4
	v_pk_add_f32 v[22:23], v[4:5], v[6:7] neg_lo:[0,1] neg_hi:[0,1]
	v_mov_b32_e32 v21, v4
	v_pk_add_f32 v[4:5], v[22:23], v[20:21] neg_lo:[0,1] neg_hi:[0,1]
	v_cmp_eq_f32_e32 vcc, s44, v32
	v_add_f32_e32 v5, v27, v5
	v_add_f32_e32 v4, v4, v5
	;; [unrolled: 1-line block ×3, first 2 shown]
	v_mul_f32_e32 v27, v26, v5
	v_mul_f32_e32 v6, v25, v27
	v_fma_f32 v20, v27, v25, -v6
	v_fmac_f32_e32 v20, v27, v19
	v_sub_f32_e32 v7, v7, v5
	v_add_f32_e32 v19, v4, v7
	v_add_f32_e32 v4, v6, v20
	v_sub_f32_e32 v7, v5, v4
	v_pk_add_f32 v[22:23], v[4:5], v[6:7] neg_lo:[0,1] neg_hi:[0,1]
	v_mov_b32_e32 v21, v4
	v_pk_add_f32 v[4:5], v[22:23], v[20:21] neg_lo:[0,1] neg_hi:[0,1]
	s_or_b64 vcc, s[36:37], vcc
	v_add_f32_e32 v5, v19, v5
	v_add_f32_e32 v4, v4, v5
	;; [unrolled: 1-line block ×4, first 2 shown]
	v_sub_f32_e32 v6, v5, v28
	v_mul_f32_e32 v4, v26, v4
	v_sub_f32_e32 v6, v27, v6
	v_add_f32_e32 v6, v6, v4
	v_add_f32_e32 v20, v5, v6
	v_mul_f32_e32 v21, v20, v20
	v_fmamk_f32 v4, v21, 0x3e9b6dac, v71
	v_fmaak_f32 v19, v21, v4, 0x3f2aaada
	v_cvt_f32_i32_e32 v4, v24
	v_sub_f32_e32 v5, v20, v5
	v_sub_f32_e32 v5, v6, v5
	v_ldexp_f32 v22, v5, 1
	v_mul_f32_e32 v5, v20, v21
	v_ldexp_f32 v7, v20, 1
	v_pk_mul_f32 v[20:21], v[4:5], v[18:19]
	s_nop 0
	v_fma_f32 v6, v4, s46, -v20
	v_fmac_f32_e32 v6, 0xb102e308, v4
	v_pk_add_f32 v[4:5], v[20:21], v[6:7]
	s_nop 0
	v_sub_f32_e32 v7, v5, v7
	v_sub_f32_e32 v7, v21, v7
	v_add_f32_e32 v23, v22, v7
	v_mov_b32_e32 v22, v20
	v_pk_add_f32 v[20:21], v[4:5], v[20:21] neg_lo:[0,1] neg_hi:[0,1]
	v_pk_add_f32 v[24:25], v[4:5], v[22:23]
	v_mov_b32_e32 v7, v4
	v_mov_b32_e32 v21, v25
	v_pk_add_f32 v[26:27], v[6:7], v[20:21] neg_lo:[0,1] neg_hi:[0,1]
	v_pk_add_f32 v[6:7], v[6:7], v[20:21]
	v_mov_b32_e32 v22, v23
	v_mov_b32_e32 v20, v7
	v_pk_add_f32 v[28:29], v[20:21], v[4:5] neg_lo:[0,1] neg_hi:[0,1]
	v_mov_b32_e32 v6, v25
	v_mov_b32_e32 v19, v28
	v_pk_add_f32 v[30:31], v[24:25], v[18:19] neg_lo:[0,1] neg_hi:[0,1]
	v_mov_b32_e32 v24, v5
	v_mov_b32_e32 v25, v28
	;; [unrolled: 1-line block ×3, first 2 shown]
	v_pk_add_f32 v[6:7], v[6:7], v[24:25] neg_lo:[0,1] neg_hi:[0,1]
	v_mov_b32_e32 v23, v4
	v_pk_add_f32 v[4:5], v[22:23], v[6:7] neg_lo:[0,1] neg_hi:[0,1]
	v_mov_b32_e32 v30, v26
	v_pk_add_f32 v[6:7], v[30:31], v[4:5]
	s_nop 0
	v_mov_b32_e32 v22, v7
	v_pk_add_f32 v[22:23], v[6:7], v[22:23]
	s_nop 0
	v_pk_add_f32 v[20:21], v[20:21], v[22:23]
	v_mov_b32_e32 v5, v22
	v_mov_b32_e32 v7, v20
	v_pk_add_f32 v[24:25], v[6:7], v[26:27] neg_lo:[0,1] neg_hi:[0,1]
	s_nop 0
	v_sub_f32_e32 v6, v6, v24
	v_pk_add_f32 v[4:5], v[4:5], v[24:25] neg_lo:[0,1] neg_hi:[0,1]
	v_sub_f32_e32 v6, v26, v6
	v_add_f32_e32 v4, v4, v6
	v_add_f32_e32 v4, v4, v5
	;; [unrolled: 1-line block ×3, first 2 shown]
	v_cndmask_b32_e32 v19, v4, v32, vcc
.LBB44_57:                              ;   in Loop: Header=BB44_11 Depth=1
	s_or_b64 exec, exec, s[38:39]
	v_readlane_b32 s36, v95, 1
	v_lshlrev_b32_e32 v4, 16, v3
	v_and_b32_e32 v7, 0xffff0000, v3
	v_and_b32_e32 v3, 0xffff0000, v2
	v_lshlrev_b32_e32 v2, 16, v2
	v_and_b32_e32 v5, 0xffff0000, v1
	v_lshlrev_b32_e32 v1, 16, v1
	;; [unrolled: 2-line block ×3, first 2 shown]
	v_readlane_b32 s37, v95, 2
	v_mul_f32_e32 v20, s92, v4
	v_mul_f32_e32 v23, s92, v3
	;; [unrolled: 1-line block ×8, first 2 shown]
	s_and_b64 vcc, exec, s[36:37]
	s_waitcnt lgkmcnt(0)
	; wave barrier
	s_cbranch_vccz .LBB44_118
; %bb.58:                               ;   in Loop: Header=BB44_11 Depth=1
	s_cmp_lg_u32 s99, 0
	v_readlane_b32 s36, v95, 5
	v_mul_f32_e32 v90, v76, v0
	s_cselect_b64 s[78:79], -1, 0
	s_cmp_eq_u32 s99, s36
	v_cmp_gt_u32_e32 vcc, s50, v11
	v_or_b32_e32 v0, 1, v11
	s_cselect_b64 s[80:81], -1, 0
	s_or_b64 s[36:37], s[76:77], vcc
	v_cmp_gt_u32_e32 vcc, s50, v0
	v_or_b32_e32 v0, 2, v11
	s_or_b64 s[38:39], s[76:77], vcc
	v_cmp_gt_u32_e32 vcc, s50, v0
	v_or_b32_e32 v0, 3, v11
	;; [unrolled: 3-line block ×6, first 2 shown]
	s_mov_b32 s70, 0
	s_or_b64 s[48:49], s[76:77], vcc
	v_cmp_gt_u32_e32 vcc, s50, v0
	v_mul_f32_e32 v83, v19, v7
	v_lshl_add_u64 v[28:29], s[54:55], 0, v[8:9]
	v_lshl_add_u64 v[30:31], s[58:59], 0, v[8:9]
	v_mul_f32_e32 v84, v82, v4
	v_mul_f32_e32 v85, v81, v3
	v_mul_f32_e32 v86, v80, v2
	v_mul_f32_e32 v87, v79, v5
	v_mul_f32_e32 v88, v78, v1
	v_mul_f32_e32 v89, v77, v6
	s_or_b64 s[50:51], s[76:77], vcc
	s_mov_b32 s82, s70
	s_mov_b32 s84, s70
	;; [unrolled: 1-line block ×3, first 2 shown]
	v_readlane_b32 s67, v95, 0
	v_readlane_b32 s75, v95, 6
	s_branch .LBB44_60
.LBB44_59:                              ;   in Loop: Header=BB44_60 Depth=2
	s_or_b64 exec, exec, s[88:89]
	v_mul_f32_e32 v32, v91, v68
	v_fma_f32 v33, v91, v69, v4
	v_cndmask_b32_e64 v4, v33, v4, s[16:17]
	v_cndmask_b32_e64 v32, v32, v91, s[16:17]
	s_waitcnt lgkmcnt(0)
	v_fmac_f32_e32 v4, v38, v32
	v_fmac_f32_e32 v5, v4, v92
	;; [unrolled: 1-line block ×8, first 2 shown]
	v_and_b32_e32 v33, 0xffff0000, v0
	v_and_b32_e32 v39, 0xffff0000, v1
	v_lshlrev_b32_e32 v32, 16, v0
	v_lshlrev_b32_e32 v38, 16, v1
	v_and_b32_e32 v1, 0xffff0000, v2
	v_and_b32_e32 v65, 0xffff0000, v3
	v_lshlrev_b32_e32 v0, 16, v2
	v_lshlrev_b32_e32 v64, 16, v3
	s_add_i32 s75, s75, 8
	s_add_i32 s67, s67, -1
	s_add_i32 s86, s86, s94
	s_add_i32 s84, s84, s60
	;; [unrolled: 1-line block ×4, first 2 shown]
	v_pk_fma_f32 v[24:25], v[34:35], v[38:39], v[24:25]
	v_pk_fma_f32 v[26:27], v[4:5], v[32:33], v[26:27]
	;; [unrolled: 1-line block ×3, first 2 shown]
	s_cmp_eq_u32 s67, 0
	v_pk_fma_f32 v[22:23], v[6:7], v[0:1], v[22:23]
	s_cbranch_scc1 .LBB44_117
.LBB44_60:                              ;   Parent Loop BB44_11 Depth=1
                                        ; =>  This Inner Loop Header: Depth=2
	s_lshl_b64 s[88:89], s[70:71], 2
	s_add_u32 s88, s52, s88
	s_addc_u32 s89, s96, s89
	global_load_dword v34, v9, s[88:89]
	s_mov_b32 s83, s71
	v_lshl_add_u64 v[0:1], s[82:83], 1, v[28:29]
	v_mov_b32_e32 v2, 0
	v_mov_b32_e32 v3, 0
	s_and_saveexec_b64 s[88:89], s[18:19]
	s_cbranch_execz .LBB44_62
; %bb.61:                               ;   in Loop: Header=BB44_60 Depth=2
	global_load_ushort v3, v[0:1], off
.LBB44_62:                              ;   in Loop: Header=BB44_60 Depth=2
	s_or_b64 exec, exec, s[88:89]
	s_and_saveexec_b64 s[88:89], s[20:21]
	s_cbranch_execz .LBB44_64
; %bb.63:                               ;   in Loop: Header=BB44_60 Depth=2
	global_load_ushort v2, v[0:1], off offset:128
.LBB44_64:                              ;   in Loop: Header=BB44_60 Depth=2
	s_or_b64 exec, exec, s[88:89]
	v_mov_b32_e32 v4, 0
	v_mov_b32_e32 v5, 0
	s_and_saveexec_b64 s[88:89], s[22:23]
	s_cbranch_execz .LBB44_66
; %bb.65:                               ;   in Loop: Header=BB44_60 Depth=2
	global_load_ushort v5, v[0:1], off offset:256
.LBB44_66:                              ;   in Loop: Header=BB44_60 Depth=2
	s_or_b64 exec, exec, s[88:89]
	s_and_saveexec_b64 s[88:89], s[24:25]
	s_cbranch_execz .LBB44_68
; %bb.67:                               ;   in Loop: Header=BB44_60 Depth=2
	global_load_ushort v4, v[0:1], off offset:384
.LBB44_68:                              ;   in Loop: Header=BB44_60 Depth=2
	s_or_b64 exec, exec, s[88:89]
	v_mov_b32_e32 v6, 0
	v_mov_b32_e32 v7, 0
	s_and_saveexec_b64 s[88:89], s[26:27]
	s_cbranch_execz .LBB44_70
; %bb.69:                               ;   in Loop: Header=BB44_60 Depth=2
	global_load_ushort v7, v[0:1], off offset:512
.LBB44_70:                              ;   in Loop: Header=BB44_60 Depth=2
	;; [unrolled: 14-line block ×3, first 2 shown]
	s_or_b64 exec, exec, s[88:89]
	s_and_saveexec_b64 s[88:89], s[34:35]
	s_cbranch_execz .LBB44_76
; %bb.75:                               ;   in Loop: Header=BB44_60 Depth=2
	global_load_ushort v32, v[0:1], off offset:896
.LBB44_76:                              ;   in Loop: Header=BB44_60 Depth=2
	s_or_b64 exec, exec, s[88:89]
	s_waitcnt vmcnt(0)
	ds_write_b16 v47, v3
	ds_write_b16 v48, v2 offset:128
	ds_write_b16 v49, v5 offset:256
	;; [unrolled: 1-line block ×7, first 2 shown]
	; wave barrier
	ds_read_b128 v[4:7], v55
	s_mov_b32 s85, s71
	v_lshl_add_u64 v[0:1], s[84:85], 1, v[30:31]
	v_mov_b32_e32 v2, 0
	v_mov_b32_e32 v3, 0
	s_and_saveexec_b64 s[88:89], s[18:19]
	s_cbranch_execz .LBB44_78
; %bb.77:                               ;   in Loop: Header=BB44_60 Depth=2
	global_load_ushort v3, v[0:1], off
.LBB44_78:                              ;   in Loop: Header=BB44_60 Depth=2
	s_or_b64 exec, exec, s[88:89]
	s_and_saveexec_b64 s[88:89], s[20:21]
	s_cbranch_execz .LBB44_80
; %bb.79:                               ;   in Loop: Header=BB44_60 Depth=2
	global_load_ushort v2, v[0:1], off offset:128
.LBB44_80:                              ;   in Loop: Header=BB44_60 Depth=2
	s_or_b64 exec, exec, s[88:89]
	v_mov_b32_e32 v32, 0
	v_mov_b32_e32 v33, 0
	s_and_saveexec_b64 s[88:89], s[22:23]
	s_cbranch_execz .LBB44_82
; %bb.81:                               ;   in Loop: Header=BB44_60 Depth=2
	global_load_ushort v33, v[0:1], off offset:256
.LBB44_82:                              ;   in Loop: Header=BB44_60 Depth=2
	s_or_b64 exec, exec, s[88:89]
	s_and_saveexec_b64 s[88:89], s[24:25]
	s_cbranch_execz .LBB44_84
; %bb.83:                               ;   in Loop: Header=BB44_60 Depth=2
	global_load_ushort v32, v[0:1], off offset:384
.LBB44_84:                              ;   in Loop: Header=BB44_60 Depth=2
	s_or_b64 exec, exec, s[88:89]
	v_mov_b32_e32 v35, 0
	v_mov_b32_e32 v36, 0
	s_and_saveexec_b64 s[88:89], s[26:27]
	s_cbranch_execz .LBB44_86
; %bb.85:                               ;   in Loop: Header=BB44_60 Depth=2
	global_load_ushort v36, v[0:1], off offset:512
.LBB44_86:                              ;   in Loop: Header=BB44_60 Depth=2
	;; [unrolled: 14-line block ×3, first 2 shown]
	s_or_b64 exec, exec, s[88:89]
	s_and_saveexec_b64 s[88:89], s[34:35]
	s_cbranch_execz .LBB44_92
; %bb.91:                               ;   in Loop: Header=BB44_60 Depth=2
	global_load_ushort v37, v[0:1], off offset:896
.LBB44_92:                              ;   in Loop: Header=BB44_60 Depth=2
	s_or_b64 exec, exec, s[88:89]
	s_waitcnt vmcnt(0)
	ds_write_b16 v47, v3 offset:1056
	ds_write_b16 v56, v2 offset:128
	;; [unrolled: 1-line block ×8, first 2 shown]
	; wave barrier
	ds_read_b128 v[0:3], v55 offset:1056
	s_andn2_b64 vcc, exec, s[78:79]
	s_cbranch_vccnz .LBB44_94
; %bb.93:                               ;   in Loop: Header=BB44_60 Depth=2
	v_mov_b32_e32 v32, s75
	ds_read_b64 v[32:33], v32
	s_cbranch_execz .LBB44_95
	s_branch .LBB44_98
.LBB44_94:                              ;   in Loop: Header=BB44_60 Depth=2
                                        ; implicit-def: $vgpr33
.LBB44_95:                              ;   in Loop: Header=BB44_60 Depth=2
	s_andn2_b64 vcc, exec, s[68:69]
	s_waitcnt lgkmcnt(0)
	v_mov_b32_e32 v33, 0
	s_cbranch_vccnz .LBB44_97
; %bb.96:                               ;   in Loop: Header=BB44_60 Depth=2
	s_mov_b32 s87, s71
	s_lshl_b64 s[88:89], s[86:87], 2
	s_add_u32 s88, s57, s88
	s_addc_u32 s89, s61, s89
	global_load_dword v33, v9, s[88:89]
.LBB44_97:                              ;   in Loop: Header=BB44_60 Depth=2
	v_mov_b32_e32 v32, 1.0
.LBB44_98:                              ;   in Loop: Header=BB44_60 Depth=2
	v_mul_f32_e32 v66, 0x3fb8aa3b, v34
	s_waitcnt lgkmcnt(9)
	v_lshlrev_b32_e32 v35, 16, v4
	v_and_b32_e32 v36, 0xffff0000, v4
	v_mul_f32_e32 v4, v66, v76
	v_cmp_gt_f32_e32 vcc, s98, v4
	v_lshlrev_b32_e32 v39, 16, v6
	v_and_b32_e32 v65, 0xffff0000, v6
	v_cndmask_b32_e32 v4, 0, v73, vcc
	v_mul_f32_e32 v6, v66, v77
	v_lshlrev_b32_e32 v37, 16, v5
	v_and_b32_e32 v38, 0xffff0000, v5
	v_fmac_f32_e32 v4, v66, v76
	v_cndmask_b32_e32 v5, 1.0, v74, vcc
	v_cmp_gt_f32_e32 vcc, s98, v6
	v_exp_f32_e32 v4, v4
	v_lshlrev_b32_e32 v67, 16, v7
	v_cndmask_b32_e32 v6, 0, v73, vcc
	v_fmac_f32_e32 v6, v66, v77
	v_exp_f32_e32 v6, v6
	v_and_b32_e32 v68, 0xffff0000, v7
	v_mul_f32_e32 v5, v4, v5
	v_mul_f32_e32 v7, v66, v78
	v_cndmask_b32_e64 v91, 1.0, v5, s[36:37]
	v_cndmask_b32_e32 v5, 1.0, v74, vcc
	v_cmp_gt_f32_e32 vcc, s98, v7
	v_mul_f32_e32 v6, v6, v5
	v_mul_f32_e32 v34, v66, v79
	v_cndmask_b32_e32 v7, 0, v73, vcc
	v_fmac_f32_e32 v7, v66, v78
	v_cndmask_b32_e64 v92, 1.0, v6, s[38:39]
	v_cndmask_b32_e32 v6, 1.0, v74, vcc
	v_cmp_gt_f32_e32 vcc, s98, v34
	v_exp_f32_e32 v7, v7
	v_mul_f32_e32 v4, v90, v35
	v_cndmask_b32_e32 v34, 0, v73, vcc
	v_fmac_f32_e32 v34, v66, v79
	v_exp_f32_e32 v35, v34
	v_mul_f32_e32 v6, v7, v6
	v_cndmask_b32_e64 v93, 1.0, v6, s[40:41]
	v_cndmask_b32_e32 v6, 1.0, v74, vcc
	v_mul_f32_e32 v6, v35, v6
	v_mul_f32_e32 v35, v66, v80
	v_cmp_gt_f32_e32 vcc, s98, v35
	v_mul_f32_e32 v5, v89, v36
	v_mul_f32_e32 v7, v88, v37
	v_cndmask_b32_e32 v35, 0, v73, vcc
	v_fmac_f32_e32 v35, v66, v80
	v_exp_f32_e32 v36, v35
	v_cndmask_b32_e64 v34, 0, v7, s[40:41]
	v_mul_f32_e32 v7, v87, v38
	v_cndmask_b32_e64 v94, 1.0, v6, s[42:43]
	v_cndmask_b32_e32 v6, 1.0, v74, vcc
	v_cndmask_b32_e64 v35, 0, v7, s[42:43]
	v_mul_f32_e32 v7, v36, v6
	v_mul_f32_e32 v36, v66, v81
	v_cmp_gt_f32_e32 vcc, s98, v36
	v_mul_f32_e32 v37, v66, v82
	v_cndmask_b32_e64 v64, 1.0, v7, s[44:45]
	v_cndmask_b32_e32 v36, 0, v73, vcc
	v_fmac_f32_e32 v36, v66, v81
	v_exp_f32_e32 v36, v36
	v_cndmask_b32_e32 v7, 1.0, v74, vcc
	v_cmp_gt_f32_e32 vcc, s98, v37
	v_mul_f32_e32 v38, v66, v19
	v_mul_f32_e32 v36, v36, v7
	v_cndmask_b32_e32 v37, 0, v73, vcc
	v_mul_f32_e32 v7, v85, v65
	v_fmac_f32_e32 v37, v66, v82
	v_cndmask_b32_e64 v65, 1.0, v36, s[46:47]
	v_cndmask_b32_e32 v36, 1.0, v74, vcc
	v_cmp_gt_f32_e32 vcc, s98, v38
	v_exp_f32_e32 v37, v37
	v_cndmask_b32_e64 v4, 0, v4, s[36:37]
	v_cndmask_b32_e32 v38, 0, v73, vcc
	v_fmac_f32_e32 v38, v66, v19
	v_exp_f32_e32 v38, v38
	v_mul_f32_e32 v37, v37, v36
	v_cndmask_b32_e64 v66, 1.0, v37, s[48:49]
	v_cndmask_b32_e32 v37, 1.0, v74, vcc
	v_cndmask_b32_e64 v5, 0, v5, s[38:39]
	v_mul_f32_e32 v38, v38, v37
	v_mul_f32_e32 v6, v86, v39
	;; [unrolled: 1-line block ×3, first 2 shown]
	v_cndmask_b32_e64 v67, 1.0, v38, s[50:51]
	v_mul_f32_e32 v38, v92, v91
	v_fma_f32 v39, v92, v4, v5
	v_mul_f32_e32 v38, v38, v93
	v_fma_f32 v39, v39, v93, v34
	v_cndmask_b32_e64 v6, 0, v6, s[44:45]
	v_mul_f32_e32 v38, v38, v94
	v_fma_f32 v39, v39, v94, v35
	v_cndmask_b32_e64 v7, 0, v7, s[46:47]
	;; [unrolled: 3-line block ×3, first 2 shown]
	v_mul_f32_e32 v37, v83, v68
	v_mul_f32_e32 v38, v38, v65
	v_fma_f32 v39, v39, v65, v7
	v_cndmask_b32_e64 v37, 0, v37, s[50:51]
	v_mul_f32_e32 v38, v38, v66
	v_fma_f32 v39, v39, v66, v36
	v_mul_f32_e32 v38, v38, v67
	v_fma_f32 v70, v39, v67, v37
	s_nop 0
	v_mov_b32_dpp v69, v38 row_shr:1 row_mask:0xf bank_mask:0xf
	v_mov_b32_dpp v68, v70 row_shr:1 row_mask:0xf bank_mask:0xf
	s_and_saveexec_b64 s[88:89], s[0:1]
; %bb.99:                               ;   in Loop: Header=BB44_60 Depth=2
	v_mul_f32_e32 v69, v38, v69
	v_fmac_f32_e32 v70, v38, v68
	v_mov_b32_e32 v38, v69
; %bb.100:                              ;   in Loop: Header=BB44_60 Depth=2
	s_or_b64 exec, exec, s[88:89]
	s_nop 0
	v_mov_b32_dpp v68, v38 row_shr:2 row_mask:0xf bank_mask:0xf
	v_mov_b32_dpp v69, v70 row_shr:2 row_mask:0xf bank_mask:0xf
	s_and_saveexec_b64 s[88:89], s[2:3]
; %bb.101:                              ;   in Loop: Header=BB44_60 Depth=2
	v_fmac_f32_e32 v70, v38, v69
	v_mul_f32_e32 v38, v38, v68
; %bb.102:                              ;   in Loop: Header=BB44_60 Depth=2
	s_or_b64 exec, exec, s[88:89]
	s_nop 0
	v_mov_b32_dpp v68, v38 row_shr:4 row_mask:0xf bank_mask:0xf
	v_mov_b32_dpp v69, v70 row_shr:4 row_mask:0xf bank_mask:0xf
	s_and_saveexec_b64 s[88:89], s[4:5]
; %bb.103:                              ;   in Loop: Header=BB44_60 Depth=2
	v_fmac_f32_e32 v70, v38, v69
	v_mul_f32_e32 v38, v38, v68
	;; [unrolled: 9-line block ×3, first 2 shown]
; %bb.106:                              ;   in Loop: Header=BB44_60 Depth=2
	s_or_b64 exec, exec, s[88:89]
	s_nop 0
	v_mov_b32_dpp v68, v38 row_bcast:15 row_mask:0xf bank_mask:0xf
	v_mov_b32_dpp v69, v70 row_bcast:15 row_mask:0xf bank_mask:0xf
	s_and_saveexec_b64 s[88:89], s[8:9]
; %bb.107:                              ;   in Loop: Header=BB44_60 Depth=2
	v_fmac_f32_e32 v70, v38, v69
	v_mul_f32_e32 v38, v38, v68
; %bb.108:                              ;   in Loop: Header=BB44_60 Depth=2
	s_or_b64 exec, exec, s[88:89]
	s_nop 0
	v_mov_b32_dpp v68, v38 row_bcast:31 row_mask:0xf bank_mask:0xf
	v_mov_b32_dpp v69, v70 row_bcast:31 row_mask:0xf bank_mask:0xf
	v_mov_b32_e32 v39, v70
	v_mul_f32_e32 v68, v38, v68
	v_fmac_f32_e32 v39, v38, v69
	v_cndmask_b32_e64 v38, v38, v68, s[10:11]
	v_cndmask_b32_e64 v39, v70, v39, s[10:11]
	s_and_saveexec_b64 s[88:89], s[12:13]
	s_cbranch_execz .LBB44_110
; %bb.109:                              ;   in Loop: Header=BB44_60 Depth=2
	ds_write_b64 v9, v[38:39] offset:2112
.LBB44_110:                             ;   in Loop: Header=BB44_60 Depth=2
	s_or_b64 exec, exec, s[88:89]
	ds_bpermute_b32 v68, v63, v38
	ds_bpermute_b32 v69, v63, v39
	s_waitcnt vmcnt(0) lgkmcnt(2)
	v_mov_b32_e32 v39, v33
	s_waitcnt lgkmcnt(0)
	; wave barrier
	s_waitcnt lgkmcnt(0)
	s_and_saveexec_b64 s[88:89], s[14:15]
	s_cbranch_execz .LBB44_114
; %bb.111:                              ;   in Loop: Header=BB44_60 Depth=2
	ds_read_b64 v[38:39], v9 offset:2112
	s_and_saveexec_b64 s[90:91], s[16:17]
	s_cbranch_execz .LBB44_113
; %bb.112:                              ;   in Loop: Header=BB44_60 Depth=2
	ds_write_b64 v9, v[32:33] offset:2112
.LBB44_113:                             ;   in Loop: Header=BB44_60 Depth=2
	s_or_b64 exec, exec, s[90:91]
	s_waitcnt lgkmcnt(0)
	v_fmac_f32_e32 v39, v33, v38
	v_mul_f32_e32 v32, v32, v38
	v_mov_b32_e32 v33, v39
.LBB44_114:                             ;   in Loop: Header=BB44_60 Depth=2
	s_or_b64 exec, exec, s[88:89]
	s_waitcnt lgkmcnt(0)
	; wave barrier
	ds_read_b32 v38, v9 offset:2116
	s_and_saveexec_b64 s[88:89], s[16:17]
	s_cbranch_execz .LBB44_59
; %bb.115:                              ;   in Loop: Header=BB44_60 Depth=2
	v_mov_b32_e32 v70, s75
	s_andn2_b64 vcc, exec, s[80:81]
	ds_write_b64 v70, v[32:33]
	s_cbranch_vccnz .LBB44_59
; %bb.116:                              ;   in Loop: Header=BB44_60 Depth=2
	s_mov_b32 s87, s71
	s_lshl_b64 s[90:91], s[86:87], 2
	s_add_u32 s90, s57, s90
	s_addc_u32 s91, s61, s91
	global_store_dword v9, v39, s[90:91]
	s_branch .LBB44_59
.LBB44_117:                             ;   in Loop: Header=BB44_11 Depth=1
	s_mov_b32 s40, 0x41a00000
	s_mov_b32 s41, 0x3fb8aa3b
	;; [unrolled: 1-line block ×8, first 2 shown]
.LBB44_118:                             ;   in Loop: Header=BB44_11 Depth=1
	v_bfe_u32 v0, v26, 16, 1
	v_bfe_u32 v1, v27, 16, 1
	v_add3_u32 v0, v26, v0, s74
	v_bfe_u32 v2, v24, 16, 1
	v_add3_u32 v1, v27, v1, s74
	v_lshrrev_b32_e32 v0, 16, v0
	v_cmp_o_f32_e32 vcc, v26, v26
	v_bfe_u32 v3, v25, 16, 1
	v_add3_u32 v2, v24, v2, s74
	v_lshrrev_b32_e32 v1, 16, v1
	v_cndmask_b32_e32 v0, v75, v0, vcc
	v_cmp_o_f32_e32 vcc, v27, v27
	v_add3_u32 v3, v25, v3, s74
	v_lshrrev_b32_e32 v2, 16, v2
	v_cndmask_b32_e32 v4, v75, v1, vcc
	v_cmp_o_f32_e32 vcc, v24, v24
	v_lshrrev_b32_e32 v3, 16, v3
	v_bfe_u32 v6, v20, 16, 1
	v_cndmask_b32_e32 v1, v75, v2, vcc
	v_cmp_o_f32_e32 vcc, v25, v25
	v_bfe_u32 v2, v22, 16, 1
	v_add3_u32 v2, v22, v2, s74
	v_cndmask_b32_e32 v5, v75, v3, vcc
	v_bfe_u32 v3, v23, 16, 1
	v_add3_u32 v3, v23, v3, s74
	v_lshrrev_b32_e32 v2, 16, v2
	v_cmp_o_f32_e32 vcc, v22, v22
	v_bfe_u32 v7, v21, 16, 1
	v_add3_u32 v6, v20, v6, s74
	v_lshrrev_b32_e32 v3, 16, v3
	v_cndmask_b32_e32 v2, v75, v2, vcc
	v_cmp_o_f32_e32 vcc, v23, v23
	v_add3_u32 v7, v21, v7, s74
	v_lshrrev_b32_e32 v6, 16, v6
	v_cndmask_b32_e32 v19, v75, v3, vcc
	v_cmp_o_f32_e32 vcc, v20, v20
	v_lshrrev_b32_e32 v7, 16, v7
	s_mov_b32 s36, 0x5040100
	v_cndmask_b32_e32 v3, v75, v6, vcc
	v_cmp_o_f32_e32 vcc, v21, v21
	v_perm_b32 v2, v19, v2, s36
	v_perm_b32 v1, v5, v1, s36
	v_cndmask_b32_e32 v6, v75, v7, vcc
	v_perm_b32 v3, v6, v3, s36
	v_perm_b32 v0, v4, v0, s36
	s_waitcnt lgkmcnt(0)
	; wave barrier
	ds_write_b128 v55, v[0:3]
	; wave barrier
	ds_read_u16 v19, v48 offset:128
	ds_read_u16 v7, v49 offset:256
	;; [unrolled: 1-line block ×7, first 2 shown]
	s_mov_b32 s67, s71
	v_lshl_add_u64 v[0:1], s[66:67], 1, v[12:13]
	s_and_saveexec_b64 s[36:37], s[18:19]
	s_cbranch_execnz .LBB44_153
; %bb.119:                              ;   in Loop: Header=BB44_11 Depth=1
	s_or_b64 exec, exec, s[36:37]
	s_and_saveexec_b64 s[36:37], s[20:21]
	s_cbranch_execnz .LBB44_154
.LBB44_120:                             ;   in Loop: Header=BB44_11 Depth=1
	s_or_b64 exec, exec, s[36:37]
	s_and_saveexec_b64 s[36:37], s[22:23]
	s_cbranch_execnz .LBB44_155
.LBB44_121:                             ;   in Loop: Header=BB44_11 Depth=1
	s_or_b64 exec, exec, s[36:37]
	s_and_saveexec_b64 s[36:37], s[24:25]
	s_cbranch_execnz .LBB44_156
.LBB44_122:                             ;   in Loop: Header=BB44_11 Depth=1
	s_or_b64 exec, exec, s[36:37]
	s_and_saveexec_b64 s[36:37], s[26:27]
	s_cbranch_execnz .LBB44_157
.LBB44_123:                             ;   in Loop: Header=BB44_11 Depth=1
	s_or_b64 exec, exec, s[36:37]
	s_and_saveexec_b64 s[36:37], s[28:29]
	s_cbranch_execnz .LBB44_158
.LBB44_124:                             ;   in Loop: Header=BB44_11 Depth=1
	s_or_b64 exec, exec, s[36:37]
	s_and_saveexec_b64 s[36:37], s[30:31]
	s_cbranch_execnz .LBB44_159
.LBB44_125:                             ;   in Loop: Header=BB44_11 Depth=1
	s_or_b64 exec, exec, s[36:37]
	s_and_saveexec_b64 s[36:37], s[34:35]
	s_cbranch_execz .LBB44_127
.LBB44_126:                             ;   in Loop: Header=BB44_11 Depth=1
	s_waitcnt lgkmcnt(0)
	global_store_short v[0:1], v2, off offset:896
.LBB44_127:                             ;   in Loop: Header=BB44_11 Depth=1
	s_or_b64 exec, exec, s[36:37]
	v_lshl_add_u64 v[0:1], s[66:67], 1, v[14:15]
	s_waitcnt lgkmcnt(0)
	v_mov_b32_e32 v2, 0
	v_mov_b32_e32 v3, 0
	s_waitcnt lgkmcnt(0)
	; wave barrier
	s_and_saveexec_b64 s[36:37], s[18:19]
	s_cbranch_execz .LBB44_129
; %bb.128:                              ;   in Loop: Header=BB44_11 Depth=1
	global_load_ushort v3, v[0:1], off
.LBB44_129:                             ;   in Loop: Header=BB44_11 Depth=1
	s_or_b64 exec, exec, s[36:37]
	s_and_saveexec_b64 s[36:37], s[20:21]
	s_cbranch_execz .LBB44_131
; %bb.130:                              ;   in Loop: Header=BB44_11 Depth=1
	global_load_ushort v2, v[0:1], off offset:128
.LBB44_131:                             ;   in Loop: Header=BB44_11 Depth=1
	s_or_b64 exec, exec, s[36:37]
	v_mov_b32_e32 v4, 0
	v_mov_b32_e32 v5, 0
	s_and_saveexec_b64 s[36:37], s[22:23]
	s_cbranch_execz .LBB44_133
; %bb.132:                              ;   in Loop: Header=BB44_11 Depth=1
	global_load_ushort v5, v[0:1], off offset:256
.LBB44_133:                             ;   in Loop: Header=BB44_11 Depth=1
	s_or_b64 exec, exec, s[36:37]
	s_and_saveexec_b64 s[36:37], s[24:25]
	s_cbranch_execz .LBB44_135
; %bb.134:                              ;   in Loop: Header=BB44_11 Depth=1
	global_load_ushort v4, v[0:1], off offset:384
.LBB44_135:                             ;   in Loop: Header=BB44_11 Depth=1
	s_or_b64 exec, exec, s[36:37]
	v_mov_b32_e32 v6, 0
	v_mov_b32_e32 v7, 0
	s_and_saveexec_b64 s[36:37], s[26:27]
	s_cbranch_execz .LBB44_137
; %bb.136:                              ;   in Loop: Header=BB44_11 Depth=1
	global_load_ushort v7, v[0:1], off offset:512
.LBB44_137:                             ;   in Loop: Header=BB44_11 Depth=1
	;; [unrolled: 14-line block ×3, first 2 shown]
	s_or_b64 exec, exec, s[36:37]
	s_and_saveexec_b64 s[36:37], s[34:35]
	s_cbranch_execz .LBB44_143
; %bb.142:                              ;   in Loop: Header=BB44_11 Depth=1
	global_load_ushort v19, v[0:1], off offset:896
.LBB44_143:                             ;   in Loop: Header=BB44_11 Depth=1
	s_or_b64 exec, exec, s[36:37]
	s_waitcnt vmcnt(0)
	ds_write_b16 v47, v3
	ds_write_b16 v48, v2 offset:128
	ds_write_b16 v49, v5 offset:256
	;; [unrolled: 1-line block ×7, first 2 shown]
	; wave barrier
	ds_read_b128 v[0:3], v55
	s_waitcnt lgkmcnt(0)
	; wave barrier
	s_waitcnt lgkmcnt(0)
	v_and_b32_e32 v6, 0xffff0000, v1
	v_mul_f32_e32 v4, 0xbfb8aa3b, v6
	v_fma_f32 v5, v6, s97, -v4
	v_rndne_f32_e32 v7, v4
	v_fmac_f32_e32 v5, 0xb2a5705f, v6
	v_sub_f32_e32 v4, v4, v7
	v_add_f32_e32 v4, v4, v5
	v_exp_f32_e32 v4, v4
	v_cvt_i32_f32_e32 v5, v7
	v_and_b32_e32 v7, 0xffff0000, v0
	v_lshlrev_b32_e32 v28, 16, v1
	v_mul_f32_e32 v1, 0xbfb8aa3b, v7
	v_lshlrev_b32_e32 v19, 16, v0
	v_ldexp_f32 v0, v4, v5
	v_fma_f32 v4, v7, s97, -v1
	v_rndne_f32_e32 v5, v1
	v_fmac_f32_e32 v4, 0xb2a5705f, v7
	v_sub_f32_e32 v1, v1, v5
	v_add_f32_e32 v1, v1, v4
	v_exp_f32_e32 v4, v1
	v_cvt_i32_f32_e32 v5, v5
	v_cmp_nlt_f32_e32 vcc, s93, v6
	s_nop 1
	v_cndmask_b32_e32 v0, 0, v0, vcc
	v_cmp_ngt_f32_e32 vcc, s95, v6
	s_nop 1
	v_cndmask_b32_e32 v1, v72, v0, vcc
	v_ldexp_f32 v0, v4, v5
	v_mul_f32_e32 v4, 0xbfb8aa3b, v28
	v_rndne_f32_e32 v5, v4
	v_sub_f32_e32 v29, v4, v5
	v_fma_f32 v4, v28, s97, -v4
	v_fmac_f32_e32 v4, 0xb2a5705f, v28
	v_add_f32_e32 v4, v29, v4
	v_exp_f32_e32 v4, v4
	v_cvt_i32_f32_e32 v29, v5
	v_cmp_nlt_f32_e32 vcc, s93, v7
	s_nop 1
	v_cndmask_b32_e32 v0, 0, v0, vcc
	v_cmp_ngt_f32_e32 vcc, s95, v7
	s_nop 1
	v_cndmask_b32_e32 v5, v72, v0, vcc
	v_ldexp_f32 v0, v4, v29
	v_mul_f32_e32 v4, 0xbfb8aa3b, v19
	v_rndne_f32_e32 v29, v4
	v_sub_f32_e32 v30, v4, v29
	v_fma_f32 v4, v19, s97, -v4
	v_fmac_f32_e32 v4, 0xb2a5705f, v19
	v_add_f32_e32 v4, v30, v4
	v_exp_f32_e32 v4, v4
	v_cvt_i32_f32_e32 v29, v29
	v_cmp_nlt_f32_e32 vcc, s93, v28
	v_ldexp_f32 v4, v4, v29
	s_nop 0
	v_cndmask_b32_e32 v0, 0, v0, vcc
	v_cmp_ngt_f32_e32 vcc, s95, v28
	s_nop 1
	v_cndmask_b32_e32 v0, v72, v0, vcc
	v_pk_add_f32 v[0:1], v[0:1], 1.0 op_sel_hi:[1,0]
	v_cmp_nlt_f32_e32 vcc, s93, v19
	v_div_scale_f32 v29, s[36:37], v1, v1, v6
	v_rcp_f32_e32 v30, v29
	v_cndmask_b32_e32 v4, 0, v4, vcc
	v_cmp_ngt_f32_e32 vcc, s95, v19
	v_fma_f32 v31, -v29, v30, 1.0
	s_nop 0
	v_cndmask_b32_e32 v4, v72, v4, vcc
	v_fmac_f32_e32 v30, v31, v30
	v_div_scale_f32 v31, vcc, v6, v1, v6
	v_mul_f32_e32 v32, v31, v30
	v_fma_f32 v33, -v29, v32, v31
	v_fmac_f32_e32 v32, v33, v30
	v_fma_f32 v29, -v29, v32, v31
	v_div_scale_f32 v31, s[36:37], v0, v0, v28
	v_rcp_f32_e32 v33, v31
	v_div_fmas_f32 v29, v29, v30, v32
	v_div_fixup_f32 v1, v29, v1, v6
	v_pk_add_f32 v[4:5], v[4:5], 1.0 op_sel_hi:[1,0]
	v_fma_f32 v6, -v31, v33, 1.0
	v_fmac_f32_e32 v33, v6, v33
	v_div_scale_f32 v6, vcc, v28, v0, v28
	v_mul_f32_e32 v29, v6, v33
	v_fma_f32 v30, -v31, v29, v6
	v_fmac_f32_e32 v29, v30, v33
	v_div_scale_f32 v30, s[36:37], v5, v5, v7
	v_fma_f32 v6, -v31, v29, v6
	v_rcp_f32_e32 v31, v30
	v_div_fmas_f32 v6, v6, v33, v29
	v_div_fixup_f32 v0, v6, v0, v28
	v_fma_f32 v6, -v30, v31, 1.0
	v_fmac_f32_e32 v31, v6, v31
	v_div_scale_f32 v6, vcc, v7, v5, v7
	v_mul_f32_e32 v28, v6, v31
	v_fma_f32 v29, -v30, v28, v6
	v_fmac_f32_e32 v28, v29, v31
	v_div_scale_f32 v29, s[36:37], v4, v4, v19
	v_fma_f32 v6, -v30, v28, v6
	v_rcp_f32_e32 v30, v29
	v_div_fmas_f32 v6, v6, v31, v28
	v_div_fixup_f32 v5, v6, v5, v7
	v_fma_f32 v6, -v29, v30, 1.0
	v_fmac_f32_e32 v30, v6, v30
	v_div_scale_f32 v6, vcc, v19, v4, v19
	v_mul_f32_e32 v7, v6, v30
	v_fma_f32 v28, -v29, v7, v6
	v_fmac_f32_e32 v7, v28, v30
	v_fma_f32 v6, -v29, v7, v6
	v_div_fmas_f32 v6, v6, v30, v7
	v_div_fixup_f32 v4, v6, v4, v19
	v_pk_mul_f32 v[4:5], v[26:27], v[4:5]
	v_pk_mul_f32 v[6:7], v[24:25], v[0:1]
	v_bfe_u32 v0, v4, 16, 1
	v_bfe_u32 v1, v5, 16, 1
	v_add3_u32 v0, v4, v0, s74
	v_bfe_u32 v19, v6, 16, 1
	v_add3_u32 v1, v5, v1, s74
	v_lshrrev_b32_e32 v0, 16, v0
	v_cmp_o_f32_e32 vcc, v4, v4
	v_add3_u32 v19, v6, v19, s74
	v_lshrrev_b32_e32 v1, 16, v1
	v_cndmask_b32_e32 v0, v75, v0, vcc
	v_cmp_o_f32_e32 vcc, v5, v5
	v_bfe_u32 v24, v7, 16, 1
	v_lshrrev_b32_e32 v19, 16, v19
	v_cndmask_b32_e32 v1, v75, v1, vcc
	v_cmp_o_f32_e32 vcc, v6, v6
	v_add3_u32 v24, v7, v24, s74
	v_lshrrev_b32_e32 v24, 16, v24
	v_cndmask_b32_e32 v6, v75, v19, vcc
	v_and_b32_e32 v19, 0xffff0000, v3
	v_cmp_o_f32_e32 vcc, v7, v7
	v_mul_f32_e32 v4, 0xbfb8aa3b, v19
	v_fma_f32 v5, v19, s97, -v4
	v_cndmask_b32_e32 v7, v75, v24, vcc
	v_rndne_f32_e32 v24, v4
	v_fmac_f32_e32 v5, 0xb2a5705f, v19
	v_sub_f32_e32 v4, v4, v24
	v_add_f32_e32 v4, v4, v5
	v_exp_f32_e32 v4, v4
	v_cvt_i32_f32_e32 v5, v24
	v_and_b32_e32 v24, 0xffff0000, v2
	v_lshlrev_b32_e32 v26, 16, v3
	v_mul_f32_e32 v3, 0xbfb8aa3b, v24
	v_lshlrev_b32_e32 v25, 16, v2
	v_ldexp_f32 v2, v4, v5
	v_fma_f32 v4, v24, s97, -v3
	v_rndne_f32_e32 v5, v3
	v_fmac_f32_e32 v4, 0xb2a5705f, v24
	v_sub_f32_e32 v3, v3, v5
	v_add_f32_e32 v3, v3, v4
	v_exp_f32_e32 v4, v3
	v_cvt_i32_f32_e32 v5, v5
	v_cmp_nlt_f32_e32 vcc, s93, v19
	s_nop 1
	v_cndmask_b32_e32 v2, 0, v2, vcc
	v_cmp_ngt_f32_e32 vcc, s95, v19
	s_nop 1
	v_cndmask_b32_e32 v3, v72, v2, vcc
	v_ldexp_f32 v2, v4, v5
	v_mul_f32_e32 v4, 0xbfb8aa3b, v26
	v_rndne_f32_e32 v5, v4
	v_sub_f32_e32 v27, v4, v5
	v_fma_f32 v4, v26, s97, -v4
	v_fmac_f32_e32 v4, 0xb2a5705f, v26
	v_add_f32_e32 v4, v27, v4
	v_exp_f32_e32 v4, v4
	v_cvt_i32_f32_e32 v27, v5
	v_cmp_nlt_f32_e32 vcc, s93, v24
	s_nop 1
	v_cndmask_b32_e32 v2, 0, v2, vcc
	v_cmp_ngt_f32_e32 vcc, s95, v24
	s_nop 1
	v_cndmask_b32_e32 v5, v72, v2, vcc
	v_ldexp_f32 v2, v4, v27
	v_mul_f32_e32 v4, 0xbfb8aa3b, v25
	v_rndne_f32_e32 v27, v4
	v_sub_f32_e32 v28, v4, v27
	v_fma_f32 v4, v25, s97, -v4
	v_fmac_f32_e32 v4, 0xb2a5705f, v25
	v_add_f32_e32 v4, v28, v4
	v_exp_f32_e32 v4, v4
	v_cvt_i32_f32_e32 v27, v27
	v_cmp_nlt_f32_e32 vcc, s93, v26
	v_ldexp_f32 v4, v4, v27
	s_nop 0
	v_cndmask_b32_e32 v2, 0, v2, vcc
	v_cmp_ngt_f32_e32 vcc, s95, v26
	s_nop 1
	v_cndmask_b32_e32 v2, v72, v2, vcc
	v_pk_add_f32 v[2:3], v[2:3], 1.0 op_sel_hi:[1,0]
	v_cmp_nlt_f32_e32 vcc, s93, v25
	v_div_scale_f32 v27, s[36:37], v3, v3, v19
	v_rcp_f32_e32 v28, v27
	v_cndmask_b32_e32 v4, 0, v4, vcc
	v_cmp_ngt_f32_e32 vcc, s95, v25
	v_fma_f32 v29, -v27, v28, 1.0
	s_nop 0
	v_cndmask_b32_e32 v4, v72, v4, vcc
	v_fmac_f32_e32 v28, v29, v28
	v_div_scale_f32 v29, vcc, v19, v3, v19
	v_mul_f32_e32 v30, v29, v28
	v_fma_f32 v31, -v27, v30, v29
	v_fmac_f32_e32 v30, v31, v28
	v_fma_f32 v27, -v27, v30, v29
	v_div_scale_f32 v29, s[36:37], v2, v2, v26
	v_rcp_f32_e32 v31, v29
	v_div_fmas_f32 v27, v27, v28, v30
	v_div_fixup_f32 v3, v27, v3, v19
	v_pk_add_f32 v[4:5], v[4:5], 1.0 op_sel_hi:[1,0]
	v_fma_f32 v19, -v29, v31, 1.0
	v_fmac_f32_e32 v31, v19, v31
	v_div_scale_f32 v19, vcc, v26, v2, v26
	v_mul_f32_e32 v27, v19, v31
	v_fma_f32 v28, -v29, v27, v19
	v_fmac_f32_e32 v27, v28, v31
	v_div_scale_f32 v28, s[36:37], v5, v5, v24
	v_fma_f32 v19, -v29, v27, v19
	v_rcp_f32_e32 v29, v28
	v_div_fmas_f32 v19, v19, v31, v27
	v_div_fixup_f32 v2, v19, v2, v26
	v_pk_mul_f32 v[2:3], v[20:21], v[2:3]
	v_fma_f32 v19, -v28, v29, 1.0
	v_fmac_f32_e32 v29, v19, v29
	v_div_scale_f32 v19, vcc, v24, v5, v24
	v_mul_f32_e32 v26, v19, v29
	v_fma_f32 v27, -v28, v26, v19
	v_fmac_f32_e32 v26, v27, v29
	v_div_scale_f32 v27, s[36:37], v4, v4, v25
	v_fma_f32 v19, -v28, v26, v19
	v_rcp_f32_e32 v28, v27
	v_div_fmas_f32 v19, v19, v29, v26
	v_div_fixup_f32 v5, v19, v5, v24
	v_bfe_u32 v21, v2, 16, 1
	v_fma_f32 v19, -v27, v28, 1.0
	v_fmac_f32_e32 v28, v19, v28
	v_div_scale_f32 v19, vcc, v25, v4, v25
	v_mul_f32_e32 v24, v19, v28
	v_fma_f32 v26, -v27, v24, v19
	v_fmac_f32_e32 v24, v26, v28
	v_fma_f32 v19, -v27, v24, v19
	v_div_fmas_f32 v19, v19, v28, v24
	v_div_fixup_f32 v4, v19, v4, v25
	v_pk_mul_f32 v[4:5], v[22:23], v[4:5]
	v_bfe_u32 v22, v3, 16, 1
	v_bfe_u32 v19, v4, 16, 1
	;; [unrolled: 1-line block ×3, first 2 shown]
	v_add3_u32 v19, v4, v19, s74
	v_add3_u32 v20, v5, v20, s74
	v_lshrrev_b32_e32 v19, 16, v19
	v_cmp_o_f32_e32 vcc, v4, v4
	v_add3_u32 v21, v2, v21, s74
	v_lshrrev_b32_e32 v20, 16, v20
	v_cndmask_b32_e32 v4, v75, v19, vcc
	v_cmp_o_f32_e32 vcc, v5, v5
	v_add3_u32 v22, v3, v22, s74
	v_lshrrev_b32_e32 v21, 16, v21
	v_cndmask_b32_e32 v19, v75, v20, vcc
	v_cmp_o_f32_e32 vcc, v2, v2
	v_lshrrev_b32_e32 v22, 16, v22
	s_mov_b32 s36, 0x5040100
	v_cndmask_b32_e32 v2, v75, v21, vcc
	v_cmp_o_f32_e32 vcc, v3, v3
	v_perm_b32 v4, v19, v4, s36
	s_nop 0
	v_cndmask_b32_e32 v3, v75, v22, vcc
	v_perm_b32 v5, v3, v2, s36
	v_perm_b32 v3, v7, v6, s36
	;; [unrolled: 1-line block ×3, first 2 shown]
	ds_write_b128 v55, v[2:5]
	; wave barrier
	ds_read_u16 v19, v48 offset:128
	ds_read_u16 v7, v49 offset:256
	;; [unrolled: 1-line block ×7, first 2 shown]
	v_lshl_add_u64 v[0:1], s[66:67], 1, v[16:17]
	s_and_saveexec_b64 s[36:37], s[18:19]
	s_cbranch_execnz .LBB44_160
; %bb.144:                              ;   in Loop: Header=BB44_11 Depth=1
	s_or_b64 exec, exec, s[36:37]
	s_and_saveexec_b64 s[18:19], s[20:21]
	s_cbranch_execnz .LBB44_161
.LBB44_145:                             ;   in Loop: Header=BB44_11 Depth=1
	s_or_b64 exec, exec, s[18:19]
	s_and_saveexec_b64 s[18:19], s[22:23]
	s_cbranch_execnz .LBB44_162
.LBB44_146:                             ;   in Loop: Header=BB44_11 Depth=1
	s_or_b64 exec, exec, s[18:19]
	s_and_saveexec_b64 s[18:19], s[24:25]
	s_cbranch_execnz .LBB44_163
.LBB44_147:                             ;   in Loop: Header=BB44_11 Depth=1
	s_or_b64 exec, exec, s[18:19]
	s_and_saveexec_b64 s[18:19], s[26:27]
	s_cbranch_execnz .LBB44_164
.LBB44_148:                             ;   in Loop: Header=BB44_11 Depth=1
	s_or_b64 exec, exec, s[18:19]
	s_and_saveexec_b64 s[18:19], s[28:29]
	s_cbranch_execnz .LBB44_165
.LBB44_149:                             ;   in Loop: Header=BB44_11 Depth=1
	s_or_b64 exec, exec, s[18:19]
	s_and_saveexec_b64 s[18:19], s[30:31]
	s_cbranch_execnz .LBB44_166
.LBB44_150:                             ;   in Loop: Header=BB44_11 Depth=1
	s_or_b64 exec, exec, s[18:19]
	s_and_saveexec_b64 s[18:19], s[34:35]
	s_cbranch_execz .LBB44_10
	s_branch .LBB44_167
.LBB44_151:                             ;   in Loop: Header=BB44_11 Depth=1
	global_load_ushort v23, v[4:5], off offset:640
	s_or_b64 exec, exec, s[36:37]
	s_and_saveexec_b64 s[36:37], s[30:31]
	s_cbranch_execz .LBB44_39
.LBB44_152:                             ;   in Loop: Header=BB44_11 Depth=1
	global_load_ushort v22, v[4:5], off offset:768
	s_or_b64 exec, exec, s[36:37]
	v_mov_b32_e32 v24, 0
	s_and_saveexec_b64 s[36:37], s[34:35]
	s_cbranch_execnz .LBB44_40
	s_branch .LBB44_41
.LBB44_153:                             ;   in Loop: Header=BB44_11 Depth=1
	ds_read_u16 v28, v47
	s_waitcnt lgkmcnt(0)
	global_store_short v[0:1], v28, off
	s_or_b64 exec, exec, s[36:37]
	s_and_saveexec_b64 s[36:37], s[20:21]
	s_cbranch_execz .LBB44_120
.LBB44_154:                             ;   in Loop: Header=BB44_11 Depth=1
	s_waitcnt lgkmcnt(6)
	global_store_short v[0:1], v19, off offset:128
	s_or_b64 exec, exec, s[36:37]
	s_and_saveexec_b64 s[36:37], s[22:23]
	s_cbranch_execz .LBB44_121
.LBB44_155:                             ;   in Loop: Header=BB44_11 Depth=1
	s_waitcnt lgkmcnt(5)
	global_store_short v[0:1], v7, off offset:256
	s_or_b64 exec, exec, s[36:37]
	s_and_saveexec_b64 s[36:37], s[24:25]
	s_cbranch_execz .LBB44_122
.LBB44_156:                             ;   in Loop: Header=BB44_11 Depth=1
	s_waitcnt lgkmcnt(4)
	global_store_short v[0:1], v6, off offset:384
	s_or_b64 exec, exec, s[36:37]
	s_and_saveexec_b64 s[36:37], s[26:27]
	s_cbranch_execz .LBB44_123
.LBB44_157:                             ;   in Loop: Header=BB44_11 Depth=1
	s_waitcnt lgkmcnt(3)
	global_store_short v[0:1], v5, off offset:512
	s_or_b64 exec, exec, s[36:37]
	s_and_saveexec_b64 s[36:37], s[28:29]
	s_cbranch_execz .LBB44_124
.LBB44_158:                             ;   in Loop: Header=BB44_11 Depth=1
	s_waitcnt lgkmcnt(2)
	global_store_short v[0:1], v4, off offset:640
	s_or_b64 exec, exec, s[36:37]
	s_and_saveexec_b64 s[36:37], s[30:31]
	s_cbranch_execz .LBB44_125
.LBB44_159:                             ;   in Loop: Header=BB44_11 Depth=1
	s_waitcnt lgkmcnt(1)
	global_store_short v[0:1], v3, off offset:768
	s_or_b64 exec, exec, s[36:37]
	s_and_saveexec_b64 s[36:37], s[34:35]
	s_cbranch_execnz .LBB44_126
	s_branch .LBB44_127
.LBB44_160:                             ;   in Loop: Header=BB44_11 Depth=1
	ds_read_u16 v20, v47
	s_waitcnt lgkmcnt(0)
	global_store_short v[0:1], v20, off
	s_or_b64 exec, exec, s[36:37]
	s_and_saveexec_b64 s[18:19], s[20:21]
	s_cbranch_execz .LBB44_145
.LBB44_161:                             ;   in Loop: Header=BB44_11 Depth=1
	s_waitcnt lgkmcnt(6)
	global_store_short v[0:1], v19, off offset:128
	s_or_b64 exec, exec, s[18:19]
	s_and_saveexec_b64 s[18:19], s[22:23]
	s_cbranch_execz .LBB44_146
.LBB44_162:                             ;   in Loop: Header=BB44_11 Depth=1
	s_waitcnt lgkmcnt(5)
	global_store_short v[0:1], v7, off offset:256
	s_or_b64 exec, exec, s[18:19]
	s_and_saveexec_b64 s[18:19], s[24:25]
	s_cbranch_execz .LBB44_147
.LBB44_163:                             ;   in Loop: Header=BB44_11 Depth=1
	s_waitcnt lgkmcnt(4)
	global_store_short v[0:1], v6, off offset:384
	s_or_b64 exec, exec, s[18:19]
	s_and_saveexec_b64 s[18:19], s[26:27]
	s_cbranch_execz .LBB44_148
.LBB44_164:                             ;   in Loop: Header=BB44_11 Depth=1
	s_waitcnt lgkmcnt(3)
	global_store_short v[0:1], v5, off offset:512
	s_or_b64 exec, exec, s[18:19]
	s_and_saveexec_b64 s[18:19], s[28:29]
	s_cbranch_execz .LBB44_149
.LBB44_165:                             ;   in Loop: Header=BB44_11 Depth=1
	s_waitcnt lgkmcnt(2)
	global_store_short v[0:1], v4, off offset:640
	s_or_b64 exec, exec, s[18:19]
	s_and_saveexec_b64 s[18:19], s[30:31]
	s_cbranch_execz .LBB44_150
.LBB44_166:                             ;   in Loop: Header=BB44_11 Depth=1
	s_waitcnt lgkmcnt(1)
	global_store_short v[0:1], v3, off offset:768
	s_or_b64 exec, exec, s[18:19]
	s_and_saveexec_b64 s[18:19], s[34:35]
	s_cbranch_execz .LBB44_10
.LBB44_167:                             ;   in Loop: Header=BB44_11 Depth=1
	s_waitcnt lgkmcnt(0)
	global_store_short v[0:1], v2, off offset:896
	s_branch .LBB44_10
.LBB44_168:
	s_endpgm
.LBB44_169:
	s_mov_b64 s[68:69], 0
	s_load_dwordx2 s[6:7], s[0:1], 0x20
	s_cmp_eq_u64 s[4:5], 0
	s_cbranch_scc0 .LBB44_2
	s_branch .LBB44_3
	.section	.rodata,"a",@progbits
	.p2align	6, 0x0
	.amdhsa_kernel _Z25selective_scan_fwd_kernelI32Selective_Scan_fwd_kernel_traitsILi64ELi8ELi1ELb0ELb1ELb1ELb1ELb1EN3c108BFloat16EffEEv13SSMParamsBase
		.amdhsa_group_segment_fixed_size 0
		.amdhsa_private_segment_fixed_size 0
		.amdhsa_kernarg_size 248
		.amdhsa_user_sgpr_count 2
		.amdhsa_user_sgpr_dispatch_ptr 0
		.amdhsa_user_sgpr_queue_ptr 0
		.amdhsa_user_sgpr_kernarg_segment_ptr 1
		.amdhsa_user_sgpr_dispatch_id 0
		.amdhsa_user_sgpr_kernarg_preload_length 0
		.amdhsa_user_sgpr_kernarg_preload_offset 0
		.amdhsa_user_sgpr_private_segment_size 0
		.amdhsa_uses_dynamic_stack 0
		.amdhsa_enable_private_segment 0
		.amdhsa_system_sgpr_workgroup_id_x 1
		.amdhsa_system_sgpr_workgroup_id_y 1
		.amdhsa_system_sgpr_workgroup_id_z 0
		.amdhsa_system_sgpr_workgroup_info 0
		.amdhsa_system_vgpr_workitem_id 0
		.amdhsa_next_free_vgpr 96
		.amdhsa_next_free_sgpr 100
		.amdhsa_accum_offset 96
		.amdhsa_reserve_vcc 1
		.amdhsa_float_round_mode_32 0
		.amdhsa_float_round_mode_16_64 0
		.amdhsa_float_denorm_mode_32 3
		.amdhsa_float_denorm_mode_16_64 3
		.amdhsa_dx10_clamp 1
		.amdhsa_ieee_mode 1
		.amdhsa_fp16_overflow 0
		.amdhsa_tg_split 0
		.amdhsa_exception_fp_ieee_invalid_op 0
		.amdhsa_exception_fp_denorm_src 0
		.amdhsa_exception_fp_ieee_div_zero 0
		.amdhsa_exception_fp_ieee_overflow 0
		.amdhsa_exception_fp_ieee_underflow 0
		.amdhsa_exception_fp_ieee_inexact 0
		.amdhsa_exception_int_div_zero 0
	.end_amdhsa_kernel
	.section	.text._Z25selective_scan_fwd_kernelI32Selective_Scan_fwd_kernel_traitsILi64ELi8ELi1ELb0ELb1ELb1ELb1ELb1EN3c108BFloat16EffEEv13SSMParamsBase,"axG",@progbits,_Z25selective_scan_fwd_kernelI32Selective_Scan_fwd_kernel_traitsILi64ELi8ELi1ELb0ELb1ELb1ELb1ELb1EN3c108BFloat16EffEEv13SSMParamsBase,comdat
.Lfunc_end44:
	.size	_Z25selective_scan_fwd_kernelI32Selective_Scan_fwd_kernel_traitsILi64ELi8ELi1ELb0ELb1ELb1ELb1ELb1EN3c108BFloat16EffEEv13SSMParamsBase, .Lfunc_end44-_Z25selective_scan_fwd_kernelI32Selective_Scan_fwd_kernel_traitsILi64ELi8ELi1ELb0ELb1ELb1ELb1ELb1EN3c108BFloat16EffEEv13SSMParamsBase
                                        ; -- End function
	.section	.AMDGPU.csdata,"",@progbits
; Kernel info:
; codeLenInByte = 12796
; NumSgprs: 106
; NumVgprs: 96
; NumAgprs: 0
; TotalNumVgprs: 96
; ScratchSize: 0
; MemoryBound: 0
; FloatMode: 240
; IeeeMode: 1
; LDSByteSize: 0 bytes/workgroup (compile time only)
; SGPRBlocks: 13
; VGPRBlocks: 11
; NumSGPRsForWavesPerEU: 106
; NumVGPRsForWavesPerEU: 96
; AccumOffset: 96
; Occupancy: 5
; WaveLimiterHint : 1
; COMPUTE_PGM_RSRC2:SCRATCH_EN: 0
; COMPUTE_PGM_RSRC2:USER_SGPR: 2
; COMPUTE_PGM_RSRC2:TRAP_HANDLER: 0
; COMPUTE_PGM_RSRC2:TGID_X_EN: 1
; COMPUTE_PGM_RSRC2:TGID_Y_EN: 1
; COMPUTE_PGM_RSRC2:TGID_Z_EN: 0
; COMPUTE_PGM_RSRC2:TIDIG_COMP_CNT: 0
; COMPUTE_PGM_RSRC3_GFX90A:ACCUM_OFFSET: 23
; COMPUTE_PGM_RSRC3_GFX90A:TG_SPLIT: 0
	.section	.text._Z25selective_scan_fwd_kernelI32Selective_Scan_fwd_kernel_traitsILi64ELi8ELi1ELb0ELb1ELb1ELb1ELb0EN3c108BFloat16EffEEv13SSMParamsBase,"axG",@progbits,_Z25selective_scan_fwd_kernelI32Selective_Scan_fwd_kernel_traitsILi64ELi8ELi1ELb0ELb1ELb1ELb1ELb0EN3c108BFloat16EffEEv13SSMParamsBase,comdat
	.protected	_Z25selective_scan_fwd_kernelI32Selective_Scan_fwd_kernel_traitsILi64ELi8ELi1ELb0ELb1ELb1ELb1ELb0EN3c108BFloat16EffEEv13SSMParamsBase ; -- Begin function _Z25selective_scan_fwd_kernelI32Selective_Scan_fwd_kernel_traitsILi64ELi8ELi1ELb0ELb1ELb1ELb1ELb0EN3c108BFloat16EffEEv13SSMParamsBase
	.globl	_Z25selective_scan_fwd_kernelI32Selective_Scan_fwd_kernel_traitsILi64ELi8ELi1ELb0ELb1ELb1ELb1ELb0EN3c108BFloat16EffEEv13SSMParamsBase
	.p2align	8
	.type	_Z25selective_scan_fwd_kernelI32Selective_Scan_fwd_kernel_traitsILi64ELi8ELi1ELb0ELb1ELb1ELb1ELb0EN3c108BFloat16EffEEv13SSMParamsBase,@function
_Z25selective_scan_fwd_kernelI32Selective_Scan_fwd_kernel_traitsILi64ELi8ELi1ELb0ELb1ELb1ELb1ELb0EN3c108BFloat16EffEEv13SSMParamsBase: ; @_Z25selective_scan_fwd_kernelI32Selective_Scan_fwd_kernel_traitsILi64ELi8ELi1ELb0ELb1ELb1ELb1ELb0EN3c108BFloat16EffEEv13SSMParamsBase
; %bb.0:
	s_load_dword s37, s[0:1], 0x18
	s_load_dwordx4 s[4:7], s[0:1], 0xe8
	s_mov_b32 s28, s3
	s_waitcnt lgkmcnt(0)
	s_abs_i32 s36, s37
	v_cvt_f32_u32_e32 v1, s36
	s_cmp_eq_u64 s[6:7], 0
	v_rcp_iflag_f32_e32 v1, v1
	s_nop 0
	v_mul_f32_e32 v1, 0x4f7ffffe, v1
	v_cvt_u32_f32_e32 v1, v1
	s_nop 0
	v_readfirstlane_b32 s24, v1
	s_cbranch_scc1 .LBB45_3
; %bb.1:
	s_ashr_i32 s3, s2, 31
	s_add_u32 s6, s6, s2
	s_addc_u32 s7, s7, s3
	v_mov_b32_e32 v1, 0
	global_load_ubyte v1, v1, s[6:7]
	s_waitcnt vmcnt(0)
	v_and_b32_e32 v1, 1, v1
	v_cmp_eq_u32_e64 s[54:55], 1, v1
	s_load_dwordx2 s[6:7], s[0:1], 0x20
	s_cmp_eq_u64 s[4:5], 0
	s_cbranch_scc1 .LBB45_4
.LBB45_2:
	s_ashr_i32 s3, s2, 31
	s_lshl_b64 s[8:9], s[2:3], 2
	s_add_u32 s4, s4, s8
	s_addc_u32 s5, s5, s9
	s_load_dword s34, s[4:5], 0x0
	s_waitcnt lgkmcnt(0)
	s_ashr_i32 s35, s34, 31
	s_cmp_eq_u64 s[6:7], s[34:35]
	s_cbranch_scc0 .LBB45_5
	s_branch .LBB45_169
.LBB45_3:
	s_mov_b64 s[54:55], 0
	s_load_dwordx2 s[6:7], s[0:1], 0x20
	s_cmp_eq_u64 s[4:5], 0
	s_cbranch_scc0 .LBB45_2
.LBB45_4:
	s_mov_b32 s34, s2
	s_ashr_i32 s35, s34, 31
	s_waitcnt lgkmcnt(0)
	s_cmp_eq_u64 s[6:7], s[34:35]
	s_cbranch_scc1 .LBB45_169
.LBB45_5:
	s_load_dwordx16 s[4:19], s[0:1], 0x88
	s_load_dwordx2 s[38:39], s[0:1], 0x8
	s_mov_b32 s33, 0
	s_mov_b32 s94, 0
	s_waitcnt lgkmcnt(0)
	s_cmp_eq_u64 s[10:11], 0
	s_cbranch_scc1 .LBB45_7
; %bb.6:
	s_ashr_i32 s29, s28, 31
	s_lshl_b64 s[20:21], s[28:29], 2
	s_add_u32 s10, s10, s20
	s_addc_u32 s11, s11, s21
	s_load_dword s94, s[10:11], 0x0
.LBB45_7:
	s_cmp_eq_u64 s[16:17], 0
	s_cbranch_scc1 .LBB45_9
; %bb.8:
	s_ashr_i32 s29, s28, 31
	s_lshl_b64 s[10:11], s[28:29], 2
	s_add_u32 s10, s16, s10
	s_addc_u32 s11, s17, s11
	s_load_dword s33, s[10:11], 0x0
.LBB45_9:
	s_cmp_lt_i32 s38, 1
	s_cbranch_scc1 .LBB45_169
; %bb.10:
	s_sub_i32 s3, 0, s36
	s_mul_i32 s3, s3, s24
	s_mul_hi_u32 s3, s24, s3
	s_abs_i32 s16, s28
	s_add_i32 s3, s24, s3
	s_load_dwordx8 s[56:63], s[0:1], 0x2c
	s_load_dwordx2 s[10:11], s[0:1], 0x7c
	s_load_dwordx4 s[20:23], s[0:1], 0x6c
	s_load_dwordx8 s[64:71], s[0:1], 0x4c
	s_load_dwordx2 s[30:31], s[0:1], 0xd8
	s_load_dwordx4 s[24:27], s[0:1], 0xc8
	s_load_dword s95, s[0:1], 0x84
	s_mul_hi_u32 s3, s16, s3
	s_load_dword s17, s[0:1], 0x28
	s_ashr_i32 s0, s28, 31
	s_ashr_i32 s1, s37, 31
	s_xor_b32 s0, s0, s1
	s_mul_i32 s1, s3, s36
	s_sub_i32 s1, s16, s1
	s_add_i32 s16, s3, 1
	s_sub_i32 s29, s1, s36
	s_cmp_ge_u32 s1, s36
	s_cselect_b32 s3, s16, s3
	s_cselect_b32 s1, s29, s1
	s_add_i32 s16, s3, 1
	s_cmp_ge_u32 s1, s36
	s_cselect_b32 s1, s16, s3
	s_xor_b32 s1, s1, s0
	s_waitcnt lgkmcnt(0)
	s_mul_i32 s74, s66, s2
	s_mov_b32 s75, 0
	s_sub_i32 s3, s1, s0
	s_lshl_b64 s[0:1], s[74:75], 1
	s_add_u32 s12, s12, s0
	s_mul_i32 s74, s67, s28
	s_addc_u32 s13, s13, s1
	s_lshl_b64 s[0:1], s[74:75], 1
	s_add_u32 s66, s12, s0
	s_mul_i32 s74, s68, s2
	s_addc_u32 s67, s13, s1
	;; [unrolled: 4-line block ×10, first 2 shown]
	s_lshl_b64 s[0:1], s[74:75], 2
	s_add_u32 s61, s3, s0
	v_mbcnt_lo_u32_b32 v1, -1, 0
	s_addc_u32 s65, s4, s1
	s_add_i32 s0, s38, 0x7ff
	v_mbcnt_hi_u32_b32 v10, -1, v1
	s_lshr_b32 s3, s0, 11
	v_lshrrev_b32_e32 v1, 5, v10
	v_and_b32_e32 v1, 2, v1
	s_bitcmp1_b32 s17, 0
	v_add_u32_e32 v40, 64, v10
	v_or_b32_e32 v41, 0x80, v10
	v_add_u32_e32 v42, 0xc0, v10
	v_or_b32_e32 v43, 0x100, v10
	;; [unrolled: 2-line block ×3, first 2 shown]
	v_add_u32_e32 v46, 0x1c0, v10
	v_add_u32_e32 v1, v1, v10
	s_cselect_b64 s[76:77], -1, 0
	s_cmp_gt_i32 s39, 0
	v_lshl_add_u32 v47, v1, 1, 0
	v_lshrrev_b32_e32 v1, 5, v40
	v_lshrrev_b32_e32 v2, 5, v41
	;; [unrolled: 1-line block ×7, first 2 shown]
	s_cselect_b64 s[0:1], -1, 0
                                        ; implicit-def: $vgpr95 : SGPR spill to VGPR lane
	v_and_b32_e32 v1, 6, v1
	v_and_b32_e32 v2, 6, v2
	;; [unrolled: 1-line block ×7, first 2 shown]
	v_writelane_b32 v95, s0, 0
	v_add_lshl_u32 v1, v1, v10, 1
	v_add_lshl_u32 v2, v2, v10, 1
	;; [unrolled: 1-line block ×7, first 2 shown]
	v_writelane_b32 v95, s1, 1
	s_add_i32 s0, 0, 0x420
	v_add_u32_e32 v56, s0, v1
	v_add_u32_e32 v57, s0, v2
	;; [unrolled: 1-line block ×7, first 2 shown]
	v_writelane_b32 v95, s38, 2
	s_and_b32 s0, s38, 0x1ff
	s_cmp_eq_u32 s0, 0
	v_writelane_b32 v95, s39, 3
	s_mul_i32 s74, s20, s2
	s_cselect_b64 s[80:81], -1, 0
	v_writelane_b32 v95, s3, 4
	s_add_i32 s3, s3, -1
	s_lshl_b64 s[4:5], s[74:75], 1
	v_lshrrev_b32_e32 v8, 2, v10
	v_writelane_b32 v95, s3, 5
	s_add_u32 s3, s18, s4
	s_mul_i32 s74, s21, s28
	v_and_b32_e32 v8, 30, v8
	s_addc_u32 s19, s19, s5
	s_lshl_b64 s[16:17], s[74:75], 1
	v_lshl_add_u32 v8, v10, 3, v8
	s_add_u32 s18, s3, s16
	v_mov_b32_e32 v9, 0
	v_lshl_add_u32 v55, v8, 1, 0
	s_addc_u32 s19, s19, s17
	v_lshlrev_b32_e32 v8, 1, v10
	s_mul_i32 s74, s70, s2
	v_lshl_add_u64 v[12:13], s[18:19], 0, v[8:9]
	s_lshl_b64 s[18:19], s[74:75], 1
	s_add_u32 s3, s26, s18
	s_mul_i32 s74, s71, s28
	s_addc_u32 s20, s27, s19
	s_lshl_b64 s[18:19], s[74:75], 1
	s_add_u32 s18, s3, s18
	s_mul_i32 s74, s22, s2
	s_addc_u32 s19, s20, s19
	s_lshl_b64 s[2:3], s[74:75], 1
	v_add_u32_e32 v48, 0, v1
	v_and_b32_e32 v1, 15, v10
	s_add_u32 s20, s30, s2
	s_mul_i32 s74, s23, s28
	v_cmp_ne_u32_e64 s[0:1], 0, v1
	v_cmp_lt_u32_e64 s[52:53], 1, v1
	v_cmp_lt_u32_e64 s[4:5], 3, v1
	;; [unrolled: 1-line block ×3, first 2 shown]
	v_and_b32_e32 v1, 16, v10
	s_addc_u32 s21, s31, s3
	s_lshl_b64 s[2:3], s[74:75], 1
	v_add_u32_e32 v49, 0, v2
	v_cmp_ne_u32_e64 s[8:9], 0, v1
	v_add_u32_e32 v1, -1, v10
	v_and_b32_e32 v2, 64, v10
	s_add_u32 s2, s20, s2
	v_cmp_lt_i32_e32 vcc, v1, v2
	s_addc_u32 s3, s21, s3
	v_lshl_add_u64 v[16:17], s[2:3], 0, v[8:9]
	v_cndmask_b32_e32 v1, v1, v10, vcc
	s_add_i32 s2, 0, 0x848
	v_lshlrev_b32_e32 v11, 3, v0
	v_add_u32_e32 v50, 0, v3
	v_add_u32_e32 v51, 0, v4
	;; [unrolled: 1-line block ×5, first 2 shown]
	v_cmp_lt_u32_e64 s[10:11], 31, v10
	v_cmp_eq_u32_e64 s[12:13], 63, v0
	v_lshlrev_b32_e32 v63, 2, v1
	v_cmp_gt_u32_e64 s[14:15], 64, v0
	v_cmp_eq_u32_e64 s[16:17], 0, v0
	v_lshl_add_u64 v[14:15], s[18:19], 0, v[8:9]
	v_lshlrev_b32_e32 v8, 1, v10
	s_mov_b32 s38, 0x41a00000
	s_mov_b32 s39, 0x3fb8aa3b
	;; [unrolled: 1-line block ×6, first 2 shown]
	v_mov_b32_e32 v71, 0x3ecc95a3
	s_mov_b32 s44, 0x3f317218
	s_mov_b32 s45, 0x33800000
	v_writelane_b32 v95, s2, 6
	s_mov_b32 s72, 0xc2fc0000
	s_movk_i32 s73, 0x7fff
	s_mov_b32 s79, 0xbfb8aa3b
	s_mov_b32 s97, 0x42ce8ed0
	;; [unrolled: 1-line block ×3, first 2 shown]
	v_mov_b32_e32 v72, 0x7f800000
	v_mov_b32_e32 v18, 0x3f317218
	;; [unrolled: 1-line block ×5, first 2 shown]
	s_mov_b32 s99, 0
                                        ; implicit-def: $vgpr0
	s_branch .LBB45_12
.LBB45_11:                              ;   in Loop: Header=BB45_12 Depth=1
	s_or_b64 exec, exec, s[2:3]
	s_add_u32 s68, s68, 0x400
	s_addc_u32 s69, s69, 0
	s_add_u32 s66, s66, 0x400
	s_addc_u32 s67, s67, 0
	;; [unrolled: 2-line block ×4, first 2 shown]
	s_add_i32 s99, s99, 1
	v_readlane_b32 s2, v95, 4
	s_cmp_lg_u32 s99, s2
	s_cbranch_scc0 .LBB45_169
.LBB45_12:                              ; =>This Loop Header: Depth=1
                                        ;     Child Loop BB45_61 Depth 2
	s_lshl_b32 s70, s99, 9
	v_readlane_b32 s2, v95, 2
	s_sub_i32 s50, s2, s70
	v_readlane_b32 s3, v95, 3
	v_lshl_add_u64 v[0:1], s[66:67], 0, v[8:9]
	v_cmp_gt_u32_e64 s[18:19], s50, v10
	s_waitcnt lgkmcnt(0)
	v_mov_b32_e32 v2, 0
	s_waitcnt lgkmcnt(0)
	; wave barrier
	s_and_saveexec_b64 s[2:3], s[18:19]
	s_cbranch_execz .LBB45_14
; %bb.13:                               ;   in Loop: Header=BB45_12 Depth=1
	global_load_ushort v2, v[0:1], off
.LBB45_14:                              ;   in Loop: Header=BB45_12 Depth=1
	s_or_b64 exec, exec, s[2:3]
	v_cmp_gt_u32_e64 s[20:21], s50, v40
	v_mov_b32_e32 v3, 0
	v_mov_b32_e32 v4, 0
	s_and_saveexec_b64 s[2:3], s[20:21]
	s_cbranch_execz .LBB45_16
; %bb.15:                               ;   in Loop: Header=BB45_12 Depth=1
	global_load_ushort v4, v[0:1], off offset:128
.LBB45_16:                              ;   in Loop: Header=BB45_12 Depth=1
	s_or_b64 exec, exec, s[2:3]
	v_cmp_gt_u32_e64 s[22:23], s50, v41
	s_and_saveexec_b64 s[2:3], s[22:23]
	s_cbranch_execz .LBB45_18
; %bb.17:                               ;   in Loop: Header=BB45_12 Depth=1
	global_load_ushort v3, v[0:1], off offset:256
.LBB45_18:                              ;   in Loop: Header=BB45_12 Depth=1
	s_or_b64 exec, exec, s[2:3]
	v_cmp_gt_u32_e64 s[24:25], s50, v42
	v_mov_b32_e32 v5, 0
	v_mov_b32_e32 v7, 0
	s_and_saveexec_b64 s[2:3], s[24:25]
	s_cbranch_execz .LBB45_20
; %bb.19:                               ;   in Loop: Header=BB45_12 Depth=1
	global_load_ushort v7, v[0:1], off offset:384
.LBB45_20:                              ;   in Loop: Header=BB45_12 Depth=1
	s_or_b64 exec, exec, s[2:3]
	v_cmp_gt_u32_e64 s[26:27], s50, v43
	s_and_saveexec_b64 s[2:3], s[26:27]
	s_cbranch_execz .LBB45_22
; %bb.21:                               ;   in Loop: Header=BB45_12 Depth=1
	global_load_ushort v5, v[0:1], off offset:512
.LBB45_22:                              ;   in Loop: Header=BB45_12 Depth=1
	;; [unrolled: 16-line block ×3, first 2 shown]
	s_or_b64 exec, exec, s[2:3]
	v_cmp_gt_u32_e64 s[34:35], s50, v46
	v_mov_b32_e32 v6, 0
	v_mov_b32_e32 v21, 0
	s_and_saveexec_b64 s[2:3], s[34:35]
	s_cbranch_execz .LBB45_28
; %bb.27:                               ;   in Loop: Header=BB45_12 Depth=1
	global_load_ushort v21, v[0:1], off offset:896
.LBB45_28:                              ;   in Loop: Header=BB45_12 Depth=1
	s_or_b64 exec, exec, s[2:3]
	s_waitcnt vmcnt(0)
	ds_write_b16 v47, v2
	ds_write_b16 v48, v4 offset:128
	ds_write_b16 v49, v3 offset:256
	;; [unrolled: 1-line block ×7, first 2 shown]
	; wave barrier
	ds_read_b128 v[0:3], v55
	v_lshl_add_u64 v[4:5], s[68:69], 0, v[8:9]
	s_waitcnt lgkmcnt(0)
	; wave barrier
	s_waitcnt lgkmcnt(0)
	s_and_saveexec_b64 s[2:3], s[18:19]
	s_cbranch_execz .LBB45_30
; %bb.29:                               ;   in Loop: Header=BB45_12 Depth=1
	global_load_ushort v6, v[4:5], off
.LBB45_30:                              ;   in Loop: Header=BB45_12 Depth=1
	s_or_b64 exec, exec, s[2:3]
	v_mov_b32_e32 v7, 0
	v_mov_b32_e32 v19, 0
	s_and_saveexec_b64 s[2:3], s[20:21]
	s_cbranch_execz .LBB45_32
; %bb.31:                               ;   in Loop: Header=BB45_12 Depth=1
	global_load_ushort v19, v[4:5], off offset:128
.LBB45_32:                              ;   in Loop: Header=BB45_12 Depth=1
	s_or_b64 exec, exec, s[2:3]
	s_and_saveexec_b64 s[2:3], s[22:23]
	s_cbranch_execz .LBB45_34
; %bb.33:                               ;   in Loop: Header=BB45_12 Depth=1
	global_load_ushort v7, v[4:5], off offset:256
.LBB45_34:                              ;   in Loop: Header=BB45_12 Depth=1
	s_or_b64 exec, exec, s[2:3]
	v_mov_b32_e32 v20, 0
	v_mov_b32_e32 v21, 0
	s_and_saveexec_b64 s[2:3], s[24:25]
	s_cbranch_execz .LBB45_36
; %bb.35:                               ;   in Loop: Header=BB45_12 Depth=1
	global_load_ushort v21, v[4:5], off offset:384
.LBB45_36:                              ;   in Loop: Header=BB45_12 Depth=1
	s_or_b64 exec, exec, s[2:3]
	s_and_saveexec_b64 s[2:3], s[26:27]
	s_cbranch_execz .LBB45_38
; %bb.37:                               ;   in Loop: Header=BB45_12 Depth=1
	global_load_ushort v20, v[4:5], off offset:512
.LBB45_38:                              ;   in Loop: Header=BB45_12 Depth=1
	s_or_b64 exec, exec, s[2:3]
	v_mov_b32_e32 v22, 0
	v_mov_b32_e32 v23, 0
	s_and_saveexec_b64 s[2:3], s[28:29]
	s_cbranch_execnz .LBB45_152
; %bb.39:                               ;   in Loop: Header=BB45_12 Depth=1
	s_or_b64 exec, exec, s[2:3]
	s_and_saveexec_b64 s[2:3], s[30:31]
	s_cbranch_execnz .LBB45_153
.LBB45_40:                              ;   in Loop: Header=BB45_12 Depth=1
	s_or_b64 exec, exec, s[2:3]
	v_mov_b32_e32 v24, 0
	s_and_saveexec_b64 s[2:3], s[34:35]
	s_cbranch_execz .LBB45_42
.LBB45_41:                              ;   in Loop: Header=BB45_12 Depth=1
	global_load_ushort v24, v[4:5], off offset:896
.LBB45_42:                              ;   in Loop: Header=BB45_12 Depth=1
	s_or_b64 exec, exec, s[2:3]
	s_waitcnt vmcnt(0)
	ds_write_b16 v47, v6
	ds_write_b16 v48, v19 offset:128
	ds_write_b16 v49, v7 offset:256
	;; [unrolled: 1-line block ×7, first 2 shown]
	; wave barrier
	ds_read_b128 v[4:7], v55
	s_waitcnt lgkmcnt(0)
	v_lshlrev_b32_e32 v19, 16, v4
	v_add_f32_e32 v76, s33, v19
	v_cmp_ge_f32_e32 vcc, s38, v76
	s_and_b64 s[2:3], s[76:77], vcc
	s_and_saveexec_b64 s[36:37], s[2:3]
	s_cbranch_execz .LBB45_44
; %bb.43:                               ;   in Loop: Header=BB45_12 Depth=1
	v_mul_f32_e32 v19, 0x3fb8aa3b, v76
	v_rndne_f32_e32 v20, v19
	v_sub_f32_e32 v21, v19, v20
	v_fma_f32 v19, v76, s39, -v19
	v_fmac_f32_e32 v19, 0x32a5705f, v76
	v_add_f32_e32 v19, v21, v19
	v_cvt_i32_f32_e32 v20, v20
	v_exp_f32_e32 v19, v19
	v_cmp_ngt_f32_e32 vcc, s40, v76
	v_ldexp_f32 v19, v19, v20
	s_nop 0
	v_cndmask_b32_e32 v19, 0, v19, vcc
	v_cmp_nlt_f32_e32 vcc, s41, v76
	s_nop 1
	v_cndmask_b32_e32 v36, v72, v19, vcc
	v_add_f32_e32 v19, 1.0, v36
	v_add_f32_e32 v20, -1.0, v19
	v_sub_f32_e32 v21, v20, v19
	v_add_f32_e32 v21, 1.0, v21
	v_sub_f32_e32 v20, v36, v20
	v_add_f32_e32 v22, v20, v21
	v_frexp_mant_f32_e32 v23, v19
	v_cvt_f64_f32_e32 v[20:21], v19
	v_frexp_exp_i32_f64_e32 v20, v[20:21]
	v_cmp_gt_f32_e32 vcc, s43, v23
	v_cmp_gt_f32_e64 s[2:3], s45, v36
	s_nop 0
	v_subbrev_co_u32_e32 v28, vcc, 0, v20, vcc
	v_sub_u32_e32 v20, 0, v28
	v_ldexp_f32 v19, v19, v20
	v_ldexp_f32 v20, v22, v20
	v_add_f32_e32 v22, -1.0, v19
	v_add_f32_e32 v21, 1.0, v22
	v_sub_f32_e32 v21, v19, v21
	v_add_f32_e32 v23, v20, v21
	v_add_f32_e32 v21, 1.0, v19
	v_add_f32_e32 v24, -1.0, v21
	v_sub_f32_e32 v19, v19, v24
	v_add_f32_e32 v19, v20, v19
	v_add_f32_e32 v29, v21, v19
	v_rcp_f32_e32 v30, v29
	v_sub_f32_e32 v20, v21, v29
	v_add_f32_e32 v21, v22, v23
	v_add_f32_e32 v19, v19, v20
	v_mul_f32_e32 v32, v21, v30
	v_sub_f32_e32 v20, v22, v21
	v_mul_f32_e32 v22, v29, v32
	v_fma_f32 v24, v32, v29, -v22
	v_fmac_f32_e32 v24, v32, v19
	v_add_f32_e32 v31, v23, v20
	v_add_f32_e32 v20, v22, v24
	v_sub_f32_e32 v23, v21, v20
	v_pk_add_f32 v[26:27], v[20:21], v[22:23] neg_lo:[0,1] neg_hi:[0,1]
	v_mov_b32_e32 v25, v20
	v_pk_add_f32 v[20:21], v[26:27], v[24:25] neg_lo:[0,1] neg_hi:[0,1]
	v_cmp_eq_f32_e32 vcc, s42, v36
	v_add_f32_e32 v21, v31, v21
	v_add_f32_e32 v20, v20, v21
	;; [unrolled: 1-line block ×3, first 2 shown]
	v_mul_f32_e32 v31, v30, v21
	v_mul_f32_e32 v22, v29, v31
	v_fma_f32 v24, v31, v29, -v22
	v_fmac_f32_e32 v24, v31, v19
	v_sub_f32_e32 v19, v23, v21
	v_add_f32_e32 v19, v20, v19
	v_add_f32_e32 v20, v22, v24
	v_sub_f32_e32 v23, v21, v20
	v_pk_add_f32 v[26:27], v[20:21], v[22:23] neg_lo:[0,1] neg_hi:[0,1]
	v_mov_b32_e32 v25, v20
	v_pk_add_f32 v[20:21], v[26:27], v[24:25] neg_lo:[0,1] neg_hi:[0,1]
	s_or_b64 vcc, s[2:3], vcc
	v_add_f32_e32 v19, v19, v21
	v_add_f32_e32 v19, v20, v19
	;; [unrolled: 1-line block ×4, first 2 shown]
	v_sub_f32_e32 v20, v21, v32
	v_mul_f32_e32 v19, v30, v19
	v_sub_f32_e32 v20, v31, v20
	v_add_f32_e32 v22, v20, v19
	v_add_f32_e32 v24, v21, v22
	v_cvt_f32_i32_e32 v20, v28
	v_mul_f32_e32 v25, v24, v24
	v_sub_f32_e32 v21, v24, v21
	v_fmamk_f32 v19, v25, 0x3e9b6dac, v71
	v_sub_f32_e32 v21, v22, v21
	v_fmaak_f32 v19, v25, v19, 0x3f2aaada
	v_ldexp_f32 v26, v21, 1
	v_mul_f32_e32 v21, v24, v25
	v_ldexp_f32 v23, v24, 1
	v_pk_mul_f32 v[24:25], v[20:21], v[18:19]
	s_nop 0
	v_fma_f32 v22, v20, s44, -v24
	v_fmac_f32_e32 v22, 0xb102e308, v20
	v_pk_add_f32 v[20:21], v[24:25], v[22:23]
	s_nop 0
	v_sub_f32_e32 v19, v21, v23
	v_sub_f32_e32 v19, v25, v19
	v_add_f32_e32 v27, v26, v19
	v_mov_b32_e32 v26, v24
	v_pk_add_f32 v[24:25], v[20:21], v[24:25] neg_lo:[0,1] neg_hi:[0,1]
	v_pk_add_f32 v[28:29], v[20:21], v[26:27]
	v_mov_b32_e32 v23, v20
	v_mov_b32_e32 v25, v29
	v_pk_add_f32 v[30:31], v[22:23], v[24:25] neg_lo:[0,1] neg_hi:[0,1]
	v_pk_add_f32 v[22:23], v[22:23], v[24:25]
	v_mov_b32_e32 v26, v27
	v_mov_b32_e32 v24, v23
	v_pk_add_f32 v[32:33], v[24:25], v[20:21] neg_lo:[0,1] neg_hi:[0,1]
	v_mov_b32_e32 v22, v29
	v_mov_b32_e32 v19, v32
	v_pk_add_f32 v[34:35], v[28:29], v[18:19] neg_lo:[0,1] neg_hi:[0,1]
	v_mov_b32_e32 v28, v21
	v_mov_b32_e32 v29, v32
	;; [unrolled: 1-line block ×3, first 2 shown]
	v_pk_add_f32 v[22:23], v[22:23], v[28:29] neg_lo:[0,1] neg_hi:[0,1]
	v_mov_b32_e32 v27, v20
	v_pk_add_f32 v[20:21], v[26:27], v[22:23] neg_lo:[0,1] neg_hi:[0,1]
	v_mov_b32_e32 v34, v30
	v_pk_add_f32 v[22:23], v[34:35], v[20:21]
	s_nop 0
	v_mov_b32_e32 v26, v23
	v_pk_add_f32 v[26:27], v[22:23], v[26:27]
	s_nop 0
	v_pk_add_f32 v[24:25], v[24:25], v[26:27]
	v_mov_b32_e32 v21, v26
	v_mov_b32_e32 v23, v24
	v_pk_add_f32 v[28:29], v[22:23], v[30:31] neg_lo:[0,1] neg_hi:[0,1]
	s_nop 0
	v_sub_f32_e32 v19, v22, v28
	v_pk_add_f32 v[20:21], v[20:21], v[28:29] neg_lo:[0,1] neg_hi:[0,1]
	v_sub_f32_e32 v19, v30, v19
	v_add_f32_e32 v19, v20, v19
	v_add_f32_e32 v19, v19, v21
	;; [unrolled: 1-line block ×3, first 2 shown]
	v_cndmask_b32_e32 v76, v19, v36, vcc
.LBB45_44:                              ;   in Loop: Header=BB45_12 Depth=1
	s_or_b64 exec, exec, s[36:37]
	v_and_b32_e32 v4, 0xffff0000, v4
	v_add_f32_e32 v77, s33, v4
	v_cmp_ge_f32_e32 vcc, s38, v77
	s_and_b64 s[2:3], s[76:77], vcc
	s_and_saveexec_b64 s[36:37], s[2:3]
	s_cbranch_execz .LBB45_46
; %bb.45:                               ;   in Loop: Header=BB45_12 Depth=1
	v_mul_f32_e32 v4, 0x3fb8aa3b, v77
	v_rndne_f32_e32 v19, v4
	v_sub_f32_e32 v20, v4, v19
	v_fma_f32 v4, v77, s39, -v4
	v_fmac_f32_e32 v4, 0x32a5705f, v77
	v_add_f32_e32 v4, v20, v4
	v_cvt_i32_f32_e32 v19, v19
	v_exp_f32_e32 v4, v4
	v_cmp_ngt_f32_e32 vcc, s40, v77
	v_ldexp_f32 v4, v4, v19
	s_nop 0
	v_cndmask_b32_e32 v4, 0, v4, vcc
	v_cmp_nlt_f32_e32 vcc, s41, v77
	s_nop 1
	v_cndmask_b32_e32 v34, v72, v4, vcc
	v_add_f32_e32 v4, 1.0, v34
	v_add_f32_e32 v19, -1.0, v4
	v_sub_f32_e32 v20, v19, v4
	v_add_f32_e32 v20, 1.0, v20
	v_sub_f32_e32 v19, v34, v19
	v_add_f32_e32 v19, v19, v20
	v_frexp_mant_f32_e32 v22, v4
	v_cvt_f64_f32_e32 v[20:21], v4
	v_frexp_exp_i32_f64_e32 v20, v[20:21]
	v_cmp_gt_f32_e32 vcc, s43, v22
	v_cmp_gt_f32_e64 s[2:3], s45, v34
	s_nop 0
	v_subbrev_co_u32_e32 v28, vcc, 0, v20, vcc
	v_sub_u32_e32 v20, 0, v28
	v_ldexp_f32 v4, v4, v20
	v_ldexp_f32 v19, v19, v20
	v_add_f32_e32 v20, -1.0, v4
	v_add_f32_e32 v21, 1.0, v20
	v_sub_f32_e32 v21, v4, v21
	v_add_f32_e32 v22, v19, v21
	v_add_f32_e32 v21, 1.0, v4
	v_add_f32_e32 v23, -1.0, v21
	v_sub_f32_e32 v4, v4, v23
	v_add_f32_e32 v4, v19, v4
	v_add_f32_e32 v19, v21, v4
	v_rcp_f32_e32 v29, v19
	v_sub_f32_e32 v21, v21, v19
	v_add_f32_e32 v4, v4, v21
	v_add_f32_e32 v21, v20, v22
	v_sub_f32_e32 v20, v20, v21
	v_mul_f32_e32 v31, v21, v29
	v_add_f32_e32 v30, v22, v20
	v_mul_f32_e32 v22, v19, v31
	v_fma_f32 v24, v31, v19, -v22
	v_fmac_f32_e32 v24, v31, v4
	v_add_f32_e32 v20, v22, v24
	v_sub_f32_e32 v23, v21, v20
	v_pk_add_f32 v[26:27], v[20:21], v[22:23] neg_lo:[0,1] neg_hi:[0,1]
	v_mov_b32_e32 v25, v20
	v_pk_add_f32 v[20:21], v[26:27], v[24:25] neg_lo:[0,1] neg_hi:[0,1]
	v_cmp_eq_f32_e32 vcc, s42, v34
	v_add_f32_e32 v21, v30, v21
	v_add_f32_e32 v20, v20, v21
	;; [unrolled: 1-line block ×3, first 2 shown]
	v_mul_f32_e32 v30, v29, v21
	v_mul_f32_e32 v22, v19, v30
	v_fma_f32 v24, v30, v19, -v22
	v_fmac_f32_e32 v24, v30, v4
	v_sub_f32_e32 v4, v23, v21
	v_add_f32_e32 v4, v20, v4
	v_add_f32_e32 v20, v22, v24
	v_sub_f32_e32 v23, v21, v20
	v_pk_add_f32 v[26:27], v[20:21], v[22:23] neg_lo:[0,1] neg_hi:[0,1]
	v_mov_b32_e32 v25, v20
	v_pk_add_f32 v[20:21], v[26:27], v[24:25] neg_lo:[0,1] neg_hi:[0,1]
	s_or_b64 vcc, s[2:3], vcc
	v_add_f32_e32 v4, v4, v21
	v_add_f32_e32 v4, v20, v4
	;; [unrolled: 1-line block ×4, first 2 shown]
	v_sub_f32_e32 v19, v21, v31
	v_mul_f32_e32 v4, v29, v4
	v_sub_f32_e32 v19, v30, v19
	v_add_f32_e32 v4, v19, v4
	v_add_f32_e32 v22, v21, v4
	v_cvt_f32_i32_e32 v20, v28
	v_mul_f32_e32 v24, v22, v22
	v_fmamk_f32 v19, v24, 0x3e9b6dac, v71
	v_sub_f32_e32 v21, v22, v21
	v_fmaak_f32 v19, v24, v19, 0x3f2aaada
	v_sub_f32_e32 v4, v4, v21
	v_mul_f32_e32 v21, v22, v24
	v_pk_mul_f32 v[24:25], v[20:21], v[18:19]
	v_ldexp_f32 v23, v22, 1
	v_fma_f32 v22, v20, s44, -v24
	v_fmac_f32_e32 v22, 0xb102e308, v20
	v_pk_add_f32 v[20:21], v[24:25], v[22:23]
	v_ldexp_f32 v4, v4, 1
	v_sub_f32_e32 v19, v21, v23
	v_sub_f32_e32 v19, v25, v19
	v_add_f32_e32 v27, v4, v19
	v_mov_b32_e32 v26, v24
	v_pk_add_f32 v[24:25], v[20:21], v[24:25] neg_lo:[0,1] neg_hi:[0,1]
	v_pk_add_f32 v[28:29], v[20:21], v[26:27]
	v_mov_b32_e32 v23, v20
	v_mov_b32_e32 v25, v29
	v_pk_add_f32 v[30:31], v[22:23], v[24:25] neg_lo:[0,1] neg_hi:[0,1]
	v_pk_add_f32 v[22:23], v[22:23], v[24:25]
	s_nop 0
	v_mov_b32_e32 v4, v23
	v_pk_add_f32 v[24:25], v[4:5], v[20:21] neg_lo:[0,1] neg_hi:[0,1]
	v_mov_b32_e32 v22, v29
	v_mov_b32_e32 v19, v24
	v_pk_add_f32 v[32:33], v[28:29], v[18:19] neg_lo:[0,1] neg_hi:[0,1]
	v_mov_b32_e32 v28, v21
	v_mov_b32_e32 v29, v24
	;; [unrolled: 1-line block ×3, first 2 shown]
	v_pk_add_f32 v[22:23], v[22:23], v[28:29] neg_lo:[0,1] neg_hi:[0,1]
	v_mov_b32_e32 v24, v27
	v_mov_b32_e32 v25, v20
	v_pk_add_f32 v[20:21], v[24:25], v[22:23] neg_lo:[0,1] neg_hi:[0,1]
	v_mov_b32_e32 v32, v30
	v_pk_add_f32 v[22:23], v[32:33], v[20:21]
	s_nop 0
	v_mov_b32_e32 v24, v23
	v_pk_add_f32 v[24:25], v[22:23], v[24:25]
	s_nop 0
	v_pk_add_f32 v[26:27], v[4:5], v[24:25]
	v_mov_b32_e32 v21, v24
	v_mov_b32_e32 v23, v26
	v_pk_add_f32 v[28:29], v[22:23], v[30:31] neg_lo:[0,1] neg_hi:[0,1]
	s_nop 0
	v_sub_f32_e32 v4, v22, v28
	v_pk_add_f32 v[20:21], v[20:21], v[28:29] neg_lo:[0,1] neg_hi:[0,1]
	v_sub_f32_e32 v4, v30, v4
	v_add_f32_e32 v4, v20, v4
	v_add_f32_e32 v4, v4, v21
	;; [unrolled: 1-line block ×3, first 2 shown]
	v_cndmask_b32_e32 v77, v4, v34, vcc
.LBB45_46:                              ;   in Loop: Header=BB45_12 Depth=1
	s_or_b64 exec, exec, s[36:37]
	v_lshlrev_b32_e32 v4, 16, v5
	v_add_f32_e32 v78, s33, v4
	v_cmp_ge_f32_e32 vcc, s38, v78
	s_and_b64 s[2:3], s[76:77], vcc
	s_and_saveexec_b64 s[36:37], s[2:3]
	s_cbranch_execz .LBB45_48
; %bb.47:                               ;   in Loop: Header=BB45_12 Depth=1
	v_mul_f32_e32 v4, 0x3fb8aa3b, v78
	v_rndne_f32_e32 v19, v4
	v_sub_f32_e32 v20, v4, v19
	v_fma_f32 v4, v78, s39, -v4
	v_fmac_f32_e32 v4, 0x32a5705f, v78
	v_add_f32_e32 v4, v20, v4
	v_cvt_i32_f32_e32 v19, v19
	v_exp_f32_e32 v4, v4
	v_cmp_ngt_f32_e32 vcc, s40, v78
	v_ldexp_f32 v4, v4, v19
	s_nop 0
	v_cndmask_b32_e32 v4, 0, v4, vcc
	v_cmp_nlt_f32_e32 vcc, s41, v78
	s_nop 1
	v_cndmask_b32_e32 v34, v72, v4, vcc
	v_add_f32_e32 v4, 1.0, v34
	v_add_f32_e32 v19, -1.0, v4
	v_sub_f32_e32 v20, v19, v4
	v_add_f32_e32 v20, 1.0, v20
	v_sub_f32_e32 v19, v34, v19
	v_add_f32_e32 v19, v19, v20
	v_frexp_mant_f32_e32 v22, v4
	v_cvt_f64_f32_e32 v[20:21], v4
	v_frexp_exp_i32_f64_e32 v20, v[20:21]
	v_cmp_gt_f32_e32 vcc, s43, v22
	v_cmp_gt_f32_e64 s[2:3], s45, v34
	s_nop 0
	v_subbrev_co_u32_e32 v28, vcc, 0, v20, vcc
	v_sub_u32_e32 v20, 0, v28
	v_ldexp_f32 v4, v4, v20
	v_ldexp_f32 v19, v19, v20
	v_add_f32_e32 v20, -1.0, v4
	v_add_f32_e32 v21, 1.0, v20
	v_sub_f32_e32 v21, v4, v21
	v_add_f32_e32 v22, v19, v21
	v_add_f32_e32 v21, 1.0, v4
	v_add_f32_e32 v23, -1.0, v21
	v_sub_f32_e32 v4, v4, v23
	v_add_f32_e32 v4, v19, v4
	v_add_f32_e32 v19, v21, v4
	v_rcp_f32_e32 v29, v19
	v_sub_f32_e32 v21, v21, v19
	v_add_f32_e32 v4, v4, v21
	v_add_f32_e32 v21, v20, v22
	v_sub_f32_e32 v20, v20, v21
	v_mul_f32_e32 v31, v21, v29
	v_add_f32_e32 v30, v22, v20
	v_mul_f32_e32 v22, v19, v31
	v_fma_f32 v24, v31, v19, -v22
	v_fmac_f32_e32 v24, v31, v4
	v_add_f32_e32 v20, v22, v24
	v_sub_f32_e32 v23, v21, v20
	v_pk_add_f32 v[26:27], v[20:21], v[22:23] neg_lo:[0,1] neg_hi:[0,1]
	v_mov_b32_e32 v25, v20
	v_pk_add_f32 v[20:21], v[26:27], v[24:25] neg_lo:[0,1] neg_hi:[0,1]
	v_cmp_eq_f32_e32 vcc, s42, v34
	v_add_f32_e32 v21, v30, v21
	v_add_f32_e32 v20, v20, v21
	;; [unrolled: 1-line block ×3, first 2 shown]
	v_mul_f32_e32 v30, v29, v21
	v_mul_f32_e32 v22, v19, v30
	v_fma_f32 v24, v30, v19, -v22
	v_fmac_f32_e32 v24, v30, v4
	v_sub_f32_e32 v4, v23, v21
	v_add_f32_e32 v4, v20, v4
	v_add_f32_e32 v20, v22, v24
	v_sub_f32_e32 v23, v21, v20
	v_pk_add_f32 v[26:27], v[20:21], v[22:23] neg_lo:[0,1] neg_hi:[0,1]
	v_mov_b32_e32 v25, v20
	v_pk_add_f32 v[20:21], v[26:27], v[24:25] neg_lo:[0,1] neg_hi:[0,1]
	s_or_b64 vcc, s[2:3], vcc
	v_add_f32_e32 v4, v4, v21
	v_add_f32_e32 v4, v20, v4
	;; [unrolled: 1-line block ×4, first 2 shown]
	v_sub_f32_e32 v19, v21, v31
	v_mul_f32_e32 v4, v29, v4
	v_sub_f32_e32 v19, v30, v19
	v_add_f32_e32 v4, v19, v4
	v_add_f32_e32 v22, v21, v4
	v_cvt_f32_i32_e32 v20, v28
	v_mul_f32_e32 v24, v22, v22
	v_fmamk_f32 v19, v24, 0x3e9b6dac, v71
	v_sub_f32_e32 v21, v22, v21
	v_fmaak_f32 v19, v24, v19, 0x3f2aaada
	v_sub_f32_e32 v4, v4, v21
	v_mul_f32_e32 v21, v22, v24
	v_pk_mul_f32 v[24:25], v[20:21], v[18:19]
	v_ldexp_f32 v23, v22, 1
	v_fma_f32 v22, v20, s44, -v24
	v_fmac_f32_e32 v22, 0xb102e308, v20
	v_pk_add_f32 v[20:21], v[24:25], v[22:23]
	v_ldexp_f32 v4, v4, 1
	v_sub_f32_e32 v19, v21, v23
	v_sub_f32_e32 v19, v25, v19
	v_add_f32_e32 v27, v4, v19
	v_mov_b32_e32 v26, v24
	v_pk_add_f32 v[24:25], v[20:21], v[24:25] neg_lo:[0,1] neg_hi:[0,1]
	v_pk_add_f32 v[28:29], v[20:21], v[26:27]
	v_mov_b32_e32 v23, v20
	v_mov_b32_e32 v25, v29
	v_pk_add_f32 v[30:31], v[22:23], v[24:25] neg_lo:[0,1] neg_hi:[0,1]
	v_pk_add_f32 v[22:23], v[22:23], v[24:25]
	s_nop 0
	v_mov_b32_e32 v4, v23
	v_pk_add_f32 v[24:25], v[4:5], v[20:21] neg_lo:[0,1] neg_hi:[0,1]
	v_mov_b32_e32 v22, v29
	v_mov_b32_e32 v19, v24
	v_pk_add_f32 v[32:33], v[28:29], v[18:19] neg_lo:[0,1] neg_hi:[0,1]
	v_mov_b32_e32 v28, v21
	v_mov_b32_e32 v29, v24
	v_mov_b32_e32 v31, v23
	v_pk_add_f32 v[22:23], v[22:23], v[28:29] neg_lo:[0,1] neg_hi:[0,1]
	v_mov_b32_e32 v24, v27
	v_mov_b32_e32 v25, v20
	v_pk_add_f32 v[20:21], v[24:25], v[22:23] neg_lo:[0,1] neg_hi:[0,1]
	v_mov_b32_e32 v32, v30
	v_pk_add_f32 v[22:23], v[32:33], v[20:21]
	s_nop 0
	v_mov_b32_e32 v24, v23
	v_pk_add_f32 v[24:25], v[22:23], v[24:25]
	s_nop 0
	v_pk_add_f32 v[26:27], v[4:5], v[24:25]
	v_mov_b32_e32 v21, v24
	v_mov_b32_e32 v23, v26
	v_pk_add_f32 v[28:29], v[22:23], v[30:31] neg_lo:[0,1] neg_hi:[0,1]
	s_nop 0
	v_sub_f32_e32 v4, v22, v28
	v_pk_add_f32 v[20:21], v[20:21], v[28:29] neg_lo:[0,1] neg_hi:[0,1]
	v_sub_f32_e32 v4, v30, v4
	v_add_f32_e32 v4, v20, v4
	v_add_f32_e32 v4, v4, v21
	;; [unrolled: 1-line block ×3, first 2 shown]
	v_cndmask_b32_e32 v78, v4, v34, vcc
.LBB45_48:                              ;   in Loop: Header=BB45_12 Depth=1
	s_or_b64 exec, exec, s[36:37]
	v_and_b32_e32 v4, 0xffff0000, v5
	v_add_f32_e32 v79, s33, v4
	v_cmp_ge_f32_e32 vcc, s38, v79
	s_and_b64 s[2:3], s[76:77], vcc
	s_and_saveexec_b64 s[36:37], s[2:3]
	s_cbranch_execz .LBB45_50
; %bb.49:                               ;   in Loop: Header=BB45_12 Depth=1
	v_mul_f32_e32 v4, 0x3fb8aa3b, v79
	v_rndne_f32_e32 v5, v4
	v_sub_f32_e32 v19, v4, v5
	v_fma_f32 v4, v79, s39, -v4
	v_fmac_f32_e32 v4, 0x32a5705f, v79
	v_add_f32_e32 v4, v19, v4
	v_cvt_i32_f32_e32 v5, v5
	v_exp_f32_e32 v4, v4
	v_cmp_ngt_f32_e32 vcc, s40, v79
	v_ldexp_f32 v4, v4, v5
	s_nop 0
	v_cndmask_b32_e32 v4, 0, v4, vcc
	v_cmp_nlt_f32_e32 vcc, s41, v79
	s_nop 1
	v_cndmask_b32_e32 v34, v72, v4, vcc
	v_add_f32_e32 v19, 1.0, v34
	v_add_f32_e32 v4, -1.0, v19
	v_sub_f32_e32 v5, v4, v19
	v_add_f32_e32 v5, 1.0, v5
	v_sub_f32_e32 v4, v34, v4
	v_add_f32_e32 v20, v4, v5
	v_frexp_mant_f32_e32 v21, v19
	v_cvt_f64_f32_e32 v[4:5], v19
	v_frexp_exp_i32_f64_e32 v4, v[4:5]
	v_cmp_gt_f32_e32 vcc, s43, v21
	v_cmp_gt_f32_e64 s[2:3], s45, v34
	s_nop 0
	v_subbrev_co_u32_e32 v26, vcc, 0, v4, vcc
	v_sub_u32_e32 v4, 0, v26
	v_ldexp_f32 v5, v19, v4
	v_add_f32_e32 v19, -1.0, v5
	v_add_f32_e32 v21, 1.0, v5
	v_ldexp_f32 v4, v20, v4
	v_add_f32_e32 v20, 1.0, v19
	v_add_f32_e32 v22, -1.0, v21
	v_sub_f32_e32 v20, v5, v20
	v_sub_f32_e32 v5, v5, v22
	v_add_f32_e32 v20, v4, v20
	v_add_f32_e32 v4, v4, v5
	;; [unrolled: 1-line block ×3, first 2 shown]
	v_rcp_f32_e32 v29, v27
	v_sub_f32_e32 v5, v21, v27
	v_add_f32_e32 v28, v4, v5
	v_add_f32_e32 v5, v19, v20
	v_sub_f32_e32 v4, v19, v5
	v_mul_f32_e32 v30, v5, v29
	v_add_f32_e32 v19, v20, v4
	v_mul_f32_e32 v20, v27, v30
	v_fma_f32 v22, v30, v27, -v20
	v_fmac_f32_e32 v22, v30, v28
	v_add_f32_e32 v4, v20, v22
	v_sub_f32_e32 v21, v5, v4
	v_pk_add_f32 v[24:25], v[4:5], v[20:21] neg_lo:[0,1] neg_hi:[0,1]
	v_mov_b32_e32 v23, v4
	v_pk_add_f32 v[4:5], v[24:25], v[22:23] neg_lo:[0,1] neg_hi:[0,1]
	v_cmp_eq_f32_e32 vcc, s42, v34
	v_add_f32_e32 v5, v19, v5
	v_add_f32_e32 v4, v4, v5
	;; [unrolled: 1-line block ×3, first 2 shown]
	v_mul_f32_e32 v19, v29, v5
	v_mul_f32_e32 v20, v27, v19
	v_fma_f32 v22, v19, v27, -v20
	v_fmac_f32_e32 v22, v19, v28
	v_sub_f32_e32 v21, v21, v5
	v_add_f32_e32 v27, v4, v21
	v_add_f32_e32 v4, v20, v22
	v_sub_f32_e32 v21, v5, v4
	v_pk_add_f32 v[24:25], v[4:5], v[20:21] neg_lo:[0,1] neg_hi:[0,1]
	v_mov_b32_e32 v23, v4
	v_pk_add_f32 v[4:5], v[24:25], v[22:23] neg_lo:[0,1] neg_hi:[0,1]
	s_or_b64 vcc, s[2:3], vcc
	v_add_f32_e32 v5, v27, v5
	v_add_f32_e32 v4, v4, v5
	;; [unrolled: 1-line block ×4, first 2 shown]
	v_sub_f32_e32 v20, v5, v30
	v_mul_f32_e32 v4, v29, v4
	v_sub_f32_e32 v19, v19, v20
	v_add_f32_e32 v20, v19, v4
	v_add_f32_e32 v22, v5, v20
	v_mul_f32_e32 v23, v22, v22
	v_fmamk_f32 v4, v23, 0x3e9b6dac, v71
	v_fmaak_f32 v19, v23, v4, 0x3f2aaada
	v_cvt_f32_i32_e32 v4, v26
	v_sub_f32_e32 v5, v22, v5
	v_sub_f32_e32 v5, v20, v5
	v_ldexp_f32 v24, v5, 1
	v_mul_f32_e32 v5, v22, v23
	v_ldexp_f32 v21, v22, 1
	v_pk_mul_f32 v[22:23], v[4:5], v[18:19]
	s_nop 0
	v_fma_f32 v20, v4, s44, -v22
	v_fmac_f32_e32 v20, 0xb102e308, v4
	v_pk_add_f32 v[4:5], v[22:23], v[20:21]
	s_nop 0
	v_sub_f32_e32 v19, v5, v21
	v_sub_f32_e32 v19, v23, v19
	v_add_f32_e32 v25, v24, v19
	v_mov_b32_e32 v24, v22
	v_pk_add_f32 v[22:23], v[4:5], v[22:23] neg_lo:[0,1] neg_hi:[0,1]
	v_pk_add_f32 v[26:27], v[4:5], v[24:25]
	v_mov_b32_e32 v21, v4
	v_mov_b32_e32 v23, v27
	v_pk_add_f32 v[28:29], v[20:21], v[22:23] neg_lo:[0,1] neg_hi:[0,1]
	v_pk_add_f32 v[20:21], v[20:21], v[22:23]
	v_mov_b32_e32 v24, v25
	v_mov_b32_e32 v22, v21
	v_pk_add_f32 v[30:31], v[22:23], v[4:5] neg_lo:[0,1] neg_hi:[0,1]
	v_mov_b32_e32 v20, v27
	v_mov_b32_e32 v19, v30
	v_pk_add_f32 v[32:33], v[26:27], v[18:19] neg_lo:[0,1] neg_hi:[0,1]
	v_mov_b32_e32 v26, v5
	v_mov_b32_e32 v27, v30
	;; [unrolled: 1-line block ×3, first 2 shown]
	v_pk_add_f32 v[20:21], v[20:21], v[26:27] neg_lo:[0,1] neg_hi:[0,1]
	v_mov_b32_e32 v25, v4
	v_pk_add_f32 v[4:5], v[24:25], v[20:21] neg_lo:[0,1] neg_hi:[0,1]
	v_mov_b32_e32 v32, v28
	v_pk_add_f32 v[20:21], v[32:33], v[4:5]
	s_nop 0
	v_mov_b32_e32 v24, v21
	v_pk_add_f32 v[24:25], v[20:21], v[24:25]
	s_nop 0
	v_pk_add_f32 v[22:23], v[22:23], v[24:25]
	v_mov_b32_e32 v5, v24
	v_mov_b32_e32 v21, v22
	v_pk_add_f32 v[26:27], v[20:21], v[28:29] neg_lo:[0,1] neg_hi:[0,1]
	s_nop 0
	v_sub_f32_e32 v19, v20, v26
	v_pk_add_f32 v[4:5], v[4:5], v[26:27] neg_lo:[0,1] neg_hi:[0,1]
	v_sub_f32_e32 v19, v28, v19
	v_add_f32_e32 v4, v4, v19
	v_add_f32_e32 v4, v4, v5
	v_add_f32_e32 v4, v22, v4
	v_cndmask_b32_e32 v79, v4, v34, vcc
.LBB45_50:                              ;   in Loop: Header=BB45_12 Depth=1
	s_or_b64 exec, exec, s[36:37]
	v_lshlrev_b32_e32 v4, 16, v6
	v_add_f32_e32 v80, s33, v4
	v_cmp_ge_f32_e32 vcc, s38, v80
	s_and_b64 s[2:3], s[76:77], vcc
	s_and_saveexec_b64 s[36:37], s[2:3]
	s_cbranch_execz .LBB45_52
; %bb.51:                               ;   in Loop: Header=BB45_12 Depth=1
	v_mul_f32_e32 v4, 0x3fb8aa3b, v80
	v_rndne_f32_e32 v5, v4
	v_sub_f32_e32 v19, v4, v5
	v_fma_f32 v4, v80, s39, -v4
	v_fmac_f32_e32 v4, 0x32a5705f, v80
	v_add_f32_e32 v4, v19, v4
	v_cvt_i32_f32_e32 v5, v5
	v_exp_f32_e32 v4, v4
	v_cmp_ngt_f32_e32 vcc, s40, v80
	v_ldexp_f32 v4, v4, v5
	s_nop 0
	v_cndmask_b32_e32 v4, 0, v4, vcc
	v_cmp_nlt_f32_e32 vcc, s41, v80
	s_nop 1
	v_cndmask_b32_e32 v34, v72, v4, vcc
	v_add_f32_e32 v19, 1.0, v34
	v_add_f32_e32 v4, -1.0, v19
	v_sub_f32_e32 v5, v4, v19
	v_add_f32_e32 v5, 1.0, v5
	v_sub_f32_e32 v4, v34, v4
	v_add_f32_e32 v20, v4, v5
	v_frexp_mant_f32_e32 v21, v19
	v_cvt_f64_f32_e32 v[4:5], v19
	v_frexp_exp_i32_f64_e32 v4, v[4:5]
	v_cmp_gt_f32_e32 vcc, s43, v21
	v_cmp_gt_f32_e64 s[2:3], s45, v34
	s_nop 0
	v_subbrev_co_u32_e32 v26, vcc, 0, v4, vcc
	v_sub_u32_e32 v4, 0, v26
	v_ldexp_f32 v5, v19, v4
	v_add_f32_e32 v19, -1.0, v5
	v_add_f32_e32 v21, 1.0, v5
	v_ldexp_f32 v4, v20, v4
	v_add_f32_e32 v20, 1.0, v19
	v_add_f32_e32 v22, -1.0, v21
	v_sub_f32_e32 v20, v5, v20
	v_sub_f32_e32 v5, v5, v22
	v_add_f32_e32 v20, v4, v20
	v_add_f32_e32 v4, v4, v5
	;; [unrolled: 1-line block ×3, first 2 shown]
	v_rcp_f32_e32 v29, v27
	v_sub_f32_e32 v5, v21, v27
	v_add_f32_e32 v28, v4, v5
	v_add_f32_e32 v5, v19, v20
	v_sub_f32_e32 v4, v19, v5
	v_mul_f32_e32 v30, v5, v29
	v_add_f32_e32 v19, v20, v4
	v_mul_f32_e32 v20, v27, v30
	v_fma_f32 v22, v30, v27, -v20
	v_fmac_f32_e32 v22, v30, v28
	v_add_f32_e32 v4, v20, v22
	v_sub_f32_e32 v21, v5, v4
	v_pk_add_f32 v[24:25], v[4:5], v[20:21] neg_lo:[0,1] neg_hi:[0,1]
	v_mov_b32_e32 v23, v4
	v_pk_add_f32 v[4:5], v[24:25], v[22:23] neg_lo:[0,1] neg_hi:[0,1]
	v_cmp_eq_f32_e32 vcc, s42, v34
	v_add_f32_e32 v5, v19, v5
	v_add_f32_e32 v4, v4, v5
	;; [unrolled: 1-line block ×3, first 2 shown]
	v_mul_f32_e32 v19, v29, v5
	v_mul_f32_e32 v20, v27, v19
	v_fma_f32 v22, v19, v27, -v20
	v_fmac_f32_e32 v22, v19, v28
	v_sub_f32_e32 v21, v21, v5
	v_add_f32_e32 v27, v4, v21
	v_add_f32_e32 v4, v20, v22
	v_sub_f32_e32 v21, v5, v4
	v_pk_add_f32 v[24:25], v[4:5], v[20:21] neg_lo:[0,1] neg_hi:[0,1]
	v_mov_b32_e32 v23, v4
	v_pk_add_f32 v[4:5], v[24:25], v[22:23] neg_lo:[0,1] neg_hi:[0,1]
	s_or_b64 vcc, s[2:3], vcc
	v_add_f32_e32 v5, v27, v5
	v_add_f32_e32 v4, v4, v5
	;; [unrolled: 1-line block ×4, first 2 shown]
	v_sub_f32_e32 v20, v5, v30
	v_mul_f32_e32 v4, v29, v4
	v_sub_f32_e32 v19, v19, v20
	v_add_f32_e32 v20, v19, v4
	v_add_f32_e32 v22, v5, v20
	v_mul_f32_e32 v23, v22, v22
	v_fmamk_f32 v4, v23, 0x3e9b6dac, v71
	v_fmaak_f32 v19, v23, v4, 0x3f2aaada
	v_cvt_f32_i32_e32 v4, v26
	v_sub_f32_e32 v5, v22, v5
	v_sub_f32_e32 v5, v20, v5
	v_ldexp_f32 v24, v5, 1
	v_mul_f32_e32 v5, v22, v23
	v_ldexp_f32 v21, v22, 1
	v_pk_mul_f32 v[22:23], v[4:5], v[18:19]
	s_nop 0
	v_fma_f32 v20, v4, s44, -v22
	v_fmac_f32_e32 v20, 0xb102e308, v4
	v_pk_add_f32 v[4:5], v[22:23], v[20:21]
	s_nop 0
	v_sub_f32_e32 v19, v5, v21
	v_sub_f32_e32 v19, v23, v19
	v_add_f32_e32 v25, v24, v19
	v_mov_b32_e32 v24, v22
	v_pk_add_f32 v[22:23], v[4:5], v[22:23] neg_lo:[0,1] neg_hi:[0,1]
	v_pk_add_f32 v[26:27], v[4:5], v[24:25]
	v_mov_b32_e32 v21, v4
	v_mov_b32_e32 v23, v27
	v_pk_add_f32 v[28:29], v[20:21], v[22:23] neg_lo:[0,1] neg_hi:[0,1]
	v_pk_add_f32 v[20:21], v[20:21], v[22:23]
	v_mov_b32_e32 v24, v25
	v_mov_b32_e32 v22, v21
	v_pk_add_f32 v[30:31], v[22:23], v[4:5] neg_lo:[0,1] neg_hi:[0,1]
	v_mov_b32_e32 v20, v27
	v_mov_b32_e32 v19, v30
	v_pk_add_f32 v[32:33], v[26:27], v[18:19] neg_lo:[0,1] neg_hi:[0,1]
	v_mov_b32_e32 v26, v5
	v_mov_b32_e32 v27, v30
	;; [unrolled: 1-line block ×3, first 2 shown]
	v_pk_add_f32 v[20:21], v[20:21], v[26:27] neg_lo:[0,1] neg_hi:[0,1]
	v_mov_b32_e32 v25, v4
	v_pk_add_f32 v[4:5], v[24:25], v[20:21] neg_lo:[0,1] neg_hi:[0,1]
	v_mov_b32_e32 v32, v28
	v_pk_add_f32 v[20:21], v[32:33], v[4:5]
	s_nop 0
	v_mov_b32_e32 v24, v21
	v_pk_add_f32 v[24:25], v[20:21], v[24:25]
	s_nop 0
	v_pk_add_f32 v[22:23], v[22:23], v[24:25]
	v_mov_b32_e32 v5, v24
	v_mov_b32_e32 v21, v22
	v_pk_add_f32 v[26:27], v[20:21], v[28:29] neg_lo:[0,1] neg_hi:[0,1]
	s_nop 0
	v_sub_f32_e32 v19, v20, v26
	v_pk_add_f32 v[4:5], v[4:5], v[26:27] neg_lo:[0,1] neg_hi:[0,1]
	v_sub_f32_e32 v19, v28, v19
	v_add_f32_e32 v4, v4, v19
	v_add_f32_e32 v4, v4, v5
	;; [unrolled: 1-line block ×3, first 2 shown]
	v_cndmask_b32_e32 v80, v4, v34, vcc
.LBB45_52:                              ;   in Loop: Header=BB45_12 Depth=1
	s_or_b64 exec, exec, s[36:37]
	v_and_b32_e32 v4, 0xffff0000, v6
	v_add_f32_e32 v81, s33, v4
	v_cmp_ge_f32_e32 vcc, s38, v81
	s_and_b64 s[2:3], s[76:77], vcc
	s_and_saveexec_b64 s[36:37], s[2:3]
	s_cbranch_execz .LBB45_54
; %bb.53:                               ;   in Loop: Header=BB45_12 Depth=1
	v_mul_f32_e32 v4, 0x3fb8aa3b, v81
	v_rndne_f32_e32 v5, v4
	v_sub_f32_e32 v6, v4, v5
	v_fma_f32 v4, v81, s39, -v4
	v_fmac_f32_e32 v4, 0x32a5705f, v81
	v_add_f32_e32 v4, v6, v4
	v_cvt_i32_f32_e32 v5, v5
	v_exp_f32_e32 v4, v4
	v_cmp_ngt_f32_e32 vcc, s40, v81
	v_ldexp_f32 v4, v4, v5
	s_nop 0
	v_cndmask_b32_e32 v4, 0, v4, vcc
	v_cmp_nlt_f32_e32 vcc, s41, v81
	s_nop 1
	v_cndmask_b32_e32 v32, v72, v4, vcc
	v_add_f32_e32 v6, 1.0, v32
	v_add_f32_e32 v4, -1.0, v6
	v_sub_f32_e32 v5, v4, v6
	v_add_f32_e32 v5, 1.0, v5
	v_sub_f32_e32 v4, v32, v4
	v_add_f32_e32 v19, v4, v5
	v_frexp_mant_f32_e32 v20, v6
	v_cvt_f64_f32_e32 v[4:5], v6
	v_frexp_exp_i32_f64_e32 v4, v[4:5]
	v_cmp_gt_f32_e32 vcc, s43, v20
	v_cmp_gt_f32_e64 s[2:3], s45, v32
	s_nop 0
	v_subbrev_co_u32_e32 v26, vcc, 0, v4, vcc
	v_sub_u32_e32 v4, 0, v26
	v_ldexp_f32 v5, v6, v4
	v_add_f32_e32 v6, -1.0, v5
	v_add_f32_e32 v20, 1.0, v5
	v_ldexp_f32 v4, v19, v4
	v_add_f32_e32 v19, 1.0, v6
	v_add_f32_e32 v21, -1.0, v20
	v_sub_f32_e32 v19, v5, v19
	v_sub_f32_e32 v5, v5, v21
	v_add_f32_e32 v19, v4, v19
	v_add_f32_e32 v4, v4, v5
	;; [unrolled: 1-line block ×3, first 2 shown]
	v_rcp_f32_e32 v29, v27
	v_sub_f32_e32 v5, v20, v27
	v_add_f32_e32 v28, v4, v5
	v_add_f32_e32 v5, v6, v19
	v_sub_f32_e32 v4, v6, v5
	v_add_f32_e32 v6, v19, v4
	v_mul_f32_e32 v19, v5, v29
	v_mul_f32_e32 v20, v27, v19
	v_fma_f32 v22, v19, v27, -v20
	v_fmac_f32_e32 v22, v19, v28
	v_add_f32_e32 v4, v20, v22
	v_sub_f32_e32 v21, v5, v4
	v_pk_add_f32 v[24:25], v[4:5], v[20:21] neg_lo:[0,1] neg_hi:[0,1]
	v_mov_b32_e32 v23, v4
	v_pk_add_f32 v[4:5], v[24:25], v[22:23] neg_lo:[0,1] neg_hi:[0,1]
	v_cmp_eq_f32_e32 vcc, s42, v32
	v_add_f32_e32 v5, v6, v5
	v_add_f32_e32 v4, v4, v5
	;; [unrolled: 1-line block ×3, first 2 shown]
	v_mul_f32_e32 v6, v29, v5
	v_mul_f32_e32 v20, v27, v6
	v_fma_f32 v22, v6, v27, -v20
	v_fmac_f32_e32 v22, v6, v28
	v_sub_f32_e32 v21, v21, v5
	v_add_f32_e32 v27, v4, v21
	v_add_f32_e32 v4, v20, v22
	v_sub_f32_e32 v21, v5, v4
	v_pk_add_f32 v[24:25], v[4:5], v[20:21] neg_lo:[0,1] neg_hi:[0,1]
	v_mov_b32_e32 v23, v4
	v_pk_add_f32 v[4:5], v[24:25], v[22:23] neg_lo:[0,1] neg_hi:[0,1]
	s_or_b64 vcc, s[2:3], vcc
	v_add_f32_e32 v5, v27, v5
	v_add_f32_e32 v4, v4, v5
	;; [unrolled: 1-line block ×4, first 2 shown]
	v_sub_f32_e32 v19, v5, v19
	v_mul_f32_e32 v4, v29, v4
	v_sub_f32_e32 v6, v6, v19
	v_add_f32_e32 v6, v6, v4
	v_add_f32_e32 v20, v5, v6
	v_mul_f32_e32 v22, v20, v20
	v_fmamk_f32 v4, v22, 0x3e9b6dac, v71
	v_fmaak_f32 v19, v22, v4, 0x3f2aaada
	v_cvt_f32_i32_e32 v4, v26
	v_sub_f32_e32 v5, v20, v5
	v_sub_f32_e32 v5, v6, v5
	v_ldexp_f32 v6, v5, 1
	v_mul_f32_e32 v5, v20, v22
	v_pk_mul_f32 v[22:23], v[4:5], v[18:19]
	v_ldexp_f32 v21, v20, 1
	v_fma_f32 v20, v4, s44, -v22
	v_fmac_f32_e32 v20, 0xb102e308, v4
	v_pk_add_f32 v[4:5], v[22:23], v[20:21]
	v_mov_b32_e32 v24, v22
	v_sub_f32_e32 v19, v5, v21
	v_sub_f32_e32 v19, v23, v19
	v_add_f32_e32 v25, v6, v19
	v_pk_add_f32 v[22:23], v[4:5], v[22:23] neg_lo:[0,1] neg_hi:[0,1]
	v_pk_add_f32 v[26:27], v[4:5], v[24:25]
	v_mov_b32_e32 v21, v4
	v_mov_b32_e32 v23, v27
	v_pk_add_f32 v[28:29], v[20:21], v[22:23] neg_lo:[0,1] neg_hi:[0,1]
	v_pk_add_f32 v[20:21], v[20:21], v[22:23]
	s_nop 0
	v_mov_b32_e32 v6, v21
	v_pk_add_f32 v[22:23], v[6:7], v[4:5] neg_lo:[0,1] neg_hi:[0,1]
	v_mov_b32_e32 v20, v27
	v_mov_b32_e32 v19, v22
	v_pk_add_f32 v[30:31], v[26:27], v[18:19] neg_lo:[0,1] neg_hi:[0,1]
	v_mov_b32_e32 v26, v5
	v_mov_b32_e32 v27, v22
	;; [unrolled: 1-line block ×3, first 2 shown]
	v_pk_add_f32 v[20:21], v[20:21], v[26:27] neg_lo:[0,1] neg_hi:[0,1]
	v_mov_b32_e32 v22, v25
	v_mov_b32_e32 v23, v4
	v_pk_add_f32 v[4:5], v[22:23], v[20:21] neg_lo:[0,1] neg_hi:[0,1]
	v_mov_b32_e32 v30, v28
	v_pk_add_f32 v[20:21], v[30:31], v[4:5]
	s_nop 0
	v_mov_b32_e32 v22, v21
	v_pk_add_f32 v[22:23], v[20:21], v[22:23]
	s_nop 0
	v_pk_add_f32 v[24:25], v[6:7], v[22:23]
	v_mov_b32_e32 v5, v22
	v_mov_b32_e32 v21, v24
	v_pk_add_f32 v[26:27], v[20:21], v[28:29] neg_lo:[0,1] neg_hi:[0,1]
	s_nop 0
	v_sub_f32_e32 v6, v20, v26
	v_pk_add_f32 v[4:5], v[4:5], v[26:27] neg_lo:[0,1] neg_hi:[0,1]
	v_sub_f32_e32 v6, v28, v6
	v_add_f32_e32 v4, v4, v6
	v_add_f32_e32 v4, v4, v5
	;; [unrolled: 1-line block ×3, first 2 shown]
	v_cndmask_b32_e32 v81, v4, v32, vcc
.LBB45_54:                              ;   in Loop: Header=BB45_12 Depth=1
	s_or_b64 exec, exec, s[36:37]
	v_lshlrev_b32_e32 v4, 16, v7
	v_add_f32_e32 v82, s33, v4
	v_cmp_ge_f32_e32 vcc, s38, v82
	s_and_b64 s[2:3], s[76:77], vcc
	s_and_saveexec_b64 s[36:37], s[2:3]
	s_cbranch_execz .LBB45_56
; %bb.55:                               ;   in Loop: Header=BB45_12 Depth=1
	v_mul_f32_e32 v4, 0x3fb8aa3b, v82
	v_rndne_f32_e32 v5, v4
	v_sub_f32_e32 v6, v4, v5
	v_fma_f32 v4, v82, s39, -v4
	v_fmac_f32_e32 v4, 0x32a5705f, v82
	v_add_f32_e32 v4, v6, v4
	v_cvt_i32_f32_e32 v5, v5
	v_exp_f32_e32 v4, v4
	v_cmp_ngt_f32_e32 vcc, s40, v82
	v_ldexp_f32 v4, v4, v5
	s_nop 0
	v_cndmask_b32_e32 v4, 0, v4, vcc
	v_cmp_nlt_f32_e32 vcc, s41, v82
	s_nop 1
	v_cndmask_b32_e32 v32, v72, v4, vcc
	v_add_f32_e32 v6, 1.0, v32
	v_add_f32_e32 v4, -1.0, v6
	v_sub_f32_e32 v5, v4, v6
	v_add_f32_e32 v5, 1.0, v5
	v_sub_f32_e32 v4, v32, v4
	v_add_f32_e32 v19, v4, v5
	v_frexp_mant_f32_e32 v20, v6
	v_cvt_f64_f32_e32 v[4:5], v6
	v_frexp_exp_i32_f64_e32 v4, v[4:5]
	v_cmp_gt_f32_e32 vcc, s43, v20
	v_cmp_gt_f32_e64 s[2:3], s45, v32
	s_nop 0
	v_subbrev_co_u32_e32 v26, vcc, 0, v4, vcc
	v_sub_u32_e32 v4, 0, v26
	v_ldexp_f32 v5, v6, v4
	v_add_f32_e32 v6, -1.0, v5
	v_add_f32_e32 v20, 1.0, v5
	v_ldexp_f32 v4, v19, v4
	v_add_f32_e32 v19, 1.0, v6
	v_add_f32_e32 v21, -1.0, v20
	v_sub_f32_e32 v19, v5, v19
	v_sub_f32_e32 v5, v5, v21
	v_add_f32_e32 v19, v4, v19
	v_add_f32_e32 v4, v4, v5
	v_add_f32_e32 v27, v20, v4
	v_rcp_f32_e32 v29, v27
	v_sub_f32_e32 v5, v20, v27
	v_add_f32_e32 v28, v4, v5
	v_add_f32_e32 v5, v6, v19
	v_sub_f32_e32 v4, v6, v5
	v_add_f32_e32 v6, v19, v4
	v_mul_f32_e32 v19, v5, v29
	v_mul_f32_e32 v20, v27, v19
	v_fma_f32 v22, v19, v27, -v20
	v_fmac_f32_e32 v22, v19, v28
	v_add_f32_e32 v4, v20, v22
	v_sub_f32_e32 v21, v5, v4
	v_pk_add_f32 v[24:25], v[4:5], v[20:21] neg_lo:[0,1] neg_hi:[0,1]
	v_mov_b32_e32 v23, v4
	v_pk_add_f32 v[4:5], v[24:25], v[22:23] neg_lo:[0,1] neg_hi:[0,1]
	v_cmp_eq_f32_e32 vcc, s42, v32
	v_add_f32_e32 v5, v6, v5
	v_add_f32_e32 v4, v4, v5
	;; [unrolled: 1-line block ×3, first 2 shown]
	v_mul_f32_e32 v6, v29, v5
	v_mul_f32_e32 v20, v27, v6
	v_fma_f32 v22, v6, v27, -v20
	v_fmac_f32_e32 v22, v6, v28
	v_sub_f32_e32 v21, v21, v5
	v_add_f32_e32 v27, v4, v21
	v_add_f32_e32 v4, v20, v22
	v_sub_f32_e32 v21, v5, v4
	v_pk_add_f32 v[24:25], v[4:5], v[20:21] neg_lo:[0,1] neg_hi:[0,1]
	v_mov_b32_e32 v23, v4
	v_pk_add_f32 v[4:5], v[24:25], v[22:23] neg_lo:[0,1] neg_hi:[0,1]
	s_or_b64 vcc, s[2:3], vcc
	v_add_f32_e32 v5, v27, v5
	v_add_f32_e32 v4, v4, v5
	;; [unrolled: 1-line block ×4, first 2 shown]
	v_sub_f32_e32 v19, v5, v19
	v_mul_f32_e32 v4, v29, v4
	v_sub_f32_e32 v6, v6, v19
	v_add_f32_e32 v6, v6, v4
	v_add_f32_e32 v20, v5, v6
	v_mul_f32_e32 v22, v20, v20
	v_fmamk_f32 v4, v22, 0x3e9b6dac, v71
	v_fmaak_f32 v19, v22, v4, 0x3f2aaada
	v_cvt_f32_i32_e32 v4, v26
	v_sub_f32_e32 v5, v20, v5
	v_sub_f32_e32 v5, v6, v5
	v_ldexp_f32 v6, v5, 1
	v_mul_f32_e32 v5, v20, v22
	v_pk_mul_f32 v[22:23], v[4:5], v[18:19]
	v_ldexp_f32 v21, v20, 1
	v_fma_f32 v20, v4, s44, -v22
	v_fmac_f32_e32 v20, 0xb102e308, v4
	v_pk_add_f32 v[4:5], v[22:23], v[20:21]
	v_mov_b32_e32 v24, v22
	v_sub_f32_e32 v19, v5, v21
	v_sub_f32_e32 v19, v23, v19
	v_add_f32_e32 v25, v6, v19
	v_pk_add_f32 v[22:23], v[4:5], v[22:23] neg_lo:[0,1] neg_hi:[0,1]
	v_pk_add_f32 v[26:27], v[4:5], v[24:25]
	v_mov_b32_e32 v21, v4
	v_mov_b32_e32 v23, v27
	v_pk_add_f32 v[28:29], v[20:21], v[22:23] neg_lo:[0,1] neg_hi:[0,1]
	v_pk_add_f32 v[20:21], v[20:21], v[22:23]
	s_nop 0
	v_mov_b32_e32 v6, v21
	v_pk_add_f32 v[22:23], v[6:7], v[4:5] neg_lo:[0,1] neg_hi:[0,1]
	v_mov_b32_e32 v20, v27
	v_mov_b32_e32 v19, v22
	v_pk_add_f32 v[30:31], v[26:27], v[18:19] neg_lo:[0,1] neg_hi:[0,1]
	v_mov_b32_e32 v26, v5
	v_mov_b32_e32 v27, v22
	v_mov_b32_e32 v29, v21
	v_pk_add_f32 v[20:21], v[20:21], v[26:27] neg_lo:[0,1] neg_hi:[0,1]
	v_mov_b32_e32 v22, v25
	v_mov_b32_e32 v23, v4
	v_pk_add_f32 v[4:5], v[22:23], v[20:21] neg_lo:[0,1] neg_hi:[0,1]
	v_mov_b32_e32 v30, v28
	v_pk_add_f32 v[20:21], v[30:31], v[4:5]
	s_nop 0
	v_mov_b32_e32 v22, v21
	v_pk_add_f32 v[22:23], v[20:21], v[22:23]
	s_nop 0
	v_pk_add_f32 v[24:25], v[6:7], v[22:23]
	v_mov_b32_e32 v5, v22
	v_mov_b32_e32 v21, v24
	v_pk_add_f32 v[26:27], v[20:21], v[28:29] neg_lo:[0,1] neg_hi:[0,1]
	s_nop 0
	v_sub_f32_e32 v6, v20, v26
	v_pk_add_f32 v[4:5], v[4:5], v[26:27] neg_lo:[0,1] neg_hi:[0,1]
	v_sub_f32_e32 v6, v28, v6
	v_add_f32_e32 v4, v4, v6
	v_add_f32_e32 v4, v4, v5
	;; [unrolled: 1-line block ×3, first 2 shown]
	v_cndmask_b32_e32 v82, v4, v32, vcc
.LBB45_56:                              ;   in Loop: Header=BB45_12 Depth=1
	s_or_b64 exec, exec, s[36:37]
	v_and_b32_e32 v4, 0xffff0000, v7
	v_add_f32_e32 v19, s33, v4
	v_cmp_ge_f32_e32 vcc, s38, v19
	s_and_b64 s[2:3], s[76:77], vcc
	s_and_saveexec_b64 s[36:37], s[2:3]
	s_cbranch_execz .LBB45_58
; %bb.57:                               ;   in Loop: Header=BB45_12 Depth=1
	v_mul_f32_e32 v4, 0x3fb8aa3b, v19
	v_rndne_f32_e32 v5, v4
	v_sub_f32_e32 v6, v4, v5
	v_fma_f32 v4, v19, s39, -v4
	v_fmac_f32_e32 v4, 0x32a5705f, v19
	v_add_f32_e32 v4, v6, v4
	v_cvt_i32_f32_e32 v5, v5
	v_exp_f32_e32 v4, v4
	v_cmp_ngt_f32_e32 vcc, s40, v19
	v_ldexp_f32 v4, v4, v5
	s_nop 0
	v_cndmask_b32_e32 v4, 0, v4, vcc
	v_cmp_nlt_f32_e32 vcc, s41, v19
	s_nop 1
	v_cndmask_b32_e32 v32, v72, v4, vcc
	v_add_f32_e32 v6, 1.0, v32
	v_add_f32_e32 v4, -1.0, v6
	v_sub_f32_e32 v5, v4, v6
	v_add_f32_e32 v5, 1.0, v5
	v_sub_f32_e32 v4, v32, v4
	v_add_f32_e32 v7, v4, v5
	v_frexp_mant_f32_e32 v19, v6
	v_cvt_f64_f32_e32 v[4:5], v6
	v_frexp_exp_i32_f64_e32 v4, v[4:5]
	v_cmp_gt_f32_e32 vcc, s43, v19
	v_cmp_gt_f32_e64 s[2:3], s45, v32
	s_nop 0
	v_subbrev_co_u32_e32 v24, vcc, 0, v4, vcc
	v_sub_u32_e32 v4, 0, v24
	v_ldexp_f32 v5, v6, v4
	v_add_f32_e32 v6, -1.0, v5
	v_add_f32_e32 v19, 1.0, v5
	v_ldexp_f32 v4, v7, v4
	v_add_f32_e32 v7, 1.0, v6
	v_add_f32_e32 v20, -1.0, v19
	v_sub_f32_e32 v7, v5, v7
	v_sub_f32_e32 v5, v5, v20
	v_add_f32_e32 v7, v4, v7
	v_add_f32_e32 v4, v4, v5
	;; [unrolled: 1-line block ×3, first 2 shown]
	v_rcp_f32_e32 v26, v25
	v_sub_f32_e32 v5, v19, v25
	v_add_f32_e32 v19, v4, v5
	v_add_f32_e32 v5, v6, v7
	v_mul_f32_e32 v28, v5, v26
	v_sub_f32_e32 v4, v6, v5
	v_mul_f32_e32 v6, v25, v28
	v_fma_f32 v20, v28, v25, -v6
	v_fmac_f32_e32 v20, v28, v19
	v_add_f32_e32 v27, v7, v4
	v_add_f32_e32 v4, v6, v20
	v_sub_f32_e32 v7, v5, v4
	v_pk_add_f32 v[22:23], v[4:5], v[6:7] neg_lo:[0,1] neg_hi:[0,1]
	v_mov_b32_e32 v21, v4
	v_pk_add_f32 v[4:5], v[22:23], v[20:21] neg_lo:[0,1] neg_hi:[0,1]
	v_cmp_eq_f32_e32 vcc, s42, v32
	v_add_f32_e32 v5, v27, v5
	v_add_f32_e32 v4, v4, v5
	;; [unrolled: 1-line block ×3, first 2 shown]
	v_mul_f32_e32 v27, v26, v5
	v_mul_f32_e32 v6, v25, v27
	v_fma_f32 v20, v27, v25, -v6
	v_fmac_f32_e32 v20, v27, v19
	v_sub_f32_e32 v7, v7, v5
	v_add_f32_e32 v19, v4, v7
	v_add_f32_e32 v4, v6, v20
	v_sub_f32_e32 v7, v5, v4
	v_pk_add_f32 v[22:23], v[4:5], v[6:7] neg_lo:[0,1] neg_hi:[0,1]
	v_mov_b32_e32 v21, v4
	v_pk_add_f32 v[4:5], v[22:23], v[20:21] neg_lo:[0,1] neg_hi:[0,1]
	s_or_b64 vcc, s[2:3], vcc
	v_add_f32_e32 v5, v19, v5
	v_add_f32_e32 v4, v4, v5
	;; [unrolled: 1-line block ×4, first 2 shown]
	v_sub_f32_e32 v6, v5, v28
	v_mul_f32_e32 v4, v26, v4
	v_sub_f32_e32 v6, v27, v6
	v_add_f32_e32 v6, v6, v4
	v_add_f32_e32 v20, v5, v6
	v_mul_f32_e32 v21, v20, v20
	v_fmamk_f32 v4, v21, 0x3e9b6dac, v71
	v_fmaak_f32 v19, v21, v4, 0x3f2aaada
	v_cvt_f32_i32_e32 v4, v24
	v_sub_f32_e32 v5, v20, v5
	v_sub_f32_e32 v5, v6, v5
	v_ldexp_f32 v22, v5, 1
	v_mul_f32_e32 v5, v20, v21
	v_ldexp_f32 v7, v20, 1
	v_pk_mul_f32 v[20:21], v[4:5], v[18:19]
	s_nop 0
	v_fma_f32 v6, v4, s44, -v20
	v_fmac_f32_e32 v6, 0xb102e308, v4
	v_pk_add_f32 v[4:5], v[20:21], v[6:7]
	s_nop 0
	v_sub_f32_e32 v7, v5, v7
	v_sub_f32_e32 v7, v21, v7
	v_add_f32_e32 v23, v22, v7
	v_mov_b32_e32 v22, v20
	v_pk_add_f32 v[20:21], v[4:5], v[20:21] neg_lo:[0,1] neg_hi:[0,1]
	v_pk_add_f32 v[24:25], v[4:5], v[22:23]
	v_mov_b32_e32 v7, v4
	v_mov_b32_e32 v21, v25
	v_pk_add_f32 v[26:27], v[6:7], v[20:21] neg_lo:[0,1] neg_hi:[0,1]
	v_pk_add_f32 v[6:7], v[6:7], v[20:21]
	v_mov_b32_e32 v22, v23
	v_mov_b32_e32 v20, v7
	v_pk_add_f32 v[28:29], v[20:21], v[4:5] neg_lo:[0,1] neg_hi:[0,1]
	v_mov_b32_e32 v6, v25
	v_mov_b32_e32 v19, v28
	v_pk_add_f32 v[30:31], v[24:25], v[18:19] neg_lo:[0,1] neg_hi:[0,1]
	v_mov_b32_e32 v24, v5
	v_mov_b32_e32 v25, v28
	;; [unrolled: 1-line block ×3, first 2 shown]
	v_pk_add_f32 v[6:7], v[6:7], v[24:25] neg_lo:[0,1] neg_hi:[0,1]
	v_mov_b32_e32 v23, v4
	v_pk_add_f32 v[4:5], v[22:23], v[6:7] neg_lo:[0,1] neg_hi:[0,1]
	v_mov_b32_e32 v30, v26
	v_pk_add_f32 v[6:7], v[30:31], v[4:5]
	s_nop 0
	v_mov_b32_e32 v22, v7
	v_pk_add_f32 v[22:23], v[6:7], v[22:23]
	s_nop 0
	v_pk_add_f32 v[20:21], v[20:21], v[22:23]
	v_mov_b32_e32 v5, v22
	v_mov_b32_e32 v7, v20
	v_pk_add_f32 v[24:25], v[6:7], v[26:27] neg_lo:[0,1] neg_hi:[0,1]
	s_nop 0
	v_sub_f32_e32 v6, v6, v24
	v_pk_add_f32 v[4:5], v[4:5], v[24:25] neg_lo:[0,1] neg_hi:[0,1]
	v_sub_f32_e32 v6, v26, v6
	v_add_f32_e32 v4, v4, v6
	v_add_f32_e32 v4, v4, v5
	;; [unrolled: 1-line block ×3, first 2 shown]
	v_cndmask_b32_e32 v19, v4, v32, vcc
.LBB45_58:                              ;   in Loop: Header=BB45_12 Depth=1
	s_or_b64 exec, exec, s[36:37]
	v_readlane_b32 s2, v95, 0
	v_lshlrev_b32_e32 v4, 16, v3
	v_and_b32_e32 v7, 0xffff0000, v3
	v_and_b32_e32 v3, 0xffff0000, v2
	v_lshlrev_b32_e32 v2, 16, v2
	v_and_b32_e32 v5, 0xffff0000, v1
	v_lshlrev_b32_e32 v1, 16, v1
	;; [unrolled: 2-line block ×3, first 2 shown]
	v_readlane_b32 s3, v95, 1
	v_mul_f32_e32 v20, s94, v4
	v_mul_f32_e32 v23, s94, v3
	;; [unrolled: 1-line block ×8, first 2 shown]
	s_and_b64 vcc, exec, s[2:3]
	s_waitcnt lgkmcnt(0)
	; wave barrier
	s_cbranch_vccz .LBB45_119
; %bb.59:                               ;   in Loop: Header=BB45_12 Depth=1
	s_cmp_lg_u32 s99, 0
	v_readlane_b32 s36, v95, 5
	v_mul_f32_e32 v90, v76, v0
	s_cselect_b64 s[2:3], -1, 0
	s_cmp_eq_u32 s99, s36
	v_cmp_gt_u32_e32 vcc, s50, v11
	v_or_b32_e32 v0, 1, v11
	s_cselect_b64 s[82:83], -1, 0
	s_or_b64 s[36:37], s[80:81], vcc
	v_cmp_gt_u32_e32 vcc, s50, v0
	v_or_b32_e32 v0, 2, v11
	s_or_b64 s[38:39], s[80:81], vcc
	v_cmp_gt_u32_e32 vcc, s50, v0
	v_or_b32_e32 v0, 3, v11
	;; [unrolled: 3-line block ×6, first 2 shown]
	v_readlane_b32 s90, v95, 2
	s_mov_b32 s74, 0
	s_or_b64 s[48:49], s[80:81], vcc
	v_cmp_gt_u32_e32 vcc, s50, v0
	v_readlane_b32 s91, v95, 3
	v_mul_f32_e32 v83, v19, v7
	v_lshl_add_u64 v[28:29], s[58:59], 0, v[8:9]
	v_lshl_add_u64 v[30:31], s[62:63], 0, v[8:9]
	v_mul_f32_e32 v84, v82, v4
	v_mul_f32_e32 v85, v81, v3
	;; [unrolled: 1-line block ×6, first 2 shown]
	s_or_b64 s[50:51], s[80:81], vcc
	s_mov_b32 s84, s74
	s_mov_b32 s86, s74
	;; [unrolled: 1-line block ×4, first 2 shown]
	v_readlane_b32 s78, v95, 6
	s_branch .LBB45_61
.LBB45_60:                              ;   in Loop: Header=BB45_61 Depth=2
	s_or_b64 exec, exec, s[90:91]
	v_mul_f32_e32 v32, v91, v68
	v_fma_f32 v33, v91, v69, v4
	v_cndmask_b32_e64 v4, v33, v4, s[16:17]
	v_cndmask_b32_e64 v32, v32, v91, s[16:17]
	s_waitcnt lgkmcnt(0)
	v_fmac_f32_e32 v4, v38, v32
	v_fmac_f32_e32 v5, v4, v92
	;; [unrolled: 1-line block ×8, first 2 shown]
	v_and_b32_e32 v33, 0xffff0000, v0
	v_and_b32_e32 v39, 0xffff0000, v1
	v_lshlrev_b32_e32 v32, 16, v0
	v_lshlrev_b32_e32 v38, 16, v1
	v_and_b32_e32 v1, 0xffff0000, v2
	v_and_b32_e32 v65, 0xffff0000, v3
	v_lshlrev_b32_e32 v0, 16, v2
	v_lshlrev_b32_e32 v64, 16, v3
	s_add_i32 s78, s78, 8
	s_add_i32 s71, s71, -1
	s_add_i32 s88, s88, s95
	s_add_i32 s86, s86, s64
	;; [unrolled: 1-line block ×4, first 2 shown]
	v_pk_fma_f32 v[24:25], v[34:35], v[38:39], v[24:25]
	v_pk_fma_f32 v[26:27], v[4:5], v[32:33], v[26:27]
	;; [unrolled: 1-line block ×3, first 2 shown]
	s_cmp_eq_u32 s71, 0
	v_pk_fma_f32 v[22:23], v[6:7], v[0:1], v[22:23]
	s_cbranch_scc1 .LBB45_118
.LBB45_61:                              ;   Parent Loop BB45_12 Depth=1
                                        ; =>  This Inner Loop Header: Depth=2
	s_lshl_b64 s[90:91], s[74:75], 2
	s_add_u32 s90, s56, s90
	s_addc_u32 s91, s96, s91
	global_load_dword v34, v9, s[90:91]
	s_mov_b32 s85, s75
	v_lshl_add_u64 v[0:1], s[84:85], 1, v[28:29]
	v_mov_b32_e32 v2, 0
	v_mov_b32_e32 v3, 0
	s_and_saveexec_b64 s[90:91], s[18:19]
	s_cbranch_execz .LBB45_63
; %bb.62:                               ;   in Loop: Header=BB45_61 Depth=2
	global_load_ushort v3, v[0:1], off
.LBB45_63:                              ;   in Loop: Header=BB45_61 Depth=2
	s_or_b64 exec, exec, s[90:91]
	s_and_saveexec_b64 s[90:91], s[20:21]
	s_cbranch_execz .LBB45_65
; %bb.64:                               ;   in Loop: Header=BB45_61 Depth=2
	global_load_ushort v2, v[0:1], off offset:128
.LBB45_65:                              ;   in Loop: Header=BB45_61 Depth=2
	s_or_b64 exec, exec, s[90:91]
	v_mov_b32_e32 v4, 0
	v_mov_b32_e32 v5, 0
	s_and_saveexec_b64 s[90:91], s[22:23]
	s_cbranch_execz .LBB45_67
; %bb.66:                               ;   in Loop: Header=BB45_61 Depth=2
	global_load_ushort v5, v[0:1], off offset:256
.LBB45_67:                              ;   in Loop: Header=BB45_61 Depth=2
	s_or_b64 exec, exec, s[90:91]
	s_and_saveexec_b64 s[90:91], s[24:25]
	s_cbranch_execz .LBB45_69
; %bb.68:                               ;   in Loop: Header=BB45_61 Depth=2
	global_load_ushort v4, v[0:1], off offset:384
.LBB45_69:                              ;   in Loop: Header=BB45_61 Depth=2
	s_or_b64 exec, exec, s[90:91]
	v_mov_b32_e32 v6, 0
	v_mov_b32_e32 v7, 0
	s_and_saveexec_b64 s[90:91], s[26:27]
	s_cbranch_execz .LBB45_71
; %bb.70:                               ;   in Loop: Header=BB45_61 Depth=2
	global_load_ushort v7, v[0:1], off offset:512
.LBB45_71:                              ;   in Loop: Header=BB45_61 Depth=2
	;; [unrolled: 14-line block ×3, first 2 shown]
	s_or_b64 exec, exec, s[90:91]
	s_and_saveexec_b64 s[90:91], s[34:35]
	s_cbranch_execz .LBB45_77
; %bb.76:                               ;   in Loop: Header=BB45_61 Depth=2
	global_load_ushort v32, v[0:1], off offset:896
.LBB45_77:                              ;   in Loop: Header=BB45_61 Depth=2
	s_or_b64 exec, exec, s[90:91]
	s_waitcnt vmcnt(0)
	ds_write_b16 v47, v3
	ds_write_b16 v48, v2 offset:128
	ds_write_b16 v49, v5 offset:256
	;; [unrolled: 1-line block ×7, first 2 shown]
	; wave barrier
	ds_read_b128 v[4:7], v55
	s_mov_b32 s87, s75
	v_lshl_add_u64 v[0:1], s[86:87], 1, v[30:31]
	v_mov_b32_e32 v2, 0
	v_mov_b32_e32 v3, 0
	s_and_saveexec_b64 s[90:91], s[18:19]
	s_cbranch_execz .LBB45_79
; %bb.78:                               ;   in Loop: Header=BB45_61 Depth=2
	global_load_ushort v3, v[0:1], off
.LBB45_79:                              ;   in Loop: Header=BB45_61 Depth=2
	s_or_b64 exec, exec, s[90:91]
	s_and_saveexec_b64 s[90:91], s[20:21]
	s_cbranch_execz .LBB45_81
; %bb.80:                               ;   in Loop: Header=BB45_61 Depth=2
	global_load_ushort v2, v[0:1], off offset:128
.LBB45_81:                              ;   in Loop: Header=BB45_61 Depth=2
	s_or_b64 exec, exec, s[90:91]
	v_mov_b32_e32 v32, 0
	v_mov_b32_e32 v33, 0
	s_and_saveexec_b64 s[90:91], s[22:23]
	s_cbranch_execz .LBB45_83
; %bb.82:                               ;   in Loop: Header=BB45_61 Depth=2
	global_load_ushort v33, v[0:1], off offset:256
.LBB45_83:                              ;   in Loop: Header=BB45_61 Depth=2
	s_or_b64 exec, exec, s[90:91]
	s_and_saveexec_b64 s[90:91], s[24:25]
	s_cbranch_execz .LBB45_85
; %bb.84:                               ;   in Loop: Header=BB45_61 Depth=2
	global_load_ushort v32, v[0:1], off offset:384
.LBB45_85:                              ;   in Loop: Header=BB45_61 Depth=2
	s_or_b64 exec, exec, s[90:91]
	v_mov_b32_e32 v35, 0
	v_mov_b32_e32 v36, 0
	s_and_saveexec_b64 s[90:91], s[26:27]
	s_cbranch_execz .LBB45_87
; %bb.86:                               ;   in Loop: Header=BB45_61 Depth=2
	global_load_ushort v36, v[0:1], off offset:512
.LBB45_87:                              ;   in Loop: Header=BB45_61 Depth=2
	;; [unrolled: 14-line block ×3, first 2 shown]
	s_or_b64 exec, exec, s[90:91]
	s_and_saveexec_b64 s[90:91], s[34:35]
	s_cbranch_execz .LBB45_93
; %bb.92:                               ;   in Loop: Header=BB45_61 Depth=2
	global_load_ushort v37, v[0:1], off offset:896
.LBB45_93:                              ;   in Loop: Header=BB45_61 Depth=2
	s_or_b64 exec, exec, s[90:91]
	s_waitcnt vmcnt(0)
	ds_write_b16 v47, v3 offset:1056
	ds_write_b16 v56, v2 offset:128
	;; [unrolled: 1-line block ×8, first 2 shown]
	; wave barrier
	ds_read_b128 v[0:3], v55 offset:1056
	s_andn2_b64 vcc, exec, s[2:3]
	s_cbranch_vccnz .LBB45_95
; %bb.94:                               ;   in Loop: Header=BB45_61 Depth=2
	v_mov_b32_e32 v32, s78
	ds_read_b64 v[32:33], v32
	s_cbranch_execz .LBB45_96
	s_branch .LBB45_99
.LBB45_95:                              ;   in Loop: Header=BB45_61 Depth=2
                                        ; implicit-def: $vgpr33
.LBB45_96:                              ;   in Loop: Header=BB45_61 Depth=2
	s_andn2_b64 vcc, exec, s[54:55]
	s_waitcnt lgkmcnt(0)
	v_mov_b32_e32 v33, 0
	s_cbranch_vccnz .LBB45_98
; %bb.97:                               ;   in Loop: Header=BB45_61 Depth=2
	s_mov_b32 s89, s75
	s_lshl_b64 s[90:91], s[88:89], 2
	s_add_u32 s90, s61, s90
	s_addc_u32 s91, s65, s91
	global_load_dword v33, v9, s[90:91]
.LBB45_98:                              ;   in Loop: Header=BB45_61 Depth=2
	v_mov_b32_e32 v32, 1.0
.LBB45_99:                              ;   in Loop: Header=BB45_61 Depth=2
	v_mul_f32_e32 v66, 0x3fb8aa3b, v34
	s_waitcnt lgkmcnt(9)
	v_lshlrev_b32_e32 v35, 16, v4
	v_and_b32_e32 v36, 0xffff0000, v4
	v_mul_f32_e32 v4, v66, v76
	v_cmp_gt_f32_e32 vcc, s72, v4
	v_lshlrev_b32_e32 v39, 16, v6
	v_and_b32_e32 v65, 0xffff0000, v6
	v_cndmask_b32_e32 v4, 0, v73, vcc
	v_mul_f32_e32 v6, v66, v77
	v_lshlrev_b32_e32 v37, 16, v5
	v_and_b32_e32 v38, 0xffff0000, v5
	v_fmac_f32_e32 v4, v66, v76
	v_cndmask_b32_e32 v5, 1.0, v74, vcc
	v_cmp_gt_f32_e32 vcc, s72, v6
	v_exp_f32_e32 v4, v4
	v_lshlrev_b32_e32 v67, 16, v7
	v_cndmask_b32_e32 v6, 0, v73, vcc
	v_fmac_f32_e32 v6, v66, v77
	v_exp_f32_e32 v6, v6
	v_and_b32_e32 v68, 0xffff0000, v7
	v_mul_f32_e32 v5, v4, v5
	v_mul_f32_e32 v7, v66, v78
	v_cndmask_b32_e64 v91, 1.0, v5, s[36:37]
	v_cndmask_b32_e32 v5, 1.0, v74, vcc
	v_cmp_gt_f32_e32 vcc, s72, v7
	v_mul_f32_e32 v6, v6, v5
	v_mul_f32_e32 v34, v66, v79
	v_cndmask_b32_e32 v7, 0, v73, vcc
	v_fmac_f32_e32 v7, v66, v78
	v_cndmask_b32_e64 v92, 1.0, v6, s[38:39]
	v_cndmask_b32_e32 v6, 1.0, v74, vcc
	v_cmp_gt_f32_e32 vcc, s72, v34
	v_exp_f32_e32 v7, v7
	v_mul_f32_e32 v4, v90, v35
	v_cndmask_b32_e32 v34, 0, v73, vcc
	v_fmac_f32_e32 v34, v66, v79
	v_exp_f32_e32 v35, v34
	v_mul_f32_e32 v6, v7, v6
	v_cndmask_b32_e64 v93, 1.0, v6, s[40:41]
	v_cndmask_b32_e32 v6, 1.0, v74, vcc
	v_mul_f32_e32 v6, v35, v6
	v_mul_f32_e32 v35, v66, v80
	v_cmp_gt_f32_e32 vcc, s72, v35
	v_mul_f32_e32 v5, v89, v36
	v_mul_f32_e32 v7, v88, v37
	v_cndmask_b32_e32 v35, 0, v73, vcc
	v_fmac_f32_e32 v35, v66, v80
	v_exp_f32_e32 v36, v35
	v_cndmask_b32_e64 v34, 0, v7, s[40:41]
	v_mul_f32_e32 v7, v87, v38
	v_cndmask_b32_e64 v94, 1.0, v6, s[42:43]
	v_cndmask_b32_e32 v6, 1.0, v74, vcc
	v_cndmask_b32_e64 v35, 0, v7, s[42:43]
	v_mul_f32_e32 v7, v36, v6
	v_mul_f32_e32 v36, v66, v81
	v_cmp_gt_f32_e32 vcc, s72, v36
	v_mul_f32_e32 v37, v66, v82
	v_cndmask_b32_e64 v64, 1.0, v7, s[44:45]
	v_cndmask_b32_e32 v36, 0, v73, vcc
	v_fmac_f32_e32 v36, v66, v81
	v_exp_f32_e32 v36, v36
	v_cndmask_b32_e32 v7, 1.0, v74, vcc
	v_cmp_gt_f32_e32 vcc, s72, v37
	v_mul_f32_e32 v38, v66, v19
	v_mul_f32_e32 v36, v36, v7
	v_cndmask_b32_e32 v37, 0, v73, vcc
	v_mul_f32_e32 v7, v85, v65
	v_fmac_f32_e32 v37, v66, v82
	v_cndmask_b32_e64 v65, 1.0, v36, s[46:47]
	v_cndmask_b32_e32 v36, 1.0, v74, vcc
	v_cmp_gt_f32_e32 vcc, s72, v38
	v_exp_f32_e32 v37, v37
	v_cndmask_b32_e64 v4, 0, v4, s[36:37]
	v_cndmask_b32_e32 v38, 0, v73, vcc
	v_fmac_f32_e32 v38, v66, v19
	v_exp_f32_e32 v38, v38
	v_mul_f32_e32 v37, v37, v36
	v_cndmask_b32_e64 v66, 1.0, v37, s[48:49]
	v_cndmask_b32_e32 v37, 1.0, v74, vcc
	v_cndmask_b32_e64 v5, 0, v5, s[38:39]
	v_mul_f32_e32 v38, v38, v37
	v_mul_f32_e32 v6, v86, v39
	;; [unrolled: 1-line block ×3, first 2 shown]
	v_cndmask_b32_e64 v67, 1.0, v38, s[50:51]
	v_mul_f32_e32 v38, v92, v91
	v_fma_f32 v39, v92, v4, v5
	v_mul_f32_e32 v38, v38, v93
	v_fma_f32 v39, v39, v93, v34
	v_cndmask_b32_e64 v6, 0, v6, s[44:45]
	v_mul_f32_e32 v38, v38, v94
	v_fma_f32 v39, v39, v94, v35
	v_cndmask_b32_e64 v7, 0, v7, s[46:47]
	;; [unrolled: 3-line block ×3, first 2 shown]
	v_mul_f32_e32 v37, v83, v68
	v_mul_f32_e32 v38, v38, v65
	v_fma_f32 v39, v39, v65, v7
	v_cndmask_b32_e64 v37, 0, v37, s[50:51]
	v_mul_f32_e32 v38, v38, v66
	v_fma_f32 v39, v39, v66, v36
	v_mul_f32_e32 v38, v38, v67
	v_fma_f32 v70, v39, v67, v37
	s_nop 0
	v_mov_b32_dpp v69, v38 row_shr:1 row_mask:0xf bank_mask:0xf
	v_mov_b32_dpp v68, v70 row_shr:1 row_mask:0xf bank_mask:0xf
	s_and_saveexec_b64 s[90:91], s[0:1]
; %bb.100:                              ;   in Loop: Header=BB45_61 Depth=2
	v_mul_f32_e32 v69, v38, v69
	v_fmac_f32_e32 v70, v38, v68
	v_mov_b32_e32 v38, v69
; %bb.101:                              ;   in Loop: Header=BB45_61 Depth=2
	s_or_b64 exec, exec, s[90:91]
	s_nop 0
	v_mov_b32_dpp v68, v38 row_shr:2 row_mask:0xf bank_mask:0xf
	v_mov_b32_dpp v69, v70 row_shr:2 row_mask:0xf bank_mask:0xf
	s_and_saveexec_b64 s[90:91], s[52:53]
; %bb.102:                              ;   in Loop: Header=BB45_61 Depth=2
	v_fmac_f32_e32 v70, v38, v69
	v_mul_f32_e32 v38, v38, v68
; %bb.103:                              ;   in Loop: Header=BB45_61 Depth=2
	s_or_b64 exec, exec, s[90:91]
	s_nop 0
	v_mov_b32_dpp v68, v38 row_shr:4 row_mask:0xf bank_mask:0xf
	v_mov_b32_dpp v69, v70 row_shr:4 row_mask:0xf bank_mask:0xf
	s_and_saveexec_b64 s[90:91], s[4:5]
; %bb.104:                              ;   in Loop: Header=BB45_61 Depth=2
	v_fmac_f32_e32 v70, v38, v69
	v_mul_f32_e32 v38, v38, v68
	;; [unrolled: 9-line block ×3, first 2 shown]
; %bb.107:                              ;   in Loop: Header=BB45_61 Depth=2
	s_or_b64 exec, exec, s[90:91]
	s_nop 0
	v_mov_b32_dpp v68, v38 row_bcast:15 row_mask:0xf bank_mask:0xf
	v_mov_b32_dpp v69, v70 row_bcast:15 row_mask:0xf bank_mask:0xf
	s_and_saveexec_b64 s[90:91], s[8:9]
; %bb.108:                              ;   in Loop: Header=BB45_61 Depth=2
	v_fmac_f32_e32 v70, v38, v69
	v_mul_f32_e32 v38, v38, v68
; %bb.109:                              ;   in Loop: Header=BB45_61 Depth=2
	s_or_b64 exec, exec, s[90:91]
	s_nop 0
	v_mov_b32_dpp v68, v38 row_bcast:31 row_mask:0xf bank_mask:0xf
	v_mov_b32_dpp v69, v70 row_bcast:31 row_mask:0xf bank_mask:0xf
	v_mov_b32_e32 v39, v70
	v_mul_f32_e32 v68, v38, v68
	v_fmac_f32_e32 v39, v38, v69
	v_cndmask_b32_e64 v38, v38, v68, s[10:11]
	v_cndmask_b32_e64 v39, v70, v39, s[10:11]
	s_and_saveexec_b64 s[90:91], s[12:13]
	s_cbranch_execz .LBB45_111
; %bb.110:                              ;   in Loop: Header=BB45_61 Depth=2
	ds_write_b64 v9, v[38:39] offset:2112
.LBB45_111:                             ;   in Loop: Header=BB45_61 Depth=2
	s_or_b64 exec, exec, s[90:91]
	ds_bpermute_b32 v68, v63, v38
	ds_bpermute_b32 v69, v63, v39
	s_waitcnt vmcnt(0) lgkmcnt(2)
	v_mov_b32_e32 v39, v33
	s_waitcnt lgkmcnt(0)
	; wave barrier
	s_waitcnt lgkmcnt(0)
	s_and_saveexec_b64 s[90:91], s[14:15]
	s_cbranch_execz .LBB45_115
; %bb.112:                              ;   in Loop: Header=BB45_61 Depth=2
	ds_read_b64 v[38:39], v9 offset:2112
	s_and_saveexec_b64 s[92:93], s[16:17]
	s_cbranch_execz .LBB45_114
; %bb.113:                              ;   in Loop: Header=BB45_61 Depth=2
	ds_write_b64 v9, v[32:33] offset:2112
.LBB45_114:                             ;   in Loop: Header=BB45_61 Depth=2
	s_or_b64 exec, exec, s[92:93]
	s_waitcnt lgkmcnt(0)
	v_fmac_f32_e32 v39, v33, v38
	v_mul_f32_e32 v32, v32, v38
	v_mov_b32_e32 v33, v39
.LBB45_115:                             ;   in Loop: Header=BB45_61 Depth=2
	s_or_b64 exec, exec, s[90:91]
	s_waitcnt lgkmcnt(0)
	; wave barrier
	ds_read_b32 v38, v9 offset:2116
	s_and_saveexec_b64 s[90:91], s[16:17]
	s_cbranch_execz .LBB45_60
; %bb.116:                              ;   in Loop: Header=BB45_61 Depth=2
	v_mov_b32_e32 v70, s78
	s_andn2_b64 vcc, exec, s[82:83]
	ds_write_b64 v70, v[32:33]
	s_cbranch_vccnz .LBB45_60
; %bb.117:                              ;   in Loop: Header=BB45_61 Depth=2
	s_mov_b32 s89, s75
	s_lshl_b64 s[92:93], s[88:89], 2
	s_add_u32 s92, s61, s92
	s_addc_u32 s93, s65, s93
	global_store_dword v9, v39, s[92:93]
	s_branch .LBB45_60
.LBB45_118:                             ;   in Loop: Header=BB45_12 Depth=1
	s_mov_b32 s38, 0x41a00000
	s_mov_b32 s39, 0x3fb8aa3b
	;; [unrolled: 1-line block ×8, first 2 shown]
.LBB45_119:                             ;   in Loop: Header=BB45_12 Depth=1
	v_bfe_u32 v0, v26, 16, 1
	v_bfe_u32 v1, v27, 16, 1
	v_add3_u32 v0, v26, v0, s73
	v_bfe_u32 v2, v24, 16, 1
	v_add3_u32 v1, v27, v1, s73
	v_lshrrev_b32_e32 v0, 16, v0
	v_cmp_o_f32_e32 vcc, v26, v26
	v_bfe_u32 v3, v25, 16, 1
	v_add3_u32 v2, v24, v2, s73
	v_lshrrev_b32_e32 v1, 16, v1
	v_cndmask_b32_e32 v0, v75, v0, vcc
	v_cmp_o_f32_e32 vcc, v27, v27
	v_add3_u32 v3, v25, v3, s73
	v_lshrrev_b32_e32 v2, 16, v2
	v_cndmask_b32_e32 v4, v75, v1, vcc
	v_cmp_o_f32_e32 vcc, v24, v24
	v_lshrrev_b32_e32 v3, 16, v3
	v_bfe_u32 v6, v20, 16, 1
	v_cndmask_b32_e32 v1, v75, v2, vcc
	v_cmp_o_f32_e32 vcc, v25, v25
	v_bfe_u32 v2, v22, 16, 1
	v_add3_u32 v2, v22, v2, s73
	v_cndmask_b32_e32 v5, v75, v3, vcc
	v_bfe_u32 v3, v23, 16, 1
	v_add3_u32 v3, v23, v3, s73
	v_lshrrev_b32_e32 v2, 16, v2
	v_cmp_o_f32_e32 vcc, v22, v22
	v_bfe_u32 v7, v21, 16, 1
	v_add3_u32 v6, v20, v6, s73
	v_lshrrev_b32_e32 v3, 16, v3
	v_cndmask_b32_e32 v2, v75, v2, vcc
	v_cmp_o_f32_e32 vcc, v23, v23
	v_add3_u32 v7, v21, v7, s73
	v_lshrrev_b32_e32 v6, 16, v6
	v_cndmask_b32_e32 v19, v75, v3, vcc
	v_cmp_o_f32_e32 vcc, v20, v20
	v_lshrrev_b32_e32 v7, 16, v7
	s_mov_b32 s2, 0x5040100
	v_cndmask_b32_e32 v3, v75, v6, vcc
	v_cmp_o_f32_e32 vcc, v21, v21
	v_perm_b32 v2, v19, v2, s2
	v_perm_b32 v1, v5, v1, s2
	v_cndmask_b32_e32 v6, v75, v7, vcc
	v_perm_b32 v3, v6, v3, s2
	v_perm_b32 v0, v4, v0, s2
	s_waitcnt lgkmcnt(0)
	; wave barrier
	ds_write_b128 v55, v[0:3]
	; wave barrier
	ds_read_u16 v19, v48 offset:128
	ds_read_u16 v7, v49 offset:256
	;; [unrolled: 1-line block ×7, first 2 shown]
	s_mov_b32 s71, s75
	v_lshl_add_u64 v[0:1], s[70:71], 1, v[12:13]
	s_and_saveexec_b64 s[2:3], s[18:19]
	s_cbranch_execnz .LBB45_154
; %bb.120:                              ;   in Loop: Header=BB45_12 Depth=1
	s_or_b64 exec, exec, s[2:3]
	s_and_saveexec_b64 s[2:3], s[20:21]
	s_cbranch_execnz .LBB45_155
.LBB45_121:                             ;   in Loop: Header=BB45_12 Depth=1
	s_or_b64 exec, exec, s[2:3]
	s_and_saveexec_b64 s[2:3], s[22:23]
	s_cbranch_execnz .LBB45_156
.LBB45_122:                             ;   in Loop: Header=BB45_12 Depth=1
	s_or_b64 exec, exec, s[2:3]
	s_and_saveexec_b64 s[2:3], s[24:25]
	s_cbranch_execnz .LBB45_157
.LBB45_123:                             ;   in Loop: Header=BB45_12 Depth=1
	s_or_b64 exec, exec, s[2:3]
	s_and_saveexec_b64 s[2:3], s[26:27]
	s_cbranch_execnz .LBB45_158
.LBB45_124:                             ;   in Loop: Header=BB45_12 Depth=1
	s_or_b64 exec, exec, s[2:3]
	s_and_saveexec_b64 s[2:3], s[28:29]
	s_cbranch_execnz .LBB45_159
.LBB45_125:                             ;   in Loop: Header=BB45_12 Depth=1
	s_or_b64 exec, exec, s[2:3]
	s_and_saveexec_b64 s[2:3], s[30:31]
	s_cbranch_execnz .LBB45_160
.LBB45_126:                             ;   in Loop: Header=BB45_12 Depth=1
	s_or_b64 exec, exec, s[2:3]
	s_and_saveexec_b64 s[2:3], s[34:35]
	s_cbranch_execz .LBB45_128
.LBB45_127:                             ;   in Loop: Header=BB45_12 Depth=1
	s_waitcnt lgkmcnt(0)
	global_store_short v[0:1], v2, off offset:896
.LBB45_128:                             ;   in Loop: Header=BB45_12 Depth=1
	s_or_b64 exec, exec, s[2:3]
	v_lshl_add_u64 v[0:1], s[70:71], 1, v[14:15]
	s_waitcnt lgkmcnt(0)
	v_mov_b32_e32 v2, 0
	v_mov_b32_e32 v3, 0
	s_waitcnt lgkmcnt(0)
	; wave barrier
	s_and_saveexec_b64 s[2:3], s[18:19]
	s_cbranch_execz .LBB45_130
; %bb.129:                              ;   in Loop: Header=BB45_12 Depth=1
	global_load_ushort v3, v[0:1], off
.LBB45_130:                             ;   in Loop: Header=BB45_12 Depth=1
	s_or_b64 exec, exec, s[2:3]
	s_and_saveexec_b64 s[2:3], s[20:21]
	s_cbranch_execz .LBB45_132
; %bb.131:                              ;   in Loop: Header=BB45_12 Depth=1
	global_load_ushort v2, v[0:1], off offset:128
.LBB45_132:                             ;   in Loop: Header=BB45_12 Depth=1
	s_or_b64 exec, exec, s[2:3]
	v_mov_b32_e32 v4, 0
	v_mov_b32_e32 v5, 0
	s_and_saveexec_b64 s[2:3], s[22:23]
	s_cbranch_execz .LBB45_134
; %bb.133:                              ;   in Loop: Header=BB45_12 Depth=1
	global_load_ushort v5, v[0:1], off offset:256
.LBB45_134:                             ;   in Loop: Header=BB45_12 Depth=1
	s_or_b64 exec, exec, s[2:3]
	s_and_saveexec_b64 s[2:3], s[24:25]
	s_cbranch_execz .LBB45_136
; %bb.135:                              ;   in Loop: Header=BB45_12 Depth=1
	global_load_ushort v4, v[0:1], off offset:384
.LBB45_136:                             ;   in Loop: Header=BB45_12 Depth=1
	s_or_b64 exec, exec, s[2:3]
	v_mov_b32_e32 v6, 0
	v_mov_b32_e32 v7, 0
	s_and_saveexec_b64 s[2:3], s[26:27]
	s_cbranch_execz .LBB45_138
; %bb.137:                              ;   in Loop: Header=BB45_12 Depth=1
	global_load_ushort v7, v[0:1], off offset:512
.LBB45_138:                             ;   in Loop: Header=BB45_12 Depth=1
	;; [unrolled: 14-line block ×3, first 2 shown]
	s_or_b64 exec, exec, s[2:3]
	s_and_saveexec_b64 s[2:3], s[34:35]
	s_cbranch_execz .LBB45_144
; %bb.143:                              ;   in Loop: Header=BB45_12 Depth=1
	global_load_ushort v19, v[0:1], off offset:896
.LBB45_144:                             ;   in Loop: Header=BB45_12 Depth=1
	s_or_b64 exec, exec, s[2:3]
	s_waitcnt vmcnt(0)
	ds_write_b16 v47, v3
	ds_write_b16 v48, v2 offset:128
	ds_write_b16 v49, v5 offset:256
	;; [unrolled: 1-line block ×7, first 2 shown]
	; wave barrier
	ds_read_b128 v[0:3], v55
	s_waitcnt lgkmcnt(0)
	; wave barrier
	s_waitcnt lgkmcnt(0)
	v_and_b32_e32 v6, 0xffff0000, v1
	v_mul_f32_e32 v4, 0xbfb8aa3b, v6
	v_fma_f32 v5, v6, s79, -v4
	v_rndne_f32_e32 v7, v4
	v_fmac_f32_e32 v5, 0xb2a5705f, v6
	v_sub_f32_e32 v4, v4, v7
	v_add_f32_e32 v4, v4, v5
	v_exp_f32_e32 v4, v4
	v_cvt_i32_f32_e32 v5, v7
	v_and_b32_e32 v7, 0xffff0000, v0
	v_lshlrev_b32_e32 v28, 16, v1
	v_mul_f32_e32 v1, 0xbfb8aa3b, v7
	v_lshlrev_b32_e32 v19, 16, v0
	v_ldexp_f32 v0, v4, v5
	v_fma_f32 v4, v7, s79, -v1
	v_rndne_f32_e32 v5, v1
	v_fmac_f32_e32 v4, 0xb2a5705f, v7
	v_sub_f32_e32 v1, v1, v5
	v_add_f32_e32 v1, v1, v4
	v_exp_f32_e32 v4, v1
	v_cvt_i32_f32_e32 v5, v5
	v_cmp_nlt_f32_e32 vcc, s97, v6
	s_nop 1
	v_cndmask_b32_e32 v0, 0, v0, vcc
	v_cmp_ngt_f32_e32 vcc, s98, v6
	s_nop 1
	v_cndmask_b32_e32 v1, v72, v0, vcc
	v_ldexp_f32 v0, v4, v5
	v_mul_f32_e32 v4, 0xbfb8aa3b, v28
	v_rndne_f32_e32 v5, v4
	v_sub_f32_e32 v29, v4, v5
	v_fma_f32 v4, v28, s79, -v4
	v_fmac_f32_e32 v4, 0xb2a5705f, v28
	v_add_f32_e32 v4, v29, v4
	v_exp_f32_e32 v4, v4
	v_cvt_i32_f32_e32 v29, v5
	v_cmp_nlt_f32_e32 vcc, s97, v7
	s_nop 1
	v_cndmask_b32_e32 v0, 0, v0, vcc
	v_cmp_ngt_f32_e32 vcc, s98, v7
	s_nop 1
	v_cndmask_b32_e32 v5, v72, v0, vcc
	v_ldexp_f32 v0, v4, v29
	v_mul_f32_e32 v4, 0xbfb8aa3b, v19
	v_rndne_f32_e32 v29, v4
	v_sub_f32_e32 v30, v4, v29
	v_fma_f32 v4, v19, s79, -v4
	v_fmac_f32_e32 v4, 0xb2a5705f, v19
	v_add_f32_e32 v4, v30, v4
	v_exp_f32_e32 v4, v4
	v_cvt_i32_f32_e32 v29, v29
	v_cmp_nlt_f32_e32 vcc, s97, v28
	v_ldexp_f32 v4, v4, v29
	s_nop 0
	v_cndmask_b32_e32 v0, 0, v0, vcc
	v_cmp_ngt_f32_e32 vcc, s98, v28
	s_nop 1
	v_cndmask_b32_e32 v0, v72, v0, vcc
	v_pk_add_f32 v[0:1], v[0:1], 1.0 op_sel_hi:[1,0]
	v_cmp_nlt_f32_e32 vcc, s97, v19
	v_div_scale_f32 v29, s[2:3], v1, v1, v6
	v_rcp_f32_e32 v30, v29
	v_cndmask_b32_e32 v4, 0, v4, vcc
	v_cmp_ngt_f32_e32 vcc, s98, v19
	v_fma_f32 v31, -v29, v30, 1.0
	s_nop 0
	v_cndmask_b32_e32 v4, v72, v4, vcc
	v_fmac_f32_e32 v30, v31, v30
	v_div_scale_f32 v31, vcc, v6, v1, v6
	v_mul_f32_e32 v32, v31, v30
	v_fma_f32 v33, -v29, v32, v31
	v_fmac_f32_e32 v32, v33, v30
	v_fma_f32 v29, -v29, v32, v31
	v_div_scale_f32 v31, s[2:3], v0, v0, v28
	v_rcp_f32_e32 v33, v31
	v_div_fmas_f32 v29, v29, v30, v32
	v_div_fixup_f32 v1, v29, v1, v6
	v_pk_add_f32 v[4:5], v[4:5], 1.0 op_sel_hi:[1,0]
	v_fma_f32 v6, -v31, v33, 1.0
	v_fmac_f32_e32 v33, v6, v33
	v_div_scale_f32 v6, vcc, v28, v0, v28
	v_mul_f32_e32 v29, v6, v33
	v_fma_f32 v30, -v31, v29, v6
	v_fmac_f32_e32 v29, v30, v33
	v_div_scale_f32 v30, s[2:3], v5, v5, v7
	v_fma_f32 v6, -v31, v29, v6
	v_rcp_f32_e32 v31, v30
	v_div_fmas_f32 v6, v6, v33, v29
	v_div_fixup_f32 v0, v6, v0, v28
	v_fma_f32 v6, -v30, v31, 1.0
	v_fmac_f32_e32 v31, v6, v31
	v_div_scale_f32 v6, vcc, v7, v5, v7
	v_mul_f32_e32 v28, v6, v31
	v_fma_f32 v29, -v30, v28, v6
	v_fmac_f32_e32 v28, v29, v31
	v_div_scale_f32 v29, s[2:3], v4, v4, v19
	v_fma_f32 v6, -v30, v28, v6
	v_rcp_f32_e32 v30, v29
	v_div_fmas_f32 v6, v6, v31, v28
	v_div_fixup_f32 v5, v6, v5, v7
	v_fma_f32 v6, -v29, v30, 1.0
	v_fmac_f32_e32 v30, v6, v30
	v_div_scale_f32 v6, vcc, v19, v4, v19
	v_mul_f32_e32 v7, v6, v30
	v_fma_f32 v28, -v29, v7, v6
	v_fmac_f32_e32 v7, v28, v30
	v_fma_f32 v6, -v29, v7, v6
	v_div_fmas_f32 v6, v6, v30, v7
	v_div_fixup_f32 v4, v6, v4, v19
	v_pk_mul_f32 v[4:5], v[26:27], v[4:5]
	v_pk_mul_f32 v[6:7], v[24:25], v[0:1]
	v_bfe_u32 v0, v4, 16, 1
	v_bfe_u32 v1, v5, 16, 1
	v_add3_u32 v0, v4, v0, s73
	v_bfe_u32 v19, v6, 16, 1
	v_add3_u32 v1, v5, v1, s73
	v_lshrrev_b32_e32 v0, 16, v0
	v_cmp_o_f32_e32 vcc, v4, v4
	v_add3_u32 v19, v6, v19, s73
	v_lshrrev_b32_e32 v1, 16, v1
	v_cndmask_b32_e32 v0, v75, v0, vcc
	v_cmp_o_f32_e32 vcc, v5, v5
	v_bfe_u32 v24, v7, 16, 1
	v_lshrrev_b32_e32 v19, 16, v19
	v_cndmask_b32_e32 v1, v75, v1, vcc
	v_cmp_o_f32_e32 vcc, v6, v6
	v_add3_u32 v24, v7, v24, s73
	v_lshrrev_b32_e32 v24, 16, v24
	v_cndmask_b32_e32 v6, v75, v19, vcc
	v_and_b32_e32 v19, 0xffff0000, v3
	v_cmp_o_f32_e32 vcc, v7, v7
	v_mul_f32_e32 v4, 0xbfb8aa3b, v19
	v_fma_f32 v5, v19, s79, -v4
	v_cndmask_b32_e32 v7, v75, v24, vcc
	v_rndne_f32_e32 v24, v4
	v_fmac_f32_e32 v5, 0xb2a5705f, v19
	v_sub_f32_e32 v4, v4, v24
	v_add_f32_e32 v4, v4, v5
	v_exp_f32_e32 v4, v4
	v_cvt_i32_f32_e32 v5, v24
	v_and_b32_e32 v24, 0xffff0000, v2
	v_lshlrev_b32_e32 v26, 16, v3
	v_mul_f32_e32 v3, 0xbfb8aa3b, v24
	v_lshlrev_b32_e32 v25, 16, v2
	v_ldexp_f32 v2, v4, v5
	v_fma_f32 v4, v24, s79, -v3
	v_rndne_f32_e32 v5, v3
	v_fmac_f32_e32 v4, 0xb2a5705f, v24
	v_sub_f32_e32 v3, v3, v5
	v_add_f32_e32 v3, v3, v4
	v_exp_f32_e32 v4, v3
	v_cvt_i32_f32_e32 v5, v5
	v_cmp_nlt_f32_e32 vcc, s97, v19
	s_nop 1
	v_cndmask_b32_e32 v2, 0, v2, vcc
	v_cmp_ngt_f32_e32 vcc, s98, v19
	s_nop 1
	v_cndmask_b32_e32 v3, v72, v2, vcc
	v_ldexp_f32 v2, v4, v5
	v_mul_f32_e32 v4, 0xbfb8aa3b, v26
	v_rndne_f32_e32 v5, v4
	v_sub_f32_e32 v27, v4, v5
	v_fma_f32 v4, v26, s79, -v4
	v_fmac_f32_e32 v4, 0xb2a5705f, v26
	v_add_f32_e32 v4, v27, v4
	v_exp_f32_e32 v4, v4
	v_cvt_i32_f32_e32 v27, v5
	v_cmp_nlt_f32_e32 vcc, s97, v24
	s_nop 1
	v_cndmask_b32_e32 v2, 0, v2, vcc
	v_cmp_ngt_f32_e32 vcc, s98, v24
	s_nop 1
	v_cndmask_b32_e32 v5, v72, v2, vcc
	v_ldexp_f32 v2, v4, v27
	v_mul_f32_e32 v4, 0xbfb8aa3b, v25
	v_rndne_f32_e32 v27, v4
	v_sub_f32_e32 v28, v4, v27
	v_fma_f32 v4, v25, s79, -v4
	v_fmac_f32_e32 v4, 0xb2a5705f, v25
	v_add_f32_e32 v4, v28, v4
	v_exp_f32_e32 v4, v4
	v_cvt_i32_f32_e32 v27, v27
	v_cmp_nlt_f32_e32 vcc, s97, v26
	v_ldexp_f32 v4, v4, v27
	s_nop 0
	v_cndmask_b32_e32 v2, 0, v2, vcc
	v_cmp_ngt_f32_e32 vcc, s98, v26
	s_nop 1
	v_cndmask_b32_e32 v2, v72, v2, vcc
	v_pk_add_f32 v[2:3], v[2:3], 1.0 op_sel_hi:[1,0]
	v_cmp_nlt_f32_e32 vcc, s97, v25
	v_div_scale_f32 v27, s[2:3], v3, v3, v19
	v_rcp_f32_e32 v28, v27
	v_cndmask_b32_e32 v4, 0, v4, vcc
	v_cmp_ngt_f32_e32 vcc, s98, v25
	v_fma_f32 v29, -v27, v28, 1.0
	s_nop 0
	v_cndmask_b32_e32 v4, v72, v4, vcc
	v_fmac_f32_e32 v28, v29, v28
	v_div_scale_f32 v29, vcc, v19, v3, v19
	v_mul_f32_e32 v30, v29, v28
	v_fma_f32 v31, -v27, v30, v29
	v_fmac_f32_e32 v30, v31, v28
	v_fma_f32 v27, -v27, v30, v29
	v_div_scale_f32 v29, s[2:3], v2, v2, v26
	v_rcp_f32_e32 v31, v29
	v_div_fmas_f32 v27, v27, v28, v30
	v_div_fixup_f32 v3, v27, v3, v19
	v_pk_add_f32 v[4:5], v[4:5], 1.0 op_sel_hi:[1,0]
	v_fma_f32 v19, -v29, v31, 1.0
	v_fmac_f32_e32 v31, v19, v31
	v_div_scale_f32 v19, vcc, v26, v2, v26
	v_mul_f32_e32 v27, v19, v31
	v_fma_f32 v28, -v29, v27, v19
	v_fmac_f32_e32 v27, v28, v31
	v_div_scale_f32 v28, s[2:3], v5, v5, v24
	v_fma_f32 v19, -v29, v27, v19
	v_rcp_f32_e32 v29, v28
	v_div_fmas_f32 v19, v19, v31, v27
	v_div_fixup_f32 v2, v19, v2, v26
	v_pk_mul_f32 v[2:3], v[20:21], v[2:3]
	v_fma_f32 v19, -v28, v29, 1.0
	v_fmac_f32_e32 v29, v19, v29
	v_div_scale_f32 v19, vcc, v24, v5, v24
	v_mul_f32_e32 v26, v19, v29
	v_fma_f32 v27, -v28, v26, v19
	v_fmac_f32_e32 v26, v27, v29
	v_div_scale_f32 v27, s[2:3], v4, v4, v25
	v_fma_f32 v19, -v28, v26, v19
	v_rcp_f32_e32 v28, v27
	v_div_fmas_f32 v19, v19, v29, v26
	v_div_fixup_f32 v5, v19, v5, v24
	v_bfe_u32 v21, v2, 16, 1
	v_fma_f32 v19, -v27, v28, 1.0
	v_fmac_f32_e32 v28, v19, v28
	v_div_scale_f32 v19, vcc, v25, v4, v25
	v_mul_f32_e32 v24, v19, v28
	v_fma_f32 v26, -v27, v24, v19
	v_fmac_f32_e32 v24, v26, v28
	v_fma_f32 v19, -v27, v24, v19
	v_div_fmas_f32 v19, v19, v28, v24
	v_div_fixup_f32 v4, v19, v4, v25
	v_pk_mul_f32 v[4:5], v[22:23], v[4:5]
	v_bfe_u32 v22, v3, 16, 1
	v_bfe_u32 v19, v4, 16, 1
	;; [unrolled: 1-line block ×3, first 2 shown]
	v_add3_u32 v19, v4, v19, s73
	v_add3_u32 v20, v5, v20, s73
	v_lshrrev_b32_e32 v19, 16, v19
	v_cmp_o_f32_e32 vcc, v4, v4
	v_add3_u32 v21, v2, v21, s73
	v_lshrrev_b32_e32 v20, 16, v20
	v_cndmask_b32_e32 v4, v75, v19, vcc
	v_cmp_o_f32_e32 vcc, v5, v5
	v_add3_u32 v22, v3, v22, s73
	v_lshrrev_b32_e32 v21, 16, v21
	v_cndmask_b32_e32 v19, v75, v20, vcc
	v_cmp_o_f32_e32 vcc, v2, v2
	v_lshrrev_b32_e32 v22, 16, v22
	s_mov_b32 s2, 0x5040100
	v_cndmask_b32_e32 v2, v75, v21, vcc
	v_cmp_o_f32_e32 vcc, v3, v3
	v_perm_b32 v4, v19, v4, s2
	s_nop 0
	v_cndmask_b32_e32 v3, v75, v22, vcc
	v_perm_b32 v5, v3, v2, s2
	v_perm_b32 v3, v7, v6, s2
	;; [unrolled: 1-line block ×3, first 2 shown]
	ds_write_b128 v55, v[2:5]
	; wave barrier
	ds_read_u16 v19, v48 offset:128
	ds_read_u16 v7, v49 offset:256
	;; [unrolled: 1-line block ×7, first 2 shown]
	v_lshl_add_u64 v[0:1], s[70:71], 1, v[16:17]
	s_and_saveexec_b64 s[2:3], s[18:19]
	s_cbranch_execnz .LBB45_161
; %bb.145:                              ;   in Loop: Header=BB45_12 Depth=1
	s_or_b64 exec, exec, s[2:3]
	s_and_saveexec_b64 s[2:3], s[20:21]
	s_cbranch_execnz .LBB45_162
.LBB45_146:                             ;   in Loop: Header=BB45_12 Depth=1
	s_or_b64 exec, exec, s[2:3]
	s_and_saveexec_b64 s[2:3], s[22:23]
	s_cbranch_execnz .LBB45_163
.LBB45_147:                             ;   in Loop: Header=BB45_12 Depth=1
	s_or_b64 exec, exec, s[2:3]
	s_and_saveexec_b64 s[2:3], s[24:25]
	s_cbranch_execnz .LBB45_164
.LBB45_148:                             ;   in Loop: Header=BB45_12 Depth=1
	s_or_b64 exec, exec, s[2:3]
	s_and_saveexec_b64 s[2:3], s[26:27]
	s_cbranch_execnz .LBB45_165
.LBB45_149:                             ;   in Loop: Header=BB45_12 Depth=1
	s_or_b64 exec, exec, s[2:3]
	s_and_saveexec_b64 s[2:3], s[28:29]
	s_cbranch_execnz .LBB45_166
.LBB45_150:                             ;   in Loop: Header=BB45_12 Depth=1
	s_or_b64 exec, exec, s[2:3]
	s_and_saveexec_b64 s[2:3], s[30:31]
	s_cbranch_execnz .LBB45_167
.LBB45_151:                             ;   in Loop: Header=BB45_12 Depth=1
	s_or_b64 exec, exec, s[2:3]
	s_and_saveexec_b64 s[2:3], s[34:35]
	s_cbranch_execz .LBB45_11
	s_branch .LBB45_168
.LBB45_152:                             ;   in Loop: Header=BB45_12 Depth=1
	global_load_ushort v23, v[4:5], off offset:640
	s_or_b64 exec, exec, s[2:3]
	s_and_saveexec_b64 s[2:3], s[30:31]
	s_cbranch_execz .LBB45_40
.LBB45_153:                             ;   in Loop: Header=BB45_12 Depth=1
	global_load_ushort v22, v[4:5], off offset:768
	s_or_b64 exec, exec, s[2:3]
	v_mov_b32_e32 v24, 0
	s_and_saveexec_b64 s[2:3], s[34:35]
	s_cbranch_execnz .LBB45_41
	s_branch .LBB45_42
.LBB45_154:                             ;   in Loop: Header=BB45_12 Depth=1
	ds_read_u16 v28, v47
	s_waitcnt lgkmcnt(0)
	global_store_short v[0:1], v28, off
	s_or_b64 exec, exec, s[2:3]
	s_and_saveexec_b64 s[2:3], s[20:21]
	s_cbranch_execz .LBB45_121
.LBB45_155:                             ;   in Loop: Header=BB45_12 Depth=1
	s_waitcnt lgkmcnt(6)
	global_store_short v[0:1], v19, off offset:128
	s_or_b64 exec, exec, s[2:3]
	s_and_saveexec_b64 s[2:3], s[22:23]
	s_cbranch_execz .LBB45_122
.LBB45_156:                             ;   in Loop: Header=BB45_12 Depth=1
	s_waitcnt lgkmcnt(5)
	global_store_short v[0:1], v7, off offset:256
	s_or_b64 exec, exec, s[2:3]
	s_and_saveexec_b64 s[2:3], s[24:25]
	s_cbranch_execz .LBB45_123
.LBB45_157:                             ;   in Loop: Header=BB45_12 Depth=1
	s_waitcnt lgkmcnt(4)
	global_store_short v[0:1], v6, off offset:384
	s_or_b64 exec, exec, s[2:3]
	s_and_saveexec_b64 s[2:3], s[26:27]
	s_cbranch_execz .LBB45_124
.LBB45_158:                             ;   in Loop: Header=BB45_12 Depth=1
	s_waitcnt lgkmcnt(3)
	global_store_short v[0:1], v5, off offset:512
	s_or_b64 exec, exec, s[2:3]
	s_and_saveexec_b64 s[2:3], s[28:29]
	s_cbranch_execz .LBB45_125
.LBB45_159:                             ;   in Loop: Header=BB45_12 Depth=1
	s_waitcnt lgkmcnt(2)
	global_store_short v[0:1], v4, off offset:640
	s_or_b64 exec, exec, s[2:3]
	s_and_saveexec_b64 s[2:3], s[30:31]
	s_cbranch_execz .LBB45_126
.LBB45_160:                             ;   in Loop: Header=BB45_12 Depth=1
	s_waitcnt lgkmcnt(1)
	global_store_short v[0:1], v3, off offset:768
	s_or_b64 exec, exec, s[2:3]
	s_and_saveexec_b64 s[2:3], s[34:35]
	s_cbranch_execnz .LBB45_127
	s_branch .LBB45_128
.LBB45_161:                             ;   in Loop: Header=BB45_12 Depth=1
	ds_read_u16 v20, v47
	s_waitcnt lgkmcnt(0)
	global_store_short v[0:1], v20, off
	s_or_b64 exec, exec, s[2:3]
	s_and_saveexec_b64 s[2:3], s[20:21]
	s_cbranch_execz .LBB45_146
.LBB45_162:                             ;   in Loop: Header=BB45_12 Depth=1
	s_waitcnt lgkmcnt(6)
	global_store_short v[0:1], v19, off offset:128
	s_or_b64 exec, exec, s[2:3]
	s_and_saveexec_b64 s[2:3], s[22:23]
	s_cbranch_execz .LBB45_147
.LBB45_163:                             ;   in Loop: Header=BB45_12 Depth=1
	s_waitcnt lgkmcnt(5)
	global_store_short v[0:1], v7, off offset:256
	s_or_b64 exec, exec, s[2:3]
	s_and_saveexec_b64 s[2:3], s[24:25]
	s_cbranch_execz .LBB45_148
.LBB45_164:                             ;   in Loop: Header=BB45_12 Depth=1
	s_waitcnt lgkmcnt(4)
	global_store_short v[0:1], v6, off offset:384
	s_or_b64 exec, exec, s[2:3]
	s_and_saveexec_b64 s[2:3], s[26:27]
	s_cbranch_execz .LBB45_149
.LBB45_165:                             ;   in Loop: Header=BB45_12 Depth=1
	s_waitcnt lgkmcnt(3)
	global_store_short v[0:1], v5, off offset:512
	s_or_b64 exec, exec, s[2:3]
	s_and_saveexec_b64 s[2:3], s[28:29]
	s_cbranch_execz .LBB45_150
.LBB45_166:                             ;   in Loop: Header=BB45_12 Depth=1
	s_waitcnt lgkmcnt(2)
	global_store_short v[0:1], v4, off offset:640
	s_or_b64 exec, exec, s[2:3]
	s_and_saveexec_b64 s[2:3], s[30:31]
	s_cbranch_execz .LBB45_151
.LBB45_167:                             ;   in Loop: Header=BB45_12 Depth=1
	s_waitcnt lgkmcnt(1)
	global_store_short v[0:1], v3, off offset:768
	s_or_b64 exec, exec, s[2:3]
	s_and_saveexec_b64 s[2:3], s[34:35]
	s_cbranch_execz .LBB45_11
.LBB45_168:                             ;   in Loop: Header=BB45_12 Depth=1
	s_waitcnt lgkmcnt(0)
	global_store_short v[0:1], v2, off offset:896
	s_branch .LBB45_11
.LBB45_169:
	s_endpgm
	.section	.rodata,"a",@progbits
	.p2align	6, 0x0
	.amdhsa_kernel _Z25selective_scan_fwd_kernelI32Selective_Scan_fwd_kernel_traitsILi64ELi8ELi1ELb0ELb1ELb1ELb1ELb0EN3c108BFloat16EffEEv13SSMParamsBase
		.amdhsa_group_segment_fixed_size 0
		.amdhsa_private_segment_fixed_size 0
		.amdhsa_kernarg_size 248
		.amdhsa_user_sgpr_count 2
		.amdhsa_user_sgpr_dispatch_ptr 0
		.amdhsa_user_sgpr_queue_ptr 0
		.amdhsa_user_sgpr_kernarg_segment_ptr 1
		.amdhsa_user_sgpr_dispatch_id 0
		.amdhsa_user_sgpr_kernarg_preload_length 0
		.amdhsa_user_sgpr_kernarg_preload_offset 0
		.amdhsa_user_sgpr_private_segment_size 0
		.amdhsa_uses_dynamic_stack 0
		.amdhsa_enable_private_segment 0
		.amdhsa_system_sgpr_workgroup_id_x 1
		.amdhsa_system_sgpr_workgroup_id_y 1
		.amdhsa_system_sgpr_workgroup_id_z 0
		.amdhsa_system_sgpr_workgroup_info 0
		.amdhsa_system_vgpr_workitem_id 0
		.amdhsa_next_free_vgpr 96
		.amdhsa_next_free_sgpr 100
		.amdhsa_accum_offset 96
		.amdhsa_reserve_vcc 1
		.amdhsa_float_round_mode_32 0
		.amdhsa_float_round_mode_16_64 0
		.amdhsa_float_denorm_mode_32 3
		.amdhsa_float_denorm_mode_16_64 3
		.amdhsa_dx10_clamp 1
		.amdhsa_ieee_mode 1
		.amdhsa_fp16_overflow 0
		.amdhsa_tg_split 0
		.amdhsa_exception_fp_ieee_invalid_op 0
		.amdhsa_exception_fp_denorm_src 0
		.amdhsa_exception_fp_ieee_div_zero 0
		.amdhsa_exception_fp_ieee_overflow 0
		.amdhsa_exception_fp_ieee_underflow 0
		.amdhsa_exception_fp_ieee_inexact 0
		.amdhsa_exception_int_div_zero 0
	.end_amdhsa_kernel
	.section	.text._Z25selective_scan_fwd_kernelI32Selective_Scan_fwd_kernel_traitsILi64ELi8ELi1ELb0ELb1ELb1ELb1ELb0EN3c108BFloat16EffEEv13SSMParamsBase,"axG",@progbits,_Z25selective_scan_fwd_kernelI32Selective_Scan_fwd_kernel_traitsILi64ELi8ELi1ELb0ELb1ELb1ELb1ELb0EN3c108BFloat16EffEEv13SSMParamsBase,comdat
.Lfunc_end45:
	.size	_Z25selective_scan_fwd_kernelI32Selective_Scan_fwd_kernel_traitsILi64ELi8ELi1ELb0ELb1ELb1ELb1ELb0EN3c108BFloat16EffEEv13SSMParamsBase, .Lfunc_end45-_Z25selective_scan_fwd_kernelI32Selective_Scan_fwd_kernel_traitsILi64ELi8ELi1ELb0ELb1ELb1ELb1ELb0EN3c108BFloat16EffEEv13SSMParamsBase
                                        ; -- End function
	.section	.AMDGPU.csdata,"",@progbits
; Kernel info:
; codeLenInByte = 12824
; NumSgprs: 106
; NumVgprs: 96
; NumAgprs: 0
; TotalNumVgprs: 96
; ScratchSize: 0
; MemoryBound: 0
; FloatMode: 240
; IeeeMode: 1
; LDSByteSize: 0 bytes/workgroup (compile time only)
; SGPRBlocks: 13
; VGPRBlocks: 11
; NumSGPRsForWavesPerEU: 106
; NumVGPRsForWavesPerEU: 96
; AccumOffset: 96
; Occupancy: 5
; WaveLimiterHint : 0
; COMPUTE_PGM_RSRC2:SCRATCH_EN: 0
; COMPUTE_PGM_RSRC2:USER_SGPR: 2
; COMPUTE_PGM_RSRC2:TRAP_HANDLER: 0
; COMPUTE_PGM_RSRC2:TGID_X_EN: 1
; COMPUTE_PGM_RSRC2:TGID_Y_EN: 1
; COMPUTE_PGM_RSRC2:TGID_Z_EN: 0
; COMPUTE_PGM_RSRC2:TIDIG_COMP_CNT: 0
; COMPUTE_PGM_RSRC3_GFX90A:ACCUM_OFFSET: 23
; COMPUTE_PGM_RSRC3_GFX90A:TG_SPLIT: 0
	.section	.text._Z25selective_scan_fwd_kernelI32Selective_Scan_fwd_kernel_traitsILi64ELi8ELi1ELb0ELb1ELb1ELb0ELb1EN3c108BFloat16EffEEv13SSMParamsBase,"axG",@progbits,_Z25selective_scan_fwd_kernelI32Selective_Scan_fwd_kernel_traitsILi64ELi8ELi1ELb0ELb1ELb1ELb0ELb1EN3c108BFloat16EffEEv13SSMParamsBase,comdat
	.protected	_Z25selective_scan_fwd_kernelI32Selective_Scan_fwd_kernel_traitsILi64ELi8ELi1ELb0ELb1ELb1ELb0ELb1EN3c108BFloat16EffEEv13SSMParamsBase ; -- Begin function _Z25selective_scan_fwd_kernelI32Selective_Scan_fwd_kernel_traitsILi64ELi8ELi1ELb0ELb1ELb1ELb0ELb1EN3c108BFloat16EffEEv13SSMParamsBase
	.globl	_Z25selective_scan_fwd_kernelI32Selective_Scan_fwd_kernel_traitsILi64ELi8ELi1ELb0ELb1ELb1ELb0ELb1EN3c108BFloat16EffEEv13SSMParamsBase
	.p2align	8
	.type	_Z25selective_scan_fwd_kernelI32Selective_Scan_fwd_kernel_traitsILi64ELi8ELi1ELb0ELb1ELb1ELb0ELb1EN3c108BFloat16EffEEv13SSMParamsBase,@function
_Z25selective_scan_fwd_kernelI32Selective_Scan_fwd_kernel_traitsILi64ELi8ELi1ELb0ELb1ELb1ELb0ELb1EN3c108BFloat16EffEEv13SSMParamsBase: ; @_Z25selective_scan_fwd_kernelI32Selective_Scan_fwd_kernel_traitsILi64ELi8ELi1ELb0ELb1ELb1ELb0ELb1EN3c108BFloat16EffEEv13SSMParamsBase
; %bb.0:
	s_load_dword s27, s[0:1], 0x18
	s_load_dwordx4 s[4:7], s[0:1], 0xe0
	s_load_dwordx2 s[10:11], s[0:1], 0xf0
	s_mov_b32 s20, s3
	s_ashr_i32 s3, s2, 31
	s_waitcnt lgkmcnt(0)
	s_abs_i32 s26, s27
	v_cvt_f32_u32_e32 v1, s26
	s_lshl_b64 s[8:9], s[2:3], 2
	s_add_u32 s24, s4, s8
	s_addc_u32 s25, s5, s9
	v_rcp_iflag_f32_e32 v1, v1
	s_cmp_eq_u64 s[10:11], 0
	v_mul_f32_e32 v1, 0x4f7ffffe, v1
	v_cvt_u32_f32_e32 v1, v1
	s_nop 0
	v_readfirstlane_b32 s28, v1
	s_cbranch_scc1 .LBB46_137
; %bb.1:
	s_add_u32 s4, s10, s2
	s_addc_u32 s5, s11, s3
	v_mov_b32_e32 v1, 0
	global_load_ubyte v1, v1, s[4:5]
	s_waitcnt vmcnt(0)
	v_and_b32_e32 v1, 1, v1
	v_cmp_eq_u32_e64 s[68:69], 1, v1
	s_load_dwordx2 s[4:5], s[0:1], 0x20
	s_cmp_eq_u64 s[6:7], 0
	s_cbranch_scc1 .LBB46_3
.LBB46_2:
	s_add_u32 s2, s6, s8
	s_addc_u32 s3, s7, s9
	s_load_dword s2, s[2:3], 0x0
	s_waitcnt lgkmcnt(0)
	s_ashr_i32 s3, s2, 31
.LBB46_3:
	s_waitcnt lgkmcnt(0)
	s_cmp_eq_u64 s[4:5], s[2:3]
	s_cbranch_scc1 .LBB46_136
; %bb.4:
	s_load_dwordx16 s[4:19], s[0:1], 0x88
	s_load_dwordx2 s[22:23], s[24:25], 0x0
	s_mov_b32 s33, 0
	s_mov_b32 s94, 0
	s_waitcnt lgkmcnt(0)
	s_cmp_eq_u64 s[10:11], 0
	s_cbranch_scc1 .LBB46_6
; %bb.5:
	s_ashr_i32 s21, s20, 31
	s_lshl_b64 s[24:25], s[20:21], 2
	s_add_u32 s10, s10, s24
	s_addc_u32 s11, s11, s25
	s_load_dword s94, s[10:11], 0x0
.LBB46_6:
	s_cmp_eq_u64 s[16:17], 0
	s_cbranch_scc1 .LBB46_8
; %bb.7:
	s_ashr_i32 s21, s20, 31
	s_lshl_b64 s[10:11], s[20:21], 2
	s_add_u32 s10, s16, s10
	s_addc_u32 s11, s17, s11
	s_load_dword s33, s[10:11], 0x0
.LBB46_8:
	s_sub_i32 s29, s23, s22
	s_cmp_lt_i32 s29, 1
	s_cbranch_scc1 .LBB46_136
; %bb.9:
	s_sub_i32 s3, 0, s26
	s_mul_i32 s3, s3, s28
	s_mul_hi_u32 s3, s28, s3
	s_abs_i32 s21, s20
	s_add_i32 s28, s28, s3
	s_load_dwordx8 s[52:59], s[0:1], 0x2c
	s_load_dwordx2 s[10:11], s[0:1], 0x5c
	s_load_dwordx4 s[60:63], s[0:1], 0x4c
	s_load_dwordx4 s[64:67], s[0:1], 0x7c
	s_load_dwordx2 s[24:25], s[0:1], 0x6c
	s_load_dwordx2 s[16:17], s[0:1], 0xc8
	s_mul_hi_u32 s3, s21, s28
	s_load_dword s28, s[0:1], 0xc
	s_load_dword s23, s[0:1], 0x28
	s_ashr_i32 s0, s20, 31
	s_ashr_i32 s1, s27, 31
	s_xor_b32 s0, s0, s1
	s_mul_i32 s1, s3, s26
	s_sub_i32 s1, s21, s1
	s_add_i32 s21, s3, 1
	s_sub_i32 s27, s1, s26
	s_cmp_ge_u32 s1, s26
	s_cselect_b32 s3, s21, s3
	s_cselect_b32 s1, s27, s1
	s_add_i32 s21, s3, 1
	s_cmp_ge_u32 s1, s26
	s_cselect_b32 s1, s21, s3
	s_xor_b32 s1, s1, s0
	s_waitcnt lgkmcnt(0)
	s_mul_i32 s70, s22, s62
	s_mov_b32 s71, 0
	s_sub_i32 s3, s1, s0
	s_lshl_b64 s[0:1], s[70:71], 1
	s_add_u32 s12, s12, s0
	s_mul_i32 s70, s63, s20
	s_addc_u32 s13, s13, s1
	s_lshl_b64 s[0:1], s[70:71], 1
	s_add_u32 s62, s12, s0
	s_mul_i32 s70, s22, s10
	s_addc_u32 s63, s13, s1
	;; [unrolled: 4-line block ×10, first 2 shown]
	s_lshl_b64 s[0:1], s[70:71], 2
	s_add_u32 s57, s2, s0
	v_mbcnt_lo_u32_b32 v1, -1, 0
	s_addc_u32 s61, s3, s1
	s_add_i32 s0, s29, 0x7ff
	v_mbcnt_hi_u32_b32 v10, -1, v1
	s_lshr_b32 s12, s0, 11
	v_lshrrev_b32_e32 v1, 5, v10
	v_and_b32_e32 v1, 2, v1
	s_bitcmp1_b32 s23, 0
	v_add_u32_e32 v36, 64, v10
	v_or_b32_e32 v37, 0x80, v10
	v_add_u32_e32 v38, 0xc0, v10
	v_or_b32_e32 v39, 0x100, v10
	;; [unrolled: 2-line block ×3, first 2 shown]
	v_add_u32_e32 v42, 0x1c0, v10
	v_add_u32_e32 v1, v1, v10
	s_cselect_b64 s[64:65], -1, 0
                                        ; implicit-def: $vgpr95 : SGPR spill to VGPR lane
	s_cmp_gt_i32 s28, 0
	v_lshl_add_u32 v43, v1, 1, 0
	v_lshrrev_b32_e32 v1, 5, v36
	v_lshrrev_b32_e32 v2, 5, v37
	;; [unrolled: 1-line block ×7, first 2 shown]
	v_writelane_b32 v95, s28, 0
	s_cselect_b64 s[0:1], -1, 0
	v_and_b32_e32 v1, 6, v1
	v_and_b32_e32 v2, 6, v2
	;; [unrolled: 1-line block ×7, first 2 shown]
	v_writelane_b32 v95, s0, 1
	v_add_lshl_u32 v1, v1, v10, 1
	v_add_lshl_u32 v2, v2, v10, 1
	;; [unrolled: 1-line block ×7, first 2 shown]
	v_writelane_b32 v95, s1, 2
	s_add_i32 s0, 0, 0x420
	v_add_u32_e32 v52, s0, v1
	v_add_u32_e32 v53, s0, v2
	;; [unrolled: 1-line block ×7, first 2 shown]
	s_and_b32 s0, s29, 0x1ff
	v_writelane_b32 v95, s29, 3
	s_cmp_eq_u32 s0, 0
	s_cselect_b64 s[76:77], -1, 0
	v_writelane_b32 v95, s12, 4
	s_add_i32 s12, s12, -1
	s_mul_i32 s70, s22, s24
	v_writelane_b32 v95, s12, 5
	s_lshl_b64 s[12:13], s[70:71], 1
	v_add_u32_e32 v44, 0, v1
	v_lshrrev_b32_e32 v8, 2, v10
	v_and_b32_e32 v1, 15, v10
	s_add_u32 s21, s18, s12
	s_mul_i32 s70, s25, s20
	v_and_b32_e32 v8, 30, v8
	v_cmp_ne_u32_e64 s[0:1], 0, v1
	v_cmp_lt_u32_e64 s[2:3], 1, v1
	v_cmp_lt_u32_e64 s[4:5], 3, v1
	v_cmp_lt_u32_e64 s[6:7], 7, v1
	v_and_b32_e32 v1, 16, v10
	s_addc_u32 s22, s19, s13
	s_lshl_b64 s[18:19], s[70:71], 1
	v_add_u32_e32 v45, 0, v2
	v_lshl_add_u32 v8, v10, 3, v8
	v_cmp_ne_u32_e64 s[8:9], 0, v1
	v_add_u32_e32 v1, -1, v10
	v_and_b32_e32 v2, 64, v10
	s_add_u32 s18, s21, s18
	v_mov_b32_e32 v9, 0
	v_lshl_add_u32 v51, v8, 1, 0
	v_cmp_lt_i32_e32 vcc, v1, v2
	s_addc_u32 s19, s22, s19
	v_lshlrev_b32_e32 v8, 1, v10
	v_lshlrev_b32_e32 v11, 3, v0
	v_cndmask_b32_e32 v1, v1, v10, vcc
	v_lshl_add_u64 v[12:13], s[18:19], 0, v[8:9]
	s_add_i32 s18, 0, 0x848
	v_add_u32_e32 v46, 0, v3
	v_add_u32_e32 v47, 0, v4
	;; [unrolled: 1-line block ×5, first 2 shown]
	v_cmp_lt_u32_e64 s[10:11], 31, v10
	v_cmp_eq_u32_e64 s[12:13], 63, v0
	v_lshlrev_b32_e32 v59, 2, v1
	v_cmp_gt_u32_e64 s[14:15], 64, v0
	v_cmp_eq_u32_e64 s[16:17], 0, v0
	v_or_b32_e32 v63, 4, v11
	v_or_b32_e32 v64, 5, v11
	;; [unrolled: 1-line block ×4, first 2 shown]
	v_lshlrev_b32_e32 v8, 1, v10
	s_mov_b32 s99, 0x41a00000
	s_mov_b32 s40, 0x3fb8aa3b
	;; [unrolled: 1-line block ×6, first 2 shown]
	v_mov_b32_e32 v67, 0x3ecc95a3
	s_mov_b32 s45, 0x3f317218
	s_mov_b32 s67, 0x33800000
	v_writelane_b32 v95, s18, 6
	s_mov_b32 s98, 0xc2fc0000
	s_movk_i32 s74, 0x7fff
	s_mov_b32 s75, 0x5040100
	v_mov_b32_e32 v68, 0x7f800000
	v_mov_b32_e32 v14, 0x3f317218
	v_mov_b32_e32 v69, 0x42800000
	v_mov_b32_e32 v70, 0x1f800000
	v_mov_b32_e32 v71, 0x7fc0
	s_mov_b32 s97, 0
                                        ; implicit-def: $vgpr0
	s_branch .LBB46_11
.LBB46_10:                              ;   in Loop: Header=BB46_11 Depth=1
	s_or_b64 exec, exec, s[18:19]
	s_add_u32 s72, s72, 0x400
	s_addc_u32 s73, s73, 0
	s_add_u32 s62, s62, 0x400
	s_addc_u32 s63, s63, 0
	;; [unrolled: 2-line block ×4, first 2 shown]
	s_add_i32 s97, s97, 1
	v_readlane_b32 s18, v95, 4
	s_cmp_eq_u32 s97, s18
	s_cbranch_scc1 .LBB46_136
.LBB46_11:                              ; =>This Loop Header: Depth=1
                                        ;     Child Loop BB46_60 Depth 2
	s_lshl_b32 s78, s97, 9
	v_readlane_b32 s18, v95, 3
	s_sub_i32 s50, s18, s78
	v_lshl_add_u64 v[0:1], s[62:63], 0, v[8:9]
	v_cmp_gt_u32_e64 s[18:19], s50, v10
	s_waitcnt lgkmcnt(0)
	v_mov_b32_e32 v2, 0
	s_waitcnt lgkmcnt(0)
	; wave barrier
	s_and_saveexec_b64 s[20:21], s[18:19]
	s_cbranch_execz .LBB46_13
; %bb.12:                               ;   in Loop: Header=BB46_11 Depth=1
	global_load_ushort v2, v[0:1], off
.LBB46_13:                              ;   in Loop: Header=BB46_11 Depth=1
	s_or_b64 exec, exec, s[20:21]
	v_cmp_gt_u32_e64 s[20:21], s50, v36
	v_mov_b32_e32 v3, 0
	v_mov_b32_e32 v4, 0
	s_and_saveexec_b64 s[22:23], s[20:21]
	s_cbranch_execz .LBB46_15
; %bb.14:                               ;   in Loop: Header=BB46_11 Depth=1
	global_load_ushort v4, v[0:1], off offset:128
.LBB46_15:                              ;   in Loop: Header=BB46_11 Depth=1
	s_or_b64 exec, exec, s[22:23]
	v_cmp_gt_u32_e64 s[22:23], s50, v37
	s_and_saveexec_b64 s[24:25], s[22:23]
	s_cbranch_execz .LBB46_17
; %bb.16:                               ;   in Loop: Header=BB46_11 Depth=1
	global_load_ushort v3, v[0:1], off offset:256
.LBB46_17:                              ;   in Loop: Header=BB46_11 Depth=1
	s_or_b64 exec, exec, s[24:25]
	v_cmp_gt_u32_e64 s[24:25], s50, v38
	v_mov_b32_e32 v5, 0
	v_mov_b32_e32 v7, 0
	s_and_saveexec_b64 s[26:27], s[24:25]
	s_cbranch_execz .LBB46_19
; %bb.18:                               ;   in Loop: Header=BB46_11 Depth=1
	global_load_ushort v7, v[0:1], off offset:384
.LBB46_19:                              ;   in Loop: Header=BB46_11 Depth=1
	s_or_b64 exec, exec, s[26:27]
	v_cmp_gt_u32_e64 s[26:27], s50, v39
	s_and_saveexec_b64 s[28:29], s[26:27]
	s_cbranch_execz .LBB46_21
; %bb.20:                               ;   in Loop: Header=BB46_11 Depth=1
	global_load_ushort v5, v[0:1], off offset:512
.LBB46_21:                              ;   in Loop: Header=BB46_11 Depth=1
	;; [unrolled: 16-line block ×3, first 2 shown]
	s_or_b64 exec, exec, s[34:35]
	v_cmp_gt_u32_e64 s[34:35], s50, v42
	v_mov_b32_e32 v6, 0
	v_mov_b32_e32 v17, 0
	s_and_saveexec_b64 s[36:37], s[34:35]
	s_cbranch_execz .LBB46_27
; %bb.26:                               ;   in Loop: Header=BB46_11 Depth=1
	global_load_ushort v17, v[0:1], off offset:896
.LBB46_27:                              ;   in Loop: Header=BB46_11 Depth=1
	s_or_b64 exec, exec, s[36:37]
	s_waitcnt vmcnt(0)
	ds_write_b16 v43, v2
	ds_write_b16 v44, v4 offset:128
	ds_write_b16 v45, v3 offset:256
	;; [unrolled: 1-line block ×7, first 2 shown]
	; wave barrier
	ds_read_b128 v[0:3], v51
	v_lshl_add_u64 v[4:5], s[72:73], 0, v[8:9]
	s_waitcnt lgkmcnt(0)
	; wave barrier
	s_waitcnt lgkmcnt(0)
	s_and_saveexec_b64 s[36:37], s[18:19]
	s_cbranch_execz .LBB46_29
; %bb.28:                               ;   in Loop: Header=BB46_11 Depth=1
	global_load_ushort v6, v[4:5], off
.LBB46_29:                              ;   in Loop: Header=BB46_11 Depth=1
	s_or_b64 exec, exec, s[36:37]
	v_mov_b32_e32 v7, 0
	v_mov_b32_e32 v15, 0
	s_and_saveexec_b64 s[36:37], s[20:21]
	s_cbranch_execz .LBB46_31
; %bb.30:                               ;   in Loop: Header=BB46_11 Depth=1
	global_load_ushort v15, v[4:5], off offset:128
.LBB46_31:                              ;   in Loop: Header=BB46_11 Depth=1
	s_or_b64 exec, exec, s[36:37]
	s_and_saveexec_b64 s[36:37], s[22:23]
	s_cbranch_execz .LBB46_33
; %bb.32:                               ;   in Loop: Header=BB46_11 Depth=1
	global_load_ushort v7, v[4:5], off offset:256
.LBB46_33:                              ;   in Loop: Header=BB46_11 Depth=1
	s_or_b64 exec, exec, s[36:37]
	v_mov_b32_e32 v16, 0
	v_mov_b32_e32 v17, 0
	s_and_saveexec_b64 s[36:37], s[24:25]
	s_cbranch_execz .LBB46_35
; %bb.34:                               ;   in Loop: Header=BB46_11 Depth=1
	global_load_ushort v17, v[4:5], off offset:384
.LBB46_35:                              ;   in Loop: Header=BB46_11 Depth=1
	s_or_b64 exec, exec, s[36:37]
	s_and_saveexec_b64 s[36:37], s[26:27]
	s_cbranch_execz .LBB46_37
; %bb.36:                               ;   in Loop: Header=BB46_11 Depth=1
	global_load_ushort v16, v[4:5], off offset:512
.LBB46_37:                              ;   in Loop: Header=BB46_11 Depth=1
	s_or_b64 exec, exec, s[36:37]
	v_mov_b32_e32 v18, 0
	v_mov_b32_e32 v19, 0
	s_and_saveexec_b64 s[36:37], s[28:29]
	s_cbranch_execnz .LBB46_126
; %bb.38:                               ;   in Loop: Header=BB46_11 Depth=1
	s_or_b64 exec, exec, s[36:37]
	s_and_saveexec_b64 s[36:37], s[30:31]
	s_cbranch_execnz .LBB46_127
.LBB46_39:                              ;   in Loop: Header=BB46_11 Depth=1
	s_or_b64 exec, exec, s[36:37]
	v_mov_b32_e32 v20, 0
	s_and_saveexec_b64 s[36:37], s[34:35]
	s_cbranch_execz .LBB46_41
.LBB46_40:                              ;   in Loop: Header=BB46_11 Depth=1
	global_load_ushort v20, v[4:5], off offset:896
.LBB46_41:                              ;   in Loop: Header=BB46_11 Depth=1
	s_or_b64 exec, exec, s[36:37]
	s_waitcnt vmcnt(0)
	ds_write_b16 v43, v6
	ds_write_b16 v44, v15 offset:128
	ds_write_b16 v45, v7 offset:256
	;; [unrolled: 1-line block ×7, first 2 shown]
	; wave barrier
	ds_read_b128 v[4:7], v51
	s_waitcnt lgkmcnt(0)
	v_lshlrev_b32_e32 v15, 16, v4
	v_add_f32_e32 v72, s33, v15
	v_cmp_ge_f32_e32 vcc, s99, v72
	s_and_b64 s[36:37], s[64:65], vcc
	s_and_saveexec_b64 s[38:39], s[36:37]
	s_cbranch_execz .LBB46_43
; %bb.42:                               ;   in Loop: Header=BB46_11 Depth=1
	v_mul_f32_e32 v15, 0x3fb8aa3b, v72
	v_rndne_f32_e32 v16, v15
	v_sub_f32_e32 v17, v15, v16
	v_fma_f32 v15, v72, s40, -v15
	v_fmac_f32_e32 v15, 0x32a5705f, v72
	v_add_f32_e32 v15, v17, v15
	v_cvt_i32_f32_e32 v16, v16
	v_exp_f32_e32 v15, v15
	v_cmp_ngt_f32_e32 vcc, s41, v72
	v_ldexp_f32 v15, v15, v16
	s_nop 0
	v_cndmask_b32_e32 v15, 0, v15, vcc
	v_cmp_nlt_f32_e32 vcc, s42, v72
	s_nop 1
	v_cndmask_b32_e32 v32, v68, v15, vcc
	v_add_f32_e32 v15, 1.0, v32
	v_add_f32_e32 v16, -1.0, v15
	v_sub_f32_e32 v17, v16, v15
	v_add_f32_e32 v17, 1.0, v17
	v_sub_f32_e32 v16, v32, v16
	v_add_f32_e32 v18, v16, v17
	v_frexp_mant_f32_e32 v19, v15
	v_cvt_f64_f32_e32 v[16:17], v15
	v_frexp_exp_i32_f64_e32 v16, v[16:17]
	v_cmp_gt_f32_e32 vcc, s44, v19
	v_cmp_gt_f32_e64 s[36:37], s67, v32
	s_nop 0
	v_subbrev_co_u32_e32 v24, vcc, 0, v16, vcc
	v_sub_u32_e32 v16, 0, v24
	v_ldexp_f32 v15, v15, v16
	v_ldexp_f32 v16, v18, v16
	v_add_f32_e32 v18, -1.0, v15
	v_add_f32_e32 v17, 1.0, v18
	v_sub_f32_e32 v17, v15, v17
	v_add_f32_e32 v19, v16, v17
	v_add_f32_e32 v17, 1.0, v15
	v_add_f32_e32 v20, -1.0, v17
	v_sub_f32_e32 v15, v15, v20
	v_add_f32_e32 v15, v16, v15
	v_add_f32_e32 v25, v17, v15
	v_rcp_f32_e32 v26, v25
	v_sub_f32_e32 v16, v17, v25
	v_add_f32_e32 v17, v18, v19
	v_add_f32_e32 v15, v15, v16
	v_mul_f32_e32 v28, v17, v26
	v_sub_f32_e32 v16, v18, v17
	v_mul_f32_e32 v18, v25, v28
	v_fma_f32 v20, v28, v25, -v18
	v_fmac_f32_e32 v20, v28, v15
	v_add_f32_e32 v27, v19, v16
	v_add_f32_e32 v16, v18, v20
	v_sub_f32_e32 v19, v17, v16
	v_pk_add_f32 v[22:23], v[16:17], v[18:19] neg_lo:[0,1] neg_hi:[0,1]
	v_mov_b32_e32 v21, v16
	v_pk_add_f32 v[16:17], v[22:23], v[20:21] neg_lo:[0,1] neg_hi:[0,1]
	v_cmp_eq_f32_e32 vcc, s43, v32
	v_add_f32_e32 v17, v27, v17
	v_add_f32_e32 v16, v16, v17
	;; [unrolled: 1-line block ×3, first 2 shown]
	v_mul_f32_e32 v27, v26, v17
	v_mul_f32_e32 v18, v25, v27
	v_fma_f32 v20, v27, v25, -v18
	v_fmac_f32_e32 v20, v27, v15
	v_sub_f32_e32 v15, v19, v17
	v_add_f32_e32 v15, v16, v15
	v_add_f32_e32 v16, v18, v20
	v_sub_f32_e32 v19, v17, v16
	v_pk_add_f32 v[22:23], v[16:17], v[18:19] neg_lo:[0,1] neg_hi:[0,1]
	v_mov_b32_e32 v21, v16
	v_pk_add_f32 v[16:17], v[22:23], v[20:21] neg_lo:[0,1] neg_hi:[0,1]
	s_or_b64 vcc, s[36:37], vcc
	v_add_f32_e32 v15, v15, v17
	v_add_f32_e32 v15, v16, v15
	;; [unrolled: 1-line block ×4, first 2 shown]
	v_sub_f32_e32 v16, v17, v28
	v_mul_f32_e32 v15, v26, v15
	v_sub_f32_e32 v16, v27, v16
	v_add_f32_e32 v18, v16, v15
	v_add_f32_e32 v20, v17, v18
	v_cvt_f32_i32_e32 v16, v24
	v_mul_f32_e32 v21, v20, v20
	v_sub_f32_e32 v17, v20, v17
	v_fmamk_f32 v15, v21, 0x3e9b6dac, v67
	v_sub_f32_e32 v17, v18, v17
	v_fmaak_f32 v15, v21, v15, 0x3f2aaada
	v_ldexp_f32 v22, v17, 1
	v_mul_f32_e32 v17, v20, v21
	v_ldexp_f32 v19, v20, 1
	v_pk_mul_f32 v[20:21], v[16:17], v[14:15]
	s_nop 0
	v_fma_f32 v18, v16, s45, -v20
	v_fmac_f32_e32 v18, 0xb102e308, v16
	v_pk_add_f32 v[16:17], v[20:21], v[18:19]
	s_nop 0
	v_sub_f32_e32 v15, v17, v19
	v_sub_f32_e32 v15, v21, v15
	v_add_f32_e32 v23, v22, v15
	v_mov_b32_e32 v22, v20
	v_pk_add_f32 v[20:21], v[16:17], v[20:21] neg_lo:[0,1] neg_hi:[0,1]
	v_pk_add_f32 v[24:25], v[16:17], v[22:23]
	v_mov_b32_e32 v19, v16
	v_mov_b32_e32 v21, v25
	v_pk_add_f32 v[26:27], v[18:19], v[20:21] neg_lo:[0,1] neg_hi:[0,1]
	v_pk_add_f32 v[18:19], v[18:19], v[20:21]
	v_mov_b32_e32 v22, v23
	v_mov_b32_e32 v20, v19
	v_pk_add_f32 v[28:29], v[20:21], v[16:17] neg_lo:[0,1] neg_hi:[0,1]
	v_mov_b32_e32 v18, v25
	v_mov_b32_e32 v15, v28
	v_pk_add_f32 v[30:31], v[24:25], v[14:15] neg_lo:[0,1] neg_hi:[0,1]
	v_mov_b32_e32 v24, v17
	v_mov_b32_e32 v25, v28
	;; [unrolled: 1-line block ×3, first 2 shown]
	v_pk_add_f32 v[18:19], v[18:19], v[24:25] neg_lo:[0,1] neg_hi:[0,1]
	v_mov_b32_e32 v23, v16
	v_pk_add_f32 v[16:17], v[22:23], v[18:19] neg_lo:[0,1] neg_hi:[0,1]
	v_mov_b32_e32 v30, v26
	v_pk_add_f32 v[18:19], v[30:31], v[16:17]
	s_nop 0
	v_mov_b32_e32 v22, v19
	v_pk_add_f32 v[22:23], v[18:19], v[22:23]
	s_nop 0
	v_pk_add_f32 v[20:21], v[20:21], v[22:23]
	v_mov_b32_e32 v17, v22
	v_mov_b32_e32 v19, v20
	v_pk_add_f32 v[24:25], v[18:19], v[26:27] neg_lo:[0,1] neg_hi:[0,1]
	s_nop 0
	v_sub_f32_e32 v15, v18, v24
	v_pk_add_f32 v[16:17], v[16:17], v[24:25] neg_lo:[0,1] neg_hi:[0,1]
	v_sub_f32_e32 v15, v26, v15
	v_add_f32_e32 v15, v16, v15
	v_add_f32_e32 v15, v15, v17
	;; [unrolled: 1-line block ×3, first 2 shown]
	v_cndmask_b32_e32 v72, v15, v32, vcc
.LBB46_43:                              ;   in Loop: Header=BB46_11 Depth=1
	s_or_b64 exec, exec, s[38:39]
	v_and_b32_e32 v4, 0xffff0000, v4
	v_add_f32_e32 v73, s33, v4
	v_cmp_ge_f32_e32 vcc, s99, v73
	s_and_b64 s[36:37], s[64:65], vcc
	s_and_saveexec_b64 s[38:39], s[36:37]
	s_cbranch_execz .LBB46_45
; %bb.44:                               ;   in Loop: Header=BB46_11 Depth=1
	v_mul_f32_e32 v4, 0x3fb8aa3b, v73
	v_rndne_f32_e32 v15, v4
	v_sub_f32_e32 v16, v4, v15
	v_fma_f32 v4, v73, s40, -v4
	v_fmac_f32_e32 v4, 0x32a5705f, v73
	v_add_f32_e32 v4, v16, v4
	v_cvt_i32_f32_e32 v15, v15
	v_exp_f32_e32 v4, v4
	v_cmp_ngt_f32_e32 vcc, s41, v73
	v_ldexp_f32 v4, v4, v15
	s_nop 0
	v_cndmask_b32_e32 v4, 0, v4, vcc
	v_cmp_nlt_f32_e32 vcc, s42, v73
	s_nop 1
	v_cndmask_b32_e32 v30, v68, v4, vcc
	v_add_f32_e32 v4, 1.0, v30
	v_add_f32_e32 v15, -1.0, v4
	v_sub_f32_e32 v16, v15, v4
	v_add_f32_e32 v16, 1.0, v16
	v_sub_f32_e32 v15, v30, v15
	v_add_f32_e32 v15, v15, v16
	v_frexp_mant_f32_e32 v18, v4
	v_cvt_f64_f32_e32 v[16:17], v4
	v_frexp_exp_i32_f64_e32 v16, v[16:17]
	v_cmp_gt_f32_e32 vcc, s44, v18
	v_cmp_gt_f32_e64 s[36:37], s67, v30
	s_nop 0
	v_subbrev_co_u32_e32 v24, vcc, 0, v16, vcc
	v_sub_u32_e32 v16, 0, v24
	v_ldexp_f32 v4, v4, v16
	v_ldexp_f32 v15, v15, v16
	v_add_f32_e32 v16, -1.0, v4
	v_add_f32_e32 v17, 1.0, v16
	v_sub_f32_e32 v17, v4, v17
	v_add_f32_e32 v18, v15, v17
	v_add_f32_e32 v17, 1.0, v4
	v_add_f32_e32 v19, -1.0, v17
	v_sub_f32_e32 v4, v4, v19
	v_add_f32_e32 v4, v15, v4
	v_add_f32_e32 v15, v17, v4
	v_rcp_f32_e32 v25, v15
	v_sub_f32_e32 v17, v17, v15
	v_add_f32_e32 v4, v4, v17
	v_add_f32_e32 v17, v16, v18
	v_sub_f32_e32 v16, v16, v17
	v_mul_f32_e32 v27, v17, v25
	v_add_f32_e32 v26, v18, v16
	v_mul_f32_e32 v18, v15, v27
	v_fma_f32 v20, v27, v15, -v18
	v_fmac_f32_e32 v20, v27, v4
	v_add_f32_e32 v16, v18, v20
	v_sub_f32_e32 v19, v17, v16
	v_pk_add_f32 v[22:23], v[16:17], v[18:19] neg_lo:[0,1] neg_hi:[0,1]
	v_mov_b32_e32 v21, v16
	v_pk_add_f32 v[16:17], v[22:23], v[20:21] neg_lo:[0,1] neg_hi:[0,1]
	v_cmp_eq_f32_e32 vcc, s43, v30
	v_add_f32_e32 v17, v26, v17
	v_add_f32_e32 v16, v16, v17
	;; [unrolled: 1-line block ×3, first 2 shown]
	v_mul_f32_e32 v26, v25, v17
	v_mul_f32_e32 v18, v15, v26
	v_fma_f32 v20, v26, v15, -v18
	v_fmac_f32_e32 v20, v26, v4
	v_sub_f32_e32 v4, v19, v17
	v_add_f32_e32 v4, v16, v4
	v_add_f32_e32 v16, v18, v20
	v_sub_f32_e32 v19, v17, v16
	v_pk_add_f32 v[22:23], v[16:17], v[18:19] neg_lo:[0,1] neg_hi:[0,1]
	v_mov_b32_e32 v21, v16
	v_pk_add_f32 v[16:17], v[22:23], v[20:21] neg_lo:[0,1] neg_hi:[0,1]
	s_or_b64 vcc, s[36:37], vcc
	v_add_f32_e32 v4, v4, v17
	v_add_f32_e32 v4, v16, v4
	;; [unrolled: 1-line block ×4, first 2 shown]
	v_sub_f32_e32 v15, v17, v27
	v_mul_f32_e32 v4, v25, v4
	v_sub_f32_e32 v15, v26, v15
	v_add_f32_e32 v4, v15, v4
	v_add_f32_e32 v18, v17, v4
	v_cvt_f32_i32_e32 v16, v24
	v_mul_f32_e32 v20, v18, v18
	v_fmamk_f32 v15, v20, 0x3e9b6dac, v67
	v_sub_f32_e32 v17, v18, v17
	v_fmaak_f32 v15, v20, v15, 0x3f2aaada
	v_sub_f32_e32 v4, v4, v17
	v_mul_f32_e32 v17, v18, v20
	v_pk_mul_f32 v[20:21], v[16:17], v[14:15]
	v_ldexp_f32 v19, v18, 1
	v_fma_f32 v18, v16, s45, -v20
	v_fmac_f32_e32 v18, 0xb102e308, v16
	v_pk_add_f32 v[16:17], v[20:21], v[18:19]
	v_ldexp_f32 v4, v4, 1
	v_sub_f32_e32 v15, v17, v19
	v_sub_f32_e32 v15, v21, v15
	v_add_f32_e32 v23, v4, v15
	v_mov_b32_e32 v22, v20
	v_pk_add_f32 v[20:21], v[16:17], v[20:21] neg_lo:[0,1] neg_hi:[0,1]
	v_pk_add_f32 v[24:25], v[16:17], v[22:23]
	v_mov_b32_e32 v19, v16
	v_mov_b32_e32 v21, v25
	v_pk_add_f32 v[26:27], v[18:19], v[20:21] neg_lo:[0,1] neg_hi:[0,1]
	v_pk_add_f32 v[18:19], v[18:19], v[20:21]
	s_nop 0
	v_mov_b32_e32 v4, v19
	v_pk_add_f32 v[20:21], v[4:5], v[16:17] neg_lo:[0,1] neg_hi:[0,1]
	v_mov_b32_e32 v18, v25
	v_mov_b32_e32 v15, v20
	v_pk_add_f32 v[28:29], v[24:25], v[14:15] neg_lo:[0,1] neg_hi:[0,1]
	v_mov_b32_e32 v24, v17
	v_mov_b32_e32 v25, v20
	;; [unrolled: 1-line block ×3, first 2 shown]
	v_pk_add_f32 v[18:19], v[18:19], v[24:25] neg_lo:[0,1] neg_hi:[0,1]
	v_mov_b32_e32 v20, v23
	v_mov_b32_e32 v21, v16
	v_pk_add_f32 v[16:17], v[20:21], v[18:19] neg_lo:[0,1] neg_hi:[0,1]
	v_mov_b32_e32 v28, v26
	v_pk_add_f32 v[18:19], v[28:29], v[16:17]
	s_nop 0
	v_mov_b32_e32 v20, v19
	v_pk_add_f32 v[20:21], v[18:19], v[20:21]
	s_nop 0
	v_pk_add_f32 v[22:23], v[4:5], v[20:21]
	v_mov_b32_e32 v17, v20
	v_mov_b32_e32 v19, v22
	v_pk_add_f32 v[24:25], v[18:19], v[26:27] neg_lo:[0,1] neg_hi:[0,1]
	s_nop 0
	v_sub_f32_e32 v4, v18, v24
	v_pk_add_f32 v[16:17], v[16:17], v[24:25] neg_lo:[0,1] neg_hi:[0,1]
	v_sub_f32_e32 v4, v26, v4
	v_add_f32_e32 v4, v16, v4
	v_add_f32_e32 v4, v4, v17
	;; [unrolled: 1-line block ×3, first 2 shown]
	v_cndmask_b32_e32 v73, v4, v30, vcc
.LBB46_45:                              ;   in Loop: Header=BB46_11 Depth=1
	s_or_b64 exec, exec, s[38:39]
	v_lshlrev_b32_e32 v4, 16, v5
	v_add_f32_e32 v74, s33, v4
	v_cmp_ge_f32_e32 vcc, s99, v74
	s_and_b64 s[36:37], s[64:65], vcc
	s_and_saveexec_b64 s[38:39], s[36:37]
	s_cbranch_execz .LBB46_47
; %bb.46:                               ;   in Loop: Header=BB46_11 Depth=1
	v_mul_f32_e32 v4, 0x3fb8aa3b, v74
	v_rndne_f32_e32 v15, v4
	v_sub_f32_e32 v16, v4, v15
	v_fma_f32 v4, v74, s40, -v4
	v_fmac_f32_e32 v4, 0x32a5705f, v74
	v_add_f32_e32 v4, v16, v4
	v_cvt_i32_f32_e32 v15, v15
	v_exp_f32_e32 v4, v4
	v_cmp_ngt_f32_e32 vcc, s41, v74
	v_ldexp_f32 v4, v4, v15
	s_nop 0
	v_cndmask_b32_e32 v4, 0, v4, vcc
	v_cmp_nlt_f32_e32 vcc, s42, v74
	s_nop 1
	v_cndmask_b32_e32 v30, v68, v4, vcc
	v_add_f32_e32 v4, 1.0, v30
	v_add_f32_e32 v15, -1.0, v4
	v_sub_f32_e32 v16, v15, v4
	v_add_f32_e32 v16, 1.0, v16
	v_sub_f32_e32 v15, v30, v15
	v_add_f32_e32 v15, v15, v16
	v_frexp_mant_f32_e32 v18, v4
	v_cvt_f64_f32_e32 v[16:17], v4
	v_frexp_exp_i32_f64_e32 v16, v[16:17]
	v_cmp_gt_f32_e32 vcc, s44, v18
	v_cmp_gt_f32_e64 s[36:37], s67, v30
	s_nop 0
	v_subbrev_co_u32_e32 v24, vcc, 0, v16, vcc
	v_sub_u32_e32 v16, 0, v24
	v_ldexp_f32 v4, v4, v16
	v_ldexp_f32 v15, v15, v16
	v_add_f32_e32 v16, -1.0, v4
	v_add_f32_e32 v17, 1.0, v16
	v_sub_f32_e32 v17, v4, v17
	v_add_f32_e32 v18, v15, v17
	v_add_f32_e32 v17, 1.0, v4
	v_add_f32_e32 v19, -1.0, v17
	v_sub_f32_e32 v4, v4, v19
	v_add_f32_e32 v4, v15, v4
	v_add_f32_e32 v15, v17, v4
	v_rcp_f32_e32 v25, v15
	v_sub_f32_e32 v17, v17, v15
	v_add_f32_e32 v4, v4, v17
	v_add_f32_e32 v17, v16, v18
	v_sub_f32_e32 v16, v16, v17
	v_mul_f32_e32 v27, v17, v25
	v_add_f32_e32 v26, v18, v16
	v_mul_f32_e32 v18, v15, v27
	v_fma_f32 v20, v27, v15, -v18
	v_fmac_f32_e32 v20, v27, v4
	v_add_f32_e32 v16, v18, v20
	v_sub_f32_e32 v19, v17, v16
	v_pk_add_f32 v[22:23], v[16:17], v[18:19] neg_lo:[0,1] neg_hi:[0,1]
	v_mov_b32_e32 v21, v16
	v_pk_add_f32 v[16:17], v[22:23], v[20:21] neg_lo:[0,1] neg_hi:[0,1]
	v_cmp_eq_f32_e32 vcc, s43, v30
	v_add_f32_e32 v17, v26, v17
	v_add_f32_e32 v16, v16, v17
	;; [unrolled: 1-line block ×3, first 2 shown]
	v_mul_f32_e32 v26, v25, v17
	v_mul_f32_e32 v18, v15, v26
	v_fma_f32 v20, v26, v15, -v18
	v_fmac_f32_e32 v20, v26, v4
	v_sub_f32_e32 v4, v19, v17
	v_add_f32_e32 v4, v16, v4
	v_add_f32_e32 v16, v18, v20
	v_sub_f32_e32 v19, v17, v16
	v_pk_add_f32 v[22:23], v[16:17], v[18:19] neg_lo:[0,1] neg_hi:[0,1]
	v_mov_b32_e32 v21, v16
	v_pk_add_f32 v[16:17], v[22:23], v[20:21] neg_lo:[0,1] neg_hi:[0,1]
	s_or_b64 vcc, s[36:37], vcc
	v_add_f32_e32 v4, v4, v17
	v_add_f32_e32 v4, v16, v4
	;; [unrolled: 1-line block ×4, first 2 shown]
	v_sub_f32_e32 v15, v17, v27
	v_mul_f32_e32 v4, v25, v4
	v_sub_f32_e32 v15, v26, v15
	v_add_f32_e32 v4, v15, v4
	v_add_f32_e32 v18, v17, v4
	v_cvt_f32_i32_e32 v16, v24
	v_mul_f32_e32 v20, v18, v18
	v_fmamk_f32 v15, v20, 0x3e9b6dac, v67
	v_sub_f32_e32 v17, v18, v17
	v_fmaak_f32 v15, v20, v15, 0x3f2aaada
	v_sub_f32_e32 v4, v4, v17
	v_mul_f32_e32 v17, v18, v20
	v_pk_mul_f32 v[20:21], v[16:17], v[14:15]
	v_ldexp_f32 v19, v18, 1
	v_fma_f32 v18, v16, s45, -v20
	v_fmac_f32_e32 v18, 0xb102e308, v16
	v_pk_add_f32 v[16:17], v[20:21], v[18:19]
	v_ldexp_f32 v4, v4, 1
	v_sub_f32_e32 v15, v17, v19
	v_sub_f32_e32 v15, v21, v15
	v_add_f32_e32 v23, v4, v15
	v_mov_b32_e32 v22, v20
	v_pk_add_f32 v[20:21], v[16:17], v[20:21] neg_lo:[0,1] neg_hi:[0,1]
	v_pk_add_f32 v[24:25], v[16:17], v[22:23]
	v_mov_b32_e32 v19, v16
	v_mov_b32_e32 v21, v25
	v_pk_add_f32 v[26:27], v[18:19], v[20:21] neg_lo:[0,1] neg_hi:[0,1]
	v_pk_add_f32 v[18:19], v[18:19], v[20:21]
	s_nop 0
	v_mov_b32_e32 v4, v19
	v_pk_add_f32 v[20:21], v[4:5], v[16:17] neg_lo:[0,1] neg_hi:[0,1]
	v_mov_b32_e32 v18, v25
	v_mov_b32_e32 v15, v20
	v_pk_add_f32 v[28:29], v[24:25], v[14:15] neg_lo:[0,1] neg_hi:[0,1]
	v_mov_b32_e32 v24, v17
	v_mov_b32_e32 v25, v20
	;; [unrolled: 1-line block ×3, first 2 shown]
	v_pk_add_f32 v[18:19], v[18:19], v[24:25] neg_lo:[0,1] neg_hi:[0,1]
	v_mov_b32_e32 v20, v23
	v_mov_b32_e32 v21, v16
	v_pk_add_f32 v[16:17], v[20:21], v[18:19] neg_lo:[0,1] neg_hi:[0,1]
	v_mov_b32_e32 v28, v26
	v_pk_add_f32 v[18:19], v[28:29], v[16:17]
	s_nop 0
	v_mov_b32_e32 v20, v19
	v_pk_add_f32 v[20:21], v[18:19], v[20:21]
	s_nop 0
	v_pk_add_f32 v[22:23], v[4:5], v[20:21]
	v_mov_b32_e32 v17, v20
	v_mov_b32_e32 v19, v22
	v_pk_add_f32 v[24:25], v[18:19], v[26:27] neg_lo:[0,1] neg_hi:[0,1]
	s_nop 0
	v_sub_f32_e32 v4, v18, v24
	v_pk_add_f32 v[16:17], v[16:17], v[24:25] neg_lo:[0,1] neg_hi:[0,1]
	v_sub_f32_e32 v4, v26, v4
	v_add_f32_e32 v4, v16, v4
	v_add_f32_e32 v4, v4, v17
	v_add_f32_e32 v4, v22, v4
	v_cndmask_b32_e32 v74, v4, v30, vcc
.LBB46_47:                              ;   in Loop: Header=BB46_11 Depth=1
	s_or_b64 exec, exec, s[38:39]
	v_and_b32_e32 v4, 0xffff0000, v5
	v_add_f32_e32 v75, s33, v4
	v_cmp_ge_f32_e32 vcc, s99, v75
	s_and_b64 s[36:37], s[64:65], vcc
	s_and_saveexec_b64 s[38:39], s[36:37]
	s_cbranch_execz .LBB46_49
; %bb.48:                               ;   in Loop: Header=BB46_11 Depth=1
	v_mul_f32_e32 v4, 0x3fb8aa3b, v75
	v_rndne_f32_e32 v5, v4
	v_sub_f32_e32 v15, v4, v5
	v_fma_f32 v4, v75, s40, -v4
	v_fmac_f32_e32 v4, 0x32a5705f, v75
	v_add_f32_e32 v4, v15, v4
	v_cvt_i32_f32_e32 v5, v5
	v_exp_f32_e32 v4, v4
	v_cmp_ngt_f32_e32 vcc, s41, v75
	v_ldexp_f32 v4, v4, v5
	s_nop 0
	v_cndmask_b32_e32 v4, 0, v4, vcc
	v_cmp_nlt_f32_e32 vcc, s42, v75
	s_nop 1
	v_cndmask_b32_e32 v30, v68, v4, vcc
	v_add_f32_e32 v15, 1.0, v30
	v_add_f32_e32 v4, -1.0, v15
	v_sub_f32_e32 v5, v4, v15
	v_add_f32_e32 v5, 1.0, v5
	v_sub_f32_e32 v4, v30, v4
	v_add_f32_e32 v16, v4, v5
	v_frexp_mant_f32_e32 v17, v15
	v_cvt_f64_f32_e32 v[4:5], v15
	v_frexp_exp_i32_f64_e32 v4, v[4:5]
	v_cmp_gt_f32_e32 vcc, s44, v17
	v_cmp_gt_f32_e64 s[36:37], s67, v30
	s_nop 0
	v_subbrev_co_u32_e32 v22, vcc, 0, v4, vcc
	v_sub_u32_e32 v4, 0, v22
	v_ldexp_f32 v5, v15, v4
	v_add_f32_e32 v15, -1.0, v5
	v_add_f32_e32 v17, 1.0, v5
	v_ldexp_f32 v4, v16, v4
	v_add_f32_e32 v16, 1.0, v15
	v_add_f32_e32 v18, -1.0, v17
	v_sub_f32_e32 v16, v5, v16
	v_sub_f32_e32 v5, v5, v18
	v_add_f32_e32 v16, v4, v16
	v_add_f32_e32 v4, v4, v5
	;; [unrolled: 1-line block ×3, first 2 shown]
	v_rcp_f32_e32 v25, v23
	v_sub_f32_e32 v5, v17, v23
	v_add_f32_e32 v24, v4, v5
	v_add_f32_e32 v5, v15, v16
	v_sub_f32_e32 v4, v15, v5
	v_mul_f32_e32 v26, v5, v25
	v_add_f32_e32 v15, v16, v4
	v_mul_f32_e32 v16, v23, v26
	v_fma_f32 v18, v26, v23, -v16
	v_fmac_f32_e32 v18, v26, v24
	v_add_f32_e32 v4, v16, v18
	v_sub_f32_e32 v17, v5, v4
	v_pk_add_f32 v[20:21], v[4:5], v[16:17] neg_lo:[0,1] neg_hi:[0,1]
	v_mov_b32_e32 v19, v4
	v_pk_add_f32 v[4:5], v[20:21], v[18:19] neg_lo:[0,1] neg_hi:[0,1]
	v_cmp_eq_f32_e32 vcc, s43, v30
	v_add_f32_e32 v5, v15, v5
	v_add_f32_e32 v4, v4, v5
	;; [unrolled: 1-line block ×3, first 2 shown]
	v_mul_f32_e32 v15, v25, v5
	v_mul_f32_e32 v16, v23, v15
	v_fma_f32 v18, v15, v23, -v16
	v_fmac_f32_e32 v18, v15, v24
	v_sub_f32_e32 v17, v17, v5
	v_add_f32_e32 v23, v4, v17
	v_add_f32_e32 v4, v16, v18
	v_sub_f32_e32 v17, v5, v4
	v_pk_add_f32 v[20:21], v[4:5], v[16:17] neg_lo:[0,1] neg_hi:[0,1]
	v_mov_b32_e32 v19, v4
	v_pk_add_f32 v[4:5], v[20:21], v[18:19] neg_lo:[0,1] neg_hi:[0,1]
	s_or_b64 vcc, s[36:37], vcc
	v_add_f32_e32 v5, v23, v5
	v_add_f32_e32 v4, v4, v5
	;; [unrolled: 1-line block ×4, first 2 shown]
	v_sub_f32_e32 v16, v5, v26
	v_mul_f32_e32 v4, v25, v4
	v_sub_f32_e32 v15, v15, v16
	v_add_f32_e32 v16, v15, v4
	v_add_f32_e32 v18, v5, v16
	v_mul_f32_e32 v19, v18, v18
	v_fmamk_f32 v4, v19, 0x3e9b6dac, v67
	v_fmaak_f32 v15, v19, v4, 0x3f2aaada
	v_cvt_f32_i32_e32 v4, v22
	v_sub_f32_e32 v5, v18, v5
	v_sub_f32_e32 v5, v16, v5
	v_ldexp_f32 v20, v5, 1
	v_mul_f32_e32 v5, v18, v19
	v_ldexp_f32 v17, v18, 1
	v_pk_mul_f32 v[18:19], v[4:5], v[14:15]
	s_nop 0
	v_fma_f32 v16, v4, s45, -v18
	v_fmac_f32_e32 v16, 0xb102e308, v4
	v_pk_add_f32 v[4:5], v[18:19], v[16:17]
	s_nop 0
	v_sub_f32_e32 v15, v5, v17
	v_sub_f32_e32 v15, v19, v15
	v_add_f32_e32 v21, v20, v15
	v_mov_b32_e32 v20, v18
	v_pk_add_f32 v[18:19], v[4:5], v[18:19] neg_lo:[0,1] neg_hi:[0,1]
	v_pk_add_f32 v[22:23], v[4:5], v[20:21]
	v_mov_b32_e32 v17, v4
	v_mov_b32_e32 v19, v23
	v_pk_add_f32 v[24:25], v[16:17], v[18:19] neg_lo:[0,1] neg_hi:[0,1]
	v_pk_add_f32 v[16:17], v[16:17], v[18:19]
	v_mov_b32_e32 v20, v21
	v_mov_b32_e32 v18, v17
	v_pk_add_f32 v[26:27], v[18:19], v[4:5] neg_lo:[0,1] neg_hi:[0,1]
	v_mov_b32_e32 v16, v23
	v_mov_b32_e32 v15, v26
	v_pk_add_f32 v[28:29], v[22:23], v[14:15] neg_lo:[0,1] neg_hi:[0,1]
	v_mov_b32_e32 v22, v5
	v_mov_b32_e32 v23, v26
	;; [unrolled: 1-line block ×3, first 2 shown]
	v_pk_add_f32 v[16:17], v[16:17], v[22:23] neg_lo:[0,1] neg_hi:[0,1]
	v_mov_b32_e32 v21, v4
	v_pk_add_f32 v[4:5], v[20:21], v[16:17] neg_lo:[0,1] neg_hi:[0,1]
	v_mov_b32_e32 v28, v24
	v_pk_add_f32 v[16:17], v[28:29], v[4:5]
	s_nop 0
	v_mov_b32_e32 v20, v17
	v_pk_add_f32 v[20:21], v[16:17], v[20:21]
	s_nop 0
	v_pk_add_f32 v[18:19], v[18:19], v[20:21]
	v_mov_b32_e32 v5, v20
	v_mov_b32_e32 v17, v18
	v_pk_add_f32 v[22:23], v[16:17], v[24:25] neg_lo:[0,1] neg_hi:[0,1]
	s_nop 0
	v_sub_f32_e32 v15, v16, v22
	v_pk_add_f32 v[4:5], v[4:5], v[22:23] neg_lo:[0,1] neg_hi:[0,1]
	v_sub_f32_e32 v15, v24, v15
	v_add_f32_e32 v4, v4, v15
	v_add_f32_e32 v4, v4, v5
	;; [unrolled: 1-line block ×3, first 2 shown]
	v_cndmask_b32_e32 v75, v4, v30, vcc
.LBB46_49:                              ;   in Loop: Header=BB46_11 Depth=1
	s_or_b64 exec, exec, s[38:39]
	v_lshlrev_b32_e32 v4, 16, v6
	v_add_f32_e32 v76, s33, v4
	v_cmp_ge_f32_e32 vcc, s99, v76
	s_and_b64 s[36:37], s[64:65], vcc
	s_and_saveexec_b64 s[38:39], s[36:37]
	s_cbranch_execz .LBB46_51
; %bb.50:                               ;   in Loop: Header=BB46_11 Depth=1
	v_mul_f32_e32 v4, 0x3fb8aa3b, v76
	v_rndne_f32_e32 v5, v4
	v_sub_f32_e32 v15, v4, v5
	v_fma_f32 v4, v76, s40, -v4
	v_fmac_f32_e32 v4, 0x32a5705f, v76
	v_add_f32_e32 v4, v15, v4
	v_cvt_i32_f32_e32 v5, v5
	v_exp_f32_e32 v4, v4
	v_cmp_ngt_f32_e32 vcc, s41, v76
	v_ldexp_f32 v4, v4, v5
	s_nop 0
	v_cndmask_b32_e32 v4, 0, v4, vcc
	v_cmp_nlt_f32_e32 vcc, s42, v76
	s_nop 1
	v_cndmask_b32_e32 v30, v68, v4, vcc
	v_add_f32_e32 v15, 1.0, v30
	v_add_f32_e32 v4, -1.0, v15
	v_sub_f32_e32 v5, v4, v15
	v_add_f32_e32 v5, 1.0, v5
	v_sub_f32_e32 v4, v30, v4
	v_add_f32_e32 v16, v4, v5
	v_frexp_mant_f32_e32 v17, v15
	v_cvt_f64_f32_e32 v[4:5], v15
	v_frexp_exp_i32_f64_e32 v4, v[4:5]
	v_cmp_gt_f32_e32 vcc, s44, v17
	v_cmp_gt_f32_e64 s[36:37], s67, v30
	s_nop 0
	v_subbrev_co_u32_e32 v22, vcc, 0, v4, vcc
	v_sub_u32_e32 v4, 0, v22
	v_ldexp_f32 v5, v15, v4
	v_add_f32_e32 v15, -1.0, v5
	v_add_f32_e32 v17, 1.0, v5
	v_ldexp_f32 v4, v16, v4
	v_add_f32_e32 v16, 1.0, v15
	v_add_f32_e32 v18, -1.0, v17
	v_sub_f32_e32 v16, v5, v16
	v_sub_f32_e32 v5, v5, v18
	v_add_f32_e32 v16, v4, v16
	v_add_f32_e32 v4, v4, v5
	;; [unrolled: 1-line block ×3, first 2 shown]
	v_rcp_f32_e32 v25, v23
	v_sub_f32_e32 v5, v17, v23
	v_add_f32_e32 v24, v4, v5
	v_add_f32_e32 v5, v15, v16
	v_sub_f32_e32 v4, v15, v5
	v_mul_f32_e32 v26, v5, v25
	v_add_f32_e32 v15, v16, v4
	v_mul_f32_e32 v16, v23, v26
	v_fma_f32 v18, v26, v23, -v16
	v_fmac_f32_e32 v18, v26, v24
	v_add_f32_e32 v4, v16, v18
	v_sub_f32_e32 v17, v5, v4
	v_pk_add_f32 v[20:21], v[4:5], v[16:17] neg_lo:[0,1] neg_hi:[0,1]
	v_mov_b32_e32 v19, v4
	v_pk_add_f32 v[4:5], v[20:21], v[18:19] neg_lo:[0,1] neg_hi:[0,1]
	v_cmp_eq_f32_e32 vcc, s43, v30
	v_add_f32_e32 v5, v15, v5
	v_add_f32_e32 v4, v4, v5
	v_add_f32_e32 v5, v17, v4
	v_mul_f32_e32 v15, v25, v5
	v_mul_f32_e32 v16, v23, v15
	v_fma_f32 v18, v15, v23, -v16
	v_fmac_f32_e32 v18, v15, v24
	v_sub_f32_e32 v17, v17, v5
	v_add_f32_e32 v23, v4, v17
	v_add_f32_e32 v4, v16, v18
	v_sub_f32_e32 v17, v5, v4
	v_pk_add_f32 v[20:21], v[4:5], v[16:17] neg_lo:[0,1] neg_hi:[0,1]
	v_mov_b32_e32 v19, v4
	v_pk_add_f32 v[4:5], v[20:21], v[18:19] neg_lo:[0,1] neg_hi:[0,1]
	s_or_b64 vcc, s[36:37], vcc
	v_add_f32_e32 v5, v23, v5
	v_add_f32_e32 v4, v4, v5
	;; [unrolled: 1-line block ×4, first 2 shown]
	v_sub_f32_e32 v16, v5, v26
	v_mul_f32_e32 v4, v25, v4
	v_sub_f32_e32 v15, v15, v16
	v_add_f32_e32 v16, v15, v4
	v_add_f32_e32 v18, v5, v16
	v_mul_f32_e32 v19, v18, v18
	v_fmamk_f32 v4, v19, 0x3e9b6dac, v67
	v_fmaak_f32 v15, v19, v4, 0x3f2aaada
	v_cvt_f32_i32_e32 v4, v22
	v_sub_f32_e32 v5, v18, v5
	v_sub_f32_e32 v5, v16, v5
	v_ldexp_f32 v20, v5, 1
	v_mul_f32_e32 v5, v18, v19
	v_ldexp_f32 v17, v18, 1
	v_pk_mul_f32 v[18:19], v[4:5], v[14:15]
	s_nop 0
	v_fma_f32 v16, v4, s45, -v18
	v_fmac_f32_e32 v16, 0xb102e308, v4
	v_pk_add_f32 v[4:5], v[18:19], v[16:17]
	s_nop 0
	v_sub_f32_e32 v15, v5, v17
	v_sub_f32_e32 v15, v19, v15
	v_add_f32_e32 v21, v20, v15
	v_mov_b32_e32 v20, v18
	v_pk_add_f32 v[18:19], v[4:5], v[18:19] neg_lo:[0,1] neg_hi:[0,1]
	v_pk_add_f32 v[22:23], v[4:5], v[20:21]
	v_mov_b32_e32 v17, v4
	v_mov_b32_e32 v19, v23
	v_pk_add_f32 v[24:25], v[16:17], v[18:19] neg_lo:[0,1] neg_hi:[0,1]
	v_pk_add_f32 v[16:17], v[16:17], v[18:19]
	v_mov_b32_e32 v20, v21
	v_mov_b32_e32 v18, v17
	v_pk_add_f32 v[26:27], v[18:19], v[4:5] neg_lo:[0,1] neg_hi:[0,1]
	v_mov_b32_e32 v16, v23
	v_mov_b32_e32 v15, v26
	v_pk_add_f32 v[28:29], v[22:23], v[14:15] neg_lo:[0,1] neg_hi:[0,1]
	v_mov_b32_e32 v22, v5
	v_mov_b32_e32 v23, v26
	;; [unrolled: 1-line block ×3, first 2 shown]
	v_pk_add_f32 v[16:17], v[16:17], v[22:23] neg_lo:[0,1] neg_hi:[0,1]
	v_mov_b32_e32 v21, v4
	v_pk_add_f32 v[4:5], v[20:21], v[16:17] neg_lo:[0,1] neg_hi:[0,1]
	v_mov_b32_e32 v28, v24
	v_pk_add_f32 v[16:17], v[28:29], v[4:5]
	s_nop 0
	v_mov_b32_e32 v20, v17
	v_pk_add_f32 v[20:21], v[16:17], v[20:21]
	s_nop 0
	v_pk_add_f32 v[18:19], v[18:19], v[20:21]
	v_mov_b32_e32 v5, v20
	v_mov_b32_e32 v17, v18
	v_pk_add_f32 v[22:23], v[16:17], v[24:25] neg_lo:[0,1] neg_hi:[0,1]
	s_nop 0
	v_sub_f32_e32 v15, v16, v22
	v_pk_add_f32 v[4:5], v[4:5], v[22:23] neg_lo:[0,1] neg_hi:[0,1]
	v_sub_f32_e32 v15, v24, v15
	v_add_f32_e32 v4, v4, v15
	v_add_f32_e32 v4, v4, v5
	;; [unrolled: 1-line block ×3, first 2 shown]
	v_cndmask_b32_e32 v76, v4, v30, vcc
.LBB46_51:                              ;   in Loop: Header=BB46_11 Depth=1
	s_or_b64 exec, exec, s[38:39]
	v_and_b32_e32 v4, 0xffff0000, v6
	v_add_f32_e32 v77, s33, v4
	v_cmp_ge_f32_e32 vcc, s99, v77
	s_and_b64 s[36:37], s[64:65], vcc
	s_and_saveexec_b64 s[38:39], s[36:37]
	s_cbranch_execz .LBB46_53
; %bb.52:                               ;   in Loop: Header=BB46_11 Depth=1
	v_mul_f32_e32 v4, 0x3fb8aa3b, v77
	v_rndne_f32_e32 v5, v4
	v_sub_f32_e32 v6, v4, v5
	v_fma_f32 v4, v77, s40, -v4
	v_fmac_f32_e32 v4, 0x32a5705f, v77
	v_add_f32_e32 v4, v6, v4
	v_cvt_i32_f32_e32 v5, v5
	v_exp_f32_e32 v4, v4
	v_cmp_ngt_f32_e32 vcc, s41, v77
	v_ldexp_f32 v4, v4, v5
	s_nop 0
	v_cndmask_b32_e32 v4, 0, v4, vcc
	v_cmp_nlt_f32_e32 vcc, s42, v77
	s_nop 1
	v_cndmask_b32_e32 v28, v68, v4, vcc
	v_add_f32_e32 v6, 1.0, v28
	v_add_f32_e32 v4, -1.0, v6
	v_sub_f32_e32 v5, v4, v6
	v_add_f32_e32 v5, 1.0, v5
	v_sub_f32_e32 v4, v28, v4
	v_add_f32_e32 v15, v4, v5
	v_frexp_mant_f32_e32 v16, v6
	v_cvt_f64_f32_e32 v[4:5], v6
	v_frexp_exp_i32_f64_e32 v4, v[4:5]
	v_cmp_gt_f32_e32 vcc, s44, v16
	v_cmp_gt_f32_e64 s[36:37], s67, v28
	s_nop 0
	v_subbrev_co_u32_e32 v22, vcc, 0, v4, vcc
	v_sub_u32_e32 v4, 0, v22
	v_ldexp_f32 v5, v6, v4
	v_add_f32_e32 v6, -1.0, v5
	v_add_f32_e32 v16, 1.0, v5
	v_ldexp_f32 v4, v15, v4
	v_add_f32_e32 v15, 1.0, v6
	v_add_f32_e32 v17, -1.0, v16
	v_sub_f32_e32 v15, v5, v15
	v_sub_f32_e32 v5, v5, v17
	v_add_f32_e32 v15, v4, v15
	v_add_f32_e32 v4, v4, v5
	;; [unrolled: 1-line block ×3, first 2 shown]
	v_rcp_f32_e32 v25, v23
	v_sub_f32_e32 v5, v16, v23
	v_add_f32_e32 v24, v4, v5
	v_add_f32_e32 v5, v6, v15
	v_sub_f32_e32 v4, v6, v5
	v_add_f32_e32 v6, v15, v4
	v_mul_f32_e32 v15, v5, v25
	v_mul_f32_e32 v16, v23, v15
	v_fma_f32 v18, v15, v23, -v16
	v_fmac_f32_e32 v18, v15, v24
	v_add_f32_e32 v4, v16, v18
	v_sub_f32_e32 v17, v5, v4
	v_pk_add_f32 v[20:21], v[4:5], v[16:17] neg_lo:[0,1] neg_hi:[0,1]
	v_mov_b32_e32 v19, v4
	v_pk_add_f32 v[4:5], v[20:21], v[18:19] neg_lo:[0,1] neg_hi:[0,1]
	v_cmp_eq_f32_e32 vcc, s43, v28
	v_add_f32_e32 v5, v6, v5
	v_add_f32_e32 v4, v4, v5
	;; [unrolled: 1-line block ×3, first 2 shown]
	v_mul_f32_e32 v6, v25, v5
	v_mul_f32_e32 v16, v23, v6
	v_fma_f32 v18, v6, v23, -v16
	v_fmac_f32_e32 v18, v6, v24
	v_sub_f32_e32 v17, v17, v5
	v_add_f32_e32 v23, v4, v17
	v_add_f32_e32 v4, v16, v18
	v_sub_f32_e32 v17, v5, v4
	v_pk_add_f32 v[20:21], v[4:5], v[16:17] neg_lo:[0,1] neg_hi:[0,1]
	v_mov_b32_e32 v19, v4
	v_pk_add_f32 v[4:5], v[20:21], v[18:19] neg_lo:[0,1] neg_hi:[0,1]
	s_or_b64 vcc, s[36:37], vcc
	v_add_f32_e32 v5, v23, v5
	v_add_f32_e32 v4, v4, v5
	;; [unrolled: 1-line block ×4, first 2 shown]
	v_sub_f32_e32 v15, v5, v15
	v_mul_f32_e32 v4, v25, v4
	v_sub_f32_e32 v6, v6, v15
	v_add_f32_e32 v6, v6, v4
	v_add_f32_e32 v16, v5, v6
	v_mul_f32_e32 v18, v16, v16
	v_fmamk_f32 v4, v18, 0x3e9b6dac, v67
	v_fmaak_f32 v15, v18, v4, 0x3f2aaada
	v_cvt_f32_i32_e32 v4, v22
	v_sub_f32_e32 v5, v16, v5
	v_sub_f32_e32 v5, v6, v5
	v_ldexp_f32 v6, v5, 1
	v_mul_f32_e32 v5, v16, v18
	v_pk_mul_f32 v[18:19], v[4:5], v[14:15]
	v_ldexp_f32 v17, v16, 1
	v_fma_f32 v16, v4, s45, -v18
	v_fmac_f32_e32 v16, 0xb102e308, v4
	v_pk_add_f32 v[4:5], v[18:19], v[16:17]
	v_mov_b32_e32 v20, v18
	v_sub_f32_e32 v15, v5, v17
	v_sub_f32_e32 v15, v19, v15
	v_add_f32_e32 v21, v6, v15
	v_pk_add_f32 v[18:19], v[4:5], v[18:19] neg_lo:[0,1] neg_hi:[0,1]
	v_pk_add_f32 v[22:23], v[4:5], v[20:21]
	v_mov_b32_e32 v17, v4
	v_mov_b32_e32 v19, v23
	v_pk_add_f32 v[24:25], v[16:17], v[18:19] neg_lo:[0,1] neg_hi:[0,1]
	v_pk_add_f32 v[16:17], v[16:17], v[18:19]
	s_nop 0
	v_mov_b32_e32 v6, v17
	v_pk_add_f32 v[18:19], v[6:7], v[4:5] neg_lo:[0,1] neg_hi:[0,1]
	v_mov_b32_e32 v16, v23
	v_mov_b32_e32 v15, v18
	v_pk_add_f32 v[26:27], v[22:23], v[14:15] neg_lo:[0,1] neg_hi:[0,1]
	v_mov_b32_e32 v22, v5
	v_mov_b32_e32 v23, v18
	;; [unrolled: 1-line block ×3, first 2 shown]
	v_pk_add_f32 v[16:17], v[16:17], v[22:23] neg_lo:[0,1] neg_hi:[0,1]
	v_mov_b32_e32 v18, v21
	v_mov_b32_e32 v19, v4
	v_pk_add_f32 v[4:5], v[18:19], v[16:17] neg_lo:[0,1] neg_hi:[0,1]
	v_mov_b32_e32 v26, v24
	v_pk_add_f32 v[16:17], v[26:27], v[4:5]
	s_nop 0
	v_mov_b32_e32 v18, v17
	v_pk_add_f32 v[18:19], v[16:17], v[18:19]
	s_nop 0
	v_pk_add_f32 v[20:21], v[6:7], v[18:19]
	v_mov_b32_e32 v5, v18
	v_mov_b32_e32 v17, v20
	v_pk_add_f32 v[22:23], v[16:17], v[24:25] neg_lo:[0,1] neg_hi:[0,1]
	s_nop 0
	v_sub_f32_e32 v6, v16, v22
	v_pk_add_f32 v[4:5], v[4:5], v[22:23] neg_lo:[0,1] neg_hi:[0,1]
	v_sub_f32_e32 v6, v24, v6
	v_add_f32_e32 v4, v4, v6
	v_add_f32_e32 v4, v4, v5
	;; [unrolled: 1-line block ×3, first 2 shown]
	v_cndmask_b32_e32 v77, v4, v28, vcc
.LBB46_53:                              ;   in Loop: Header=BB46_11 Depth=1
	s_or_b64 exec, exec, s[38:39]
	v_lshlrev_b32_e32 v4, 16, v7
	v_add_f32_e32 v78, s33, v4
	v_cmp_ge_f32_e32 vcc, s99, v78
	s_and_b64 s[36:37], s[64:65], vcc
	s_and_saveexec_b64 s[38:39], s[36:37]
	s_cbranch_execz .LBB46_55
; %bb.54:                               ;   in Loop: Header=BB46_11 Depth=1
	v_mul_f32_e32 v4, 0x3fb8aa3b, v78
	v_rndne_f32_e32 v5, v4
	v_sub_f32_e32 v6, v4, v5
	v_fma_f32 v4, v78, s40, -v4
	v_fmac_f32_e32 v4, 0x32a5705f, v78
	v_add_f32_e32 v4, v6, v4
	v_cvt_i32_f32_e32 v5, v5
	v_exp_f32_e32 v4, v4
	v_cmp_ngt_f32_e32 vcc, s41, v78
	v_ldexp_f32 v4, v4, v5
	s_nop 0
	v_cndmask_b32_e32 v4, 0, v4, vcc
	v_cmp_nlt_f32_e32 vcc, s42, v78
	s_nop 1
	v_cndmask_b32_e32 v28, v68, v4, vcc
	v_add_f32_e32 v6, 1.0, v28
	v_add_f32_e32 v4, -1.0, v6
	v_sub_f32_e32 v5, v4, v6
	v_add_f32_e32 v5, 1.0, v5
	v_sub_f32_e32 v4, v28, v4
	v_add_f32_e32 v15, v4, v5
	v_frexp_mant_f32_e32 v16, v6
	v_cvt_f64_f32_e32 v[4:5], v6
	v_frexp_exp_i32_f64_e32 v4, v[4:5]
	v_cmp_gt_f32_e32 vcc, s44, v16
	v_cmp_gt_f32_e64 s[36:37], s67, v28
	s_nop 0
	v_subbrev_co_u32_e32 v22, vcc, 0, v4, vcc
	v_sub_u32_e32 v4, 0, v22
	v_ldexp_f32 v5, v6, v4
	v_add_f32_e32 v6, -1.0, v5
	v_add_f32_e32 v16, 1.0, v5
	v_ldexp_f32 v4, v15, v4
	v_add_f32_e32 v15, 1.0, v6
	v_add_f32_e32 v17, -1.0, v16
	v_sub_f32_e32 v15, v5, v15
	v_sub_f32_e32 v5, v5, v17
	v_add_f32_e32 v15, v4, v15
	v_add_f32_e32 v4, v4, v5
	v_add_f32_e32 v23, v16, v4
	v_rcp_f32_e32 v25, v23
	v_sub_f32_e32 v5, v16, v23
	v_add_f32_e32 v24, v4, v5
	v_add_f32_e32 v5, v6, v15
	v_sub_f32_e32 v4, v6, v5
	v_add_f32_e32 v6, v15, v4
	v_mul_f32_e32 v15, v5, v25
	v_mul_f32_e32 v16, v23, v15
	v_fma_f32 v18, v15, v23, -v16
	v_fmac_f32_e32 v18, v15, v24
	v_add_f32_e32 v4, v16, v18
	v_sub_f32_e32 v17, v5, v4
	v_pk_add_f32 v[20:21], v[4:5], v[16:17] neg_lo:[0,1] neg_hi:[0,1]
	v_mov_b32_e32 v19, v4
	v_pk_add_f32 v[4:5], v[20:21], v[18:19] neg_lo:[0,1] neg_hi:[0,1]
	v_cmp_eq_f32_e32 vcc, s43, v28
	v_add_f32_e32 v5, v6, v5
	v_add_f32_e32 v4, v4, v5
	;; [unrolled: 1-line block ×3, first 2 shown]
	v_mul_f32_e32 v6, v25, v5
	v_mul_f32_e32 v16, v23, v6
	v_fma_f32 v18, v6, v23, -v16
	v_fmac_f32_e32 v18, v6, v24
	v_sub_f32_e32 v17, v17, v5
	v_add_f32_e32 v23, v4, v17
	v_add_f32_e32 v4, v16, v18
	v_sub_f32_e32 v17, v5, v4
	v_pk_add_f32 v[20:21], v[4:5], v[16:17] neg_lo:[0,1] neg_hi:[0,1]
	v_mov_b32_e32 v19, v4
	v_pk_add_f32 v[4:5], v[20:21], v[18:19] neg_lo:[0,1] neg_hi:[0,1]
	s_or_b64 vcc, s[36:37], vcc
	v_add_f32_e32 v5, v23, v5
	v_add_f32_e32 v4, v4, v5
	;; [unrolled: 1-line block ×4, first 2 shown]
	v_sub_f32_e32 v15, v5, v15
	v_mul_f32_e32 v4, v25, v4
	v_sub_f32_e32 v6, v6, v15
	v_add_f32_e32 v6, v6, v4
	v_add_f32_e32 v16, v5, v6
	v_mul_f32_e32 v18, v16, v16
	v_fmamk_f32 v4, v18, 0x3e9b6dac, v67
	v_fmaak_f32 v15, v18, v4, 0x3f2aaada
	v_cvt_f32_i32_e32 v4, v22
	v_sub_f32_e32 v5, v16, v5
	v_sub_f32_e32 v5, v6, v5
	v_ldexp_f32 v6, v5, 1
	v_mul_f32_e32 v5, v16, v18
	v_pk_mul_f32 v[18:19], v[4:5], v[14:15]
	v_ldexp_f32 v17, v16, 1
	v_fma_f32 v16, v4, s45, -v18
	v_fmac_f32_e32 v16, 0xb102e308, v4
	v_pk_add_f32 v[4:5], v[18:19], v[16:17]
	v_mov_b32_e32 v20, v18
	v_sub_f32_e32 v15, v5, v17
	v_sub_f32_e32 v15, v19, v15
	v_add_f32_e32 v21, v6, v15
	v_pk_add_f32 v[18:19], v[4:5], v[18:19] neg_lo:[0,1] neg_hi:[0,1]
	v_pk_add_f32 v[22:23], v[4:5], v[20:21]
	v_mov_b32_e32 v17, v4
	v_mov_b32_e32 v19, v23
	v_pk_add_f32 v[24:25], v[16:17], v[18:19] neg_lo:[0,1] neg_hi:[0,1]
	v_pk_add_f32 v[16:17], v[16:17], v[18:19]
	s_nop 0
	v_mov_b32_e32 v6, v17
	v_pk_add_f32 v[18:19], v[6:7], v[4:5] neg_lo:[0,1] neg_hi:[0,1]
	v_mov_b32_e32 v16, v23
	v_mov_b32_e32 v15, v18
	v_pk_add_f32 v[26:27], v[22:23], v[14:15] neg_lo:[0,1] neg_hi:[0,1]
	v_mov_b32_e32 v22, v5
	v_mov_b32_e32 v23, v18
	;; [unrolled: 1-line block ×3, first 2 shown]
	v_pk_add_f32 v[16:17], v[16:17], v[22:23] neg_lo:[0,1] neg_hi:[0,1]
	v_mov_b32_e32 v18, v21
	v_mov_b32_e32 v19, v4
	v_pk_add_f32 v[4:5], v[18:19], v[16:17] neg_lo:[0,1] neg_hi:[0,1]
	v_mov_b32_e32 v26, v24
	v_pk_add_f32 v[16:17], v[26:27], v[4:5]
	s_nop 0
	v_mov_b32_e32 v18, v17
	v_pk_add_f32 v[18:19], v[16:17], v[18:19]
	s_nop 0
	v_pk_add_f32 v[20:21], v[6:7], v[18:19]
	v_mov_b32_e32 v5, v18
	v_mov_b32_e32 v17, v20
	v_pk_add_f32 v[22:23], v[16:17], v[24:25] neg_lo:[0,1] neg_hi:[0,1]
	s_nop 0
	v_sub_f32_e32 v6, v16, v22
	v_pk_add_f32 v[4:5], v[4:5], v[22:23] neg_lo:[0,1] neg_hi:[0,1]
	v_sub_f32_e32 v6, v24, v6
	v_add_f32_e32 v4, v4, v6
	v_add_f32_e32 v4, v4, v5
	;; [unrolled: 1-line block ×3, first 2 shown]
	v_cndmask_b32_e32 v78, v4, v28, vcc
.LBB46_55:                              ;   in Loop: Header=BB46_11 Depth=1
	s_or_b64 exec, exec, s[38:39]
	v_and_b32_e32 v4, 0xffff0000, v7
	v_add_f32_e32 v15, s33, v4
	v_cmp_ge_f32_e32 vcc, s99, v15
	s_and_b64 s[36:37], s[64:65], vcc
	s_and_saveexec_b64 s[38:39], s[36:37]
	s_cbranch_execz .LBB46_57
; %bb.56:                               ;   in Loop: Header=BB46_11 Depth=1
	v_mul_f32_e32 v4, 0x3fb8aa3b, v15
	v_rndne_f32_e32 v5, v4
	v_sub_f32_e32 v6, v4, v5
	v_fma_f32 v4, v15, s40, -v4
	v_fmac_f32_e32 v4, 0x32a5705f, v15
	v_add_f32_e32 v4, v6, v4
	v_cvt_i32_f32_e32 v5, v5
	v_exp_f32_e32 v4, v4
	v_cmp_ngt_f32_e32 vcc, s41, v15
	v_ldexp_f32 v4, v4, v5
	s_nop 0
	v_cndmask_b32_e32 v4, 0, v4, vcc
	v_cmp_nlt_f32_e32 vcc, s42, v15
	s_nop 1
	v_cndmask_b32_e32 v28, v68, v4, vcc
	v_add_f32_e32 v6, 1.0, v28
	v_add_f32_e32 v4, -1.0, v6
	v_sub_f32_e32 v5, v4, v6
	v_add_f32_e32 v5, 1.0, v5
	v_sub_f32_e32 v4, v28, v4
	v_add_f32_e32 v7, v4, v5
	v_frexp_mant_f32_e32 v15, v6
	v_cvt_f64_f32_e32 v[4:5], v6
	v_frexp_exp_i32_f64_e32 v4, v[4:5]
	v_cmp_gt_f32_e32 vcc, s44, v15
	v_cmp_gt_f32_e64 s[36:37], s67, v28
	s_nop 0
	v_subbrev_co_u32_e32 v20, vcc, 0, v4, vcc
	v_sub_u32_e32 v4, 0, v20
	v_ldexp_f32 v5, v6, v4
	v_add_f32_e32 v6, -1.0, v5
	v_add_f32_e32 v15, 1.0, v5
	v_ldexp_f32 v4, v7, v4
	v_add_f32_e32 v7, 1.0, v6
	v_add_f32_e32 v16, -1.0, v15
	v_sub_f32_e32 v7, v5, v7
	v_sub_f32_e32 v5, v5, v16
	v_add_f32_e32 v7, v4, v7
	v_add_f32_e32 v4, v4, v5
	;; [unrolled: 1-line block ×3, first 2 shown]
	v_rcp_f32_e32 v22, v21
	v_sub_f32_e32 v5, v15, v21
	v_add_f32_e32 v15, v4, v5
	v_add_f32_e32 v5, v6, v7
	v_mul_f32_e32 v24, v5, v22
	v_sub_f32_e32 v4, v6, v5
	v_mul_f32_e32 v6, v21, v24
	v_fma_f32 v16, v24, v21, -v6
	v_fmac_f32_e32 v16, v24, v15
	v_add_f32_e32 v23, v7, v4
	v_add_f32_e32 v4, v6, v16
	v_sub_f32_e32 v7, v5, v4
	v_pk_add_f32 v[18:19], v[4:5], v[6:7] neg_lo:[0,1] neg_hi:[0,1]
	v_mov_b32_e32 v17, v4
	v_pk_add_f32 v[4:5], v[18:19], v[16:17] neg_lo:[0,1] neg_hi:[0,1]
	v_cmp_eq_f32_e32 vcc, s43, v28
	v_add_f32_e32 v5, v23, v5
	v_add_f32_e32 v4, v4, v5
	;; [unrolled: 1-line block ×3, first 2 shown]
	v_mul_f32_e32 v23, v22, v5
	v_mul_f32_e32 v6, v21, v23
	v_fma_f32 v16, v23, v21, -v6
	v_fmac_f32_e32 v16, v23, v15
	v_sub_f32_e32 v7, v7, v5
	v_add_f32_e32 v15, v4, v7
	v_add_f32_e32 v4, v6, v16
	v_sub_f32_e32 v7, v5, v4
	v_pk_add_f32 v[18:19], v[4:5], v[6:7] neg_lo:[0,1] neg_hi:[0,1]
	v_mov_b32_e32 v17, v4
	v_pk_add_f32 v[4:5], v[18:19], v[16:17] neg_lo:[0,1] neg_hi:[0,1]
	s_or_b64 vcc, s[36:37], vcc
	v_add_f32_e32 v5, v15, v5
	v_add_f32_e32 v4, v4, v5
	v_add_f32_e32 v5, v24, v23
	v_add_f32_e32 v4, v7, v4
	v_sub_f32_e32 v6, v5, v24
	v_mul_f32_e32 v4, v22, v4
	v_sub_f32_e32 v6, v23, v6
	v_add_f32_e32 v6, v6, v4
	v_add_f32_e32 v16, v5, v6
	v_mul_f32_e32 v17, v16, v16
	v_fmamk_f32 v4, v17, 0x3e9b6dac, v67
	v_fmaak_f32 v15, v17, v4, 0x3f2aaada
	v_cvt_f32_i32_e32 v4, v20
	v_sub_f32_e32 v5, v16, v5
	v_sub_f32_e32 v5, v6, v5
	v_ldexp_f32 v18, v5, 1
	v_mul_f32_e32 v5, v16, v17
	v_ldexp_f32 v7, v16, 1
	v_pk_mul_f32 v[16:17], v[4:5], v[14:15]
	s_nop 0
	v_fma_f32 v6, v4, s45, -v16
	v_fmac_f32_e32 v6, 0xb102e308, v4
	v_pk_add_f32 v[4:5], v[16:17], v[6:7]
	s_nop 0
	v_sub_f32_e32 v7, v5, v7
	v_sub_f32_e32 v7, v17, v7
	v_add_f32_e32 v19, v18, v7
	v_mov_b32_e32 v18, v16
	v_pk_add_f32 v[16:17], v[4:5], v[16:17] neg_lo:[0,1] neg_hi:[0,1]
	v_pk_add_f32 v[20:21], v[4:5], v[18:19]
	v_mov_b32_e32 v7, v4
	v_mov_b32_e32 v17, v21
	v_pk_add_f32 v[22:23], v[6:7], v[16:17] neg_lo:[0,1] neg_hi:[0,1]
	v_pk_add_f32 v[6:7], v[6:7], v[16:17]
	v_mov_b32_e32 v18, v19
	v_mov_b32_e32 v16, v7
	v_pk_add_f32 v[24:25], v[16:17], v[4:5] neg_lo:[0,1] neg_hi:[0,1]
	v_mov_b32_e32 v6, v21
	v_mov_b32_e32 v15, v24
	v_pk_add_f32 v[26:27], v[20:21], v[14:15] neg_lo:[0,1] neg_hi:[0,1]
	v_mov_b32_e32 v20, v5
	v_mov_b32_e32 v21, v24
	;; [unrolled: 1-line block ×3, first 2 shown]
	v_pk_add_f32 v[6:7], v[6:7], v[20:21] neg_lo:[0,1] neg_hi:[0,1]
	v_mov_b32_e32 v19, v4
	v_pk_add_f32 v[4:5], v[18:19], v[6:7] neg_lo:[0,1] neg_hi:[0,1]
	v_mov_b32_e32 v26, v22
	v_pk_add_f32 v[6:7], v[26:27], v[4:5]
	s_nop 0
	v_mov_b32_e32 v18, v7
	v_pk_add_f32 v[18:19], v[6:7], v[18:19]
	s_nop 0
	v_pk_add_f32 v[16:17], v[16:17], v[18:19]
	v_mov_b32_e32 v5, v18
	v_mov_b32_e32 v7, v16
	v_pk_add_f32 v[20:21], v[6:7], v[22:23] neg_lo:[0,1] neg_hi:[0,1]
	s_nop 0
	v_sub_f32_e32 v6, v6, v20
	v_pk_add_f32 v[4:5], v[4:5], v[20:21] neg_lo:[0,1] neg_hi:[0,1]
	v_sub_f32_e32 v6, v22, v6
	v_add_f32_e32 v4, v4, v6
	v_add_f32_e32 v4, v4, v5
	;; [unrolled: 1-line block ×3, first 2 shown]
	v_cndmask_b32_e32 v15, v4, v28, vcc
.LBB46_57:                              ;   in Loop: Header=BB46_11 Depth=1
	s_or_b64 exec, exec, s[38:39]
	v_readlane_b32 s36, v95, 1
	v_lshlrev_b32_e32 v4, 16, v3
	v_and_b32_e32 v7, 0xffff0000, v3
	v_and_b32_e32 v3, 0xffff0000, v2
	v_lshlrev_b32_e32 v2, 16, v2
	v_and_b32_e32 v5, 0xffff0000, v1
	v_lshlrev_b32_e32 v1, 16, v1
	;; [unrolled: 2-line block ×3, first 2 shown]
	v_readlane_b32 s37, v95, 2
	v_mul_f32_e32 v16, s94, v4
	v_mul_f32_e32 v19, s94, v3
	;; [unrolled: 1-line block ×8, first 2 shown]
	s_and_b64 vcc, exec, s[36:37]
	s_waitcnt lgkmcnt(0)
	; wave barrier
	s_cbranch_vccz .LBB46_118
; %bb.58:                               ;   in Loop: Header=BB46_11 Depth=1
	s_cmp_lg_u32 s97, 0
	v_readlane_b32 s36, v95, 5
	v_mul_f32_e32 v86, v72, v0
	s_cselect_b64 s[80:81], -1, 0
	s_cmp_eq_u32 s97, s36
	v_cmp_gt_u32_e32 vcc, s50, v11
	v_or_b32_e32 v0, 1, v11
	s_cselect_b64 s[82:83], -1, 0
	s_or_b64 s[36:37], s[76:77], vcc
	v_cmp_gt_u32_e32 vcc, s50, v0
	v_or_b32_e32 v0, 2, v11
	s_or_b64 s[38:39], s[76:77], vcc
	v_cmp_gt_u32_e32 vcc, s50, v0
	v_or_b32_e32 v0, 3, v11
	s_or_b64 s[40:41], s[76:77], vcc
	v_cmp_gt_u32_e32 vcc, s50, v0
	s_or_b64 s[42:43], s[76:77], vcc
	v_cmp_gt_u32_e32 vcc, s50, v63
	;; [unrolled: 2-line block ×4, first 2 shown]
	s_mov_b32 s70, 0
	s_or_b64 s[48:49], s[76:77], vcc
	v_cmp_gt_u32_e32 vcc, s50, v66
	v_mul_f32_e32 v79, v15, v7
	v_lshl_add_u64 v[24:25], s[54:55], 0, v[8:9]
	v_lshl_add_u64 v[26:27], s[58:59], 0, v[8:9]
	v_mul_f32_e32 v80, v78, v4
	v_mul_f32_e32 v81, v77, v3
	;; [unrolled: 1-line block ×6, first 2 shown]
	s_or_b64 s[50:51], s[76:77], vcc
	s_mov_b32 s84, s70
	s_mov_b32 s86, s70
	;; [unrolled: 1-line block ×3, first 2 shown]
	v_readlane_b32 s79, v95, 0
	v_readlane_b32 s95, v95, 6
	s_branch .LBB46_60
.LBB46_59:                              ;   in Loop: Header=BB46_60 Depth=2
	s_or_b64 exec, exec, s[90:91]
	v_mul_f32_e32 v28, v87, v60
	v_fma_f32 v29, v87, v61, v4
	v_cndmask_b32_e64 v4, v29, v4, s[16:17]
	v_cndmask_b32_e64 v28, v28, v87, s[16:17]
	s_waitcnt lgkmcnt(0)
	v_fmac_f32_e32 v4, v34, v28
	v_fmac_f32_e32 v5, v4, v88
	;; [unrolled: 1-line block ×8, first 2 shown]
	v_and_b32_e32 v29, 0xffff0000, v0
	v_and_b32_e32 v35, 0xffff0000, v1
	v_lshlrev_b32_e32 v28, 16, v0
	v_lshlrev_b32_e32 v34, 16, v1
	v_and_b32_e32 v1, 0xffff0000, v2
	v_and_b32_e32 v61, 0xffff0000, v3
	v_lshlrev_b32_e32 v0, 16, v2
	v_lshlrev_b32_e32 v60, 16, v3
	s_add_i32 s95, s95, 8
	s_add_i32 s79, s79, -1
	s_add_i32 s88, s88, s66
	s_add_i32 s86, s86, s60
	;; [unrolled: 1-line block ×4, first 2 shown]
	v_pk_fma_f32 v[20:21], v[30:31], v[34:35], v[20:21]
	v_pk_fma_f32 v[22:23], v[4:5], v[28:29], v[22:23]
	;; [unrolled: 1-line block ×3, first 2 shown]
	s_cmp_eq_u32 s79, 0
	v_pk_fma_f32 v[18:19], v[6:7], v[0:1], v[18:19]
	s_cbranch_scc1 .LBB46_117
.LBB46_60:                              ;   Parent Loop BB46_11 Depth=1
                                        ; =>  This Inner Loop Header: Depth=2
	s_lshl_b64 s[90:91], s[70:71], 2
	s_add_u32 s90, s52, s90
	s_addc_u32 s91, s96, s91
	global_load_dword v30, v9, s[90:91]
	s_mov_b32 s85, s71
	v_lshl_add_u64 v[0:1], s[84:85], 1, v[24:25]
	v_mov_b32_e32 v2, 0
	v_mov_b32_e32 v3, 0
	s_and_saveexec_b64 s[90:91], s[18:19]
	s_cbranch_execz .LBB46_62
; %bb.61:                               ;   in Loop: Header=BB46_60 Depth=2
	global_load_ushort v3, v[0:1], off
.LBB46_62:                              ;   in Loop: Header=BB46_60 Depth=2
	s_or_b64 exec, exec, s[90:91]
	s_and_saveexec_b64 s[90:91], s[20:21]
	s_cbranch_execz .LBB46_64
; %bb.63:                               ;   in Loop: Header=BB46_60 Depth=2
	global_load_ushort v2, v[0:1], off offset:128
.LBB46_64:                              ;   in Loop: Header=BB46_60 Depth=2
	s_or_b64 exec, exec, s[90:91]
	v_mov_b32_e32 v4, 0
	v_mov_b32_e32 v5, 0
	s_and_saveexec_b64 s[90:91], s[22:23]
	s_cbranch_execz .LBB46_66
; %bb.65:                               ;   in Loop: Header=BB46_60 Depth=2
	global_load_ushort v5, v[0:1], off offset:256
.LBB46_66:                              ;   in Loop: Header=BB46_60 Depth=2
	s_or_b64 exec, exec, s[90:91]
	s_and_saveexec_b64 s[90:91], s[24:25]
	s_cbranch_execz .LBB46_68
; %bb.67:                               ;   in Loop: Header=BB46_60 Depth=2
	global_load_ushort v4, v[0:1], off offset:384
.LBB46_68:                              ;   in Loop: Header=BB46_60 Depth=2
	s_or_b64 exec, exec, s[90:91]
	v_mov_b32_e32 v6, 0
	v_mov_b32_e32 v7, 0
	s_and_saveexec_b64 s[90:91], s[26:27]
	s_cbranch_execz .LBB46_70
; %bb.69:                               ;   in Loop: Header=BB46_60 Depth=2
	global_load_ushort v7, v[0:1], off offset:512
.LBB46_70:                              ;   in Loop: Header=BB46_60 Depth=2
	;; [unrolled: 14-line block ×3, first 2 shown]
	s_or_b64 exec, exec, s[90:91]
	s_and_saveexec_b64 s[90:91], s[34:35]
	s_cbranch_execz .LBB46_76
; %bb.75:                               ;   in Loop: Header=BB46_60 Depth=2
	global_load_ushort v28, v[0:1], off offset:896
.LBB46_76:                              ;   in Loop: Header=BB46_60 Depth=2
	s_or_b64 exec, exec, s[90:91]
	s_waitcnt vmcnt(0)
	ds_write_b16 v43, v3
	ds_write_b16 v44, v2 offset:128
	ds_write_b16 v45, v5 offset:256
	;; [unrolled: 1-line block ×7, first 2 shown]
	; wave barrier
	ds_read_b128 v[4:7], v51
	s_mov_b32 s87, s71
	v_lshl_add_u64 v[0:1], s[86:87], 1, v[26:27]
	v_mov_b32_e32 v2, 0
	v_mov_b32_e32 v3, 0
	s_and_saveexec_b64 s[90:91], s[18:19]
	s_cbranch_execz .LBB46_78
; %bb.77:                               ;   in Loop: Header=BB46_60 Depth=2
	global_load_ushort v3, v[0:1], off
.LBB46_78:                              ;   in Loop: Header=BB46_60 Depth=2
	s_or_b64 exec, exec, s[90:91]
	s_and_saveexec_b64 s[90:91], s[20:21]
	s_cbranch_execz .LBB46_80
; %bb.79:                               ;   in Loop: Header=BB46_60 Depth=2
	global_load_ushort v2, v[0:1], off offset:128
.LBB46_80:                              ;   in Loop: Header=BB46_60 Depth=2
	s_or_b64 exec, exec, s[90:91]
	v_mov_b32_e32 v28, 0
	v_mov_b32_e32 v29, 0
	s_and_saveexec_b64 s[90:91], s[22:23]
	s_cbranch_execz .LBB46_82
; %bb.81:                               ;   in Loop: Header=BB46_60 Depth=2
	global_load_ushort v29, v[0:1], off offset:256
.LBB46_82:                              ;   in Loop: Header=BB46_60 Depth=2
	s_or_b64 exec, exec, s[90:91]
	s_and_saveexec_b64 s[90:91], s[24:25]
	s_cbranch_execz .LBB46_84
; %bb.83:                               ;   in Loop: Header=BB46_60 Depth=2
	global_load_ushort v28, v[0:1], off offset:384
.LBB46_84:                              ;   in Loop: Header=BB46_60 Depth=2
	s_or_b64 exec, exec, s[90:91]
	v_mov_b32_e32 v31, 0
	v_mov_b32_e32 v32, 0
	s_and_saveexec_b64 s[90:91], s[26:27]
	s_cbranch_execz .LBB46_86
; %bb.85:                               ;   in Loop: Header=BB46_60 Depth=2
	global_load_ushort v32, v[0:1], off offset:512
.LBB46_86:                              ;   in Loop: Header=BB46_60 Depth=2
	;; [unrolled: 14-line block ×3, first 2 shown]
	s_or_b64 exec, exec, s[90:91]
	s_and_saveexec_b64 s[90:91], s[34:35]
	s_cbranch_execz .LBB46_92
; %bb.91:                               ;   in Loop: Header=BB46_60 Depth=2
	global_load_ushort v33, v[0:1], off offset:896
.LBB46_92:                              ;   in Loop: Header=BB46_60 Depth=2
	s_or_b64 exec, exec, s[90:91]
	s_waitcnt vmcnt(0)
	ds_write_b16 v43, v3 offset:1056
	ds_write_b16 v52, v2 offset:128
	;; [unrolled: 1-line block ×8, first 2 shown]
	; wave barrier
	ds_read_b128 v[0:3], v51 offset:1056
	s_andn2_b64 vcc, exec, s[80:81]
	s_cbranch_vccnz .LBB46_94
; %bb.93:                               ;   in Loop: Header=BB46_60 Depth=2
	v_mov_b32_e32 v28, s95
	ds_read_b64 v[28:29], v28
	s_cbranch_execz .LBB46_95
	s_branch .LBB46_98
.LBB46_94:                              ;   in Loop: Header=BB46_60 Depth=2
                                        ; implicit-def: $vgpr29
.LBB46_95:                              ;   in Loop: Header=BB46_60 Depth=2
	s_andn2_b64 vcc, exec, s[68:69]
	s_waitcnt lgkmcnt(0)
	v_mov_b32_e32 v29, 0
	s_cbranch_vccnz .LBB46_97
; %bb.96:                               ;   in Loop: Header=BB46_60 Depth=2
	s_mov_b32 s89, s71
	s_lshl_b64 s[90:91], s[88:89], 2
	s_add_u32 s90, s57, s90
	s_addc_u32 s91, s61, s91
	global_load_dword v29, v9, s[90:91]
.LBB46_97:                              ;   in Loop: Header=BB46_60 Depth=2
	v_mov_b32_e32 v28, 1.0
.LBB46_98:                              ;   in Loop: Header=BB46_60 Depth=2
	v_mul_f32_e32 v61, 0x3fb8aa3b, v30
	s_waitcnt lgkmcnt(9)
	v_lshlrev_b32_e32 v31, 16, v4
	v_and_b32_e32 v32, 0xffff0000, v4
	v_mul_f32_e32 v4, v61, v72
	v_cmp_gt_f32_e32 vcc, s98, v4
	v_lshlrev_b32_e32 v35, 16, v6
	v_and_b32_e32 v60, 0xffff0000, v6
	v_cndmask_b32_e32 v4, 0, v69, vcc
	v_mul_f32_e32 v6, v61, v73
	v_lshlrev_b32_e32 v33, 16, v5
	v_and_b32_e32 v34, 0xffff0000, v5
	v_fmac_f32_e32 v4, v61, v72
	v_cndmask_b32_e32 v5, 1.0, v70, vcc
	v_cmp_gt_f32_e32 vcc, s98, v6
	v_exp_f32_e32 v4, v4
	v_lshlrev_b32_e32 v93, 16, v7
	v_cndmask_b32_e32 v6, 0, v69, vcc
	v_fmac_f32_e32 v6, v61, v73
	v_exp_f32_e32 v6, v6
	v_and_b32_e32 v94, 0xffff0000, v7
	v_mul_f32_e32 v5, v4, v5
	v_mul_f32_e32 v7, v61, v74
	v_cndmask_b32_e64 v87, 1.0, v5, s[36:37]
	v_cndmask_b32_e32 v5, 1.0, v70, vcc
	v_cmp_gt_f32_e32 vcc, s98, v7
	v_mul_f32_e32 v6, v6, v5
	v_mul_f32_e32 v30, v61, v75
	v_cndmask_b32_e32 v7, 0, v69, vcc
	v_fmac_f32_e32 v7, v61, v74
	v_cndmask_b32_e64 v88, 1.0, v6, s[38:39]
	v_cndmask_b32_e32 v6, 1.0, v70, vcc
	v_cmp_gt_f32_e32 vcc, s98, v30
	v_exp_f32_e32 v7, v7
	v_mul_f32_e32 v4, v86, v31
	v_cndmask_b32_e32 v30, 0, v69, vcc
	v_fmac_f32_e32 v30, v61, v75
	v_exp_f32_e32 v31, v30
	v_mul_f32_e32 v6, v7, v6
	v_cndmask_b32_e64 v89, 1.0, v6, s[40:41]
	v_cndmask_b32_e32 v6, 1.0, v70, vcc
	v_mul_f32_e32 v6, v31, v6
	v_mul_f32_e32 v31, v61, v76
	v_cmp_gt_f32_e32 vcc, s98, v31
	v_mul_f32_e32 v5, v85, v32
	v_mul_f32_e32 v7, v84, v33
	v_cndmask_b32_e32 v31, 0, v69, vcc
	v_fmac_f32_e32 v31, v61, v76
	v_exp_f32_e32 v32, v31
	v_cndmask_b32_e64 v30, 0, v7, s[40:41]
	v_mul_f32_e32 v7, v83, v34
	v_cndmask_b32_e64 v90, 1.0, v6, s[42:43]
	v_cndmask_b32_e32 v6, 1.0, v70, vcc
	v_cndmask_b32_e64 v31, 0, v7, s[42:43]
	v_mul_f32_e32 v7, v32, v6
	v_mul_f32_e32 v32, v61, v77
	v_cmp_gt_f32_e32 vcc, s98, v32
	v_mul_f32_e32 v33, v61, v78
	v_cndmask_b32_e64 v91, 1.0, v7, s[44:45]
	v_cndmask_b32_e32 v32, 0, v69, vcc
	v_fmac_f32_e32 v32, v61, v77
	v_exp_f32_e32 v32, v32
	v_cndmask_b32_e32 v7, 1.0, v70, vcc
	v_cmp_gt_f32_e32 vcc, s98, v33
	v_mul_f32_e32 v34, v61, v15
	v_mul_f32_e32 v32, v32, v7
	v_cndmask_b32_e32 v33, 0, v69, vcc
	v_fmac_f32_e32 v33, v61, v78
	v_cndmask_b32_e64 v92, 1.0, v32, s[46:47]
	v_cndmask_b32_e32 v32, 1.0, v70, vcc
	v_cmp_gt_f32_e32 vcc, s98, v34
	v_exp_f32_e32 v33, v33
	v_cndmask_b32_e64 v4, 0, v4, s[36:37]
	v_cndmask_b32_e32 v34, 0, v69, vcc
	v_fmac_f32_e32 v34, v61, v15
	v_exp_f32_e32 v34, v34
	v_mul_f32_e32 v33, v33, v32
	v_mul_f32_e32 v32, v80, v93
	v_cndmask_b32_e64 v93, 1.0, v33, s[48:49]
	v_cndmask_b32_e32 v33, 1.0, v70, vcc
	v_cndmask_b32_e64 v5, 0, v5, s[38:39]
	v_mul_f32_e32 v34, v34, v33
	v_mul_f32_e32 v6, v82, v35
	;; [unrolled: 1-line block ×3, first 2 shown]
	v_cndmask_b32_e64 v94, 1.0, v34, s[50:51]
	v_mul_f32_e32 v34, v88, v87
	v_fma_f32 v35, v88, v4, v5
	v_mul_f32_e32 v34, v34, v89
	v_fma_f32 v35, v35, v89, v30
	v_cndmask_b32_e64 v6, 0, v6, s[44:45]
	v_mul_f32_e32 v7, v81, v60
	v_mul_f32_e32 v34, v34, v90
	v_fma_f32 v35, v35, v90, v31
	v_cndmask_b32_e64 v7, 0, v7, s[46:47]
	v_mul_f32_e32 v34, v34, v91
	v_fma_f32 v35, v35, v91, v6
	v_cndmask_b32_e64 v32, 0, v32, s[48:49]
	;; [unrolled: 3-line block ×3, first 2 shown]
	v_mul_f32_e32 v34, v34, v93
	v_fma_f32 v35, v35, v93, v32
	v_mul_f32_e32 v34, v34, v94
	v_fma_f32 v62, v35, v94, v33
	s_nop 0
	v_mov_b32_dpp v61, v34 row_shr:1 row_mask:0xf bank_mask:0xf
	v_mov_b32_dpp v60, v62 row_shr:1 row_mask:0xf bank_mask:0xf
	s_and_saveexec_b64 s[90:91], s[0:1]
; %bb.99:                               ;   in Loop: Header=BB46_60 Depth=2
	v_mul_f32_e32 v61, v34, v61
	v_fmac_f32_e32 v62, v34, v60
	v_mov_b32_e32 v34, v61
; %bb.100:                              ;   in Loop: Header=BB46_60 Depth=2
	s_or_b64 exec, exec, s[90:91]
	s_nop 0
	v_mov_b32_dpp v60, v34 row_shr:2 row_mask:0xf bank_mask:0xf
	v_mov_b32_dpp v61, v62 row_shr:2 row_mask:0xf bank_mask:0xf
	s_and_saveexec_b64 s[90:91], s[2:3]
; %bb.101:                              ;   in Loop: Header=BB46_60 Depth=2
	v_fmac_f32_e32 v62, v34, v61
	v_mul_f32_e32 v34, v34, v60
; %bb.102:                              ;   in Loop: Header=BB46_60 Depth=2
	s_or_b64 exec, exec, s[90:91]
	s_nop 0
	v_mov_b32_dpp v60, v34 row_shr:4 row_mask:0xf bank_mask:0xf
	v_mov_b32_dpp v61, v62 row_shr:4 row_mask:0xf bank_mask:0xf
	s_and_saveexec_b64 s[90:91], s[4:5]
; %bb.103:                              ;   in Loop: Header=BB46_60 Depth=2
	v_fmac_f32_e32 v62, v34, v61
	v_mul_f32_e32 v34, v34, v60
	;; [unrolled: 9-line block ×3, first 2 shown]
; %bb.106:                              ;   in Loop: Header=BB46_60 Depth=2
	s_or_b64 exec, exec, s[90:91]
	s_nop 0
	v_mov_b32_dpp v60, v34 row_bcast:15 row_mask:0xf bank_mask:0xf
	v_mov_b32_dpp v61, v62 row_bcast:15 row_mask:0xf bank_mask:0xf
	s_and_saveexec_b64 s[90:91], s[8:9]
; %bb.107:                              ;   in Loop: Header=BB46_60 Depth=2
	v_fmac_f32_e32 v62, v34, v61
	v_mul_f32_e32 v34, v34, v60
; %bb.108:                              ;   in Loop: Header=BB46_60 Depth=2
	s_or_b64 exec, exec, s[90:91]
	s_nop 0
	v_mov_b32_dpp v60, v34 row_bcast:31 row_mask:0xf bank_mask:0xf
	v_mov_b32_dpp v61, v62 row_bcast:31 row_mask:0xf bank_mask:0xf
	v_mov_b32_e32 v35, v62
	v_mul_f32_e32 v60, v34, v60
	v_fmac_f32_e32 v35, v34, v61
	v_cndmask_b32_e64 v34, v34, v60, s[10:11]
	v_cndmask_b32_e64 v35, v62, v35, s[10:11]
	s_and_saveexec_b64 s[90:91], s[12:13]
	s_cbranch_execz .LBB46_110
; %bb.109:                              ;   in Loop: Header=BB46_60 Depth=2
	ds_write_b64 v9, v[34:35] offset:2112
.LBB46_110:                             ;   in Loop: Header=BB46_60 Depth=2
	s_or_b64 exec, exec, s[90:91]
	ds_bpermute_b32 v60, v59, v34
	ds_bpermute_b32 v61, v59, v35
	s_waitcnt vmcnt(0) lgkmcnt(2)
	v_mov_b32_e32 v35, v29
	s_waitcnt lgkmcnt(0)
	; wave barrier
	s_waitcnt lgkmcnt(0)
	s_and_saveexec_b64 s[90:91], s[14:15]
	s_cbranch_execz .LBB46_114
; %bb.111:                              ;   in Loop: Header=BB46_60 Depth=2
	ds_read_b64 v[34:35], v9 offset:2112
	s_and_saveexec_b64 s[92:93], s[16:17]
	s_cbranch_execz .LBB46_113
; %bb.112:                              ;   in Loop: Header=BB46_60 Depth=2
	ds_write_b64 v9, v[28:29] offset:2112
.LBB46_113:                             ;   in Loop: Header=BB46_60 Depth=2
	s_or_b64 exec, exec, s[92:93]
	s_waitcnt lgkmcnt(0)
	v_fmac_f32_e32 v35, v29, v34
	v_mul_f32_e32 v28, v28, v34
	v_mov_b32_e32 v29, v35
.LBB46_114:                             ;   in Loop: Header=BB46_60 Depth=2
	s_or_b64 exec, exec, s[90:91]
	s_waitcnt lgkmcnt(0)
	; wave barrier
	ds_read_b32 v34, v9 offset:2116
	s_and_saveexec_b64 s[90:91], s[16:17]
	s_cbranch_execz .LBB46_59
; %bb.115:                              ;   in Loop: Header=BB46_60 Depth=2
	v_mov_b32_e32 v62, s95
	s_andn2_b64 vcc, exec, s[82:83]
	ds_write_b64 v62, v[28:29]
	s_cbranch_vccnz .LBB46_59
; %bb.116:                              ;   in Loop: Header=BB46_60 Depth=2
	s_mov_b32 s89, s71
	s_lshl_b64 s[92:93], s[88:89], 2
	s_add_u32 s92, s57, s92
	s_addc_u32 s93, s61, s93
	global_store_dword v9, v35, s[92:93]
	s_branch .LBB46_59
.LBB46_117:                             ;   in Loop: Header=BB46_11 Depth=1
	s_mov_b32 s40, 0x3fb8aa3b
	s_mov_b32 s41, 0xc2ce8ed0
	s_mov_b32 s42, 0x42b17218
	s_mov_b32 s43, 0x7f800000
	s_mov_b32 s44, 0x3f2aaaab
	s_mov_b32 s45, 0x3f317218
.LBB46_118:                             ;   in Loop: Header=BB46_11 Depth=1
	v_bfe_u32 v0, v22, 16, 1
	v_bfe_u32 v1, v23, 16, 1
	v_add3_u32 v0, v22, v0, s74
	v_bfe_u32 v2, v20, 16, 1
	v_add3_u32 v1, v23, v1, s74
	v_lshrrev_b32_e32 v0, 16, v0
	v_cmp_o_f32_e32 vcc, v22, v22
	v_bfe_u32 v3, v21, 16, 1
	v_add3_u32 v2, v20, v2, s74
	v_lshrrev_b32_e32 v1, 16, v1
	v_cndmask_b32_e32 v0, v71, v0, vcc
	v_cmp_o_f32_e32 vcc, v23, v23
	v_add3_u32 v3, v21, v3, s74
	v_lshrrev_b32_e32 v2, 16, v2
	v_cndmask_b32_e32 v4, v71, v1, vcc
	v_cmp_o_f32_e32 vcc, v20, v20
	v_lshrrev_b32_e32 v3, 16, v3
	v_bfe_u32 v6, v16, 16, 1
	v_cndmask_b32_e32 v1, v71, v2, vcc
	v_cmp_o_f32_e32 vcc, v21, v21
	v_bfe_u32 v2, v18, 16, 1
	v_add3_u32 v2, v18, v2, s74
	v_cndmask_b32_e32 v5, v71, v3, vcc
	v_bfe_u32 v3, v19, 16, 1
	v_add3_u32 v3, v19, v3, s74
	v_lshrrev_b32_e32 v2, 16, v2
	v_cmp_o_f32_e32 vcc, v18, v18
	v_bfe_u32 v7, v17, 16, 1
	v_add3_u32 v6, v16, v6, s74
	v_lshrrev_b32_e32 v3, 16, v3
	v_cndmask_b32_e32 v2, v71, v2, vcc
	v_cmp_o_f32_e32 vcc, v19, v19
	v_add3_u32 v7, v17, v7, s74
	v_lshrrev_b32_e32 v6, 16, v6
	v_cndmask_b32_e32 v15, v71, v3, vcc
	v_cmp_o_f32_e32 vcc, v16, v16
	v_lshrrev_b32_e32 v7, 16, v7
	v_perm_b32 v2, v15, v2, s75
	v_cndmask_b32_e32 v3, v71, v6, vcc
	v_cmp_o_f32_e32 vcc, v17, v17
	v_perm_b32 v1, v5, v1, s75
	v_perm_b32 v0, v4, v0, s75
	v_cndmask_b32_e32 v6, v71, v7, vcc
	v_perm_b32 v3, v6, v3, s75
	s_waitcnt lgkmcnt(0)
	; wave barrier
	ds_write_b128 v51, v[0:3]
	; wave barrier
	ds_read_u16 v15, v44 offset:128
	ds_read_u16 v7, v45 offset:256
	;; [unrolled: 1-line block ×7, first 2 shown]
	s_mov_b32 s79, s71
	v_lshl_add_u64 v[0:1], s[78:79], 1, v[12:13]
	s_and_saveexec_b64 s[36:37], s[18:19]
	s_cbranch_execnz .LBB46_128
; %bb.119:                              ;   in Loop: Header=BB46_11 Depth=1
	s_or_b64 exec, exec, s[36:37]
	s_and_saveexec_b64 s[18:19], s[20:21]
	s_cbranch_execnz .LBB46_129
.LBB46_120:                             ;   in Loop: Header=BB46_11 Depth=1
	s_or_b64 exec, exec, s[18:19]
	s_and_saveexec_b64 s[18:19], s[22:23]
	s_cbranch_execnz .LBB46_130
.LBB46_121:                             ;   in Loop: Header=BB46_11 Depth=1
	s_or_b64 exec, exec, s[18:19]
	s_and_saveexec_b64 s[18:19], s[24:25]
	s_cbranch_execnz .LBB46_131
.LBB46_122:                             ;   in Loop: Header=BB46_11 Depth=1
	s_or_b64 exec, exec, s[18:19]
	s_and_saveexec_b64 s[18:19], s[26:27]
	s_cbranch_execnz .LBB46_132
.LBB46_123:                             ;   in Loop: Header=BB46_11 Depth=1
	s_or_b64 exec, exec, s[18:19]
	s_and_saveexec_b64 s[18:19], s[28:29]
	s_cbranch_execnz .LBB46_133
.LBB46_124:                             ;   in Loop: Header=BB46_11 Depth=1
	s_or_b64 exec, exec, s[18:19]
	s_and_saveexec_b64 s[18:19], s[30:31]
	s_cbranch_execnz .LBB46_134
.LBB46_125:                             ;   in Loop: Header=BB46_11 Depth=1
	s_or_b64 exec, exec, s[18:19]
	s_and_saveexec_b64 s[18:19], s[34:35]
	s_cbranch_execz .LBB46_10
	s_branch .LBB46_135
.LBB46_126:                             ;   in Loop: Header=BB46_11 Depth=1
	global_load_ushort v19, v[4:5], off offset:640
	s_or_b64 exec, exec, s[36:37]
	s_and_saveexec_b64 s[36:37], s[30:31]
	s_cbranch_execz .LBB46_39
.LBB46_127:                             ;   in Loop: Header=BB46_11 Depth=1
	global_load_ushort v18, v[4:5], off offset:768
	s_or_b64 exec, exec, s[36:37]
	v_mov_b32_e32 v20, 0
	s_and_saveexec_b64 s[36:37], s[34:35]
	s_cbranch_execnz .LBB46_40
	s_branch .LBB46_41
.LBB46_128:                             ;   in Loop: Header=BB46_11 Depth=1
	ds_read_u16 v16, v43
	s_waitcnt lgkmcnt(0)
	global_store_short v[0:1], v16, off
	s_or_b64 exec, exec, s[36:37]
	s_and_saveexec_b64 s[18:19], s[20:21]
	s_cbranch_execz .LBB46_120
.LBB46_129:                             ;   in Loop: Header=BB46_11 Depth=1
	s_waitcnt lgkmcnt(6)
	global_store_short v[0:1], v15, off offset:128
	s_or_b64 exec, exec, s[18:19]
	s_and_saveexec_b64 s[18:19], s[22:23]
	s_cbranch_execz .LBB46_121
.LBB46_130:                             ;   in Loop: Header=BB46_11 Depth=1
	s_waitcnt lgkmcnt(5)
	global_store_short v[0:1], v7, off offset:256
	s_or_b64 exec, exec, s[18:19]
	s_and_saveexec_b64 s[18:19], s[24:25]
	s_cbranch_execz .LBB46_122
.LBB46_131:                             ;   in Loop: Header=BB46_11 Depth=1
	s_waitcnt lgkmcnt(4)
	global_store_short v[0:1], v6, off offset:384
	s_or_b64 exec, exec, s[18:19]
	s_and_saveexec_b64 s[18:19], s[26:27]
	s_cbranch_execz .LBB46_123
.LBB46_132:                             ;   in Loop: Header=BB46_11 Depth=1
	s_waitcnt lgkmcnt(3)
	global_store_short v[0:1], v5, off offset:512
	s_or_b64 exec, exec, s[18:19]
	s_and_saveexec_b64 s[18:19], s[28:29]
	s_cbranch_execz .LBB46_124
.LBB46_133:                             ;   in Loop: Header=BB46_11 Depth=1
	s_waitcnt lgkmcnt(2)
	global_store_short v[0:1], v4, off offset:640
	s_or_b64 exec, exec, s[18:19]
	s_and_saveexec_b64 s[18:19], s[30:31]
	s_cbranch_execz .LBB46_125
.LBB46_134:                             ;   in Loop: Header=BB46_11 Depth=1
	s_waitcnt lgkmcnt(1)
	global_store_short v[0:1], v3, off offset:768
	s_or_b64 exec, exec, s[18:19]
	s_and_saveexec_b64 s[18:19], s[34:35]
	s_cbranch_execz .LBB46_10
.LBB46_135:                             ;   in Loop: Header=BB46_11 Depth=1
	s_waitcnt lgkmcnt(0)
	global_store_short v[0:1], v2, off offset:896
	s_branch .LBB46_10
.LBB46_136:
	s_endpgm
.LBB46_137:
	s_mov_b64 s[68:69], 0
	s_load_dwordx2 s[4:5], s[0:1], 0x20
	s_cmp_eq_u64 s[6:7], 0
	s_cbranch_scc0 .LBB46_2
	s_branch .LBB46_3
	.section	.rodata,"a",@progbits
	.p2align	6, 0x0
	.amdhsa_kernel _Z25selective_scan_fwd_kernelI32Selective_Scan_fwd_kernel_traitsILi64ELi8ELi1ELb0ELb1ELb1ELb0ELb1EN3c108BFloat16EffEEv13SSMParamsBase
		.amdhsa_group_segment_fixed_size 0
		.amdhsa_private_segment_fixed_size 0
		.amdhsa_kernarg_size 248
		.amdhsa_user_sgpr_count 2
		.amdhsa_user_sgpr_dispatch_ptr 0
		.amdhsa_user_sgpr_queue_ptr 0
		.amdhsa_user_sgpr_kernarg_segment_ptr 1
		.amdhsa_user_sgpr_dispatch_id 0
		.amdhsa_user_sgpr_kernarg_preload_length 0
		.amdhsa_user_sgpr_kernarg_preload_offset 0
		.amdhsa_user_sgpr_private_segment_size 0
		.amdhsa_uses_dynamic_stack 0
		.amdhsa_enable_private_segment 0
		.amdhsa_system_sgpr_workgroup_id_x 1
		.amdhsa_system_sgpr_workgroup_id_y 1
		.amdhsa_system_sgpr_workgroup_id_z 0
		.amdhsa_system_sgpr_workgroup_info 0
		.amdhsa_system_vgpr_workitem_id 0
		.amdhsa_next_free_vgpr 96
		.amdhsa_next_free_sgpr 100
		.amdhsa_accum_offset 96
		.amdhsa_reserve_vcc 1
		.amdhsa_float_round_mode_32 0
		.amdhsa_float_round_mode_16_64 0
		.amdhsa_float_denorm_mode_32 3
		.amdhsa_float_denorm_mode_16_64 3
		.amdhsa_dx10_clamp 1
		.amdhsa_ieee_mode 1
		.amdhsa_fp16_overflow 0
		.amdhsa_tg_split 0
		.amdhsa_exception_fp_ieee_invalid_op 0
		.amdhsa_exception_fp_denorm_src 0
		.amdhsa_exception_fp_ieee_div_zero 0
		.amdhsa_exception_fp_ieee_overflow 0
		.amdhsa_exception_fp_ieee_underflow 0
		.amdhsa_exception_fp_ieee_inexact 0
		.amdhsa_exception_int_div_zero 0
	.end_amdhsa_kernel
	.section	.text._Z25selective_scan_fwd_kernelI32Selective_Scan_fwd_kernel_traitsILi64ELi8ELi1ELb0ELb1ELb1ELb0ELb1EN3c108BFloat16EffEEv13SSMParamsBase,"axG",@progbits,_Z25selective_scan_fwd_kernelI32Selective_Scan_fwd_kernel_traitsILi64ELi8ELi1ELb0ELb1ELb1ELb0ELb1EN3c108BFloat16EffEEv13SSMParamsBase,comdat
.Lfunc_end46:
	.size	_Z25selective_scan_fwd_kernelI32Selective_Scan_fwd_kernel_traitsILi64ELi8ELi1ELb0ELb1ELb1ELb0ELb1EN3c108BFloat16EffEEv13SSMParamsBase, .Lfunc_end46-_Z25selective_scan_fwd_kernelI32Selective_Scan_fwd_kernel_traitsILi64ELi8ELi1ELb0ELb1ELb1ELb0ELb1EN3c108BFloat16EffEEv13SSMParamsBase
                                        ; -- End function
	.section	.AMDGPU.csdata,"",@progbits
; Kernel info:
; codeLenInByte = 10472
; NumSgprs: 106
; NumVgprs: 96
; NumAgprs: 0
; TotalNumVgprs: 96
; ScratchSize: 0
; MemoryBound: 0
; FloatMode: 240
; IeeeMode: 1
; LDSByteSize: 0 bytes/workgroup (compile time only)
; SGPRBlocks: 13
; VGPRBlocks: 11
; NumSGPRsForWavesPerEU: 106
; NumVGPRsForWavesPerEU: 96
; AccumOffset: 96
; Occupancy: 5
; WaveLimiterHint : 1
; COMPUTE_PGM_RSRC2:SCRATCH_EN: 0
; COMPUTE_PGM_RSRC2:USER_SGPR: 2
; COMPUTE_PGM_RSRC2:TRAP_HANDLER: 0
; COMPUTE_PGM_RSRC2:TGID_X_EN: 1
; COMPUTE_PGM_RSRC2:TGID_Y_EN: 1
; COMPUTE_PGM_RSRC2:TGID_Z_EN: 0
; COMPUTE_PGM_RSRC2:TIDIG_COMP_CNT: 0
; COMPUTE_PGM_RSRC3_GFX90A:ACCUM_OFFSET: 23
; COMPUTE_PGM_RSRC3_GFX90A:TG_SPLIT: 0
	.section	.text._Z25selective_scan_fwd_kernelI32Selective_Scan_fwd_kernel_traitsILi64ELi8ELi1ELb0ELb1ELb1ELb0ELb0EN3c108BFloat16EffEEv13SSMParamsBase,"axG",@progbits,_Z25selective_scan_fwd_kernelI32Selective_Scan_fwd_kernel_traitsILi64ELi8ELi1ELb0ELb1ELb1ELb0ELb0EN3c108BFloat16EffEEv13SSMParamsBase,comdat
	.protected	_Z25selective_scan_fwd_kernelI32Selective_Scan_fwd_kernel_traitsILi64ELi8ELi1ELb0ELb1ELb1ELb0ELb0EN3c108BFloat16EffEEv13SSMParamsBase ; -- Begin function _Z25selective_scan_fwd_kernelI32Selective_Scan_fwd_kernel_traitsILi64ELi8ELi1ELb0ELb1ELb1ELb0ELb0EN3c108BFloat16EffEEv13SSMParamsBase
	.globl	_Z25selective_scan_fwd_kernelI32Selective_Scan_fwd_kernel_traitsILi64ELi8ELi1ELb0ELb1ELb1ELb0ELb0EN3c108BFloat16EffEEv13SSMParamsBase
	.p2align	8
	.type	_Z25selective_scan_fwd_kernelI32Selective_Scan_fwd_kernel_traitsILi64ELi8ELi1ELb0ELb1ELb1ELb0ELb0EN3c108BFloat16EffEEv13SSMParamsBase,@function
_Z25selective_scan_fwd_kernelI32Selective_Scan_fwd_kernel_traitsILi64ELi8ELi1ELb0ELb1ELb1ELb0ELb0EN3c108BFloat16EffEEv13SSMParamsBase: ; @_Z25selective_scan_fwd_kernelI32Selective_Scan_fwd_kernel_traitsILi64ELi8ELi1ELb0ELb1ELb1ELb0ELb0EN3c108BFloat16EffEEv13SSMParamsBase
; %bb.0:
	s_load_dword s27, s[0:1], 0x18
	s_load_dwordx4 s[4:7], s[0:1], 0xe8
	s_mov_b32 s20, s3
	s_waitcnt lgkmcnt(0)
	s_abs_i32 s26, s27
	v_cvt_f32_u32_e32 v1, s26
	s_cmp_eq_u64 s[6:7], 0
	v_rcp_iflag_f32_e32 v1, v1
	s_nop 0
	v_mul_f32_e32 v1, 0x4f7ffffe, v1
	v_cvt_u32_f32_e32 v1, v1
	s_nop 0
	v_readfirstlane_b32 s22, v1
	s_cbranch_scc1 .LBB47_3
; %bb.1:
	s_ashr_i32 s3, s2, 31
	s_add_u32 s6, s6, s2
	s_addc_u32 s7, s7, s3
	v_mov_b32_e32 v1, 0
	global_load_ubyte v1, v1, s[6:7]
	s_waitcnt vmcnt(0)
	v_and_b32_e32 v1, 1, v1
	v_cmp_eq_u32_e64 s[68:69], 1, v1
	s_load_dwordx2 s[6:7], s[0:1], 0x20
	s_cmp_eq_u64 s[4:5], 0
	s_cbranch_scc1 .LBB47_4
.LBB47_2:
	s_ashr_i32 s3, s2, 31
	s_lshl_b64 s[8:9], s[2:3], 2
	s_add_u32 s4, s4, s8
	s_addc_u32 s5, s5, s9
	s_load_dword s24, s[4:5], 0x0
	s_waitcnt lgkmcnt(0)
	s_ashr_i32 s25, s24, 31
	s_cmp_eq_u64 s[6:7], s[24:25]
	s_cbranch_scc0 .LBB47_5
	s_branch .LBB47_137
.LBB47_3:
	s_mov_b64 s[68:69], 0
	s_load_dwordx2 s[6:7], s[0:1], 0x20
	s_cmp_eq_u64 s[4:5], 0
	s_cbranch_scc0 .LBB47_2
.LBB47_4:
	s_mov_b32 s24, s2
	s_ashr_i32 s25, s24, 31
	s_waitcnt lgkmcnt(0)
	s_cmp_eq_u64 s[6:7], s[24:25]
	s_cbranch_scc1 .LBB47_137
.LBB47_5:
	s_load_dwordx16 s[4:19], s[0:1], 0x88
	s_load_dwordx2 s[30:31], s[0:1], 0x8
	s_mov_b32 s33, 0
	s_mov_b32 s96, 0
	s_waitcnt lgkmcnt(0)
	s_cmp_eq_u64 s[10:11], 0
	s_cbranch_scc1 .LBB47_7
; %bb.6:
	s_ashr_i32 s21, s20, 31
	s_lshl_b64 s[28:29], s[20:21], 2
	s_add_u32 s10, s10, s28
	s_addc_u32 s11, s11, s29
	s_load_dword s96, s[10:11], 0x0
.LBB47_7:
	s_cmp_eq_u64 s[16:17], 0
	s_cbranch_scc1 .LBB47_9
; %bb.8:
	s_ashr_i32 s21, s20, 31
	s_lshl_b64 s[10:11], s[20:21], 2
	s_add_u32 s10, s16, s10
	s_addc_u32 s11, s17, s11
	s_load_dword s33, s[10:11], 0x0
.LBB47_9:
	s_cmp_lt_i32 s30, 1
	s_cbranch_scc1 .LBB47_137
; %bb.10:
	s_sub_i32 s3, 0, s26
	s_mul_i32 s3, s3, s22
	s_mul_hi_u32 s3, s22, s3
	s_abs_i32 s21, s20
	s_add_i32 s3, s22, s3
	s_load_dwordx8 s[56:63], s[0:1], 0x2c
	s_load_dwordx2 s[10:11], s[0:1], 0x5c
	s_load_dwordx4 s[64:67], s[0:1], 0x4c
	s_load_dwordx4 s[52:55], s[0:1], 0x7c
	s_load_dwordx2 s[22:23], s[0:1], 0x6c
	s_load_dwordx2 s[16:17], s[0:1], 0xc8
	s_mul_hi_u32 s3, s21, s3
	s_load_dword s25, s[0:1], 0x28
	s_ashr_i32 s0, s20, 31
	s_ashr_i32 s1, s27, 31
	s_xor_b32 s0, s0, s1
	s_mul_i32 s1, s3, s26
	s_sub_i32 s1, s21, s1
	s_add_i32 s21, s3, 1
	s_sub_i32 s27, s1, s26
	s_cmp_ge_u32 s1, s26
	s_cselect_b32 s3, s21, s3
	s_cselect_b32 s1, s27, s1
	s_add_i32 s21, s3, 1
	s_cmp_ge_u32 s1, s26
	s_cselect_b32 s1, s21, s3
	s_xor_b32 s1, s1, s0
	s_waitcnt lgkmcnt(0)
	s_mul_i32 s72, s66, s2
	s_mov_b32 s73, 0
	s_sub_i32 s3, s1, s0
	s_lshl_b64 s[0:1], s[72:73], 1
	s_add_u32 s12, s12, s0
	s_mul_i32 s72, s67, s20
	s_addc_u32 s13, s13, s1
	s_lshl_b64 s[0:1], s[72:73], 1
	s_add_u32 s66, s12, s0
	s_mul_i32 s72, s10, s2
	s_addc_u32 s67, s13, s1
	;; [unrolled: 4-line block ×10, first 2 shown]
	s_lshl_b64 s[0:1], s[72:73], 2
	s_add_u32 s61, s3, s0
	v_mbcnt_lo_u32_b32 v1, -1, 0
	s_addc_u32 s65, s4, s1
	s_add_i32 s0, s30, 0x7ff
	v_mbcnt_hi_u32_b32 v10, -1, v1
	s_lshr_b32 s3, s0, 11
	v_lshrrev_b32_e32 v1, 5, v10
	v_and_b32_e32 v1, 2, v1
	s_bitcmp1_b32 s25, 0
	v_add_u32_e32 v36, 64, v10
	v_or_b32_e32 v37, 0x80, v10
	v_add_u32_e32 v38, 0xc0, v10
	v_or_b32_e32 v39, 0x100, v10
	;; [unrolled: 2-line block ×3, first 2 shown]
	v_add_u32_e32 v42, 0x1c0, v10
	v_add_u32_e32 v1, v1, v10
	s_cselect_b64 s[76:77], -1, 0
	s_cmp_gt_i32 s31, 0
	v_lshl_add_u32 v43, v1, 1, 0
	v_lshrrev_b32_e32 v1, 5, v36
	v_lshrrev_b32_e32 v2, 5, v37
	;; [unrolled: 1-line block ×7, first 2 shown]
	s_cselect_b64 s[0:1], -1, 0
                                        ; implicit-def: $vgpr95 : SGPR spill to VGPR lane
	v_and_b32_e32 v1, 6, v1
	v_and_b32_e32 v2, 6, v2
	;; [unrolled: 1-line block ×7, first 2 shown]
	v_writelane_b32 v95, s0, 0
	v_add_lshl_u32 v1, v1, v10, 1
	v_add_lshl_u32 v2, v2, v10, 1
	v_add_lshl_u32 v3, v3, v10, 1
	v_add_lshl_u32 v4, v4, v10, 1
	v_add_lshl_u32 v5, v5, v10, 1
	v_add_lshl_u32 v6, v6, v10, 1
	v_add_lshl_u32 v7, v7, v10, 1
	v_writelane_b32 v95, s1, 1
	s_add_i32 s0, 0, 0x420
	v_add_u32_e32 v52, s0, v1
	v_add_u32_e32 v53, s0, v2
	;; [unrolled: 1-line block ×7, first 2 shown]
	v_writelane_b32 v95, s30, 2
	s_and_b32 s0, s30, 0x1ff
	s_cmp_eq_u32 s0, 0
	v_writelane_b32 v95, s31, 3
	s_cselect_b64 s[80:81], -1, 0
	v_writelane_b32 v95, s3, 4
	s_add_i32 s3, s3, -1
	s_mul_i32 s72, s22, s2
	v_writelane_b32 v95, s3, 5
	s_lshl_b64 s[2:3], s[72:73], 1
	v_add_u32_e32 v44, 0, v1
	v_lshrrev_b32_e32 v8, 2, v10
	v_and_b32_e32 v1, 15, v10
	s_add_u32 s18, s18, s2
	s_mul_i32 s72, s23, s20
	v_and_b32_e32 v8, 30, v8
	v_cmp_ne_u32_e64 s[0:1], 0, v1
	v_cmp_lt_u32_e64 s[52:53], 1, v1
	v_cmp_lt_u32_e64 s[4:5], 3, v1
	;; [unrolled: 1-line block ×3, first 2 shown]
	v_and_b32_e32 v1, 16, v10
	s_addc_u32 s19, s19, s3
	s_lshl_b64 s[2:3], s[72:73], 1
	v_add_u32_e32 v45, 0, v2
	v_lshl_add_u32 v8, v10, 3, v8
	v_cmp_ne_u32_e64 s[8:9], 0, v1
	v_add_u32_e32 v1, -1, v10
	v_and_b32_e32 v2, 64, v10
	s_add_u32 s2, s18, s2
	v_mov_b32_e32 v9, 0
	v_lshl_add_u32 v51, v8, 1, 0
	v_cmp_lt_i32_e32 vcc, v1, v2
	s_addc_u32 s3, s19, s3
	v_lshlrev_b32_e32 v8, 1, v10
	v_lshlrev_b32_e32 v11, 3, v0
	v_cndmask_b32_e32 v1, v1, v10, vcc
	v_lshl_add_u64 v[12:13], s[2:3], 0, v[8:9]
	s_add_i32 s2, 0, 0x848
	v_add_u32_e32 v46, 0, v3
	v_add_u32_e32 v47, 0, v4
	v_add_u32_e32 v48, 0, v5
	v_add_u32_e32 v49, 0, v6
	v_add_u32_e32 v50, 0, v7
	v_cmp_lt_u32_e64 s[10:11], 31, v10
	v_cmp_eq_u32_e64 s[12:13], 63, v0
	v_lshlrev_b32_e32 v59, 2, v1
	v_cmp_gt_u32_e64 s[14:15], 64, v0
	v_cmp_eq_u32_e64 s[16:17], 0, v0
	v_or_b32_e32 v63, 4, v11
	v_or_b32_e32 v64, 5, v11
	;; [unrolled: 1-line block ×4, first 2 shown]
	v_lshlrev_b32_e32 v8, 1, v10
	s_mov_b32 s99, 0x41a00000
	s_mov_b32 s38, 0x3fb8aa3b
	;; [unrolled: 1-line block ×6, first 2 shown]
	v_mov_b32_e32 v67, 0x3ecc95a3
	s_mov_b32 s43, 0x3f317218
	s_mov_b32 s98, 0x33800000
	v_writelane_b32 v95, s2, 6
	s_mov_b32 s70, 0xc2fc0000
	s_movk_i32 s71, 0x7fff
	s_mov_b32 s78, 0x5040100
	v_mov_b32_e32 v68, 0x7f800000
	v_mov_b32_e32 v14, 0x3f317218
	;; [unrolled: 1-line block ×5, first 2 shown]
	s_mov_b32 s79, 0
                                        ; implicit-def: $vgpr0
	s_branch .LBB47_12
.LBB47_11:                              ;   in Loop: Header=BB47_12 Depth=1
	s_or_b64 exec, exec, s[2:3]
	s_add_u32 s74, s74, 0x400
	s_addc_u32 s75, s75, 0
	s_add_u32 s66, s66, 0x400
	s_addc_u32 s67, s67, 0
	;; [unrolled: 2-line block ×4, first 2 shown]
	s_add_i32 s79, s79, 1
	v_readlane_b32 s2, v95, 4
	s_cmp_eq_u32 s79, s2
	s_cbranch_scc1 .LBB47_137
.LBB47_12:                              ; =>This Loop Header: Depth=1
                                        ;     Child Loop BB47_61 Depth 2
	s_lshl_b32 s82, s79, 9
	v_readlane_b32 s2, v95, 2
	s_sub_i32 s50, s2, s82
	v_readlane_b32 s3, v95, 3
	v_lshl_add_u64 v[0:1], s[66:67], 0, v[8:9]
	v_cmp_gt_u32_e64 s[18:19], s50, v10
	s_waitcnt lgkmcnt(0)
	v_mov_b32_e32 v2, 0
	s_waitcnt lgkmcnt(0)
	; wave barrier
	s_and_saveexec_b64 s[2:3], s[18:19]
	s_cbranch_execz .LBB47_14
; %bb.13:                               ;   in Loop: Header=BB47_12 Depth=1
	global_load_ushort v2, v[0:1], off
.LBB47_14:                              ;   in Loop: Header=BB47_12 Depth=1
	s_or_b64 exec, exec, s[2:3]
	v_cmp_gt_u32_e64 s[20:21], s50, v36
	v_mov_b32_e32 v3, 0
	v_mov_b32_e32 v4, 0
	s_and_saveexec_b64 s[2:3], s[20:21]
	s_cbranch_execz .LBB47_16
; %bb.15:                               ;   in Loop: Header=BB47_12 Depth=1
	global_load_ushort v4, v[0:1], off offset:128
.LBB47_16:                              ;   in Loop: Header=BB47_12 Depth=1
	s_or_b64 exec, exec, s[2:3]
	v_cmp_gt_u32_e64 s[22:23], s50, v37
	s_and_saveexec_b64 s[2:3], s[22:23]
	s_cbranch_execz .LBB47_18
; %bb.17:                               ;   in Loop: Header=BB47_12 Depth=1
	global_load_ushort v3, v[0:1], off offset:256
.LBB47_18:                              ;   in Loop: Header=BB47_12 Depth=1
	s_or_b64 exec, exec, s[2:3]
	v_cmp_gt_u32_e64 s[24:25], s50, v38
	v_mov_b32_e32 v5, 0
	v_mov_b32_e32 v7, 0
	s_and_saveexec_b64 s[2:3], s[24:25]
	s_cbranch_execz .LBB47_20
; %bb.19:                               ;   in Loop: Header=BB47_12 Depth=1
	global_load_ushort v7, v[0:1], off offset:384
.LBB47_20:                              ;   in Loop: Header=BB47_12 Depth=1
	s_or_b64 exec, exec, s[2:3]
	v_cmp_gt_u32_e64 s[26:27], s50, v39
	s_and_saveexec_b64 s[2:3], s[26:27]
	s_cbranch_execz .LBB47_22
; %bb.21:                               ;   in Loop: Header=BB47_12 Depth=1
	global_load_ushort v5, v[0:1], off offset:512
.LBB47_22:                              ;   in Loop: Header=BB47_12 Depth=1
	;; [unrolled: 16-line block ×3, first 2 shown]
	s_or_b64 exec, exec, s[2:3]
	v_cmp_gt_u32_e64 s[34:35], s50, v42
	v_mov_b32_e32 v6, 0
	v_mov_b32_e32 v17, 0
	s_and_saveexec_b64 s[2:3], s[34:35]
	s_cbranch_execz .LBB47_28
; %bb.27:                               ;   in Loop: Header=BB47_12 Depth=1
	global_load_ushort v17, v[0:1], off offset:896
.LBB47_28:                              ;   in Loop: Header=BB47_12 Depth=1
	s_or_b64 exec, exec, s[2:3]
	s_waitcnt vmcnt(0)
	ds_write_b16 v43, v2
	ds_write_b16 v44, v4 offset:128
	ds_write_b16 v45, v3 offset:256
	;; [unrolled: 1-line block ×7, first 2 shown]
	; wave barrier
	ds_read_b128 v[0:3], v51
	v_lshl_add_u64 v[4:5], s[74:75], 0, v[8:9]
	s_waitcnt lgkmcnt(0)
	; wave barrier
	s_waitcnt lgkmcnt(0)
	s_and_saveexec_b64 s[2:3], s[18:19]
	s_cbranch_execz .LBB47_30
; %bb.29:                               ;   in Loop: Header=BB47_12 Depth=1
	global_load_ushort v6, v[4:5], off
.LBB47_30:                              ;   in Loop: Header=BB47_12 Depth=1
	s_or_b64 exec, exec, s[2:3]
	v_mov_b32_e32 v7, 0
	v_mov_b32_e32 v15, 0
	s_and_saveexec_b64 s[2:3], s[20:21]
	s_cbranch_execz .LBB47_32
; %bb.31:                               ;   in Loop: Header=BB47_12 Depth=1
	global_load_ushort v15, v[4:5], off offset:128
.LBB47_32:                              ;   in Loop: Header=BB47_12 Depth=1
	s_or_b64 exec, exec, s[2:3]
	s_and_saveexec_b64 s[2:3], s[22:23]
	s_cbranch_execz .LBB47_34
; %bb.33:                               ;   in Loop: Header=BB47_12 Depth=1
	global_load_ushort v7, v[4:5], off offset:256
.LBB47_34:                              ;   in Loop: Header=BB47_12 Depth=1
	s_or_b64 exec, exec, s[2:3]
	v_mov_b32_e32 v16, 0
	v_mov_b32_e32 v17, 0
	s_and_saveexec_b64 s[2:3], s[24:25]
	s_cbranch_execz .LBB47_36
; %bb.35:                               ;   in Loop: Header=BB47_12 Depth=1
	global_load_ushort v17, v[4:5], off offset:384
.LBB47_36:                              ;   in Loop: Header=BB47_12 Depth=1
	s_or_b64 exec, exec, s[2:3]
	s_and_saveexec_b64 s[2:3], s[26:27]
	s_cbranch_execz .LBB47_38
; %bb.37:                               ;   in Loop: Header=BB47_12 Depth=1
	global_load_ushort v16, v[4:5], off offset:512
.LBB47_38:                              ;   in Loop: Header=BB47_12 Depth=1
	s_or_b64 exec, exec, s[2:3]
	v_mov_b32_e32 v18, 0
	v_mov_b32_e32 v19, 0
	s_and_saveexec_b64 s[2:3], s[28:29]
	s_cbranch_execnz .LBB47_127
; %bb.39:                               ;   in Loop: Header=BB47_12 Depth=1
	s_or_b64 exec, exec, s[2:3]
	s_and_saveexec_b64 s[2:3], s[30:31]
	s_cbranch_execnz .LBB47_128
.LBB47_40:                              ;   in Loop: Header=BB47_12 Depth=1
	s_or_b64 exec, exec, s[2:3]
	v_mov_b32_e32 v20, 0
	s_and_saveexec_b64 s[2:3], s[34:35]
	s_cbranch_execz .LBB47_42
.LBB47_41:                              ;   in Loop: Header=BB47_12 Depth=1
	global_load_ushort v20, v[4:5], off offset:896
.LBB47_42:                              ;   in Loop: Header=BB47_12 Depth=1
	s_or_b64 exec, exec, s[2:3]
	s_waitcnt vmcnt(0)
	ds_write_b16 v43, v6
	ds_write_b16 v44, v15 offset:128
	ds_write_b16 v45, v7 offset:256
	;; [unrolled: 1-line block ×7, first 2 shown]
	; wave barrier
	ds_read_b128 v[4:7], v51
	s_waitcnt lgkmcnt(0)
	v_lshlrev_b32_e32 v15, 16, v4
	v_add_f32_e32 v72, s33, v15
	v_cmp_ge_f32_e32 vcc, s99, v72
	s_and_b64 s[2:3], s[76:77], vcc
	s_and_saveexec_b64 s[36:37], s[2:3]
	s_cbranch_execz .LBB47_44
; %bb.43:                               ;   in Loop: Header=BB47_12 Depth=1
	v_mul_f32_e32 v15, 0x3fb8aa3b, v72
	v_rndne_f32_e32 v16, v15
	v_sub_f32_e32 v17, v15, v16
	v_fma_f32 v15, v72, s38, -v15
	v_fmac_f32_e32 v15, 0x32a5705f, v72
	v_add_f32_e32 v15, v17, v15
	v_cvt_i32_f32_e32 v16, v16
	v_exp_f32_e32 v15, v15
	v_cmp_ngt_f32_e32 vcc, s39, v72
	v_ldexp_f32 v15, v15, v16
	s_nop 0
	v_cndmask_b32_e32 v15, 0, v15, vcc
	v_cmp_nlt_f32_e32 vcc, s40, v72
	s_nop 1
	v_cndmask_b32_e32 v32, v68, v15, vcc
	v_add_f32_e32 v15, 1.0, v32
	v_add_f32_e32 v16, -1.0, v15
	v_sub_f32_e32 v17, v16, v15
	v_add_f32_e32 v17, 1.0, v17
	v_sub_f32_e32 v16, v32, v16
	v_add_f32_e32 v18, v16, v17
	v_frexp_mant_f32_e32 v19, v15
	v_cvt_f64_f32_e32 v[16:17], v15
	v_frexp_exp_i32_f64_e32 v16, v[16:17]
	v_cmp_gt_f32_e32 vcc, s42, v19
	v_cmp_gt_f32_e64 s[2:3], s98, v32
	s_nop 0
	v_subbrev_co_u32_e32 v24, vcc, 0, v16, vcc
	v_sub_u32_e32 v16, 0, v24
	v_ldexp_f32 v15, v15, v16
	v_ldexp_f32 v16, v18, v16
	v_add_f32_e32 v18, -1.0, v15
	v_add_f32_e32 v17, 1.0, v18
	v_sub_f32_e32 v17, v15, v17
	v_add_f32_e32 v19, v16, v17
	v_add_f32_e32 v17, 1.0, v15
	v_add_f32_e32 v20, -1.0, v17
	v_sub_f32_e32 v15, v15, v20
	v_add_f32_e32 v15, v16, v15
	v_add_f32_e32 v25, v17, v15
	v_rcp_f32_e32 v26, v25
	v_sub_f32_e32 v16, v17, v25
	v_add_f32_e32 v17, v18, v19
	v_add_f32_e32 v15, v15, v16
	v_mul_f32_e32 v28, v17, v26
	v_sub_f32_e32 v16, v18, v17
	v_mul_f32_e32 v18, v25, v28
	v_fma_f32 v20, v28, v25, -v18
	v_fmac_f32_e32 v20, v28, v15
	v_add_f32_e32 v27, v19, v16
	v_add_f32_e32 v16, v18, v20
	v_sub_f32_e32 v19, v17, v16
	v_pk_add_f32 v[22:23], v[16:17], v[18:19] neg_lo:[0,1] neg_hi:[0,1]
	v_mov_b32_e32 v21, v16
	v_pk_add_f32 v[16:17], v[22:23], v[20:21] neg_lo:[0,1] neg_hi:[0,1]
	v_cmp_eq_f32_e32 vcc, s41, v32
	v_add_f32_e32 v17, v27, v17
	v_add_f32_e32 v16, v16, v17
	;; [unrolled: 1-line block ×3, first 2 shown]
	v_mul_f32_e32 v27, v26, v17
	v_mul_f32_e32 v18, v25, v27
	v_fma_f32 v20, v27, v25, -v18
	v_fmac_f32_e32 v20, v27, v15
	v_sub_f32_e32 v15, v19, v17
	v_add_f32_e32 v15, v16, v15
	v_add_f32_e32 v16, v18, v20
	v_sub_f32_e32 v19, v17, v16
	v_pk_add_f32 v[22:23], v[16:17], v[18:19] neg_lo:[0,1] neg_hi:[0,1]
	v_mov_b32_e32 v21, v16
	v_pk_add_f32 v[16:17], v[22:23], v[20:21] neg_lo:[0,1] neg_hi:[0,1]
	s_or_b64 vcc, s[2:3], vcc
	v_add_f32_e32 v15, v15, v17
	v_add_f32_e32 v15, v16, v15
	;; [unrolled: 1-line block ×4, first 2 shown]
	v_sub_f32_e32 v16, v17, v28
	v_mul_f32_e32 v15, v26, v15
	v_sub_f32_e32 v16, v27, v16
	v_add_f32_e32 v18, v16, v15
	v_add_f32_e32 v20, v17, v18
	v_cvt_f32_i32_e32 v16, v24
	v_mul_f32_e32 v21, v20, v20
	v_sub_f32_e32 v17, v20, v17
	v_fmamk_f32 v15, v21, 0x3e9b6dac, v67
	v_sub_f32_e32 v17, v18, v17
	v_fmaak_f32 v15, v21, v15, 0x3f2aaada
	v_ldexp_f32 v22, v17, 1
	v_mul_f32_e32 v17, v20, v21
	v_ldexp_f32 v19, v20, 1
	v_pk_mul_f32 v[20:21], v[16:17], v[14:15]
	s_nop 0
	v_fma_f32 v18, v16, s43, -v20
	v_fmac_f32_e32 v18, 0xb102e308, v16
	v_pk_add_f32 v[16:17], v[20:21], v[18:19]
	s_nop 0
	v_sub_f32_e32 v15, v17, v19
	v_sub_f32_e32 v15, v21, v15
	v_add_f32_e32 v23, v22, v15
	v_mov_b32_e32 v22, v20
	v_pk_add_f32 v[20:21], v[16:17], v[20:21] neg_lo:[0,1] neg_hi:[0,1]
	v_pk_add_f32 v[24:25], v[16:17], v[22:23]
	v_mov_b32_e32 v19, v16
	v_mov_b32_e32 v21, v25
	v_pk_add_f32 v[26:27], v[18:19], v[20:21] neg_lo:[0,1] neg_hi:[0,1]
	v_pk_add_f32 v[18:19], v[18:19], v[20:21]
	v_mov_b32_e32 v22, v23
	v_mov_b32_e32 v20, v19
	v_pk_add_f32 v[28:29], v[20:21], v[16:17] neg_lo:[0,1] neg_hi:[0,1]
	v_mov_b32_e32 v18, v25
	v_mov_b32_e32 v15, v28
	v_pk_add_f32 v[30:31], v[24:25], v[14:15] neg_lo:[0,1] neg_hi:[0,1]
	v_mov_b32_e32 v24, v17
	v_mov_b32_e32 v25, v28
	;; [unrolled: 1-line block ×3, first 2 shown]
	v_pk_add_f32 v[18:19], v[18:19], v[24:25] neg_lo:[0,1] neg_hi:[0,1]
	v_mov_b32_e32 v23, v16
	v_pk_add_f32 v[16:17], v[22:23], v[18:19] neg_lo:[0,1] neg_hi:[0,1]
	v_mov_b32_e32 v30, v26
	v_pk_add_f32 v[18:19], v[30:31], v[16:17]
	s_nop 0
	v_mov_b32_e32 v22, v19
	v_pk_add_f32 v[22:23], v[18:19], v[22:23]
	s_nop 0
	v_pk_add_f32 v[20:21], v[20:21], v[22:23]
	v_mov_b32_e32 v17, v22
	v_mov_b32_e32 v19, v20
	v_pk_add_f32 v[24:25], v[18:19], v[26:27] neg_lo:[0,1] neg_hi:[0,1]
	s_nop 0
	v_sub_f32_e32 v15, v18, v24
	v_pk_add_f32 v[16:17], v[16:17], v[24:25] neg_lo:[0,1] neg_hi:[0,1]
	v_sub_f32_e32 v15, v26, v15
	v_add_f32_e32 v15, v16, v15
	v_add_f32_e32 v15, v15, v17
	;; [unrolled: 1-line block ×3, first 2 shown]
	v_cndmask_b32_e32 v72, v15, v32, vcc
.LBB47_44:                              ;   in Loop: Header=BB47_12 Depth=1
	s_or_b64 exec, exec, s[36:37]
	v_and_b32_e32 v4, 0xffff0000, v4
	v_add_f32_e32 v73, s33, v4
	v_cmp_ge_f32_e32 vcc, s99, v73
	s_and_b64 s[2:3], s[76:77], vcc
	s_and_saveexec_b64 s[36:37], s[2:3]
	s_cbranch_execz .LBB47_46
; %bb.45:                               ;   in Loop: Header=BB47_12 Depth=1
	v_mul_f32_e32 v4, 0x3fb8aa3b, v73
	v_rndne_f32_e32 v15, v4
	v_sub_f32_e32 v16, v4, v15
	v_fma_f32 v4, v73, s38, -v4
	v_fmac_f32_e32 v4, 0x32a5705f, v73
	v_add_f32_e32 v4, v16, v4
	v_cvt_i32_f32_e32 v15, v15
	v_exp_f32_e32 v4, v4
	v_cmp_ngt_f32_e32 vcc, s39, v73
	v_ldexp_f32 v4, v4, v15
	s_nop 0
	v_cndmask_b32_e32 v4, 0, v4, vcc
	v_cmp_nlt_f32_e32 vcc, s40, v73
	s_nop 1
	v_cndmask_b32_e32 v30, v68, v4, vcc
	v_add_f32_e32 v4, 1.0, v30
	v_add_f32_e32 v15, -1.0, v4
	v_sub_f32_e32 v16, v15, v4
	v_add_f32_e32 v16, 1.0, v16
	v_sub_f32_e32 v15, v30, v15
	v_add_f32_e32 v15, v15, v16
	v_frexp_mant_f32_e32 v18, v4
	v_cvt_f64_f32_e32 v[16:17], v4
	v_frexp_exp_i32_f64_e32 v16, v[16:17]
	v_cmp_gt_f32_e32 vcc, s42, v18
	v_cmp_gt_f32_e64 s[2:3], s98, v30
	s_nop 0
	v_subbrev_co_u32_e32 v24, vcc, 0, v16, vcc
	v_sub_u32_e32 v16, 0, v24
	v_ldexp_f32 v4, v4, v16
	v_ldexp_f32 v15, v15, v16
	v_add_f32_e32 v16, -1.0, v4
	v_add_f32_e32 v17, 1.0, v16
	v_sub_f32_e32 v17, v4, v17
	v_add_f32_e32 v18, v15, v17
	v_add_f32_e32 v17, 1.0, v4
	v_add_f32_e32 v19, -1.0, v17
	v_sub_f32_e32 v4, v4, v19
	v_add_f32_e32 v4, v15, v4
	v_add_f32_e32 v15, v17, v4
	v_rcp_f32_e32 v25, v15
	v_sub_f32_e32 v17, v17, v15
	v_add_f32_e32 v4, v4, v17
	v_add_f32_e32 v17, v16, v18
	v_sub_f32_e32 v16, v16, v17
	v_mul_f32_e32 v27, v17, v25
	v_add_f32_e32 v26, v18, v16
	v_mul_f32_e32 v18, v15, v27
	v_fma_f32 v20, v27, v15, -v18
	v_fmac_f32_e32 v20, v27, v4
	v_add_f32_e32 v16, v18, v20
	v_sub_f32_e32 v19, v17, v16
	v_pk_add_f32 v[22:23], v[16:17], v[18:19] neg_lo:[0,1] neg_hi:[0,1]
	v_mov_b32_e32 v21, v16
	v_pk_add_f32 v[16:17], v[22:23], v[20:21] neg_lo:[0,1] neg_hi:[0,1]
	v_cmp_eq_f32_e32 vcc, s41, v30
	v_add_f32_e32 v17, v26, v17
	v_add_f32_e32 v16, v16, v17
	;; [unrolled: 1-line block ×3, first 2 shown]
	v_mul_f32_e32 v26, v25, v17
	v_mul_f32_e32 v18, v15, v26
	v_fma_f32 v20, v26, v15, -v18
	v_fmac_f32_e32 v20, v26, v4
	v_sub_f32_e32 v4, v19, v17
	v_add_f32_e32 v4, v16, v4
	v_add_f32_e32 v16, v18, v20
	v_sub_f32_e32 v19, v17, v16
	v_pk_add_f32 v[22:23], v[16:17], v[18:19] neg_lo:[0,1] neg_hi:[0,1]
	v_mov_b32_e32 v21, v16
	v_pk_add_f32 v[16:17], v[22:23], v[20:21] neg_lo:[0,1] neg_hi:[0,1]
	s_or_b64 vcc, s[2:3], vcc
	v_add_f32_e32 v4, v4, v17
	v_add_f32_e32 v4, v16, v4
	;; [unrolled: 1-line block ×4, first 2 shown]
	v_sub_f32_e32 v15, v17, v27
	v_mul_f32_e32 v4, v25, v4
	v_sub_f32_e32 v15, v26, v15
	v_add_f32_e32 v4, v15, v4
	v_add_f32_e32 v18, v17, v4
	v_cvt_f32_i32_e32 v16, v24
	v_mul_f32_e32 v20, v18, v18
	v_fmamk_f32 v15, v20, 0x3e9b6dac, v67
	v_sub_f32_e32 v17, v18, v17
	v_fmaak_f32 v15, v20, v15, 0x3f2aaada
	v_sub_f32_e32 v4, v4, v17
	v_mul_f32_e32 v17, v18, v20
	v_pk_mul_f32 v[20:21], v[16:17], v[14:15]
	v_ldexp_f32 v19, v18, 1
	v_fma_f32 v18, v16, s43, -v20
	v_fmac_f32_e32 v18, 0xb102e308, v16
	v_pk_add_f32 v[16:17], v[20:21], v[18:19]
	v_ldexp_f32 v4, v4, 1
	v_sub_f32_e32 v15, v17, v19
	v_sub_f32_e32 v15, v21, v15
	v_add_f32_e32 v23, v4, v15
	v_mov_b32_e32 v22, v20
	v_pk_add_f32 v[20:21], v[16:17], v[20:21] neg_lo:[0,1] neg_hi:[0,1]
	v_pk_add_f32 v[24:25], v[16:17], v[22:23]
	v_mov_b32_e32 v19, v16
	v_mov_b32_e32 v21, v25
	v_pk_add_f32 v[26:27], v[18:19], v[20:21] neg_lo:[0,1] neg_hi:[0,1]
	v_pk_add_f32 v[18:19], v[18:19], v[20:21]
	s_nop 0
	v_mov_b32_e32 v4, v19
	v_pk_add_f32 v[20:21], v[4:5], v[16:17] neg_lo:[0,1] neg_hi:[0,1]
	v_mov_b32_e32 v18, v25
	v_mov_b32_e32 v15, v20
	v_pk_add_f32 v[28:29], v[24:25], v[14:15] neg_lo:[0,1] neg_hi:[0,1]
	v_mov_b32_e32 v24, v17
	v_mov_b32_e32 v25, v20
	;; [unrolled: 1-line block ×3, first 2 shown]
	v_pk_add_f32 v[18:19], v[18:19], v[24:25] neg_lo:[0,1] neg_hi:[0,1]
	v_mov_b32_e32 v20, v23
	v_mov_b32_e32 v21, v16
	v_pk_add_f32 v[16:17], v[20:21], v[18:19] neg_lo:[0,1] neg_hi:[0,1]
	v_mov_b32_e32 v28, v26
	v_pk_add_f32 v[18:19], v[28:29], v[16:17]
	s_nop 0
	v_mov_b32_e32 v20, v19
	v_pk_add_f32 v[20:21], v[18:19], v[20:21]
	s_nop 0
	v_pk_add_f32 v[22:23], v[4:5], v[20:21]
	v_mov_b32_e32 v17, v20
	v_mov_b32_e32 v19, v22
	v_pk_add_f32 v[24:25], v[18:19], v[26:27] neg_lo:[0,1] neg_hi:[0,1]
	s_nop 0
	v_sub_f32_e32 v4, v18, v24
	v_pk_add_f32 v[16:17], v[16:17], v[24:25] neg_lo:[0,1] neg_hi:[0,1]
	v_sub_f32_e32 v4, v26, v4
	v_add_f32_e32 v4, v16, v4
	v_add_f32_e32 v4, v4, v17
	;; [unrolled: 1-line block ×3, first 2 shown]
	v_cndmask_b32_e32 v73, v4, v30, vcc
.LBB47_46:                              ;   in Loop: Header=BB47_12 Depth=1
	s_or_b64 exec, exec, s[36:37]
	v_lshlrev_b32_e32 v4, 16, v5
	v_add_f32_e32 v74, s33, v4
	v_cmp_ge_f32_e32 vcc, s99, v74
	s_and_b64 s[2:3], s[76:77], vcc
	s_and_saveexec_b64 s[36:37], s[2:3]
	s_cbranch_execz .LBB47_48
; %bb.47:                               ;   in Loop: Header=BB47_12 Depth=1
	v_mul_f32_e32 v4, 0x3fb8aa3b, v74
	v_rndne_f32_e32 v15, v4
	v_sub_f32_e32 v16, v4, v15
	v_fma_f32 v4, v74, s38, -v4
	v_fmac_f32_e32 v4, 0x32a5705f, v74
	v_add_f32_e32 v4, v16, v4
	v_cvt_i32_f32_e32 v15, v15
	v_exp_f32_e32 v4, v4
	v_cmp_ngt_f32_e32 vcc, s39, v74
	v_ldexp_f32 v4, v4, v15
	s_nop 0
	v_cndmask_b32_e32 v4, 0, v4, vcc
	v_cmp_nlt_f32_e32 vcc, s40, v74
	s_nop 1
	v_cndmask_b32_e32 v30, v68, v4, vcc
	v_add_f32_e32 v4, 1.0, v30
	v_add_f32_e32 v15, -1.0, v4
	v_sub_f32_e32 v16, v15, v4
	v_add_f32_e32 v16, 1.0, v16
	v_sub_f32_e32 v15, v30, v15
	v_add_f32_e32 v15, v15, v16
	v_frexp_mant_f32_e32 v18, v4
	v_cvt_f64_f32_e32 v[16:17], v4
	v_frexp_exp_i32_f64_e32 v16, v[16:17]
	v_cmp_gt_f32_e32 vcc, s42, v18
	v_cmp_gt_f32_e64 s[2:3], s98, v30
	s_nop 0
	v_subbrev_co_u32_e32 v24, vcc, 0, v16, vcc
	v_sub_u32_e32 v16, 0, v24
	v_ldexp_f32 v4, v4, v16
	v_ldexp_f32 v15, v15, v16
	v_add_f32_e32 v16, -1.0, v4
	v_add_f32_e32 v17, 1.0, v16
	v_sub_f32_e32 v17, v4, v17
	v_add_f32_e32 v18, v15, v17
	v_add_f32_e32 v17, 1.0, v4
	v_add_f32_e32 v19, -1.0, v17
	v_sub_f32_e32 v4, v4, v19
	v_add_f32_e32 v4, v15, v4
	v_add_f32_e32 v15, v17, v4
	v_rcp_f32_e32 v25, v15
	v_sub_f32_e32 v17, v17, v15
	v_add_f32_e32 v4, v4, v17
	v_add_f32_e32 v17, v16, v18
	v_sub_f32_e32 v16, v16, v17
	v_mul_f32_e32 v27, v17, v25
	v_add_f32_e32 v26, v18, v16
	v_mul_f32_e32 v18, v15, v27
	v_fma_f32 v20, v27, v15, -v18
	v_fmac_f32_e32 v20, v27, v4
	v_add_f32_e32 v16, v18, v20
	v_sub_f32_e32 v19, v17, v16
	v_pk_add_f32 v[22:23], v[16:17], v[18:19] neg_lo:[0,1] neg_hi:[0,1]
	v_mov_b32_e32 v21, v16
	v_pk_add_f32 v[16:17], v[22:23], v[20:21] neg_lo:[0,1] neg_hi:[0,1]
	v_cmp_eq_f32_e32 vcc, s41, v30
	v_add_f32_e32 v17, v26, v17
	v_add_f32_e32 v16, v16, v17
	;; [unrolled: 1-line block ×3, first 2 shown]
	v_mul_f32_e32 v26, v25, v17
	v_mul_f32_e32 v18, v15, v26
	v_fma_f32 v20, v26, v15, -v18
	v_fmac_f32_e32 v20, v26, v4
	v_sub_f32_e32 v4, v19, v17
	v_add_f32_e32 v4, v16, v4
	v_add_f32_e32 v16, v18, v20
	v_sub_f32_e32 v19, v17, v16
	v_pk_add_f32 v[22:23], v[16:17], v[18:19] neg_lo:[0,1] neg_hi:[0,1]
	v_mov_b32_e32 v21, v16
	v_pk_add_f32 v[16:17], v[22:23], v[20:21] neg_lo:[0,1] neg_hi:[0,1]
	s_or_b64 vcc, s[2:3], vcc
	v_add_f32_e32 v4, v4, v17
	v_add_f32_e32 v4, v16, v4
	v_add_f32_e32 v17, v27, v26
	v_add_f32_e32 v4, v19, v4
	v_sub_f32_e32 v15, v17, v27
	v_mul_f32_e32 v4, v25, v4
	v_sub_f32_e32 v15, v26, v15
	v_add_f32_e32 v4, v15, v4
	v_add_f32_e32 v18, v17, v4
	v_cvt_f32_i32_e32 v16, v24
	v_mul_f32_e32 v20, v18, v18
	v_fmamk_f32 v15, v20, 0x3e9b6dac, v67
	v_sub_f32_e32 v17, v18, v17
	v_fmaak_f32 v15, v20, v15, 0x3f2aaada
	v_sub_f32_e32 v4, v4, v17
	v_mul_f32_e32 v17, v18, v20
	v_pk_mul_f32 v[20:21], v[16:17], v[14:15]
	v_ldexp_f32 v19, v18, 1
	v_fma_f32 v18, v16, s43, -v20
	v_fmac_f32_e32 v18, 0xb102e308, v16
	v_pk_add_f32 v[16:17], v[20:21], v[18:19]
	v_ldexp_f32 v4, v4, 1
	v_sub_f32_e32 v15, v17, v19
	v_sub_f32_e32 v15, v21, v15
	v_add_f32_e32 v23, v4, v15
	v_mov_b32_e32 v22, v20
	v_pk_add_f32 v[20:21], v[16:17], v[20:21] neg_lo:[0,1] neg_hi:[0,1]
	v_pk_add_f32 v[24:25], v[16:17], v[22:23]
	v_mov_b32_e32 v19, v16
	v_mov_b32_e32 v21, v25
	v_pk_add_f32 v[26:27], v[18:19], v[20:21] neg_lo:[0,1] neg_hi:[0,1]
	v_pk_add_f32 v[18:19], v[18:19], v[20:21]
	s_nop 0
	v_mov_b32_e32 v4, v19
	v_pk_add_f32 v[20:21], v[4:5], v[16:17] neg_lo:[0,1] neg_hi:[0,1]
	v_mov_b32_e32 v18, v25
	v_mov_b32_e32 v15, v20
	v_pk_add_f32 v[28:29], v[24:25], v[14:15] neg_lo:[0,1] neg_hi:[0,1]
	v_mov_b32_e32 v24, v17
	v_mov_b32_e32 v25, v20
	;; [unrolled: 1-line block ×3, first 2 shown]
	v_pk_add_f32 v[18:19], v[18:19], v[24:25] neg_lo:[0,1] neg_hi:[0,1]
	v_mov_b32_e32 v20, v23
	v_mov_b32_e32 v21, v16
	v_pk_add_f32 v[16:17], v[20:21], v[18:19] neg_lo:[0,1] neg_hi:[0,1]
	v_mov_b32_e32 v28, v26
	v_pk_add_f32 v[18:19], v[28:29], v[16:17]
	s_nop 0
	v_mov_b32_e32 v20, v19
	v_pk_add_f32 v[20:21], v[18:19], v[20:21]
	s_nop 0
	v_pk_add_f32 v[22:23], v[4:5], v[20:21]
	v_mov_b32_e32 v17, v20
	v_mov_b32_e32 v19, v22
	v_pk_add_f32 v[24:25], v[18:19], v[26:27] neg_lo:[0,1] neg_hi:[0,1]
	s_nop 0
	v_sub_f32_e32 v4, v18, v24
	v_pk_add_f32 v[16:17], v[16:17], v[24:25] neg_lo:[0,1] neg_hi:[0,1]
	v_sub_f32_e32 v4, v26, v4
	v_add_f32_e32 v4, v16, v4
	v_add_f32_e32 v4, v4, v17
	;; [unrolled: 1-line block ×3, first 2 shown]
	v_cndmask_b32_e32 v74, v4, v30, vcc
.LBB47_48:                              ;   in Loop: Header=BB47_12 Depth=1
	s_or_b64 exec, exec, s[36:37]
	v_and_b32_e32 v4, 0xffff0000, v5
	v_add_f32_e32 v75, s33, v4
	v_cmp_ge_f32_e32 vcc, s99, v75
	s_and_b64 s[2:3], s[76:77], vcc
	s_and_saveexec_b64 s[36:37], s[2:3]
	s_cbranch_execz .LBB47_50
; %bb.49:                               ;   in Loop: Header=BB47_12 Depth=1
	v_mul_f32_e32 v4, 0x3fb8aa3b, v75
	v_rndne_f32_e32 v5, v4
	v_sub_f32_e32 v15, v4, v5
	v_fma_f32 v4, v75, s38, -v4
	v_fmac_f32_e32 v4, 0x32a5705f, v75
	v_add_f32_e32 v4, v15, v4
	v_cvt_i32_f32_e32 v5, v5
	v_exp_f32_e32 v4, v4
	v_cmp_ngt_f32_e32 vcc, s39, v75
	v_ldexp_f32 v4, v4, v5
	s_nop 0
	v_cndmask_b32_e32 v4, 0, v4, vcc
	v_cmp_nlt_f32_e32 vcc, s40, v75
	s_nop 1
	v_cndmask_b32_e32 v30, v68, v4, vcc
	v_add_f32_e32 v15, 1.0, v30
	v_add_f32_e32 v4, -1.0, v15
	v_sub_f32_e32 v5, v4, v15
	v_add_f32_e32 v5, 1.0, v5
	v_sub_f32_e32 v4, v30, v4
	v_add_f32_e32 v16, v4, v5
	v_frexp_mant_f32_e32 v17, v15
	v_cvt_f64_f32_e32 v[4:5], v15
	v_frexp_exp_i32_f64_e32 v4, v[4:5]
	v_cmp_gt_f32_e32 vcc, s42, v17
	v_cmp_gt_f32_e64 s[2:3], s98, v30
	s_nop 0
	v_subbrev_co_u32_e32 v22, vcc, 0, v4, vcc
	v_sub_u32_e32 v4, 0, v22
	v_ldexp_f32 v5, v15, v4
	v_add_f32_e32 v15, -1.0, v5
	v_add_f32_e32 v17, 1.0, v5
	v_ldexp_f32 v4, v16, v4
	v_add_f32_e32 v16, 1.0, v15
	v_add_f32_e32 v18, -1.0, v17
	v_sub_f32_e32 v16, v5, v16
	v_sub_f32_e32 v5, v5, v18
	v_add_f32_e32 v16, v4, v16
	v_add_f32_e32 v4, v4, v5
	;; [unrolled: 1-line block ×3, first 2 shown]
	v_rcp_f32_e32 v25, v23
	v_sub_f32_e32 v5, v17, v23
	v_add_f32_e32 v24, v4, v5
	v_add_f32_e32 v5, v15, v16
	v_sub_f32_e32 v4, v15, v5
	v_mul_f32_e32 v26, v5, v25
	v_add_f32_e32 v15, v16, v4
	v_mul_f32_e32 v16, v23, v26
	v_fma_f32 v18, v26, v23, -v16
	v_fmac_f32_e32 v18, v26, v24
	v_add_f32_e32 v4, v16, v18
	v_sub_f32_e32 v17, v5, v4
	v_pk_add_f32 v[20:21], v[4:5], v[16:17] neg_lo:[0,1] neg_hi:[0,1]
	v_mov_b32_e32 v19, v4
	v_pk_add_f32 v[4:5], v[20:21], v[18:19] neg_lo:[0,1] neg_hi:[0,1]
	v_cmp_eq_f32_e32 vcc, s41, v30
	v_add_f32_e32 v5, v15, v5
	v_add_f32_e32 v4, v4, v5
	;; [unrolled: 1-line block ×3, first 2 shown]
	v_mul_f32_e32 v15, v25, v5
	v_mul_f32_e32 v16, v23, v15
	v_fma_f32 v18, v15, v23, -v16
	v_fmac_f32_e32 v18, v15, v24
	v_sub_f32_e32 v17, v17, v5
	v_add_f32_e32 v23, v4, v17
	v_add_f32_e32 v4, v16, v18
	v_sub_f32_e32 v17, v5, v4
	v_pk_add_f32 v[20:21], v[4:5], v[16:17] neg_lo:[0,1] neg_hi:[0,1]
	v_mov_b32_e32 v19, v4
	v_pk_add_f32 v[4:5], v[20:21], v[18:19] neg_lo:[0,1] neg_hi:[0,1]
	s_or_b64 vcc, s[2:3], vcc
	v_add_f32_e32 v5, v23, v5
	v_add_f32_e32 v4, v4, v5
	;; [unrolled: 1-line block ×4, first 2 shown]
	v_sub_f32_e32 v16, v5, v26
	v_mul_f32_e32 v4, v25, v4
	v_sub_f32_e32 v15, v15, v16
	v_add_f32_e32 v16, v15, v4
	v_add_f32_e32 v18, v5, v16
	v_mul_f32_e32 v19, v18, v18
	v_fmamk_f32 v4, v19, 0x3e9b6dac, v67
	v_fmaak_f32 v15, v19, v4, 0x3f2aaada
	v_cvt_f32_i32_e32 v4, v22
	v_sub_f32_e32 v5, v18, v5
	v_sub_f32_e32 v5, v16, v5
	v_ldexp_f32 v20, v5, 1
	v_mul_f32_e32 v5, v18, v19
	v_ldexp_f32 v17, v18, 1
	v_pk_mul_f32 v[18:19], v[4:5], v[14:15]
	s_nop 0
	v_fma_f32 v16, v4, s43, -v18
	v_fmac_f32_e32 v16, 0xb102e308, v4
	v_pk_add_f32 v[4:5], v[18:19], v[16:17]
	s_nop 0
	v_sub_f32_e32 v15, v5, v17
	v_sub_f32_e32 v15, v19, v15
	v_add_f32_e32 v21, v20, v15
	v_mov_b32_e32 v20, v18
	v_pk_add_f32 v[18:19], v[4:5], v[18:19] neg_lo:[0,1] neg_hi:[0,1]
	v_pk_add_f32 v[22:23], v[4:5], v[20:21]
	v_mov_b32_e32 v17, v4
	v_mov_b32_e32 v19, v23
	v_pk_add_f32 v[24:25], v[16:17], v[18:19] neg_lo:[0,1] neg_hi:[0,1]
	v_pk_add_f32 v[16:17], v[16:17], v[18:19]
	v_mov_b32_e32 v20, v21
	v_mov_b32_e32 v18, v17
	v_pk_add_f32 v[26:27], v[18:19], v[4:5] neg_lo:[0,1] neg_hi:[0,1]
	v_mov_b32_e32 v16, v23
	v_mov_b32_e32 v15, v26
	v_pk_add_f32 v[28:29], v[22:23], v[14:15] neg_lo:[0,1] neg_hi:[0,1]
	v_mov_b32_e32 v22, v5
	v_mov_b32_e32 v23, v26
	;; [unrolled: 1-line block ×3, first 2 shown]
	v_pk_add_f32 v[16:17], v[16:17], v[22:23] neg_lo:[0,1] neg_hi:[0,1]
	v_mov_b32_e32 v21, v4
	v_pk_add_f32 v[4:5], v[20:21], v[16:17] neg_lo:[0,1] neg_hi:[0,1]
	v_mov_b32_e32 v28, v24
	v_pk_add_f32 v[16:17], v[28:29], v[4:5]
	s_nop 0
	v_mov_b32_e32 v20, v17
	v_pk_add_f32 v[20:21], v[16:17], v[20:21]
	s_nop 0
	v_pk_add_f32 v[18:19], v[18:19], v[20:21]
	v_mov_b32_e32 v5, v20
	v_mov_b32_e32 v17, v18
	v_pk_add_f32 v[22:23], v[16:17], v[24:25] neg_lo:[0,1] neg_hi:[0,1]
	s_nop 0
	v_sub_f32_e32 v15, v16, v22
	v_pk_add_f32 v[4:5], v[4:5], v[22:23] neg_lo:[0,1] neg_hi:[0,1]
	v_sub_f32_e32 v15, v24, v15
	v_add_f32_e32 v4, v4, v15
	v_add_f32_e32 v4, v4, v5
	;; [unrolled: 1-line block ×3, first 2 shown]
	v_cndmask_b32_e32 v75, v4, v30, vcc
.LBB47_50:                              ;   in Loop: Header=BB47_12 Depth=1
	s_or_b64 exec, exec, s[36:37]
	v_lshlrev_b32_e32 v4, 16, v6
	v_add_f32_e32 v76, s33, v4
	v_cmp_ge_f32_e32 vcc, s99, v76
	s_and_b64 s[2:3], s[76:77], vcc
	s_and_saveexec_b64 s[36:37], s[2:3]
	s_cbranch_execz .LBB47_52
; %bb.51:                               ;   in Loop: Header=BB47_12 Depth=1
	v_mul_f32_e32 v4, 0x3fb8aa3b, v76
	v_rndne_f32_e32 v5, v4
	v_sub_f32_e32 v15, v4, v5
	v_fma_f32 v4, v76, s38, -v4
	v_fmac_f32_e32 v4, 0x32a5705f, v76
	v_add_f32_e32 v4, v15, v4
	v_cvt_i32_f32_e32 v5, v5
	v_exp_f32_e32 v4, v4
	v_cmp_ngt_f32_e32 vcc, s39, v76
	v_ldexp_f32 v4, v4, v5
	s_nop 0
	v_cndmask_b32_e32 v4, 0, v4, vcc
	v_cmp_nlt_f32_e32 vcc, s40, v76
	s_nop 1
	v_cndmask_b32_e32 v30, v68, v4, vcc
	v_add_f32_e32 v15, 1.0, v30
	v_add_f32_e32 v4, -1.0, v15
	v_sub_f32_e32 v5, v4, v15
	v_add_f32_e32 v5, 1.0, v5
	v_sub_f32_e32 v4, v30, v4
	v_add_f32_e32 v16, v4, v5
	v_frexp_mant_f32_e32 v17, v15
	v_cvt_f64_f32_e32 v[4:5], v15
	v_frexp_exp_i32_f64_e32 v4, v[4:5]
	v_cmp_gt_f32_e32 vcc, s42, v17
	v_cmp_gt_f32_e64 s[2:3], s98, v30
	s_nop 0
	v_subbrev_co_u32_e32 v22, vcc, 0, v4, vcc
	v_sub_u32_e32 v4, 0, v22
	v_ldexp_f32 v5, v15, v4
	v_add_f32_e32 v15, -1.0, v5
	v_add_f32_e32 v17, 1.0, v5
	v_ldexp_f32 v4, v16, v4
	v_add_f32_e32 v16, 1.0, v15
	v_add_f32_e32 v18, -1.0, v17
	v_sub_f32_e32 v16, v5, v16
	v_sub_f32_e32 v5, v5, v18
	v_add_f32_e32 v16, v4, v16
	v_add_f32_e32 v4, v4, v5
	;; [unrolled: 1-line block ×3, first 2 shown]
	v_rcp_f32_e32 v25, v23
	v_sub_f32_e32 v5, v17, v23
	v_add_f32_e32 v24, v4, v5
	v_add_f32_e32 v5, v15, v16
	v_sub_f32_e32 v4, v15, v5
	v_mul_f32_e32 v26, v5, v25
	v_add_f32_e32 v15, v16, v4
	v_mul_f32_e32 v16, v23, v26
	v_fma_f32 v18, v26, v23, -v16
	v_fmac_f32_e32 v18, v26, v24
	v_add_f32_e32 v4, v16, v18
	v_sub_f32_e32 v17, v5, v4
	v_pk_add_f32 v[20:21], v[4:5], v[16:17] neg_lo:[0,1] neg_hi:[0,1]
	v_mov_b32_e32 v19, v4
	v_pk_add_f32 v[4:5], v[20:21], v[18:19] neg_lo:[0,1] neg_hi:[0,1]
	v_cmp_eq_f32_e32 vcc, s41, v30
	v_add_f32_e32 v5, v15, v5
	v_add_f32_e32 v4, v4, v5
	v_add_f32_e32 v5, v17, v4
	v_mul_f32_e32 v15, v25, v5
	v_mul_f32_e32 v16, v23, v15
	v_fma_f32 v18, v15, v23, -v16
	v_fmac_f32_e32 v18, v15, v24
	v_sub_f32_e32 v17, v17, v5
	v_add_f32_e32 v23, v4, v17
	v_add_f32_e32 v4, v16, v18
	v_sub_f32_e32 v17, v5, v4
	v_pk_add_f32 v[20:21], v[4:5], v[16:17] neg_lo:[0,1] neg_hi:[0,1]
	v_mov_b32_e32 v19, v4
	v_pk_add_f32 v[4:5], v[20:21], v[18:19] neg_lo:[0,1] neg_hi:[0,1]
	s_or_b64 vcc, s[2:3], vcc
	v_add_f32_e32 v5, v23, v5
	v_add_f32_e32 v4, v4, v5
	;; [unrolled: 1-line block ×4, first 2 shown]
	v_sub_f32_e32 v16, v5, v26
	v_mul_f32_e32 v4, v25, v4
	v_sub_f32_e32 v15, v15, v16
	v_add_f32_e32 v16, v15, v4
	v_add_f32_e32 v18, v5, v16
	v_mul_f32_e32 v19, v18, v18
	v_fmamk_f32 v4, v19, 0x3e9b6dac, v67
	v_fmaak_f32 v15, v19, v4, 0x3f2aaada
	v_cvt_f32_i32_e32 v4, v22
	v_sub_f32_e32 v5, v18, v5
	v_sub_f32_e32 v5, v16, v5
	v_ldexp_f32 v20, v5, 1
	v_mul_f32_e32 v5, v18, v19
	v_ldexp_f32 v17, v18, 1
	v_pk_mul_f32 v[18:19], v[4:5], v[14:15]
	s_nop 0
	v_fma_f32 v16, v4, s43, -v18
	v_fmac_f32_e32 v16, 0xb102e308, v4
	v_pk_add_f32 v[4:5], v[18:19], v[16:17]
	s_nop 0
	v_sub_f32_e32 v15, v5, v17
	v_sub_f32_e32 v15, v19, v15
	v_add_f32_e32 v21, v20, v15
	v_mov_b32_e32 v20, v18
	v_pk_add_f32 v[18:19], v[4:5], v[18:19] neg_lo:[0,1] neg_hi:[0,1]
	v_pk_add_f32 v[22:23], v[4:5], v[20:21]
	v_mov_b32_e32 v17, v4
	v_mov_b32_e32 v19, v23
	v_pk_add_f32 v[24:25], v[16:17], v[18:19] neg_lo:[0,1] neg_hi:[0,1]
	v_pk_add_f32 v[16:17], v[16:17], v[18:19]
	v_mov_b32_e32 v20, v21
	v_mov_b32_e32 v18, v17
	v_pk_add_f32 v[26:27], v[18:19], v[4:5] neg_lo:[0,1] neg_hi:[0,1]
	v_mov_b32_e32 v16, v23
	v_mov_b32_e32 v15, v26
	v_pk_add_f32 v[28:29], v[22:23], v[14:15] neg_lo:[0,1] neg_hi:[0,1]
	v_mov_b32_e32 v22, v5
	v_mov_b32_e32 v23, v26
	v_mov_b32_e32 v25, v17
	v_pk_add_f32 v[16:17], v[16:17], v[22:23] neg_lo:[0,1] neg_hi:[0,1]
	v_mov_b32_e32 v21, v4
	v_pk_add_f32 v[4:5], v[20:21], v[16:17] neg_lo:[0,1] neg_hi:[0,1]
	v_mov_b32_e32 v28, v24
	v_pk_add_f32 v[16:17], v[28:29], v[4:5]
	s_nop 0
	v_mov_b32_e32 v20, v17
	v_pk_add_f32 v[20:21], v[16:17], v[20:21]
	s_nop 0
	v_pk_add_f32 v[18:19], v[18:19], v[20:21]
	v_mov_b32_e32 v5, v20
	v_mov_b32_e32 v17, v18
	v_pk_add_f32 v[22:23], v[16:17], v[24:25] neg_lo:[0,1] neg_hi:[0,1]
	s_nop 0
	v_sub_f32_e32 v15, v16, v22
	v_pk_add_f32 v[4:5], v[4:5], v[22:23] neg_lo:[0,1] neg_hi:[0,1]
	v_sub_f32_e32 v15, v24, v15
	v_add_f32_e32 v4, v4, v15
	v_add_f32_e32 v4, v4, v5
	;; [unrolled: 1-line block ×3, first 2 shown]
	v_cndmask_b32_e32 v76, v4, v30, vcc
.LBB47_52:                              ;   in Loop: Header=BB47_12 Depth=1
	s_or_b64 exec, exec, s[36:37]
	v_and_b32_e32 v4, 0xffff0000, v6
	v_add_f32_e32 v77, s33, v4
	v_cmp_ge_f32_e32 vcc, s99, v77
	s_and_b64 s[2:3], s[76:77], vcc
	s_and_saveexec_b64 s[36:37], s[2:3]
	s_cbranch_execz .LBB47_54
; %bb.53:                               ;   in Loop: Header=BB47_12 Depth=1
	v_mul_f32_e32 v4, 0x3fb8aa3b, v77
	v_rndne_f32_e32 v5, v4
	v_sub_f32_e32 v6, v4, v5
	v_fma_f32 v4, v77, s38, -v4
	v_fmac_f32_e32 v4, 0x32a5705f, v77
	v_add_f32_e32 v4, v6, v4
	v_cvt_i32_f32_e32 v5, v5
	v_exp_f32_e32 v4, v4
	v_cmp_ngt_f32_e32 vcc, s39, v77
	v_ldexp_f32 v4, v4, v5
	s_nop 0
	v_cndmask_b32_e32 v4, 0, v4, vcc
	v_cmp_nlt_f32_e32 vcc, s40, v77
	s_nop 1
	v_cndmask_b32_e32 v28, v68, v4, vcc
	v_add_f32_e32 v6, 1.0, v28
	v_add_f32_e32 v4, -1.0, v6
	v_sub_f32_e32 v5, v4, v6
	v_add_f32_e32 v5, 1.0, v5
	v_sub_f32_e32 v4, v28, v4
	v_add_f32_e32 v15, v4, v5
	v_frexp_mant_f32_e32 v16, v6
	v_cvt_f64_f32_e32 v[4:5], v6
	v_frexp_exp_i32_f64_e32 v4, v[4:5]
	v_cmp_gt_f32_e32 vcc, s42, v16
	v_cmp_gt_f32_e64 s[2:3], s98, v28
	s_nop 0
	v_subbrev_co_u32_e32 v22, vcc, 0, v4, vcc
	v_sub_u32_e32 v4, 0, v22
	v_ldexp_f32 v5, v6, v4
	v_add_f32_e32 v6, -1.0, v5
	v_add_f32_e32 v16, 1.0, v5
	v_ldexp_f32 v4, v15, v4
	v_add_f32_e32 v15, 1.0, v6
	v_add_f32_e32 v17, -1.0, v16
	v_sub_f32_e32 v15, v5, v15
	v_sub_f32_e32 v5, v5, v17
	v_add_f32_e32 v15, v4, v15
	v_add_f32_e32 v4, v4, v5
	;; [unrolled: 1-line block ×3, first 2 shown]
	v_rcp_f32_e32 v25, v23
	v_sub_f32_e32 v5, v16, v23
	v_add_f32_e32 v24, v4, v5
	v_add_f32_e32 v5, v6, v15
	v_sub_f32_e32 v4, v6, v5
	v_add_f32_e32 v6, v15, v4
	v_mul_f32_e32 v15, v5, v25
	v_mul_f32_e32 v16, v23, v15
	v_fma_f32 v18, v15, v23, -v16
	v_fmac_f32_e32 v18, v15, v24
	v_add_f32_e32 v4, v16, v18
	v_sub_f32_e32 v17, v5, v4
	v_pk_add_f32 v[20:21], v[4:5], v[16:17] neg_lo:[0,1] neg_hi:[0,1]
	v_mov_b32_e32 v19, v4
	v_pk_add_f32 v[4:5], v[20:21], v[18:19] neg_lo:[0,1] neg_hi:[0,1]
	v_cmp_eq_f32_e32 vcc, s41, v28
	v_add_f32_e32 v5, v6, v5
	v_add_f32_e32 v4, v4, v5
	;; [unrolled: 1-line block ×3, first 2 shown]
	v_mul_f32_e32 v6, v25, v5
	v_mul_f32_e32 v16, v23, v6
	v_fma_f32 v18, v6, v23, -v16
	v_fmac_f32_e32 v18, v6, v24
	v_sub_f32_e32 v17, v17, v5
	v_add_f32_e32 v23, v4, v17
	v_add_f32_e32 v4, v16, v18
	v_sub_f32_e32 v17, v5, v4
	v_pk_add_f32 v[20:21], v[4:5], v[16:17] neg_lo:[0,1] neg_hi:[0,1]
	v_mov_b32_e32 v19, v4
	v_pk_add_f32 v[4:5], v[20:21], v[18:19] neg_lo:[0,1] neg_hi:[0,1]
	s_or_b64 vcc, s[2:3], vcc
	v_add_f32_e32 v5, v23, v5
	v_add_f32_e32 v4, v4, v5
	;; [unrolled: 1-line block ×4, first 2 shown]
	v_sub_f32_e32 v15, v5, v15
	v_mul_f32_e32 v4, v25, v4
	v_sub_f32_e32 v6, v6, v15
	v_add_f32_e32 v6, v6, v4
	v_add_f32_e32 v16, v5, v6
	v_mul_f32_e32 v18, v16, v16
	v_fmamk_f32 v4, v18, 0x3e9b6dac, v67
	v_fmaak_f32 v15, v18, v4, 0x3f2aaada
	v_cvt_f32_i32_e32 v4, v22
	v_sub_f32_e32 v5, v16, v5
	v_sub_f32_e32 v5, v6, v5
	v_ldexp_f32 v6, v5, 1
	v_mul_f32_e32 v5, v16, v18
	v_pk_mul_f32 v[18:19], v[4:5], v[14:15]
	v_ldexp_f32 v17, v16, 1
	v_fma_f32 v16, v4, s43, -v18
	v_fmac_f32_e32 v16, 0xb102e308, v4
	v_pk_add_f32 v[4:5], v[18:19], v[16:17]
	v_mov_b32_e32 v20, v18
	v_sub_f32_e32 v15, v5, v17
	v_sub_f32_e32 v15, v19, v15
	v_add_f32_e32 v21, v6, v15
	v_pk_add_f32 v[18:19], v[4:5], v[18:19] neg_lo:[0,1] neg_hi:[0,1]
	v_pk_add_f32 v[22:23], v[4:5], v[20:21]
	v_mov_b32_e32 v17, v4
	v_mov_b32_e32 v19, v23
	v_pk_add_f32 v[24:25], v[16:17], v[18:19] neg_lo:[0,1] neg_hi:[0,1]
	v_pk_add_f32 v[16:17], v[16:17], v[18:19]
	s_nop 0
	v_mov_b32_e32 v6, v17
	v_pk_add_f32 v[18:19], v[6:7], v[4:5] neg_lo:[0,1] neg_hi:[0,1]
	v_mov_b32_e32 v16, v23
	v_mov_b32_e32 v15, v18
	v_pk_add_f32 v[26:27], v[22:23], v[14:15] neg_lo:[0,1] neg_hi:[0,1]
	v_mov_b32_e32 v22, v5
	v_mov_b32_e32 v23, v18
	;; [unrolled: 1-line block ×3, first 2 shown]
	v_pk_add_f32 v[16:17], v[16:17], v[22:23] neg_lo:[0,1] neg_hi:[0,1]
	v_mov_b32_e32 v18, v21
	v_mov_b32_e32 v19, v4
	v_pk_add_f32 v[4:5], v[18:19], v[16:17] neg_lo:[0,1] neg_hi:[0,1]
	v_mov_b32_e32 v26, v24
	v_pk_add_f32 v[16:17], v[26:27], v[4:5]
	s_nop 0
	v_mov_b32_e32 v18, v17
	v_pk_add_f32 v[18:19], v[16:17], v[18:19]
	s_nop 0
	v_pk_add_f32 v[20:21], v[6:7], v[18:19]
	v_mov_b32_e32 v5, v18
	v_mov_b32_e32 v17, v20
	v_pk_add_f32 v[22:23], v[16:17], v[24:25] neg_lo:[0,1] neg_hi:[0,1]
	s_nop 0
	v_sub_f32_e32 v6, v16, v22
	v_pk_add_f32 v[4:5], v[4:5], v[22:23] neg_lo:[0,1] neg_hi:[0,1]
	v_sub_f32_e32 v6, v24, v6
	v_add_f32_e32 v4, v4, v6
	v_add_f32_e32 v4, v4, v5
	;; [unrolled: 1-line block ×3, first 2 shown]
	v_cndmask_b32_e32 v77, v4, v28, vcc
.LBB47_54:                              ;   in Loop: Header=BB47_12 Depth=1
	s_or_b64 exec, exec, s[36:37]
	v_lshlrev_b32_e32 v4, 16, v7
	v_add_f32_e32 v78, s33, v4
	v_cmp_ge_f32_e32 vcc, s99, v78
	s_and_b64 s[2:3], s[76:77], vcc
	s_and_saveexec_b64 s[36:37], s[2:3]
	s_cbranch_execz .LBB47_56
; %bb.55:                               ;   in Loop: Header=BB47_12 Depth=1
	v_mul_f32_e32 v4, 0x3fb8aa3b, v78
	v_rndne_f32_e32 v5, v4
	v_sub_f32_e32 v6, v4, v5
	v_fma_f32 v4, v78, s38, -v4
	v_fmac_f32_e32 v4, 0x32a5705f, v78
	v_add_f32_e32 v4, v6, v4
	v_cvt_i32_f32_e32 v5, v5
	v_exp_f32_e32 v4, v4
	v_cmp_ngt_f32_e32 vcc, s39, v78
	v_ldexp_f32 v4, v4, v5
	s_nop 0
	v_cndmask_b32_e32 v4, 0, v4, vcc
	v_cmp_nlt_f32_e32 vcc, s40, v78
	s_nop 1
	v_cndmask_b32_e32 v28, v68, v4, vcc
	v_add_f32_e32 v6, 1.0, v28
	v_add_f32_e32 v4, -1.0, v6
	v_sub_f32_e32 v5, v4, v6
	v_add_f32_e32 v5, 1.0, v5
	v_sub_f32_e32 v4, v28, v4
	v_add_f32_e32 v15, v4, v5
	v_frexp_mant_f32_e32 v16, v6
	v_cvt_f64_f32_e32 v[4:5], v6
	v_frexp_exp_i32_f64_e32 v4, v[4:5]
	v_cmp_gt_f32_e32 vcc, s42, v16
	v_cmp_gt_f32_e64 s[2:3], s98, v28
	s_nop 0
	v_subbrev_co_u32_e32 v22, vcc, 0, v4, vcc
	v_sub_u32_e32 v4, 0, v22
	v_ldexp_f32 v5, v6, v4
	v_add_f32_e32 v6, -1.0, v5
	v_add_f32_e32 v16, 1.0, v5
	v_ldexp_f32 v4, v15, v4
	v_add_f32_e32 v15, 1.0, v6
	v_add_f32_e32 v17, -1.0, v16
	v_sub_f32_e32 v15, v5, v15
	v_sub_f32_e32 v5, v5, v17
	v_add_f32_e32 v15, v4, v15
	v_add_f32_e32 v4, v4, v5
	;; [unrolled: 1-line block ×3, first 2 shown]
	v_rcp_f32_e32 v25, v23
	v_sub_f32_e32 v5, v16, v23
	v_add_f32_e32 v24, v4, v5
	v_add_f32_e32 v5, v6, v15
	v_sub_f32_e32 v4, v6, v5
	v_add_f32_e32 v6, v15, v4
	v_mul_f32_e32 v15, v5, v25
	v_mul_f32_e32 v16, v23, v15
	v_fma_f32 v18, v15, v23, -v16
	v_fmac_f32_e32 v18, v15, v24
	v_add_f32_e32 v4, v16, v18
	v_sub_f32_e32 v17, v5, v4
	v_pk_add_f32 v[20:21], v[4:5], v[16:17] neg_lo:[0,1] neg_hi:[0,1]
	v_mov_b32_e32 v19, v4
	v_pk_add_f32 v[4:5], v[20:21], v[18:19] neg_lo:[0,1] neg_hi:[0,1]
	v_cmp_eq_f32_e32 vcc, s41, v28
	v_add_f32_e32 v5, v6, v5
	v_add_f32_e32 v4, v4, v5
	;; [unrolled: 1-line block ×3, first 2 shown]
	v_mul_f32_e32 v6, v25, v5
	v_mul_f32_e32 v16, v23, v6
	v_fma_f32 v18, v6, v23, -v16
	v_fmac_f32_e32 v18, v6, v24
	v_sub_f32_e32 v17, v17, v5
	v_add_f32_e32 v23, v4, v17
	v_add_f32_e32 v4, v16, v18
	v_sub_f32_e32 v17, v5, v4
	v_pk_add_f32 v[20:21], v[4:5], v[16:17] neg_lo:[0,1] neg_hi:[0,1]
	v_mov_b32_e32 v19, v4
	v_pk_add_f32 v[4:5], v[20:21], v[18:19] neg_lo:[0,1] neg_hi:[0,1]
	s_or_b64 vcc, s[2:3], vcc
	v_add_f32_e32 v5, v23, v5
	v_add_f32_e32 v4, v4, v5
	;; [unrolled: 1-line block ×4, first 2 shown]
	v_sub_f32_e32 v15, v5, v15
	v_mul_f32_e32 v4, v25, v4
	v_sub_f32_e32 v6, v6, v15
	v_add_f32_e32 v6, v6, v4
	v_add_f32_e32 v16, v5, v6
	v_mul_f32_e32 v18, v16, v16
	v_fmamk_f32 v4, v18, 0x3e9b6dac, v67
	v_fmaak_f32 v15, v18, v4, 0x3f2aaada
	v_cvt_f32_i32_e32 v4, v22
	v_sub_f32_e32 v5, v16, v5
	v_sub_f32_e32 v5, v6, v5
	v_ldexp_f32 v6, v5, 1
	v_mul_f32_e32 v5, v16, v18
	v_pk_mul_f32 v[18:19], v[4:5], v[14:15]
	v_ldexp_f32 v17, v16, 1
	v_fma_f32 v16, v4, s43, -v18
	v_fmac_f32_e32 v16, 0xb102e308, v4
	v_pk_add_f32 v[4:5], v[18:19], v[16:17]
	v_mov_b32_e32 v20, v18
	v_sub_f32_e32 v15, v5, v17
	v_sub_f32_e32 v15, v19, v15
	v_add_f32_e32 v21, v6, v15
	v_pk_add_f32 v[18:19], v[4:5], v[18:19] neg_lo:[0,1] neg_hi:[0,1]
	v_pk_add_f32 v[22:23], v[4:5], v[20:21]
	v_mov_b32_e32 v17, v4
	v_mov_b32_e32 v19, v23
	v_pk_add_f32 v[24:25], v[16:17], v[18:19] neg_lo:[0,1] neg_hi:[0,1]
	v_pk_add_f32 v[16:17], v[16:17], v[18:19]
	s_nop 0
	v_mov_b32_e32 v6, v17
	v_pk_add_f32 v[18:19], v[6:7], v[4:5] neg_lo:[0,1] neg_hi:[0,1]
	v_mov_b32_e32 v16, v23
	v_mov_b32_e32 v15, v18
	v_pk_add_f32 v[26:27], v[22:23], v[14:15] neg_lo:[0,1] neg_hi:[0,1]
	v_mov_b32_e32 v22, v5
	v_mov_b32_e32 v23, v18
	;; [unrolled: 1-line block ×3, first 2 shown]
	v_pk_add_f32 v[16:17], v[16:17], v[22:23] neg_lo:[0,1] neg_hi:[0,1]
	v_mov_b32_e32 v18, v21
	v_mov_b32_e32 v19, v4
	v_pk_add_f32 v[4:5], v[18:19], v[16:17] neg_lo:[0,1] neg_hi:[0,1]
	v_mov_b32_e32 v26, v24
	v_pk_add_f32 v[16:17], v[26:27], v[4:5]
	s_nop 0
	v_mov_b32_e32 v18, v17
	v_pk_add_f32 v[18:19], v[16:17], v[18:19]
	s_nop 0
	v_pk_add_f32 v[20:21], v[6:7], v[18:19]
	v_mov_b32_e32 v5, v18
	v_mov_b32_e32 v17, v20
	v_pk_add_f32 v[22:23], v[16:17], v[24:25] neg_lo:[0,1] neg_hi:[0,1]
	s_nop 0
	v_sub_f32_e32 v6, v16, v22
	v_pk_add_f32 v[4:5], v[4:5], v[22:23] neg_lo:[0,1] neg_hi:[0,1]
	v_sub_f32_e32 v6, v24, v6
	v_add_f32_e32 v4, v4, v6
	v_add_f32_e32 v4, v4, v5
	;; [unrolled: 1-line block ×3, first 2 shown]
	v_cndmask_b32_e32 v78, v4, v28, vcc
.LBB47_56:                              ;   in Loop: Header=BB47_12 Depth=1
	s_or_b64 exec, exec, s[36:37]
	v_and_b32_e32 v4, 0xffff0000, v7
	v_add_f32_e32 v15, s33, v4
	v_cmp_ge_f32_e32 vcc, s99, v15
	s_and_b64 s[2:3], s[76:77], vcc
	s_and_saveexec_b64 s[36:37], s[2:3]
	s_cbranch_execz .LBB47_58
; %bb.57:                               ;   in Loop: Header=BB47_12 Depth=1
	v_mul_f32_e32 v4, 0x3fb8aa3b, v15
	v_rndne_f32_e32 v5, v4
	v_sub_f32_e32 v6, v4, v5
	v_fma_f32 v4, v15, s38, -v4
	v_fmac_f32_e32 v4, 0x32a5705f, v15
	v_add_f32_e32 v4, v6, v4
	v_cvt_i32_f32_e32 v5, v5
	v_exp_f32_e32 v4, v4
	v_cmp_ngt_f32_e32 vcc, s39, v15
	v_ldexp_f32 v4, v4, v5
	s_nop 0
	v_cndmask_b32_e32 v4, 0, v4, vcc
	v_cmp_nlt_f32_e32 vcc, s40, v15
	s_nop 1
	v_cndmask_b32_e32 v28, v68, v4, vcc
	v_add_f32_e32 v6, 1.0, v28
	v_add_f32_e32 v4, -1.0, v6
	v_sub_f32_e32 v5, v4, v6
	v_add_f32_e32 v5, 1.0, v5
	v_sub_f32_e32 v4, v28, v4
	v_add_f32_e32 v7, v4, v5
	v_frexp_mant_f32_e32 v15, v6
	v_cvt_f64_f32_e32 v[4:5], v6
	v_frexp_exp_i32_f64_e32 v4, v[4:5]
	v_cmp_gt_f32_e32 vcc, s42, v15
	v_cmp_gt_f32_e64 s[2:3], s98, v28
	s_nop 0
	v_subbrev_co_u32_e32 v20, vcc, 0, v4, vcc
	v_sub_u32_e32 v4, 0, v20
	v_ldexp_f32 v5, v6, v4
	v_add_f32_e32 v6, -1.0, v5
	v_add_f32_e32 v15, 1.0, v5
	v_ldexp_f32 v4, v7, v4
	v_add_f32_e32 v7, 1.0, v6
	v_add_f32_e32 v16, -1.0, v15
	v_sub_f32_e32 v7, v5, v7
	v_sub_f32_e32 v5, v5, v16
	v_add_f32_e32 v7, v4, v7
	v_add_f32_e32 v4, v4, v5
	;; [unrolled: 1-line block ×3, first 2 shown]
	v_rcp_f32_e32 v22, v21
	v_sub_f32_e32 v5, v15, v21
	v_add_f32_e32 v15, v4, v5
	v_add_f32_e32 v5, v6, v7
	v_mul_f32_e32 v24, v5, v22
	v_sub_f32_e32 v4, v6, v5
	v_mul_f32_e32 v6, v21, v24
	v_fma_f32 v16, v24, v21, -v6
	v_fmac_f32_e32 v16, v24, v15
	v_add_f32_e32 v23, v7, v4
	v_add_f32_e32 v4, v6, v16
	v_sub_f32_e32 v7, v5, v4
	v_pk_add_f32 v[18:19], v[4:5], v[6:7] neg_lo:[0,1] neg_hi:[0,1]
	v_mov_b32_e32 v17, v4
	v_pk_add_f32 v[4:5], v[18:19], v[16:17] neg_lo:[0,1] neg_hi:[0,1]
	v_cmp_eq_f32_e32 vcc, s41, v28
	v_add_f32_e32 v5, v23, v5
	v_add_f32_e32 v4, v4, v5
	;; [unrolled: 1-line block ×3, first 2 shown]
	v_mul_f32_e32 v23, v22, v5
	v_mul_f32_e32 v6, v21, v23
	v_fma_f32 v16, v23, v21, -v6
	v_fmac_f32_e32 v16, v23, v15
	v_sub_f32_e32 v7, v7, v5
	v_add_f32_e32 v15, v4, v7
	v_add_f32_e32 v4, v6, v16
	v_sub_f32_e32 v7, v5, v4
	v_pk_add_f32 v[18:19], v[4:5], v[6:7] neg_lo:[0,1] neg_hi:[0,1]
	v_mov_b32_e32 v17, v4
	v_pk_add_f32 v[4:5], v[18:19], v[16:17] neg_lo:[0,1] neg_hi:[0,1]
	s_or_b64 vcc, s[2:3], vcc
	v_add_f32_e32 v5, v15, v5
	v_add_f32_e32 v4, v4, v5
	;; [unrolled: 1-line block ×4, first 2 shown]
	v_sub_f32_e32 v6, v5, v24
	v_mul_f32_e32 v4, v22, v4
	v_sub_f32_e32 v6, v23, v6
	v_add_f32_e32 v6, v6, v4
	v_add_f32_e32 v16, v5, v6
	v_mul_f32_e32 v17, v16, v16
	v_fmamk_f32 v4, v17, 0x3e9b6dac, v67
	v_fmaak_f32 v15, v17, v4, 0x3f2aaada
	v_cvt_f32_i32_e32 v4, v20
	v_sub_f32_e32 v5, v16, v5
	v_sub_f32_e32 v5, v6, v5
	v_ldexp_f32 v18, v5, 1
	v_mul_f32_e32 v5, v16, v17
	v_ldexp_f32 v7, v16, 1
	v_pk_mul_f32 v[16:17], v[4:5], v[14:15]
	s_nop 0
	v_fma_f32 v6, v4, s43, -v16
	v_fmac_f32_e32 v6, 0xb102e308, v4
	v_pk_add_f32 v[4:5], v[16:17], v[6:7]
	s_nop 0
	v_sub_f32_e32 v7, v5, v7
	v_sub_f32_e32 v7, v17, v7
	v_add_f32_e32 v19, v18, v7
	v_mov_b32_e32 v18, v16
	v_pk_add_f32 v[16:17], v[4:5], v[16:17] neg_lo:[0,1] neg_hi:[0,1]
	v_pk_add_f32 v[20:21], v[4:5], v[18:19]
	v_mov_b32_e32 v7, v4
	v_mov_b32_e32 v17, v21
	v_pk_add_f32 v[22:23], v[6:7], v[16:17] neg_lo:[0,1] neg_hi:[0,1]
	v_pk_add_f32 v[6:7], v[6:7], v[16:17]
	v_mov_b32_e32 v18, v19
	v_mov_b32_e32 v16, v7
	v_pk_add_f32 v[24:25], v[16:17], v[4:5] neg_lo:[0,1] neg_hi:[0,1]
	v_mov_b32_e32 v6, v21
	v_mov_b32_e32 v15, v24
	v_pk_add_f32 v[26:27], v[20:21], v[14:15] neg_lo:[0,1] neg_hi:[0,1]
	v_mov_b32_e32 v20, v5
	v_mov_b32_e32 v21, v24
	;; [unrolled: 1-line block ×3, first 2 shown]
	v_pk_add_f32 v[6:7], v[6:7], v[20:21] neg_lo:[0,1] neg_hi:[0,1]
	v_mov_b32_e32 v19, v4
	v_pk_add_f32 v[4:5], v[18:19], v[6:7] neg_lo:[0,1] neg_hi:[0,1]
	v_mov_b32_e32 v26, v22
	v_pk_add_f32 v[6:7], v[26:27], v[4:5]
	s_nop 0
	v_mov_b32_e32 v18, v7
	v_pk_add_f32 v[18:19], v[6:7], v[18:19]
	s_nop 0
	v_pk_add_f32 v[16:17], v[16:17], v[18:19]
	v_mov_b32_e32 v5, v18
	v_mov_b32_e32 v7, v16
	v_pk_add_f32 v[20:21], v[6:7], v[22:23] neg_lo:[0,1] neg_hi:[0,1]
	s_nop 0
	v_sub_f32_e32 v6, v6, v20
	v_pk_add_f32 v[4:5], v[4:5], v[20:21] neg_lo:[0,1] neg_hi:[0,1]
	v_sub_f32_e32 v6, v22, v6
	v_add_f32_e32 v4, v4, v6
	v_add_f32_e32 v4, v4, v5
	;; [unrolled: 1-line block ×3, first 2 shown]
	v_cndmask_b32_e32 v15, v4, v28, vcc
.LBB47_58:                              ;   in Loop: Header=BB47_12 Depth=1
	s_or_b64 exec, exec, s[36:37]
	v_readlane_b32 s2, v95, 0
	v_lshlrev_b32_e32 v4, 16, v3
	v_and_b32_e32 v7, 0xffff0000, v3
	v_and_b32_e32 v3, 0xffff0000, v2
	v_lshlrev_b32_e32 v2, 16, v2
	v_and_b32_e32 v5, 0xffff0000, v1
	v_lshlrev_b32_e32 v1, 16, v1
	;; [unrolled: 2-line block ×3, first 2 shown]
	v_readlane_b32 s3, v95, 1
	v_mul_f32_e32 v16, s96, v4
	v_mul_f32_e32 v19, s96, v3
	v_mul_f32_e32 v18, s96, v2
	v_mul_f32_e32 v21, s96, v5
	v_mul_f32_e32 v20, s96, v1
	v_mul_f32_e32 v23, s96, v6
	v_mul_f32_e32 v22, s96, v0
	v_mul_f32_e32 v17, s96, v7
	s_and_b64 vcc, exec, s[2:3]
	s_waitcnt lgkmcnt(0)
	; wave barrier
	s_cbranch_vccz .LBB47_119
; %bb.59:                               ;   in Loop: Header=BB47_12 Depth=1
	s_cmp_lg_u32 s79, 0
	v_readlane_b32 s36, v95, 5
	v_mul_f32_e32 v86, v72, v0
	s_cselect_b64 s[2:3], -1, 0
	s_cmp_eq_u32 s79, s36
	v_cmp_gt_u32_e32 vcc, s50, v11
	v_or_b32_e32 v0, 1, v11
	s_cselect_b64 s[84:85], -1, 0
	s_or_b64 s[36:37], s[80:81], vcc
	v_cmp_gt_u32_e32 vcc, s50, v0
	v_or_b32_e32 v0, 2, v11
	s_or_b64 s[38:39], s[80:81], vcc
	v_cmp_gt_u32_e32 vcc, s50, v0
	v_or_b32_e32 v0, 3, v11
	s_or_b64 s[40:41], s[80:81], vcc
	v_cmp_gt_u32_e32 vcc, s50, v0
	s_or_b64 s[42:43], s[80:81], vcc
	v_cmp_gt_u32_e32 vcc, s50, v63
	;; [unrolled: 2-line block ×4, first 2 shown]
	v_readlane_b32 s92, v95, 2
	s_mov_b32 s72, 0
	s_or_b64 s[48:49], s[80:81], vcc
	v_cmp_gt_u32_e32 vcc, s50, v66
	v_readlane_b32 s93, v95, 3
	v_mul_f32_e32 v79, v15, v7
	v_lshl_add_u64 v[24:25], s[58:59], 0, v[8:9]
	v_lshl_add_u64 v[26:27], s[62:63], 0, v[8:9]
	v_mul_f32_e32 v80, v78, v4
	v_mul_f32_e32 v81, v77, v3
	;; [unrolled: 1-line block ×6, first 2 shown]
	s_or_b64 s[50:51], s[80:81], vcc
	s_mov_b32 s86, s72
	s_mov_b32 s88, s72
	;; [unrolled: 1-line block ×4, first 2 shown]
	v_readlane_b32 s97, v95, 6
	s_branch .LBB47_61
.LBB47_60:                              ;   in Loop: Header=BB47_61 Depth=2
	s_or_b64 exec, exec, s[92:93]
	v_mul_f32_e32 v28, v87, v60
	v_fma_f32 v29, v87, v61, v4
	v_cndmask_b32_e64 v4, v29, v4, s[16:17]
	v_cndmask_b32_e64 v28, v28, v87, s[16:17]
	s_waitcnt lgkmcnt(0)
	v_fmac_f32_e32 v4, v34, v28
	v_fmac_f32_e32 v5, v4, v88
	;; [unrolled: 1-line block ×8, first 2 shown]
	v_and_b32_e32 v29, 0xffff0000, v0
	v_and_b32_e32 v35, 0xffff0000, v1
	v_lshlrev_b32_e32 v28, 16, v0
	v_lshlrev_b32_e32 v34, 16, v1
	v_and_b32_e32 v1, 0xffff0000, v2
	v_and_b32_e32 v61, 0xffff0000, v3
	v_lshlrev_b32_e32 v0, 16, v2
	v_lshlrev_b32_e32 v60, 16, v3
	s_add_i32 s97, s97, 8
	s_add_i32 s83, s83, -1
	s_add_i32 s90, s90, s54
	s_add_i32 s88, s88, s64
	;; [unrolled: 1-line block ×4, first 2 shown]
	v_pk_fma_f32 v[20:21], v[30:31], v[34:35], v[20:21]
	v_pk_fma_f32 v[22:23], v[4:5], v[28:29], v[22:23]
	;; [unrolled: 1-line block ×3, first 2 shown]
	s_cmp_eq_u32 s83, 0
	v_pk_fma_f32 v[18:19], v[6:7], v[0:1], v[18:19]
	s_cbranch_scc1 .LBB47_118
.LBB47_61:                              ;   Parent Loop BB47_12 Depth=1
                                        ; =>  This Inner Loop Header: Depth=2
	s_lshl_b64 s[92:93], s[72:73], 2
	s_add_u32 s92, s55, s92
	s_addc_u32 s93, s56, s93
	global_load_dword v30, v9, s[92:93]
	s_mov_b32 s87, s73
	v_lshl_add_u64 v[0:1], s[86:87], 1, v[24:25]
	v_mov_b32_e32 v2, 0
	v_mov_b32_e32 v3, 0
	s_and_saveexec_b64 s[92:93], s[18:19]
	s_cbranch_execz .LBB47_63
; %bb.62:                               ;   in Loop: Header=BB47_61 Depth=2
	global_load_ushort v3, v[0:1], off
.LBB47_63:                              ;   in Loop: Header=BB47_61 Depth=2
	s_or_b64 exec, exec, s[92:93]
	s_and_saveexec_b64 s[92:93], s[20:21]
	s_cbranch_execz .LBB47_65
; %bb.64:                               ;   in Loop: Header=BB47_61 Depth=2
	global_load_ushort v2, v[0:1], off offset:128
.LBB47_65:                              ;   in Loop: Header=BB47_61 Depth=2
	s_or_b64 exec, exec, s[92:93]
	v_mov_b32_e32 v4, 0
	v_mov_b32_e32 v5, 0
	s_and_saveexec_b64 s[92:93], s[22:23]
	s_cbranch_execz .LBB47_67
; %bb.66:                               ;   in Loop: Header=BB47_61 Depth=2
	global_load_ushort v5, v[0:1], off offset:256
.LBB47_67:                              ;   in Loop: Header=BB47_61 Depth=2
	s_or_b64 exec, exec, s[92:93]
	s_and_saveexec_b64 s[92:93], s[24:25]
	s_cbranch_execz .LBB47_69
; %bb.68:                               ;   in Loop: Header=BB47_61 Depth=2
	global_load_ushort v4, v[0:1], off offset:384
.LBB47_69:                              ;   in Loop: Header=BB47_61 Depth=2
	s_or_b64 exec, exec, s[92:93]
	v_mov_b32_e32 v6, 0
	v_mov_b32_e32 v7, 0
	s_and_saveexec_b64 s[92:93], s[26:27]
	s_cbranch_execz .LBB47_71
; %bb.70:                               ;   in Loop: Header=BB47_61 Depth=2
	global_load_ushort v7, v[0:1], off offset:512
.LBB47_71:                              ;   in Loop: Header=BB47_61 Depth=2
	;; [unrolled: 14-line block ×3, first 2 shown]
	s_or_b64 exec, exec, s[92:93]
	s_and_saveexec_b64 s[92:93], s[34:35]
	s_cbranch_execz .LBB47_77
; %bb.76:                               ;   in Loop: Header=BB47_61 Depth=2
	global_load_ushort v28, v[0:1], off offset:896
.LBB47_77:                              ;   in Loop: Header=BB47_61 Depth=2
	s_or_b64 exec, exec, s[92:93]
	s_waitcnt vmcnt(0)
	ds_write_b16 v43, v3
	ds_write_b16 v44, v2 offset:128
	ds_write_b16 v45, v5 offset:256
	;; [unrolled: 1-line block ×7, first 2 shown]
	; wave barrier
	ds_read_b128 v[4:7], v51
	s_mov_b32 s89, s73
	v_lshl_add_u64 v[0:1], s[88:89], 1, v[26:27]
	v_mov_b32_e32 v2, 0
	v_mov_b32_e32 v3, 0
	s_and_saveexec_b64 s[92:93], s[18:19]
	s_cbranch_execz .LBB47_79
; %bb.78:                               ;   in Loop: Header=BB47_61 Depth=2
	global_load_ushort v3, v[0:1], off
.LBB47_79:                              ;   in Loop: Header=BB47_61 Depth=2
	s_or_b64 exec, exec, s[92:93]
	s_and_saveexec_b64 s[92:93], s[20:21]
	s_cbranch_execz .LBB47_81
; %bb.80:                               ;   in Loop: Header=BB47_61 Depth=2
	global_load_ushort v2, v[0:1], off offset:128
.LBB47_81:                              ;   in Loop: Header=BB47_61 Depth=2
	s_or_b64 exec, exec, s[92:93]
	v_mov_b32_e32 v28, 0
	v_mov_b32_e32 v29, 0
	s_and_saveexec_b64 s[92:93], s[22:23]
	s_cbranch_execz .LBB47_83
; %bb.82:                               ;   in Loop: Header=BB47_61 Depth=2
	global_load_ushort v29, v[0:1], off offset:256
.LBB47_83:                              ;   in Loop: Header=BB47_61 Depth=2
	s_or_b64 exec, exec, s[92:93]
	s_and_saveexec_b64 s[92:93], s[24:25]
	s_cbranch_execz .LBB47_85
; %bb.84:                               ;   in Loop: Header=BB47_61 Depth=2
	global_load_ushort v28, v[0:1], off offset:384
.LBB47_85:                              ;   in Loop: Header=BB47_61 Depth=2
	s_or_b64 exec, exec, s[92:93]
	v_mov_b32_e32 v31, 0
	v_mov_b32_e32 v32, 0
	s_and_saveexec_b64 s[92:93], s[26:27]
	s_cbranch_execz .LBB47_87
; %bb.86:                               ;   in Loop: Header=BB47_61 Depth=2
	global_load_ushort v32, v[0:1], off offset:512
.LBB47_87:                              ;   in Loop: Header=BB47_61 Depth=2
	;; [unrolled: 14-line block ×3, first 2 shown]
	s_or_b64 exec, exec, s[92:93]
	s_and_saveexec_b64 s[92:93], s[34:35]
	s_cbranch_execz .LBB47_93
; %bb.92:                               ;   in Loop: Header=BB47_61 Depth=2
	global_load_ushort v33, v[0:1], off offset:896
.LBB47_93:                              ;   in Loop: Header=BB47_61 Depth=2
	s_or_b64 exec, exec, s[92:93]
	s_waitcnt vmcnt(0)
	ds_write_b16 v43, v3 offset:1056
	ds_write_b16 v52, v2 offset:128
	;; [unrolled: 1-line block ×8, first 2 shown]
	; wave barrier
	ds_read_b128 v[0:3], v51 offset:1056
	s_andn2_b64 vcc, exec, s[2:3]
	s_cbranch_vccnz .LBB47_95
; %bb.94:                               ;   in Loop: Header=BB47_61 Depth=2
	v_mov_b32_e32 v28, s97
	ds_read_b64 v[28:29], v28
	s_cbranch_execz .LBB47_96
	s_branch .LBB47_99
.LBB47_95:                              ;   in Loop: Header=BB47_61 Depth=2
                                        ; implicit-def: $vgpr29
.LBB47_96:                              ;   in Loop: Header=BB47_61 Depth=2
	s_andn2_b64 vcc, exec, s[68:69]
	s_waitcnt lgkmcnt(0)
	v_mov_b32_e32 v29, 0
	s_cbranch_vccnz .LBB47_98
; %bb.97:                               ;   in Loop: Header=BB47_61 Depth=2
	s_mov_b32 s91, s73
	s_lshl_b64 s[92:93], s[90:91], 2
	s_add_u32 s92, s61, s92
	s_addc_u32 s93, s65, s93
	global_load_dword v29, v9, s[92:93]
.LBB47_98:                              ;   in Loop: Header=BB47_61 Depth=2
	v_mov_b32_e32 v28, 1.0
.LBB47_99:                              ;   in Loop: Header=BB47_61 Depth=2
	v_mul_f32_e32 v61, 0x3fb8aa3b, v30
	s_waitcnt lgkmcnt(9)
	v_lshlrev_b32_e32 v31, 16, v4
	v_and_b32_e32 v32, 0xffff0000, v4
	v_mul_f32_e32 v4, v61, v72
	v_cmp_gt_f32_e32 vcc, s70, v4
	v_lshlrev_b32_e32 v35, 16, v6
	v_and_b32_e32 v60, 0xffff0000, v6
	v_cndmask_b32_e32 v4, 0, v69, vcc
	v_mul_f32_e32 v6, v61, v73
	v_lshlrev_b32_e32 v33, 16, v5
	v_and_b32_e32 v34, 0xffff0000, v5
	v_fmac_f32_e32 v4, v61, v72
	v_cndmask_b32_e32 v5, 1.0, v70, vcc
	v_cmp_gt_f32_e32 vcc, s70, v6
	v_exp_f32_e32 v4, v4
	v_lshlrev_b32_e32 v93, 16, v7
	v_cndmask_b32_e32 v6, 0, v69, vcc
	v_fmac_f32_e32 v6, v61, v73
	v_exp_f32_e32 v6, v6
	v_and_b32_e32 v94, 0xffff0000, v7
	v_mul_f32_e32 v5, v4, v5
	v_mul_f32_e32 v7, v61, v74
	v_cndmask_b32_e64 v87, 1.0, v5, s[36:37]
	v_cndmask_b32_e32 v5, 1.0, v70, vcc
	v_cmp_gt_f32_e32 vcc, s70, v7
	v_mul_f32_e32 v6, v6, v5
	v_mul_f32_e32 v30, v61, v75
	v_cndmask_b32_e32 v7, 0, v69, vcc
	v_fmac_f32_e32 v7, v61, v74
	v_cndmask_b32_e64 v88, 1.0, v6, s[38:39]
	v_cndmask_b32_e32 v6, 1.0, v70, vcc
	v_cmp_gt_f32_e32 vcc, s70, v30
	v_exp_f32_e32 v7, v7
	v_mul_f32_e32 v4, v86, v31
	v_cndmask_b32_e32 v30, 0, v69, vcc
	v_fmac_f32_e32 v30, v61, v75
	v_exp_f32_e32 v31, v30
	v_mul_f32_e32 v6, v7, v6
	v_cndmask_b32_e64 v89, 1.0, v6, s[40:41]
	v_cndmask_b32_e32 v6, 1.0, v70, vcc
	v_mul_f32_e32 v6, v31, v6
	v_mul_f32_e32 v31, v61, v76
	v_cmp_gt_f32_e32 vcc, s70, v31
	v_mul_f32_e32 v5, v85, v32
	v_mul_f32_e32 v7, v84, v33
	v_cndmask_b32_e32 v31, 0, v69, vcc
	v_fmac_f32_e32 v31, v61, v76
	v_exp_f32_e32 v32, v31
	v_cndmask_b32_e64 v30, 0, v7, s[40:41]
	v_mul_f32_e32 v7, v83, v34
	v_cndmask_b32_e64 v90, 1.0, v6, s[42:43]
	v_cndmask_b32_e32 v6, 1.0, v70, vcc
	v_cndmask_b32_e64 v31, 0, v7, s[42:43]
	v_mul_f32_e32 v7, v32, v6
	v_mul_f32_e32 v32, v61, v77
	v_cmp_gt_f32_e32 vcc, s70, v32
	v_mul_f32_e32 v33, v61, v78
	v_cndmask_b32_e64 v91, 1.0, v7, s[44:45]
	v_cndmask_b32_e32 v32, 0, v69, vcc
	v_fmac_f32_e32 v32, v61, v77
	v_exp_f32_e32 v32, v32
	v_cndmask_b32_e32 v7, 1.0, v70, vcc
	v_cmp_gt_f32_e32 vcc, s70, v33
	v_mul_f32_e32 v34, v61, v15
	v_mul_f32_e32 v32, v32, v7
	v_cndmask_b32_e32 v33, 0, v69, vcc
	v_fmac_f32_e32 v33, v61, v78
	v_cndmask_b32_e64 v92, 1.0, v32, s[46:47]
	v_cndmask_b32_e32 v32, 1.0, v70, vcc
	v_cmp_gt_f32_e32 vcc, s70, v34
	v_exp_f32_e32 v33, v33
	v_cndmask_b32_e64 v4, 0, v4, s[36:37]
	v_cndmask_b32_e32 v34, 0, v69, vcc
	v_fmac_f32_e32 v34, v61, v15
	v_exp_f32_e32 v34, v34
	v_mul_f32_e32 v33, v33, v32
	v_mul_f32_e32 v32, v80, v93
	v_cndmask_b32_e64 v93, 1.0, v33, s[48:49]
	v_cndmask_b32_e32 v33, 1.0, v70, vcc
	v_cndmask_b32_e64 v5, 0, v5, s[38:39]
	v_mul_f32_e32 v34, v34, v33
	v_mul_f32_e32 v6, v82, v35
	;; [unrolled: 1-line block ×3, first 2 shown]
	v_cndmask_b32_e64 v94, 1.0, v34, s[50:51]
	v_mul_f32_e32 v34, v88, v87
	v_fma_f32 v35, v88, v4, v5
	v_mul_f32_e32 v34, v34, v89
	v_fma_f32 v35, v35, v89, v30
	v_cndmask_b32_e64 v6, 0, v6, s[44:45]
	v_mul_f32_e32 v7, v81, v60
	v_mul_f32_e32 v34, v34, v90
	v_fma_f32 v35, v35, v90, v31
	v_cndmask_b32_e64 v7, 0, v7, s[46:47]
	v_mul_f32_e32 v34, v34, v91
	v_fma_f32 v35, v35, v91, v6
	v_cndmask_b32_e64 v32, 0, v32, s[48:49]
	;; [unrolled: 3-line block ×3, first 2 shown]
	v_mul_f32_e32 v34, v34, v93
	v_fma_f32 v35, v35, v93, v32
	v_mul_f32_e32 v34, v34, v94
	v_fma_f32 v62, v35, v94, v33
	s_nop 0
	v_mov_b32_dpp v61, v34 row_shr:1 row_mask:0xf bank_mask:0xf
	v_mov_b32_dpp v60, v62 row_shr:1 row_mask:0xf bank_mask:0xf
	s_and_saveexec_b64 s[92:93], s[0:1]
; %bb.100:                              ;   in Loop: Header=BB47_61 Depth=2
	v_mul_f32_e32 v61, v34, v61
	v_fmac_f32_e32 v62, v34, v60
	v_mov_b32_e32 v34, v61
; %bb.101:                              ;   in Loop: Header=BB47_61 Depth=2
	s_or_b64 exec, exec, s[92:93]
	s_nop 0
	v_mov_b32_dpp v60, v34 row_shr:2 row_mask:0xf bank_mask:0xf
	v_mov_b32_dpp v61, v62 row_shr:2 row_mask:0xf bank_mask:0xf
	s_and_saveexec_b64 s[92:93], s[52:53]
; %bb.102:                              ;   in Loop: Header=BB47_61 Depth=2
	v_fmac_f32_e32 v62, v34, v61
	v_mul_f32_e32 v34, v34, v60
; %bb.103:                              ;   in Loop: Header=BB47_61 Depth=2
	s_or_b64 exec, exec, s[92:93]
	s_nop 0
	v_mov_b32_dpp v60, v34 row_shr:4 row_mask:0xf bank_mask:0xf
	v_mov_b32_dpp v61, v62 row_shr:4 row_mask:0xf bank_mask:0xf
	s_and_saveexec_b64 s[92:93], s[4:5]
; %bb.104:                              ;   in Loop: Header=BB47_61 Depth=2
	v_fmac_f32_e32 v62, v34, v61
	v_mul_f32_e32 v34, v34, v60
	;; [unrolled: 9-line block ×3, first 2 shown]
; %bb.107:                              ;   in Loop: Header=BB47_61 Depth=2
	s_or_b64 exec, exec, s[92:93]
	s_nop 0
	v_mov_b32_dpp v60, v34 row_bcast:15 row_mask:0xf bank_mask:0xf
	v_mov_b32_dpp v61, v62 row_bcast:15 row_mask:0xf bank_mask:0xf
	s_and_saveexec_b64 s[92:93], s[8:9]
; %bb.108:                              ;   in Loop: Header=BB47_61 Depth=2
	v_fmac_f32_e32 v62, v34, v61
	v_mul_f32_e32 v34, v34, v60
; %bb.109:                              ;   in Loop: Header=BB47_61 Depth=2
	s_or_b64 exec, exec, s[92:93]
	s_nop 0
	v_mov_b32_dpp v60, v34 row_bcast:31 row_mask:0xf bank_mask:0xf
	v_mov_b32_dpp v61, v62 row_bcast:31 row_mask:0xf bank_mask:0xf
	v_mov_b32_e32 v35, v62
	v_mul_f32_e32 v60, v34, v60
	v_fmac_f32_e32 v35, v34, v61
	v_cndmask_b32_e64 v34, v34, v60, s[10:11]
	v_cndmask_b32_e64 v35, v62, v35, s[10:11]
	s_and_saveexec_b64 s[92:93], s[12:13]
	s_cbranch_execz .LBB47_111
; %bb.110:                              ;   in Loop: Header=BB47_61 Depth=2
	ds_write_b64 v9, v[34:35] offset:2112
.LBB47_111:                             ;   in Loop: Header=BB47_61 Depth=2
	s_or_b64 exec, exec, s[92:93]
	ds_bpermute_b32 v60, v59, v34
	ds_bpermute_b32 v61, v59, v35
	s_waitcnt vmcnt(0) lgkmcnt(2)
	v_mov_b32_e32 v35, v29
	s_waitcnt lgkmcnt(0)
	; wave barrier
	s_waitcnt lgkmcnt(0)
	s_and_saveexec_b64 s[92:93], s[14:15]
	s_cbranch_execz .LBB47_115
; %bb.112:                              ;   in Loop: Header=BB47_61 Depth=2
	ds_read_b64 v[34:35], v9 offset:2112
	s_and_saveexec_b64 s[94:95], s[16:17]
	s_cbranch_execz .LBB47_114
; %bb.113:                              ;   in Loop: Header=BB47_61 Depth=2
	ds_write_b64 v9, v[28:29] offset:2112
.LBB47_114:                             ;   in Loop: Header=BB47_61 Depth=2
	s_or_b64 exec, exec, s[94:95]
	s_waitcnt lgkmcnt(0)
	v_fmac_f32_e32 v35, v29, v34
	v_mul_f32_e32 v28, v28, v34
	v_mov_b32_e32 v29, v35
.LBB47_115:                             ;   in Loop: Header=BB47_61 Depth=2
	s_or_b64 exec, exec, s[92:93]
	s_waitcnt lgkmcnt(0)
	; wave barrier
	ds_read_b32 v34, v9 offset:2116
	s_and_saveexec_b64 s[92:93], s[16:17]
	s_cbranch_execz .LBB47_60
; %bb.116:                              ;   in Loop: Header=BB47_61 Depth=2
	v_mov_b32_e32 v62, s97
	s_andn2_b64 vcc, exec, s[84:85]
	ds_write_b64 v62, v[28:29]
	s_cbranch_vccnz .LBB47_60
; %bb.117:                              ;   in Loop: Header=BB47_61 Depth=2
	s_mov_b32 s91, s73
	s_lshl_b64 s[94:95], s[90:91], 2
	s_add_u32 s94, s61, s94
	s_addc_u32 s95, s65, s95
	global_store_dword v9, v35, s[94:95]
	s_branch .LBB47_60
.LBB47_118:                             ;   in Loop: Header=BB47_12 Depth=1
	s_mov_b32 s38, 0x3fb8aa3b
	s_mov_b32 s39, 0xc2ce8ed0
	;; [unrolled: 1-line block ×6, first 2 shown]
.LBB47_119:                             ;   in Loop: Header=BB47_12 Depth=1
	v_bfe_u32 v0, v22, 16, 1
	v_bfe_u32 v1, v23, 16, 1
	v_add3_u32 v0, v22, v0, s71
	v_bfe_u32 v2, v20, 16, 1
	v_add3_u32 v1, v23, v1, s71
	v_lshrrev_b32_e32 v0, 16, v0
	v_cmp_o_f32_e32 vcc, v22, v22
	v_bfe_u32 v3, v21, 16, 1
	v_add3_u32 v2, v20, v2, s71
	v_lshrrev_b32_e32 v1, 16, v1
	v_cndmask_b32_e32 v0, v71, v0, vcc
	v_cmp_o_f32_e32 vcc, v23, v23
	v_add3_u32 v3, v21, v3, s71
	v_lshrrev_b32_e32 v2, 16, v2
	v_cndmask_b32_e32 v4, v71, v1, vcc
	v_cmp_o_f32_e32 vcc, v20, v20
	v_lshrrev_b32_e32 v3, 16, v3
	v_bfe_u32 v6, v16, 16, 1
	v_cndmask_b32_e32 v1, v71, v2, vcc
	v_cmp_o_f32_e32 vcc, v21, v21
	v_bfe_u32 v2, v18, 16, 1
	v_add3_u32 v2, v18, v2, s71
	v_cndmask_b32_e32 v5, v71, v3, vcc
	v_bfe_u32 v3, v19, 16, 1
	v_add3_u32 v3, v19, v3, s71
	v_lshrrev_b32_e32 v2, 16, v2
	v_cmp_o_f32_e32 vcc, v18, v18
	v_bfe_u32 v7, v17, 16, 1
	v_add3_u32 v6, v16, v6, s71
	v_lshrrev_b32_e32 v3, 16, v3
	v_cndmask_b32_e32 v2, v71, v2, vcc
	v_cmp_o_f32_e32 vcc, v19, v19
	v_add3_u32 v7, v17, v7, s71
	v_lshrrev_b32_e32 v6, 16, v6
	v_cndmask_b32_e32 v15, v71, v3, vcc
	v_cmp_o_f32_e32 vcc, v16, v16
	v_lshrrev_b32_e32 v7, 16, v7
	v_perm_b32 v2, v15, v2, s78
	v_cndmask_b32_e32 v3, v71, v6, vcc
	v_cmp_o_f32_e32 vcc, v17, v17
	v_perm_b32 v1, v5, v1, s78
	v_perm_b32 v0, v4, v0, s78
	v_cndmask_b32_e32 v6, v71, v7, vcc
	v_perm_b32 v3, v6, v3, s78
	s_waitcnt lgkmcnt(0)
	; wave barrier
	ds_write_b128 v51, v[0:3]
	; wave barrier
	ds_read_u16 v15, v44 offset:128
	ds_read_u16 v7, v45 offset:256
	;; [unrolled: 1-line block ×7, first 2 shown]
	s_mov_b32 s83, s73
	v_lshl_add_u64 v[0:1], s[82:83], 1, v[12:13]
	s_and_saveexec_b64 s[2:3], s[18:19]
	s_cbranch_execnz .LBB47_129
; %bb.120:                              ;   in Loop: Header=BB47_12 Depth=1
	s_or_b64 exec, exec, s[2:3]
	s_and_saveexec_b64 s[2:3], s[20:21]
	s_cbranch_execnz .LBB47_130
.LBB47_121:                             ;   in Loop: Header=BB47_12 Depth=1
	s_or_b64 exec, exec, s[2:3]
	s_and_saveexec_b64 s[2:3], s[22:23]
	s_cbranch_execnz .LBB47_131
.LBB47_122:                             ;   in Loop: Header=BB47_12 Depth=1
	s_or_b64 exec, exec, s[2:3]
	s_and_saveexec_b64 s[2:3], s[24:25]
	s_cbranch_execnz .LBB47_132
.LBB47_123:                             ;   in Loop: Header=BB47_12 Depth=1
	s_or_b64 exec, exec, s[2:3]
	s_and_saveexec_b64 s[2:3], s[26:27]
	s_cbranch_execnz .LBB47_133
.LBB47_124:                             ;   in Loop: Header=BB47_12 Depth=1
	s_or_b64 exec, exec, s[2:3]
	s_and_saveexec_b64 s[2:3], s[28:29]
	s_cbranch_execnz .LBB47_134
.LBB47_125:                             ;   in Loop: Header=BB47_12 Depth=1
	s_or_b64 exec, exec, s[2:3]
	s_and_saveexec_b64 s[2:3], s[30:31]
	s_cbranch_execnz .LBB47_135
.LBB47_126:                             ;   in Loop: Header=BB47_12 Depth=1
	s_or_b64 exec, exec, s[2:3]
	s_and_saveexec_b64 s[2:3], s[34:35]
	s_cbranch_execz .LBB47_11
	s_branch .LBB47_136
.LBB47_127:                             ;   in Loop: Header=BB47_12 Depth=1
	global_load_ushort v19, v[4:5], off offset:640
	s_or_b64 exec, exec, s[2:3]
	s_and_saveexec_b64 s[2:3], s[30:31]
	s_cbranch_execz .LBB47_40
.LBB47_128:                             ;   in Loop: Header=BB47_12 Depth=1
	global_load_ushort v18, v[4:5], off offset:768
	s_or_b64 exec, exec, s[2:3]
	v_mov_b32_e32 v20, 0
	s_and_saveexec_b64 s[2:3], s[34:35]
	s_cbranch_execnz .LBB47_41
	s_branch .LBB47_42
.LBB47_129:                             ;   in Loop: Header=BB47_12 Depth=1
	ds_read_u16 v16, v43
	s_waitcnt lgkmcnt(0)
	global_store_short v[0:1], v16, off
	s_or_b64 exec, exec, s[2:3]
	s_and_saveexec_b64 s[2:3], s[20:21]
	s_cbranch_execz .LBB47_121
.LBB47_130:                             ;   in Loop: Header=BB47_12 Depth=1
	s_waitcnt lgkmcnt(6)
	global_store_short v[0:1], v15, off offset:128
	s_or_b64 exec, exec, s[2:3]
	s_and_saveexec_b64 s[2:3], s[22:23]
	s_cbranch_execz .LBB47_122
.LBB47_131:                             ;   in Loop: Header=BB47_12 Depth=1
	s_waitcnt lgkmcnt(5)
	global_store_short v[0:1], v7, off offset:256
	s_or_b64 exec, exec, s[2:3]
	s_and_saveexec_b64 s[2:3], s[24:25]
	s_cbranch_execz .LBB47_123
.LBB47_132:                             ;   in Loop: Header=BB47_12 Depth=1
	s_waitcnt lgkmcnt(4)
	global_store_short v[0:1], v6, off offset:384
	s_or_b64 exec, exec, s[2:3]
	s_and_saveexec_b64 s[2:3], s[26:27]
	s_cbranch_execz .LBB47_124
.LBB47_133:                             ;   in Loop: Header=BB47_12 Depth=1
	s_waitcnt lgkmcnt(3)
	global_store_short v[0:1], v5, off offset:512
	s_or_b64 exec, exec, s[2:3]
	s_and_saveexec_b64 s[2:3], s[28:29]
	s_cbranch_execz .LBB47_125
.LBB47_134:                             ;   in Loop: Header=BB47_12 Depth=1
	s_waitcnt lgkmcnt(2)
	global_store_short v[0:1], v4, off offset:640
	s_or_b64 exec, exec, s[2:3]
	s_and_saveexec_b64 s[2:3], s[30:31]
	s_cbranch_execz .LBB47_126
.LBB47_135:                             ;   in Loop: Header=BB47_12 Depth=1
	s_waitcnt lgkmcnt(1)
	global_store_short v[0:1], v3, off offset:768
	s_or_b64 exec, exec, s[2:3]
	s_and_saveexec_b64 s[2:3], s[34:35]
	s_cbranch_execz .LBB47_11
.LBB47_136:                             ;   in Loop: Header=BB47_12 Depth=1
	s_waitcnt lgkmcnt(0)
	global_store_short v[0:1], v2, off offset:896
	s_branch .LBB47_11
.LBB47_137:
	s_endpgm
	.section	.rodata,"a",@progbits
	.p2align	6, 0x0
	.amdhsa_kernel _Z25selective_scan_fwd_kernelI32Selective_Scan_fwd_kernel_traitsILi64ELi8ELi1ELb0ELb1ELb1ELb0ELb0EN3c108BFloat16EffEEv13SSMParamsBase
		.amdhsa_group_segment_fixed_size 0
		.amdhsa_private_segment_fixed_size 0
		.amdhsa_kernarg_size 248
		.amdhsa_user_sgpr_count 2
		.amdhsa_user_sgpr_dispatch_ptr 0
		.amdhsa_user_sgpr_queue_ptr 0
		.amdhsa_user_sgpr_kernarg_segment_ptr 1
		.amdhsa_user_sgpr_dispatch_id 0
		.amdhsa_user_sgpr_kernarg_preload_length 0
		.amdhsa_user_sgpr_kernarg_preload_offset 0
		.amdhsa_user_sgpr_private_segment_size 0
		.amdhsa_uses_dynamic_stack 0
		.amdhsa_enable_private_segment 0
		.amdhsa_system_sgpr_workgroup_id_x 1
		.amdhsa_system_sgpr_workgroup_id_y 1
		.amdhsa_system_sgpr_workgroup_id_z 0
		.amdhsa_system_sgpr_workgroup_info 0
		.amdhsa_system_vgpr_workitem_id 0
		.amdhsa_next_free_vgpr 96
		.amdhsa_next_free_sgpr 100
		.amdhsa_accum_offset 96
		.amdhsa_reserve_vcc 1
		.amdhsa_float_round_mode_32 0
		.amdhsa_float_round_mode_16_64 0
		.amdhsa_float_denorm_mode_32 3
		.amdhsa_float_denorm_mode_16_64 3
		.amdhsa_dx10_clamp 1
		.amdhsa_ieee_mode 1
		.amdhsa_fp16_overflow 0
		.amdhsa_tg_split 0
		.amdhsa_exception_fp_ieee_invalid_op 0
		.amdhsa_exception_fp_denorm_src 0
		.amdhsa_exception_fp_ieee_div_zero 0
		.amdhsa_exception_fp_ieee_overflow 0
		.amdhsa_exception_fp_ieee_underflow 0
		.amdhsa_exception_fp_ieee_inexact 0
		.amdhsa_exception_int_div_zero 0
	.end_amdhsa_kernel
	.section	.text._Z25selective_scan_fwd_kernelI32Selective_Scan_fwd_kernel_traitsILi64ELi8ELi1ELb0ELb1ELb1ELb0ELb0EN3c108BFloat16EffEEv13SSMParamsBase,"axG",@progbits,_Z25selective_scan_fwd_kernelI32Selective_Scan_fwd_kernel_traitsILi64ELi8ELi1ELb0ELb1ELb1ELb0ELb0EN3c108BFloat16EffEEv13SSMParamsBase,comdat
.Lfunc_end47:
	.size	_Z25selective_scan_fwd_kernelI32Selective_Scan_fwd_kernel_traitsILi64ELi8ELi1ELb0ELb1ELb1ELb0ELb0EN3c108BFloat16EffEEv13SSMParamsBase, .Lfunc_end47-_Z25selective_scan_fwd_kernelI32Selective_Scan_fwd_kernel_traitsILi64ELi8ELi1ELb0ELb1ELb1ELb0ELb0EN3c108BFloat16EffEEv13SSMParamsBase
                                        ; -- End function
	.section	.AMDGPU.csdata,"",@progbits
; Kernel info:
; codeLenInByte = 10488
; NumSgprs: 106
; NumVgprs: 96
; NumAgprs: 0
; TotalNumVgprs: 96
; ScratchSize: 0
; MemoryBound: 0
; FloatMode: 240
; IeeeMode: 1
; LDSByteSize: 0 bytes/workgroup (compile time only)
; SGPRBlocks: 13
; VGPRBlocks: 11
; NumSGPRsForWavesPerEU: 106
; NumVGPRsForWavesPerEU: 96
; AccumOffset: 96
; Occupancy: 5
; WaveLimiterHint : 0
; COMPUTE_PGM_RSRC2:SCRATCH_EN: 0
; COMPUTE_PGM_RSRC2:USER_SGPR: 2
; COMPUTE_PGM_RSRC2:TRAP_HANDLER: 0
; COMPUTE_PGM_RSRC2:TGID_X_EN: 1
; COMPUTE_PGM_RSRC2:TGID_Y_EN: 1
; COMPUTE_PGM_RSRC2:TGID_Z_EN: 0
; COMPUTE_PGM_RSRC2:TIDIG_COMP_CNT: 0
; COMPUTE_PGM_RSRC3_GFX90A:ACCUM_OFFSET: 23
; COMPUTE_PGM_RSRC3_GFX90A:TG_SPLIT: 0
	.section	.text._Z25selective_scan_fwd_kernelI32Selective_Scan_fwd_kernel_traitsILi64ELi16ELi1ELb1ELb1ELb1ELb1ELb1EN3c108BFloat16EffEEv13SSMParamsBase,"axG",@progbits,_Z25selective_scan_fwd_kernelI32Selective_Scan_fwd_kernel_traitsILi64ELi16ELi1ELb1ELb1ELb1ELb1ELb1EN3c108BFloat16EffEEv13SSMParamsBase,comdat
	.protected	_Z25selective_scan_fwd_kernelI32Selective_Scan_fwd_kernel_traitsILi64ELi16ELi1ELb1ELb1ELb1ELb1ELb1EN3c108BFloat16EffEEv13SSMParamsBase ; -- Begin function _Z25selective_scan_fwd_kernelI32Selective_Scan_fwd_kernel_traitsILi64ELi16ELi1ELb1ELb1ELb1ELb1ELb1EN3c108BFloat16EffEEv13SSMParamsBase
	.globl	_Z25selective_scan_fwd_kernelI32Selective_Scan_fwd_kernel_traitsILi64ELi16ELi1ELb1ELb1ELb1ELb1ELb1EN3c108BFloat16EffEEv13SSMParamsBase
	.p2align	8
	.type	_Z25selective_scan_fwd_kernelI32Selective_Scan_fwd_kernel_traitsILi64ELi16ELi1ELb1ELb1ELb1ELb1ELb1EN3c108BFloat16EffEEv13SSMParamsBase,@function
_Z25selective_scan_fwd_kernelI32Selective_Scan_fwd_kernel_traitsILi64ELi16ELi1ELb1ELb1ELb1ELb1ELb1EN3c108BFloat16EffEEv13SSMParamsBase: ; @_Z25selective_scan_fwd_kernelI32Selective_Scan_fwd_kernel_traitsILi64ELi16ELi1ELb1ELb1ELb1ELb1ELb1EN3c108BFloat16EffEEv13SSMParamsBase
; %bb.0:
	s_load_dword s36, s[0:1], 0x18
	s_load_dwordx4 s[4:7], s[0:1], 0xe8
	s_load_dwordx8 s[20:27], s[0:1], 0xc8
	s_mov_b32 s34, s3
	s_ashr_i32 s3, s2, 31
	s_lshl_b64 s[8:9], s[2:3], 2
	s_waitcnt lgkmcnt(0)
	s_abs_i32 s33, s36
	v_cvt_f32_u32_e32 v1, s33
	s_add_u32 s28, s26, s8
	s_addc_u32 s29, s27, s9
	s_cmp_eq_u64 s[6:7], 0
	v_rcp_iflag_f32_e32 v1, v1
                                        ; implicit-def: $vgpr95 : SGPR spill to VGPR lane
	s_nop 0
	v_mul_f32_e32 v1, 0x4f7ffffe, v1
	v_cvt_u32_f32_e32 v1, v1
	s_nop 0
	v_readfirstlane_b32 s37, v1
	s_cbranch_scc1 .LBB48_2
; %bb.1:
	s_add_u32 s6, s6, s2
	s_addc_u32 s7, s7, s3
	v_mov_b32_e32 v1, 0
	global_load_ubyte v1, v1, s[6:7]
	s_waitcnt vmcnt(0)
	v_and_b32_e32 v1, 1, v1
	v_cmp_eq_u32_e64 s[6:7], 1, v1
	s_branch .LBB48_3
.LBB48_2:
	s_mov_b64 s[6:7], 0
.LBB48_3:
	s_nop 0
	v_writelane_b32 v95, s6, 0
	s_cmp_eq_u64 s[4:5], 0
	s_nop 0
	v_writelane_b32 v95, s7, 1
	s_load_dwordx2 s[6:7], s[0:1], 0x20
	s_cbranch_scc1 .LBB48_5
; %bb.4:
	s_add_u32 s2, s4, s8
	s_addc_u32 s3, s5, s9
	s_load_dword s2, s[2:3], 0x0
	s_waitcnt lgkmcnt(0)
	s_ashr_i32 s3, s2, 31
.LBB48_5:
	s_waitcnt lgkmcnt(0)
	s_cmp_eq_u64 s[6:7], s[2:3]
	s_cbranch_scc1 .LBB48_298
; %bb.6:
	s_load_dwordx16 s[4:19], s[0:1], 0x88
	s_load_dwordx2 s[26:27], s[28:29], 0x0
	s_mov_b32 s3, 0
	v_writelane_b32 v95, s3, 2
	v_writelane_b32 v95, s3, 3
	s_waitcnt lgkmcnt(0)
	s_cmp_eq_u64 s[10:11], 0
	s_cbranch_scc1 .LBB48_8
; %bb.7:
	s_ashr_i32 s35, s34, 31
	s_lshl_b64 s[28:29], s[34:35], 2
	s_add_u32 s10, s10, s28
	s_addc_u32 s11, s11, s29
	s_load_dword s3, s[10:11], 0x0
	s_waitcnt lgkmcnt(0)
	v_writelane_b32 v95, s3, 3
.LBB48_8:
	s_cmp_eq_u64 s[16:17], 0
	s_cbranch_scc1 .LBB48_10
; %bb.9:
	s_ashr_i32 s35, s34, 31
	s_lshl_b64 s[10:11], s[34:35], 2
	s_add_u32 s10, s16, s10
	s_addc_u32 s11, s17, s11
	s_load_dword s3, s[10:11], 0x0
	s_waitcnt lgkmcnt(0)
	v_writelane_b32 v95, s3, 2
.LBB48_10:
	s_sub_i32 s35, s27, s26
	s_cmp_lt_i32 s35, 1
	s_cbranch_scc1 .LBB48_298
; %bb.11:
	v_mbcnt_lo_u32_b32 v1, -1, 0
	v_mbcnt_hi_u32_b32 v20, -1, v1
	s_sub_i32 s3, 0, s33
	v_lshrrev_b32_e32 v1, 5, v20
	s_mul_i32 s3, s3, s37
	v_and_b32_e32 v1, 2, v1
	s_mul_hi_u32 s3, s37, s3
	v_add_u32_e32 v1, v1, v20
	s_abs_i32 s16, s34
	s_add_i32 s37, s37, s3
	v_add_u32_e32 v2, 64, v20
	v_lshl_add_u32 v1, v1, 1, 0
	s_load_dwordx8 s[40:47], s[0:1], 0x2c
	s_load_dwordx2 s[10:11], s[0:1], 0x7c
	s_load_dwordx4 s[28:31], s[0:1], 0x6c
	s_load_dwordx8 s[48:55], s[0:1], 0x4c
	s_mul_hi_u32 s3, s16, s37
	s_load_dword s37, s[0:1], 0xc
	s_load_dword s17, s[0:1], 0x28
	scratch_store_dword off, v1, off        ; 4-byte Folded Spill
	scratch_store_dword off, v2, off offset:180 ; 4-byte Folded Spill
	v_lshrrev_b32_e32 v1, 5, v2
	v_and_b32_e32 v1, 6, v1
	v_add_lshl_u32 v1, v1, v20, 1
	v_or_b32_e32 v3, 0x80, v20
	v_add_u32_e32 v2, 0, v1
	scratch_store_dword off, v2, off offset:8 ; 4-byte Folded Spill
	scratch_store_dword off, v3, off offset:184 ; 4-byte Folded Spill
	v_lshrrev_b32_e32 v2, 5, v3
	v_and_b32_e32 v2, 6, v2
	s_load_dword s97, s[0:1], 0x84
	s_ashr_i32 s0, s34, 31
	s_ashr_i32 s1, s36, 31
	v_add_lshl_u32 v2, v2, v20, 1
	s_xor_b32 s0, s0, s1
	s_mul_i32 s1, s3, s33
	v_add_u32_e32 v4, 0xc0, v20
	v_add_u32_e32 v3, 0, v2
	s_sub_i32 s1, s16, s1
	scratch_store_dword off, v3, off offset:12 ; 4-byte Folded Spill
	scratch_store_dword off, v4, off offset:188 ; 4-byte Folded Spill
	v_lshrrev_b32_e32 v3, 5, v4
	s_add_i32 s16, s3, 1
	s_sub_i32 s27, s1, s33
	v_and_b32_e32 v3, 14, v3
	s_cmp_ge_u32 s1, s33
	v_add_lshl_u32 v3, v3, v20, 1
	s_cselect_b32 s3, s16, s3
	v_or_b32_e32 v5, 0x100, v20
	v_add_u32_e32 v4, 0, v3
	s_cselect_b32 s1, s27, s1
	s_add_i32 s16, s3, 1
	scratch_store_dword off, v4, off offset:16 ; 4-byte Folded Spill
	scratch_store_dword off, v5, off offset:192 ; 4-byte Folded Spill
	v_lshrrev_b32_e32 v4, 5, v5
	s_cmp_ge_u32 s1, s33
	v_and_b32_e32 v4, 10, v4
	s_cselect_b32 s1, s16, s3
	v_add_lshl_u32 v4, v4, v20, 1
	s_xor_b32 s1, s1, s0
	s_waitcnt lgkmcnt(0)
	s_mul_i32 s98, s26, s50
	s_mov_b32 s99, 0
	v_add_u32_e32 v6, 0x140, v20
	v_add_u32_e32 v5, 0, v4
	s_sub_i32 s3, s1, s0
	s_lshl_b64 s[0:1], s[98:99], 1
	scratch_store_dword off, v5, off offset:20 ; 4-byte Folded Spill
	scratch_store_dword off, v6, off offset:196 ; 4-byte Folded Spill
	v_lshrrev_b32_e32 v5, 5, v6
	s_add_u32 s12, s12, s0
	s_mul_i32 s98, s51, s34
	v_and_b32_e32 v5, 14, v5
	s_addc_u32 s13, s13, s1
	s_lshl_b64 s[0:1], s[98:99], 1
	v_add_lshl_u32 v5, v5, v20, 1
	s_add_u32 s38, s12, s0
	s_mul_i32 s98, s26, s52
	v_or_b32_e32 v7, 0x180, v20
	v_add_u32_e32 v6, 0, v5
	s_addc_u32 s39, s13, s1
	s_lshl_b64 s[0:1], s[98:99], 1
	scratch_store_dword off, v6, off offset:24 ; 4-byte Folded Spill
	scratch_store_dword off, v7, off offset:200 ; 4-byte Folded Spill
	v_lshrrev_b32_e32 v6, 5, v7
	s_add_u32 s12, s14, s0
	s_mul_i32 s98, s53, s34
	v_and_b32_e32 v6, 14, v6
	s_addc_u32 s13, s15, s1
	s_lshl_b64 s[0:1], s[98:99], 1
	v_add_lshl_u32 v6, v6, v20, 1
	s_add_u32 s0, s12, s0
	v_add_u32_e32 v8, 0x1c0, v20
	v_add_u32_e32 v7, 0, v6
	s_addc_u32 s1, s13, s1
	scratch_store_dword off, v7, off offset:28 ; 4-byte Folded Spill
	scratch_store_dword off, v8, off offset:204 ; 4-byte Folded Spill
	v_lshrrev_b32_e32 v7, 5, v8
	v_writelane_b32 v95, s0, 4
	s_mul_i32 s98, s40, s34
	v_and_b32_e32 v7, 30, v7
	v_writelane_b32 v95, s1, 5
	s_lshl_b64 s[0:1], s[98:99], 2
	v_add_lshl_u32 v7, v7, v20, 1
	s_add_u32 s0, s4, s0
	v_or_b32_e32 v9, 0x200, v20
	v_add_u32_e32 v8, 0, v7
	v_writelane_b32 v95, s0, 6
	s_addc_u32 s0, s5, s1
	s_mul_i32 s98, s26, s42
	scratch_store_dword off, v8, off offset:32 ; 4-byte Folded Spill
	scratch_store_dword off, v9, off offset:208 ; 4-byte Folded Spill
	v_lshrrev_b32_e32 v8, 5, v9
	v_writelane_b32 v95, s0, 7
	s_lshl_b64 s[0:1], s[98:99], 1
	v_and_b32_e32 v8, 18, v8
	s_add_u32 s4, s6, s0
	s_mul_i32 s98, s3, s45
	v_add_lshl_u32 v8, v8, v20, 1
	s_addc_u32 s5, s7, s1
	s_lshl_b64 s[0:1], s[98:99], 1
	v_add_u32_e32 v10, 0x240, v20
	v_add_u32_e32 v9, 0, v8
	s_add_u32 s0, s4, s0
	scratch_store_dword off, v9, off offset:36 ; 4-byte Folded Spill
	scratch_store_dword off, v10, off offset:212 ; 4-byte Folded Spill
	v_lshrrev_b32_e32 v9, 5, v10
	s_addc_u32 s1, s5, s1
	v_and_b32_e32 v9, 22, v9
	v_writelane_b32 v95, s0, 8
	v_add_lshl_u32 v9, v9, v20, 1
	v_or_b32_e32 v11, 0x280, v20
	v_writelane_b32 v95, s1, 9
	v_add_u32_e32 v10, 0, v9
	v_writelane_b32 v95, s40, 10
	scratch_store_dword off, v10, off offset:40 ; 4-byte Folded Spill
	scratch_store_dword off, v11, off offset:216 ; 4-byte Folded Spill
	v_lshrrev_b32_e32 v10, 5, v11
	v_writelane_b32 v95, s41, 11
	v_and_b32_e32 v10, 22, v10
	v_writelane_b32 v95, s42, 12
	s_mul_i32 s98, s26, s46
	v_add_lshl_u32 v10, v10, v20, 1
	v_writelane_b32 v95, s43, 13
	s_lshl_b64 s[0:1], s[98:99], 1
	v_add_u32_e32 v12, 0x2c0, v20
	v_add_u32_e32 v11, 0, v10
	v_writelane_b32 v95, s44, 14
	s_add_u32 s4, s8, s0
	s_mul_i32 s98, s3, s49
	scratch_store_dword off, v11, off offset:44 ; 4-byte Folded Spill
	scratch_store_dword off, v12, off offset:220 ; 4-byte Folded Spill
	v_lshrrev_b32_e32 v11, 5, v12
	v_writelane_b32 v95, s45, 15
	s_addc_u32 s5, s9, s1
	s_lshl_b64 s[0:1], s[98:99], 1
	v_and_b32_e32 v11, 30, v11
	v_writelane_b32 v95, s46, 16
	s_add_u32 s0, s4, s0
	v_add_lshl_u32 v11, v11, v20, 1
	v_writelane_b32 v95, s47, 17
	s_addc_u32 s1, s5, s1
	v_or_b32_e32 v13, 0x300, v20
	v_add_u32_e32 v12, 0, v11
	v_writelane_b32 v95, s0, 18
	s_mul_i32 s98, s2, s10
	scratch_store_dword off, v12, off offset:48 ; 4-byte Folded Spill
	scratch_store_dword off, v13, off offset:224 ; 4-byte Folded Spill
	v_lshrrev_b32_e32 v12, 5, v13
	v_writelane_b32 v95, s1, 19
	s_lshl_b64 s[0:1], s[98:99], 2
	v_and_b32_e32 v12, 26, v12
	s_add_u32 s2, s20, s0
	s_mul_i32 s98, s11, s34
	v_add_lshl_u32 v12, v12, v20, 1
	s_addc_u32 s3, s21, s1
	s_lshl_b64 s[0:1], s[98:99], 2
	v_add_u32_e32 v14, 0x340, v20
	v_add_u32_e32 v13, 0, v12
	s_add_u32 s0, s2, s0
	scratch_store_dword off, v13, off offset:52 ; 4-byte Folded Spill
	scratch_store_dword off, v14, off offset:228 ; 4-byte Folded Spill
	v_lshrrev_b32_e32 v13, 5, v14
	v_writelane_b32 v95, s0, 20
	s_addc_u32 s0, s3, s1
	v_and_b32_e32 v13, 30, v13
	v_writelane_b32 v95, s0, 21
	s_add_i32 s0, s35, 0x7ff
	v_add_lshl_u32 v13, v13, v20, 1
	s_lshr_b32 s1, s0, 11
	v_or_b32_e32 v15, 0x380, v20
	v_add_u32_e32 v14, 0, v13
	scratch_store_dword off, v14, off offset:56 ; 4-byte Folded Spill
	scratch_store_dword off, v15, off offset:232 ; 4-byte Folded Spill
	v_lshrrev_b32_e32 v14, 5, v15
	s_bitcmp1_b32 s17, 0
	v_and_b32_e32 v14, 30, v14
	s_cselect_b64 s[6:7], -1, 0
	s_cmp_gt_i32 s37, 0
	v_add_lshl_u32 v14, v14, v20, 1
	s_cselect_b64 s[2:3], -1, 0
	s_add_i32 s0, 0, 0x840
	v_add_u32_e32 v15, 0, v14
	v_add_u32_e32 v1, s0, v1
	;; [unrolled: 1-line block ×3, first 2 shown]
	scratch_store_dword off, v15, off offset:60 ; 4-byte Folded Spill
	scratch_store_dword off, v16, off offset:236 ; 4-byte Folded Spill
	;; [unrolled: 1-line block ×3, first 2 shown]
	v_add_u32_e32 v1, s0, v2
	scratch_store_dword off, v1, off offset:100 ; 4-byte Folded Spill
	v_add_u32_e32 v1, s0, v3
	scratch_store_dword off, v1, off offset:104 ; 4-byte Folded Spill
	;; [unrolled: 2-line block ×7, first 2 shown]
	v_add_u32_e32 v1, s0, v9
	v_lshrrev_b32_e32 v15, 5, v16
	scratch_store_dword off, v1, off offset:128 ; 4-byte Folded Spill
	v_add_u32_e32 v1, s0, v10
	v_and_b32_e32 v15, 62, v15
	scratch_store_dword off, v1, off offset:132 ; 4-byte Folded Spill
	v_add_u32_e32 v1, s0, v11
	v_add_lshl_u32 v15, v15, v20, 1
	scratch_store_dword off, v1, off offset:136 ; 4-byte Folded Spill
	v_add_u32_e32 v1, s0, v12
	v_add_u32_e32 v16, 0, v15
	v_lshrrev_b32_e32 v18, 1, v20
	scratch_store_dword off, v1, off offset:140 ; 4-byte Folded Spill
	v_add_u32_e32 v1, s0, v13
	scratch_store_dword off, v16, off offset:64 ; 4-byte Folded Spill
	v_lshlrev_b32_e32 v16, 4, v20
	v_and_b32_e32 v18, 62, v18
	scratch_store_dword off, v1, off offset:144 ; 4-byte Folded Spill
	v_add_u32_e32 v1, s0, v14
	v_add_lshl_u32 v16, v18, v16, 1
	v_writelane_b32 v95, s37, 22
	scratch_store_dword off, v1, off offset:148 ; 4-byte Folded Spill
	v_add_u32_e32 v1, s0, v15
	v_writelane_b32 v95, s2, 23
	scratch_store_dword off, v1, off offset:152 ; 4-byte Folded Spill
	v_add_u32_e32 v1, s0, v16
	s_and_b32 s0, s35, 0x3ff
	v_writelane_b32 v95, s3, 24
	s_cmp_eq_u32 s0, 0
	v_writelane_b32 v95, s35, 25
	s_cselect_b64 s[2:3], -1, 0
	v_writelane_b32 v95, s2, 26
	s_add_i32 s0, s1, -1
	s_mul_i32 s98, s26, s28
	v_writelane_b32 v95, s3, 27
	v_writelane_b32 v95, s1, 28
	;; [unrolled: 1-line block ×3, first 2 shown]
	s_lshl_b64 s[0:1], s[98:99], 1
	scratch_store_dword off, v1, off offset:156 ; 4-byte Folded Spill
	v_and_b32_e32 v1, 15, v20
	s_add_u32 s4, s18, s0
	s_addc_u32 s5, s19, s1
	v_cmp_ne_u32_e64 s[0:1], 0, v1
	v_cmp_lt_u32_e64 s[2:3], 3, v1
	s_mul_i32 s98, s29, s34
	v_writelane_b32 v95, s0, 30
	v_and_b32_e32 v2, 64, v20
	v_lshlrev_b32_e32 v19, 4, v0
	v_writelane_b32 v95, s1, 31
	v_cmp_lt_u32_e64 s[0:1], 1, v1
	v_cmp_eq_u32_e64 s[16:17], 0, v0
	v_add_u32_e32 v18, 0, v16
	v_writelane_b32 v95, s0, 32
	v_mov_b32_e32 v17, 0
	scratch_store_dword off, v18, off offset:4 ; 4-byte Folded Spill
	v_writelane_b32 v95, s1, 33
	v_cmp_lt_u32_e64 s[0:1], 7, v1
	v_and_b32_e32 v1, 16, v20
	v_lshlrev_b32_e32 v16, 1, v20
	v_writelane_b32 v95, s0, 34
	v_cmp_lt_u32_e64 s[12:13], 31, v20
	s_mov_b32 s8, 0xc2ce8ed0
	v_writelane_b32 v95, s1, 35
	v_cmp_ne_u32_e64 s[0:1], 0, v1
	v_add_u32_e32 v1, -1, v20
	v_cmp_lt_i32_e32 vcc, v1, v2
	v_writelane_b32 v95, s0, 36
	s_mov_b32 s9, 0x42b17218
	v_cndmask_b32_e32 v1, v1, v20, vcc
	v_writelane_b32 v95, s1, 37
	s_lshl_b64 s[0:1], s[98:99], 1
	s_add_u32 s0, s4, s0
	s_mul_i32 s98, s26, s54
	s_addc_u32 s1, s5, s1
	s_lshl_b64 s[4:5], s[98:99], 1
	s_add_u32 s14, s22, s4
	v_writelane_b32 v95, s48, 38
	s_mul_i32 s98, s55, s34
	s_addc_u32 s15, s23, s5
	s_lshl_b64 s[4:5], s[98:99], 1
	s_add_u32 s18, s14, s4
	s_mul_i32 s98, s26, s30
	s_addc_u32 s19, s15, s5
	s_lshl_b64 s[14:15], s[98:99], 1
	s_add_u32 s22, s24, s14
	v_cmp_eq_u32_e64 s[4:5], 63, v0
	v_lshlrev_b32_e32 v1, 2, v1
	s_addc_u32 s23, s25, s15
	v_cmp_gt_u32_e64 s[14:15], 64, v0
	v_mov_b32_e32 v0, v20
	scratch_store_dwordx2 off, v[0:1], off offset:172 ; 8-byte Folded Spill
	v_or_b32_e32 v0, 1, v19
	scratch_store_dword off, v0, off offset:268 ; 4-byte Folded Spill
	v_or_b32_e32 v0, 2, v19
	scratch_store_dword off, v0, off offset:272 ; 4-byte Folded Spill
	;; [unrolled: 2-line block ×6, first 2 shown]
                                        ; implicit-def: $vgpr0
	v_writelane_b32 v95, s49, 39
	v_or_b32_e32 v0, 7, v19
	v_writelane_b32 v95, s50, 40
	scratch_store_dword off, v0, off offset:292 ; 4-byte Folded Spill
	v_or_b32_e32 v0, 8, v19
	v_writelane_b32 v95, s51, 41
	scratch_store_dword off, v0, off offset:296 ; 4-byte Folded Spill
	;; [unrolled: 3-line block ×4, first 2 shown]
	v_or_b32_e32 v0, 11, v19
	v_writelane_b32 v95, s54, 44
	s_mul_i32 s98, s31, s34
	scratch_store_dword off, v0, off offset:308 ; 4-byte Folded Spill
	v_or_b32_e32 v0, 12, v19
	v_writelane_b32 v95, s55, 45
	s_lshl_b64 s[20:21], s[98:99], 1
	scratch_store_dword off, v0, off offset:312 ; 4-byte Folded Spill
	v_or_b32_e32 v0, 13, v19
	v_writelane_b32 v95, s4, 46
	s_add_u32 s20, s22, s20
	scratch_store_dword off, v0, off offset:316 ; 4-byte Folded Spill
	v_or_b32_e32 v0, 14, v19
	v_writelane_b32 v95, s5, 47
	scratch_store_dword off, v1, off offset:160 ; 4-byte Folded Spill
	s_addc_u32 s21, s23, s21
	s_add_i32 s22, 0, 0x1088
	scratch_store_dword off, v0, off offset:320 ; 4-byte Folded Spill
	scratch_store_dword off, v19, off offset:264 ; 4-byte Folded Spill
	v_or_b32_e32 v0, 15, v19
	v_writelane_b32 v95, s22, 48
	scratch_store_dword off, v0, off offset:324 ; 4-byte Folded Spill
	v_lshl_add_u64 v[0:1], s[0:1], 0, v[16:17]
	scratch_store_dwordx2 off, v[0:1], off offset:240 ; 8-byte Folded Spill
	v_lshl_add_u64 v[0:1], s[18:19], 0, v[16:17]
	v_writelane_b32 v95, s97, 49
	scratch_store_dwordx2 off, v[0:1], off offset:248 ; 8-byte Folded Spill
	v_lshl_add_u64 v[0:1], s[20:21], 0, v[16:17]
	v_writelane_b32 v95, s6, 50
	s_mov_b32 s4, 0x41a00000
	s_mov_b32 s5, 0x3fb8aa3b
	;; [unrolled: 1-line block ×7, first 2 shown]
	v_mov_b32_e32 v39, 0x7f800000
	v_mov_b32_e32 v20, 0x42800000
	v_mov_b32_e32 v21, 0x1f800000
	s_mov_b32 s1, 0
	scratch_store_dwordx2 off, v[0:1], off offset:256 ; 8-byte Folded Spill
	v_mov_b32_e32 v0, 0x3f317218
	v_writelane_b32 v95, s7, 51
	scratch_store_dwordx2 off, v[0:1], off offset:164 ; 8-byte Folded Spill
	s_branch .LBB48_13
.LBB48_12:                              ;   in Loop: Header=BB48_13 Depth=1
	s_or_b64 exec, exec, s[18:19]
	v_readlane_b32 s0, v95, 4
	v_readlane_b32 s1, v95, 5
	s_add_u32 s0, s0, 0x800
	s_addc_u32 s1, s1, 0
	v_writelane_b32 v95, s0, 4
	s_nop 1
	v_writelane_b32 v95, s1, 5
	s_nop 0
	v_readlane_b32 s38, v95, 55
	v_readlane_b32 s39, v95, 56
	s_add_u32 s38, s38, 0x800
	s_addc_u32 s39, s39, 0
	v_readlane_b32 s0, v95, 8
	v_readlane_b32 s1, v95, 9
	s_add_u32 s0, s0, 0x800
	s_addc_u32 s1, s1, 0
	v_writelane_b32 v95, s0, 8
	s_nop 1
	v_writelane_b32 v95, s1, 9
	s_nop 0
	v_readlane_b32 s0, v95, 18
	v_readlane_b32 s1, v95, 19
	s_add_u32 s0, s0, 0x800
	s_addc_u32 s1, s1, 0
	v_writelane_b32 v95, s0, 18
	s_nop 1
	v_writelane_b32 v95, s1, 19
	s_nop 0
	v_readlane_b32 s1, v95, 52
	s_add_i32 s1, s1, 1
	v_readlane_b32 s0, v95, 28
	s_cmp_lg_u32 s1, s0
	s_cbranch_scc0 .LBB48_298
.LBB48_13:                              ; =>This Loop Header: Depth=1
                                        ;     Child Loop BB48_110 Depth 2
	s_waitcnt lgkmcnt(0)
	; wave barrier
	s_waitcnt vmcnt(63) expcnt(7) lgkmcnt(15)
	scratch_load_dwordx2 v[0:1], off, off offset:172 ; 8-byte Folded Reload
	s_lshl_b32 s20, s1, 10
	v_writelane_b32 v95, s1, 52
	s_mov_b32 s18, s20
	v_readlane_b32 s0, v95, 25
	v_writelane_b32 v95, s18, 53
	s_sub_i32 s82, s0, s20
	s_waitcnt vmcnt(0) lgkmcnt(0)
	v_mov_b32_e32 v2, v0
	v_writelane_b32 v95, s19, 54
	v_lshlrev_b32_e32 v16, 1, v2
	v_writelane_b32 v95, s38, 55
	v_cmp_gt_u32_e64 s[18:19], s82, v2
	v_mov_b32_e32 v2, 0
	v_writelane_b32 v95, s39, 56
	v_lshl_add_u64 v[0:1], s[38:39], 0, v[16:17]
	s_and_saveexec_b64 s[20:21], s[18:19]
	s_cbranch_execz .LBB48_15
; %bb.14:                               ;   in Loop: Header=BB48_13 Depth=1
	global_load_ushort v2, v[0:1], off
.LBB48_15:                              ;   in Loop: Header=BB48_13 Depth=1
	s_or_b64 exec, exec, s[20:21]
	scratch_load_dword v3, off, off offset:180 ; 4-byte Folded Reload
	v_mov_b32_e32 v4, 0
	s_waitcnt vmcnt(0)
	v_cmp_gt_u32_e64 s[20:21], s82, v3
	v_mov_b32_e32 v3, 0
	s_and_saveexec_b64 s[22:23], s[20:21]
	s_cbranch_execz .LBB48_17
; %bb.16:                               ;   in Loop: Header=BB48_13 Depth=1
	global_load_ushort v4, v[0:1], off offset:128
.LBB48_17:                              ;   in Loop: Header=BB48_13 Depth=1
	s_or_b64 exec, exec, s[22:23]
	scratch_load_dword v5, off, off offset:184 ; 4-byte Folded Reload
	s_waitcnt vmcnt(0)
	v_cmp_gt_u32_e64 s[22:23], s82, v5
	s_and_saveexec_b64 s[24:25], s[22:23]
	s_cbranch_execz .LBB48_19
; %bb.18:                               ;   in Loop: Header=BB48_13 Depth=1
	global_load_ushort v3, v[0:1], off offset:256
.LBB48_19:                              ;   in Loop: Header=BB48_13 Depth=1
	s_or_b64 exec, exec, s[24:25]
	scratch_load_dword v5, off, off offset:188 ; 4-byte Folded Reload
	v_mov_b32_e32 v6, 0
	s_waitcnt vmcnt(0)
	v_cmp_gt_u32_e64 s[24:25], s82, v5
	v_mov_b32_e32 v5, 0
	s_and_saveexec_b64 s[26:27], s[24:25]
	s_cbranch_execz .LBB48_21
; %bb.20:                               ;   in Loop: Header=BB48_13 Depth=1
	global_load_ushort v6, v[0:1], off offset:384
.LBB48_21:                              ;   in Loop: Header=BB48_13 Depth=1
	s_or_b64 exec, exec, s[26:27]
	scratch_load_dword v7, off, off offset:192 ; 4-byte Folded Reload
	s_waitcnt vmcnt(0)
	v_cmp_gt_u32_e64 s[26:27], s82, v7
	s_and_saveexec_b64 s[28:29], s[26:27]
	s_cbranch_execz .LBB48_23
; %bb.22:                               ;   in Loop: Header=BB48_13 Depth=1
	global_load_ushort v5, v[0:1], off offset:512
.LBB48_23:                              ;   in Loop: Header=BB48_13 Depth=1
	;; [unrolled: 20-line block ×4, first 2 shown]
	s_or_b64 exec, exec, s[38:39]
	scratch_load_dword v10, off, off offset:212 ; 4-byte Folded Reload
	v_mov_b32_e32 v12, 0
	v_mov_b32_e32 v13, 0
	s_waitcnt vmcnt(0)
	v_cmp_gt_u32_e64 s[38:39], s82, v10
	s_and_saveexec_b64 s[40:41], s[38:39]
	s_cbranch_execz .LBB48_33
; %bb.32:                               ;   in Loop: Header=BB48_13 Depth=1
	global_load_ushort v13, v[0:1], off offset:1152
.LBB48_33:                              ;   in Loop: Header=BB48_13 Depth=1
	s_or_b64 exec, exec, s[40:41]
	scratch_load_dword v10, off, off offset:216 ; 4-byte Folded Reload
	s_waitcnt vmcnt(0)
	v_cmp_gt_u32_e64 s[40:41], s82, v10
	s_and_saveexec_b64 s[42:43], s[40:41]
	s_cbranch_execz .LBB48_35
; %bb.34:                               ;   in Loop: Header=BB48_13 Depth=1
	global_load_ushort v12, v[0:1], off offset:1280
.LBB48_35:                              ;   in Loop: Header=BB48_13 Depth=1
	s_or_b64 exec, exec, s[42:43]
	scratch_load_dword v10, off, off offset:220 ; 4-byte Folded Reload
	v_mov_b32_e32 v14, 0
	v_mov_b32_e32 v15, 0
	s_waitcnt vmcnt(0)
	v_cmp_gt_u32_e64 s[42:43], s82, v10
	s_and_saveexec_b64 s[44:45], s[42:43]
	s_cbranch_execz .LBB48_37
; %bb.36:                               ;   in Loop: Header=BB48_13 Depth=1
	global_load_ushort v15, v[0:1], off offset:1408
.LBB48_37:                              ;   in Loop: Header=BB48_13 Depth=1
	s_or_b64 exec, exec, s[44:45]
	scratch_load_dword v10, off, off offset:224 ; 4-byte Folded Reload
	s_waitcnt vmcnt(0)
	v_cmp_gt_u32_e64 s[44:45], s82, v10
	s_and_saveexec_b64 s[46:47], s[44:45]
	s_cbranch_execz .LBB48_39
; %bb.38:                               ;   in Loop: Header=BB48_13 Depth=1
	global_load_ushort v14, v[0:1], off offset:1536
.LBB48_39:                              ;   in Loop: Header=BB48_13 Depth=1
	;; [unrolled: 20-line block ×3, first 2 shown]
	s_or_b64 exec, exec, s[50:51]
	scratch_load_dword v10, off, off offset:236 ; 4-byte Folded Reload
	v_mov_b32_e32 v22, 0
	s_waitcnt vmcnt(0)
	v_cmp_gt_u32_e64 s[50:51], s82, v10
	v_mov_b32_e32 v10, 0
	s_and_saveexec_b64 s[52:53], s[50:51]
	s_cbranch_execz .LBB48_45
; %bb.44:                               ;   in Loop: Header=BB48_13 Depth=1
	global_load_ushort v22, v[0:1], off offset:1920
.LBB48_45:                              ;   in Loop: Header=BB48_13 Depth=1
	s_or_b64 exec, exec, s[52:53]
	scratch_load_dword v0, off, off         ; 4-byte Folded Reload
	v_readlane_b32 s0, v95, 4
	v_readlane_b32 s1, v95, 5
	s_waitcnt vmcnt(0)
	ds_write_b16 v0, v2
	scratch_load_dword v0, off, off offset:8 ; 4-byte Folded Reload
	s_waitcnt vmcnt(0)
	ds_write_b16 v0, v4 offset:128
	scratch_load_dword v0, off, off offset:12 ; 4-byte Folded Reload
	s_waitcnt vmcnt(0)
	ds_write_b16 v0, v3 offset:256
	;; [unrolled: 3-line block ×8, first 2 shown]
	scratch_load_dword v0, off, off offset:40 ; 4-byte Folded Reload
	v_lshl_add_u64 v[8:9], s[0:1], 0, v[16:17]
	s_waitcnt vmcnt(0)
	ds_write_b16 v0, v13 offset:1152
	scratch_load_dword v0, off, off offset:44 ; 4-byte Folded Reload
	s_waitcnt vmcnt(0)
	ds_write_b16 v0, v12 offset:1280
	scratch_load_dword v0, off, off offset:48 ; 4-byte Folded Reload
	;; [unrolled: 3-line block ×6, first 2 shown]
	s_waitcnt vmcnt(0)
	ds_write_b16 v0, v22 offset:1920
	; wave barrier
	scratch_load_dword v4, off, off offset:4 ; 4-byte Folded Reload
	s_waitcnt vmcnt(0)
	ds_read_b128 v[0:3], v4
	ds_read_b128 v[4:7], v4 offset:16
	s_waitcnt lgkmcnt(0)
	; wave barrier
	s_waitcnt lgkmcnt(0)
	s_and_saveexec_b64 s[52:53], s[18:19]
	s_cbranch_execz .LBB48_47
; %bb.46:                               ;   in Loop: Header=BB48_13 Depth=1
	global_load_ushort v10, v[8:9], off
.LBB48_47:                              ;   in Loop: Header=BB48_13 Depth=1
	s_or_b64 exec, exec, s[52:53]
	v_mov_b32_e32 v11, 0
	v_mov_b32_e32 v12, 0
	s_and_saveexec_b64 s[52:53], s[20:21]
	s_cbranch_execz .LBB48_49
; %bb.48:                               ;   in Loop: Header=BB48_13 Depth=1
	global_load_ushort v12, v[8:9], off offset:128
.LBB48_49:                              ;   in Loop: Header=BB48_13 Depth=1
	s_or_b64 exec, exec, s[52:53]
	s_and_saveexec_b64 s[52:53], s[22:23]
	s_cbranch_execz .LBB48_51
; %bb.50:                               ;   in Loop: Header=BB48_13 Depth=1
	global_load_ushort v11, v[8:9], off offset:256
.LBB48_51:                              ;   in Loop: Header=BB48_13 Depth=1
	s_or_b64 exec, exec, s[52:53]
	v_mov_b32_e32 v13, 0
	v_mov_b32_e32 v14, 0
	s_and_saveexec_b64 s[52:53], s[24:25]
	s_cbranch_execz .LBB48_53
; %bb.52:                               ;   in Loop: Header=BB48_13 Depth=1
	global_load_ushort v14, v[8:9], off offset:384
.LBB48_53:                              ;   in Loop: Header=BB48_13 Depth=1
	s_or_b64 exec, exec, s[52:53]
	s_and_saveexec_b64 s[52:53], s[26:27]
	s_cbranch_execz .LBB48_55
; %bb.54:                               ;   in Loop: Header=BB48_13 Depth=1
	global_load_ushort v13, v[8:9], off offset:512
.LBB48_55:                              ;   in Loop: Header=BB48_13 Depth=1
	;; [unrolled: 14-line block ×6, first 2 shown]
	s_or_b64 exec, exec, s[52:53]
	v_mov_b32_e32 v27, 0
	v_mov_b32_e32 v28, 0
	s_and_saveexec_b64 s[52:53], s[46:47]
	s_cbranch_execnz .LBB48_267
; %bb.72:                               ;   in Loop: Header=BB48_13 Depth=1
	s_or_b64 exec, exec, s[52:53]
	s_and_saveexec_b64 s[52:53], s[48:49]
	s_cbranch_execnz .LBB48_268
.LBB48_73:                              ;   in Loop: Header=BB48_13 Depth=1
	s_or_b64 exec, exec, s[52:53]
	v_mov_b32_e32 v29, 0
	s_and_saveexec_b64 s[52:53], s[50:51]
	s_cbranch_execz .LBB48_75
.LBB48_74:                              ;   in Loop: Header=BB48_13 Depth=1
	global_load_ushort v29, v[8:9], off offset:1920
.LBB48_75:                              ;   in Loop: Header=BB48_13 Depth=1
	s_or_b64 exec, exec, s[52:53]
	scratch_load_dword v8, off, off         ; 4-byte Folded Reload
	v_readlane_b32 s0, v95, 2
	s_waitcnt vmcnt(0)
	ds_write_b16 v8, v10
	scratch_load_dword v8, off, off offset:8 ; 4-byte Folded Reload
	s_waitcnt vmcnt(0)
	ds_write_b16 v8, v12 offset:128
	scratch_load_dword v8, off, off offset:12 ; 4-byte Folded Reload
	s_waitcnt vmcnt(0)
	ds_write_b16 v8, v11 offset:256
	;; [unrolled: 3-line block ×15, first 2 shown]
	; wave barrier
	scratch_load_dword v8, off, off offset:4 ; 4-byte Folded Reload
	s_waitcnt vmcnt(0)
	ds_read_b128 v[12:15], v8
	ds_read_b128 v[8:11], v8 offset:16
	s_waitcnt lgkmcnt(1)
	v_lshlrev_b32_e32 v18, 16, v12
	v_add_f32_e32 v23, s0, v18
	v_cmp_ge_f32_e32 vcc, s4, v23
	s_and_b64 s[0:1], s[6:7], vcc
	s_and_saveexec_b64 s[54:55], s[0:1]
	s_cbranch_execz .LBB48_77
; %bb.76:                               ;   in Loop: Header=BB48_13 Depth=1
	v_mul_f32_e32 v18, 0x3fb8aa3b, v23
	v_rndne_f32_e32 v19, v18
	v_sub_f32_e32 v22, v18, v19
	v_fma_f32 v18, v23, s5, -v18
	v_fmac_f32_e32 v18, 0x32a5705f, v23
	v_add_f32_e32 v18, v22, v18
	v_cvt_i32_f32_e32 v19, v19
	v_exp_f32_e32 v18, v18
	v_cmp_ngt_f32_e32 vcc, s8, v23
	v_ldexp_f32 v18, v18, v19
	s_nop 0
	v_cndmask_b32_e32 v18, 0, v18, vcc
	v_cmp_nlt_f32_e32 vcc, s9, v23
	s_nop 1
	v_cndmask_b32_e32 v36, v39, v18, vcc
	v_add_f32_e32 v22, 1.0, v36
	v_add_f32_e32 v18, -1.0, v22
	v_sub_f32_e32 v19, v18, v22
	v_add_f32_e32 v19, 1.0, v19
	v_sub_f32_e32 v18, v36, v18
	v_add_f32_e32 v23, v18, v19
	v_frexp_mant_f32_e32 v24, v22
	v_cvt_f64_f32_e32 v[18:19], v22
	v_frexp_exp_i32_f64_e32 v18, v[18:19]
	v_cmp_gt_f32_e32 vcc, s11, v24
	v_cmp_gt_f32_e64 s[52:53], s57, v36
	s_nop 0
	v_subbrev_co_u32_e32 v28, vcc, 0, v18, vcc
	v_sub_u32_e32 v18, 0, v28
	v_ldexp_f32 v19, v22, v18
	v_add_f32_e32 v22, -1.0, v19
	v_add_f32_e32 v24, 1.0, v19
	v_ldexp_f32 v18, v23, v18
	v_add_f32_e32 v23, 1.0, v22
	v_add_f32_e32 v25, -1.0, v24
	v_sub_f32_e32 v23, v19, v23
	v_sub_f32_e32 v19, v19, v25
	v_add_f32_e32 v23, v18, v23
	v_add_f32_e32 v18, v18, v19
	;; [unrolled: 1-line block ×3, first 2 shown]
	v_rcp_f32_e32 v31, v29
	v_sub_f32_e32 v19, v24, v29
	v_add_f32_e32 v30, v18, v19
	v_add_f32_e32 v19, v22, v23
	v_mul_f32_e32 v33, v19, v31
	v_sub_f32_e32 v18, v22, v19
	v_mul_f32_e32 v22, v29, v33
	v_fma_f32 v24, v33, v29, -v22
	v_fmac_f32_e32 v24, v33, v30
	v_add_f32_e32 v32, v23, v18
	v_add_f32_e32 v18, v22, v24
	v_sub_f32_e32 v23, v19, v18
	v_pk_add_f32 v[26:27], v[18:19], v[22:23] neg_lo:[0,1] neg_hi:[0,1]
	v_mov_b32_e32 v25, v18
	v_pk_add_f32 v[18:19], v[26:27], v[24:25] neg_lo:[0,1] neg_hi:[0,1]
	v_cmp_eq_f32_e32 vcc, s10, v36
	v_add_f32_e32 v19, v32, v19
	v_add_f32_e32 v18, v18, v19
	;; [unrolled: 1-line block ×3, first 2 shown]
	v_mul_f32_e32 v32, v31, v19
	v_mul_f32_e32 v22, v29, v32
	v_fma_f32 v24, v32, v29, -v22
	v_fmac_f32_e32 v24, v32, v30
	v_sub_f32_e32 v23, v23, v19
	v_add_f32_e32 v29, v18, v23
	v_add_f32_e32 v18, v22, v24
	v_sub_f32_e32 v23, v19, v18
	v_pk_add_f32 v[26:27], v[18:19], v[22:23] neg_lo:[0,1] neg_hi:[0,1]
	v_mov_b32_e32 v25, v18
	v_pk_add_f32 v[18:19], v[26:27], v[24:25] neg_lo:[0,1] neg_hi:[0,1]
	scratch_load_dwordx2 v[26:27], off, off offset:164 ; 8-byte Folded Reload
	v_add_f32_e32 v19, v29, v19
	v_add_f32_e32 v18, v18, v19
	v_add_f32_e32 v19, v33, v32
	v_add_f32_e32 v18, v23, v18
	v_sub_f32_e32 v22, v19, v33
	v_mul_f32_e32 v18, v31, v18
	v_sub_f32_e32 v22, v32, v22
	v_add_f32_e32 v22, v22, v18
	v_add_f32_e32 v24, v19, v22
	v_mul_f32_e32 v25, v24, v24
	v_mov_b32_e32 v18, 0x3ecc95a3
	v_fmamk_f32 v18, v25, 0x3e9b6dac, v18
	v_fmaak_f32 v31, v25, v18, 0x3f2aaada
	v_cvt_f32_i32_e32 v18, v28
	v_sub_f32_e32 v19, v24, v19
	v_sub_f32_e32 v19, v22, v19
	v_ldexp_f32 v23, v24, 1
	s_or_b64 vcc, s[52:53], vcc
	s_waitcnt vmcnt(0)
	v_mov_b32_e32 v30, v26
	v_ldexp_f32 v26, v19, 1
	v_mul_f32_e32 v19, v24, v25
	v_mov_b32_e32 v22, v30
	v_pk_mul_f32 v[24:25], v[18:19], v[30:31]
	scratch_store_dwordx2 off, v[22:23], off offset:164 ; 8-byte Folded Spill
	v_fma_f32 v22, v18, s56, -v24
	v_fmac_f32_e32 v22, 0xb102e308, v18
	v_pk_add_f32 v[18:19], v[24:25], v[22:23]
	s_nop 0
	v_sub_f32_e32 v23, v19, v23
	v_sub_f32_e32 v23, v25, v23
	v_add_f32_e32 v27, v26, v23
	v_mov_b32_e32 v26, v24
	v_pk_add_f32 v[24:25], v[18:19], v[24:25] neg_lo:[0,1] neg_hi:[0,1]
	v_pk_add_f32 v[28:29], v[18:19], v[26:27]
	v_mov_b32_e32 v23, v18
	v_mov_b32_e32 v25, v29
	v_pk_add_f32 v[30:31], v[22:23], v[24:25] neg_lo:[0,1] neg_hi:[0,1]
	v_pk_add_f32 v[22:23], v[22:23], v[24:25]
	v_mov_b32_e32 v26, v27
	v_mov_b32_e32 v24, v23
	v_pk_add_f32 v[32:33], v[24:25], v[18:19] neg_lo:[0,1] neg_hi:[0,1]
	v_mov_b32_e32 v22, v29
	v_mov_b32_e32 v25, v32
	v_pk_add_f32 v[34:35], v[28:29], v[24:25] neg_lo:[0,1] neg_hi:[0,1]
	v_mov_b32_e32 v28, v19
	v_mov_b32_e32 v29, v32
	;; [unrolled: 1-line block ×3, first 2 shown]
	v_pk_add_f32 v[22:23], v[22:23], v[28:29] neg_lo:[0,1] neg_hi:[0,1]
	v_mov_b32_e32 v27, v18
	v_pk_add_f32 v[18:19], v[26:27], v[22:23] neg_lo:[0,1] neg_hi:[0,1]
	v_mov_b32_e32 v34, v30
	v_pk_add_f32 v[22:23], v[34:35], v[18:19]
	s_nop 0
	v_mov_b32_e32 v26, v23
	v_pk_add_f32 v[26:27], v[22:23], v[26:27]
	s_nop 0
	v_pk_add_f32 v[24:25], v[24:25], v[26:27]
	v_mov_b32_e32 v19, v26
	v_mov_b32_e32 v23, v24
	v_pk_add_f32 v[28:29], v[22:23], v[30:31] neg_lo:[0,1] neg_hi:[0,1]
	s_nop 0
	v_sub_f32_e32 v22, v22, v28
	v_pk_add_f32 v[18:19], v[18:19], v[28:29] neg_lo:[0,1] neg_hi:[0,1]
	v_sub_f32_e32 v22, v30, v22
	v_add_f32_e32 v18, v18, v22
	v_add_f32_e32 v18, v18, v19
	;; [unrolled: 1-line block ×3, first 2 shown]
	v_cndmask_b32_e32 v23, v18, v36, vcc
.LBB48_77:                              ;   in Loop: Header=BB48_13 Depth=1
	s_or_b64 exec, exec, s[54:55]
	v_and_b32_e32 v12, 0xffff0000, v12
	v_readlane_b32 s0, v95, 2
	s_nop 1
	v_add_f32_e32 v24, s0, v12
	v_cmp_ge_f32_e32 vcc, s4, v24
	s_and_b64 s[0:1], s[6:7], vcc
	s_and_saveexec_b64 s[54:55], s[0:1]
	s_cbranch_execz .LBB48_79
; %bb.78:                               ;   in Loop: Header=BB48_13 Depth=1
	v_mul_f32_e32 v12, 0x3fb8aa3b, v24
	v_rndne_f32_e32 v18, v12
	v_sub_f32_e32 v19, v12, v18
	v_fma_f32 v12, v24, s5, -v12
	v_fmac_f32_e32 v12, 0x32a5705f, v24
	v_add_f32_e32 v12, v19, v12
	v_cvt_i32_f32_e32 v18, v18
	v_exp_f32_e32 v12, v12
	v_cmp_ngt_f32_e32 vcc, s8, v24
	v_ldexp_f32 v12, v12, v18
	s_nop 0
	v_cndmask_b32_e32 v12, 0, v12, vcc
	v_cmp_nlt_f32_e32 vcc, s9, v24
	s_nop 1
	v_cndmask_b32_e32 v36, v39, v12, vcc
	v_add_f32_e32 v12, 1.0, v36
	v_add_f32_e32 v18, -1.0, v12
	v_sub_f32_e32 v19, v18, v12
	v_add_f32_e32 v19, 1.0, v19
	v_sub_f32_e32 v18, v36, v18
	v_add_f32_e32 v22, v18, v19
	v_frexp_mant_f32_e32 v24, v12
	v_cvt_f64_f32_e32 v[18:19], v12
	v_frexp_exp_i32_f64_e32 v18, v[18:19]
	v_cmp_gt_f32_e32 vcc, s11, v24
	v_cmp_gt_f32_e64 s[52:53], s57, v36
	s_nop 0
	v_subbrev_co_u32_e32 v30, vcc, 0, v18, vcc
	v_sub_u32_e32 v18, 0, v30
	v_ldexp_f32 v12, v12, v18
	v_ldexp_f32 v18, v22, v18
	v_add_f32_e32 v22, -1.0, v12
	v_add_f32_e32 v19, 1.0, v22
	v_sub_f32_e32 v19, v12, v19
	v_add_f32_e32 v24, v18, v19
	v_add_f32_e32 v19, 1.0, v12
	v_add_f32_e32 v25, -1.0, v19
	v_sub_f32_e32 v12, v12, v25
	v_add_f32_e32 v12, v18, v12
	v_add_f32_e32 v31, v19, v12
	v_rcp_f32_e32 v32, v31
	v_sub_f32_e32 v18, v19, v31
	v_add_f32_e32 v19, v22, v24
	v_add_f32_e32 v12, v12, v18
	v_sub_f32_e32 v18, v22, v19
	v_mul_f32_e32 v33, v19, v32
	v_add_f32_e32 v22, v24, v18
	v_mul_f32_e32 v24, v31, v33
	v_fma_f32 v26, v33, v31, -v24
	v_fmac_f32_e32 v26, v33, v12
	v_add_f32_e32 v18, v24, v26
	v_sub_f32_e32 v25, v19, v18
	v_pk_add_f32 v[28:29], v[18:19], v[24:25] neg_lo:[0,1] neg_hi:[0,1]
	v_mov_b32_e32 v27, v18
	v_pk_add_f32 v[18:19], v[28:29], v[26:27] neg_lo:[0,1] neg_hi:[0,1]
	v_cmp_eq_f32_e32 vcc, s10, v36
	v_add_f32_e32 v19, v22, v19
	v_add_f32_e32 v18, v18, v19
	;; [unrolled: 1-line block ×3, first 2 shown]
	v_mul_f32_e32 v22, v32, v19
	v_mul_f32_e32 v24, v31, v22
	v_fma_f32 v26, v22, v31, -v24
	v_fmac_f32_e32 v26, v22, v12
	v_sub_f32_e32 v12, v25, v19
	v_add_f32_e32 v12, v18, v12
	v_add_f32_e32 v18, v24, v26
	v_sub_f32_e32 v25, v19, v18
	v_pk_add_f32 v[28:29], v[18:19], v[24:25] neg_lo:[0,1] neg_hi:[0,1]
	v_mov_b32_e32 v27, v18
	v_pk_add_f32 v[18:19], v[28:29], v[26:27] neg_lo:[0,1] neg_hi:[0,1]
	scratch_load_dwordx2 v[26:27], off, off offset:164 ; 8-byte Folded Reload
	v_add_f32_e32 v12, v12, v19
	v_add_f32_e32 v12, v18, v12
	;; [unrolled: 1-line block ×4, first 2 shown]
	v_sub_f32_e32 v18, v19, v33
	v_mul_f32_e32 v12, v32, v12
	v_sub_f32_e32 v18, v22, v18
	v_add_f32_e32 v12, v18, v12
	v_add_f32_e32 v22, v19, v12
	v_mul_f32_e32 v24, v22, v22
	v_mov_b32_e32 v18, 0x3ecc95a3
	v_fmamk_f32 v18, v24, 0x3e9b6dac, v18
	s_waitcnt vmcnt(0)
	v_fmaak_f32 v27, v24, v18, 0x3f2aaada
	v_cvt_f32_i32_e32 v18, v30
	v_sub_f32_e32 v19, v22, v19
	v_sub_f32_e32 v12, v12, v19
	v_mul_f32_e32 v19, v22, v24
	v_ldexp_f32 v25, v22, 1
	v_ldexp_f32 v12, v12, 1
	s_or_b64 vcc, s[52:53], vcc
	v_mov_b32_e32 v22, v26
	v_pk_mul_f32 v[26:27], v[18:19], v[26:27]
	scratch_store_dwordx2 off, v[22:23], off offset:164 ; 8-byte Folded Spill
	v_fma_f32 v24, v18, s56, -v26
	v_fmac_f32_e32 v24, 0xb102e308, v18
	v_pk_add_f32 v[18:19], v[26:27], v[24:25]
	v_mov_b32_e32 v28, v26
	v_sub_f32_e32 v22, v19, v25
	v_sub_f32_e32 v22, v27, v22
	v_add_f32_e32 v29, v12, v22
	v_pk_add_f32 v[26:27], v[18:19], v[26:27] neg_lo:[0,1] neg_hi:[0,1]
	v_pk_add_f32 v[30:31], v[18:19], v[28:29]
	v_mov_b32_e32 v25, v18
	v_mov_b32_e32 v27, v31
	v_pk_add_f32 v[32:33], v[24:25], v[26:27] neg_lo:[0,1] neg_hi:[0,1]
	v_pk_add_f32 v[24:25], v[24:25], v[26:27]
	s_nop 0
	v_mov_b32_e32 v12, v25
	v_pk_add_f32 v[26:27], v[12:13], v[18:19] neg_lo:[0,1] neg_hi:[0,1]
	v_mov_b32_e32 v24, v31
	v_mov_b32_e32 v27, v26
	v_pk_add_f32 v[34:35], v[30:31], v[26:27] neg_lo:[0,1] neg_hi:[0,1]
	v_mov_b32_e32 v30, v19
	v_mov_b32_e32 v31, v26
	;; [unrolled: 1-line block ×3, first 2 shown]
	v_pk_add_f32 v[24:25], v[24:25], v[30:31] neg_lo:[0,1] neg_hi:[0,1]
	v_mov_b32_e32 v26, v29
	v_mov_b32_e32 v27, v18
	v_pk_add_f32 v[18:19], v[26:27], v[24:25] neg_lo:[0,1] neg_hi:[0,1]
	v_mov_b32_e32 v34, v32
	v_pk_add_f32 v[24:25], v[34:35], v[18:19]
	s_nop 0
	v_mov_b32_e32 v22, v25
	v_pk_add_f32 v[26:27], v[24:25], v[22:23]
	s_nop 0
	v_pk_add_f32 v[28:29], v[12:13], v[26:27]
	v_mov_b32_e32 v19, v26
	v_mov_b32_e32 v25, v28
	v_pk_add_f32 v[30:31], v[24:25], v[32:33] neg_lo:[0,1] neg_hi:[0,1]
	s_nop 0
	v_sub_f32_e32 v12, v24, v30
	v_pk_add_f32 v[18:19], v[18:19], v[30:31] neg_lo:[0,1] neg_hi:[0,1]
	v_sub_f32_e32 v12, v32, v12
	v_add_f32_e32 v12, v18, v12
	v_add_f32_e32 v12, v12, v19
	;; [unrolled: 1-line block ×3, first 2 shown]
	v_cndmask_b32_e32 v24, v12, v36, vcc
.LBB48_79:                              ;   in Loop: Header=BB48_13 Depth=1
	s_or_b64 exec, exec, s[54:55]
	v_lshlrev_b32_e32 v12, 16, v13
	v_readlane_b32 s0, v95, 2
	s_nop 1
	v_add_f32_e32 v25, s0, v12
	v_cmp_ge_f32_e32 vcc, s4, v25
	s_and_b64 s[0:1], s[6:7], vcc
	s_and_saveexec_b64 s[54:55], s[0:1]
	s_cbranch_execz .LBB48_81
; %bb.80:                               ;   in Loop: Header=BB48_13 Depth=1
	v_mul_f32_e32 v12, 0x3fb8aa3b, v25
	v_rndne_f32_e32 v18, v12
	v_sub_f32_e32 v19, v12, v18
	v_fma_f32 v12, v25, s5, -v12
	v_fmac_f32_e32 v12, 0x32a5705f, v25
	v_add_f32_e32 v12, v19, v12
	v_cvt_i32_f32_e32 v18, v18
	v_exp_f32_e32 v12, v12
	v_cmp_ngt_f32_e32 vcc, s8, v25
	v_ldexp_f32 v12, v12, v18
	s_nop 0
	v_cndmask_b32_e32 v12, 0, v12, vcc
	v_cmp_nlt_f32_e32 vcc, s9, v25
	s_nop 1
	v_cndmask_b32_e32 v38, v39, v12, vcc
	v_add_f32_e32 v12, 1.0, v38
	v_add_f32_e32 v18, -1.0, v12
	v_sub_f32_e32 v19, v18, v12
	v_add_f32_e32 v19, 1.0, v19
	v_sub_f32_e32 v18, v38, v18
	v_add_f32_e32 v22, v18, v19
	v_frexp_mant_f32_e32 v25, v12
	v_cvt_f64_f32_e32 v[18:19], v12
	v_frexp_exp_i32_f64_e32 v18, v[18:19]
	v_cmp_gt_f32_e32 vcc, s11, v25
	v_cmp_gt_f32_e64 s[52:53], s57, v38
	s_nop 0
	v_subbrev_co_u32_e32 v25, vcc, 0, v18, vcc
	v_sub_u32_e32 v18, 0, v25
	v_ldexp_f32 v12, v12, v18
	v_ldexp_f32 v18, v22, v18
	v_add_f32_e32 v22, -1.0, v12
	v_add_f32_e32 v19, 1.0, v22
	v_sub_f32_e32 v19, v12, v19
	v_add_f32_e32 v26, v18, v19
	v_add_f32_e32 v19, 1.0, v12
	v_add_f32_e32 v27, -1.0, v19
	v_sub_f32_e32 v12, v12, v27
	v_add_f32_e32 v12, v18, v12
	v_add_f32_e32 v32, v19, v12
	v_rcp_f32_e32 v33, v32
	v_sub_f32_e32 v18, v19, v32
	v_add_f32_e32 v19, v22, v26
	v_add_f32_e32 v12, v12, v18
	v_sub_f32_e32 v18, v22, v19
	v_mul_f32_e32 v34, v19, v33
	v_add_f32_e32 v22, v26, v18
	v_mul_f32_e32 v26, v32, v34
	v_fma_f32 v28, v34, v32, -v26
	v_fmac_f32_e32 v28, v34, v12
	v_add_f32_e32 v18, v26, v28
	v_sub_f32_e32 v27, v19, v18
	v_pk_add_f32 v[30:31], v[18:19], v[26:27] neg_lo:[0,1] neg_hi:[0,1]
	v_mov_b32_e32 v29, v18
	v_pk_add_f32 v[18:19], v[30:31], v[28:29] neg_lo:[0,1] neg_hi:[0,1]
	v_cmp_eq_f32_e32 vcc, s10, v38
	v_add_f32_e32 v19, v22, v19
	v_add_f32_e32 v18, v18, v19
	;; [unrolled: 1-line block ×3, first 2 shown]
	v_mul_f32_e32 v22, v33, v19
	v_mul_f32_e32 v26, v32, v22
	v_fma_f32 v28, v22, v32, -v26
	v_fmac_f32_e32 v28, v22, v12
	v_sub_f32_e32 v12, v27, v19
	v_add_f32_e32 v12, v18, v12
	v_add_f32_e32 v18, v26, v28
	v_sub_f32_e32 v27, v19, v18
	v_pk_add_f32 v[30:31], v[18:19], v[26:27] neg_lo:[0,1] neg_hi:[0,1]
	v_mov_b32_e32 v29, v18
	v_pk_add_f32 v[18:19], v[30:31], v[28:29] neg_lo:[0,1] neg_hi:[0,1]
	scratch_load_dwordx2 v[28:29], off, off offset:164 ; 8-byte Folded Reload
	v_add_f32_e32 v12, v12, v19
	v_add_f32_e32 v12, v18, v12
	v_add_f32_e32 v19, v34, v22
	v_add_f32_e32 v12, v27, v12
	v_sub_f32_e32 v18, v19, v34
	v_mul_f32_e32 v12, v33, v12
	v_sub_f32_e32 v18, v22, v18
	v_add_f32_e32 v12, v18, v12
	v_add_f32_e32 v22, v19, v12
	v_mul_f32_e32 v26, v22, v22
	v_mov_b32_e32 v18, 0x3ecc95a3
	v_fmamk_f32 v18, v26, 0x3e9b6dac, v18
	s_waitcnt vmcnt(0)
	v_fmaak_f32 v29, v26, v18, 0x3f2aaada
	v_cvt_f32_i32_e32 v18, v25
	v_sub_f32_e32 v19, v22, v19
	v_sub_f32_e32 v12, v12, v19
	v_mul_f32_e32 v19, v22, v26
	v_ldexp_f32 v27, v22, 1
	v_ldexp_f32 v12, v12, 1
	s_or_b64 vcc, s[52:53], vcc
	v_mov_b32_e32 v22, v28
	v_pk_mul_f32 v[28:29], v[18:19], v[28:29]
	scratch_store_dwordx2 off, v[22:23], off offset:164 ; 8-byte Folded Spill
	v_fma_f32 v26, v18, s56, -v28
	v_fmac_f32_e32 v26, 0xb102e308, v18
	v_pk_add_f32 v[18:19], v[28:29], v[26:27]
	v_mov_b32_e32 v30, v28
	v_sub_f32_e32 v22, v19, v27
	v_sub_f32_e32 v22, v29, v22
	v_add_f32_e32 v31, v12, v22
	v_pk_add_f32 v[28:29], v[18:19], v[28:29] neg_lo:[0,1] neg_hi:[0,1]
	v_pk_add_f32 v[32:33], v[18:19], v[30:31]
	v_mov_b32_e32 v27, v18
	v_mov_b32_e32 v29, v33
	v_pk_add_f32 v[34:35], v[26:27], v[28:29] neg_lo:[0,1] neg_hi:[0,1]
	v_pk_add_f32 v[26:27], v[26:27], v[28:29]
	s_nop 0
	v_mov_b32_e32 v12, v27
	v_pk_add_f32 v[28:29], v[12:13], v[18:19] neg_lo:[0,1] neg_hi:[0,1]
	v_mov_b32_e32 v26, v33
	v_mov_b32_e32 v25, v28
	v_pk_add_f32 v[36:37], v[32:33], v[24:25] neg_lo:[0,1] neg_hi:[0,1]
	v_mov_b32_e32 v32, v19
	v_mov_b32_e32 v33, v28
	;; [unrolled: 1-line block ×3, first 2 shown]
	v_pk_add_f32 v[26:27], v[26:27], v[32:33] neg_lo:[0,1] neg_hi:[0,1]
	v_mov_b32_e32 v28, v31
	v_mov_b32_e32 v29, v18
	v_pk_add_f32 v[18:19], v[28:29], v[26:27] neg_lo:[0,1] neg_hi:[0,1]
	v_mov_b32_e32 v36, v34
	v_pk_add_f32 v[26:27], v[36:37], v[18:19]
	s_nop 0
	v_mov_b32_e32 v22, v27
	v_pk_add_f32 v[28:29], v[26:27], v[22:23]
	s_nop 0
	v_pk_add_f32 v[30:31], v[12:13], v[28:29]
	v_mov_b32_e32 v19, v28
	v_mov_b32_e32 v27, v30
	v_pk_add_f32 v[32:33], v[26:27], v[34:35] neg_lo:[0,1] neg_hi:[0,1]
	s_nop 0
	v_sub_f32_e32 v12, v26, v32
	v_pk_add_f32 v[18:19], v[18:19], v[32:33] neg_lo:[0,1] neg_hi:[0,1]
	v_sub_f32_e32 v12, v34, v12
	v_add_f32_e32 v12, v18, v12
	v_add_f32_e32 v12, v12, v19
	;; [unrolled: 1-line block ×3, first 2 shown]
	v_cndmask_b32_e32 v25, v12, v38, vcc
.LBB48_81:                              ;   in Loop: Header=BB48_13 Depth=1
	s_or_b64 exec, exec, s[54:55]
	v_and_b32_e32 v12, 0xffff0000, v13
	v_readlane_b32 s0, v95, 2
	s_nop 1
	v_add_f32_e32 v18, s0, v12
	v_cmp_ge_f32_e32 vcc, s4, v18
	s_and_b64 s[0:1], s[6:7], vcc
	s_and_saveexec_b64 s[54:55], s[0:1]
	s_cbranch_execz .LBB48_83
; %bb.82:                               ;   in Loop: Header=BB48_13 Depth=1
	v_mul_f32_e32 v12, 0x3fb8aa3b, v18
	v_rndne_f32_e32 v13, v12
	v_sub_f32_e32 v19, v12, v13
	v_fma_f32 v12, v18, s5, -v12
	v_fmac_f32_e32 v12, 0x32a5705f, v18
	v_add_f32_e32 v12, v19, v12
	v_cvt_i32_f32_e32 v13, v13
	v_exp_f32_e32 v12, v12
	v_cmp_ngt_f32_e32 vcc, s8, v18
	v_ldexp_f32 v12, v12, v13
	s_nop 0
	v_cndmask_b32_e32 v12, 0, v12, vcc
	v_cmp_nlt_f32_e32 vcc, s9, v18
	s_nop 1
	v_cndmask_b32_e32 v36, v39, v12, vcc
	v_add_f32_e32 v18, 1.0, v36
	v_add_f32_e32 v12, -1.0, v18
	v_sub_f32_e32 v13, v12, v18
	v_add_f32_e32 v13, 1.0, v13
	v_sub_f32_e32 v12, v36, v12
	v_add_f32_e32 v19, v12, v13
	v_frexp_mant_f32_e32 v22, v18
	v_cvt_f64_f32_e32 v[12:13], v18
	v_frexp_exp_i32_f64_e32 v12, v[12:13]
	v_cmp_gt_f32_e32 vcc, s11, v22
	v_cmp_gt_f32_e64 s[52:53], s57, v36
	s_nop 0
	v_subbrev_co_u32_e32 v22, vcc, 0, v12, vcc
	v_sub_u32_e32 v12, 0, v22
	v_ldexp_f32 v13, v18, v12
	v_add_f32_e32 v18, -1.0, v13
	v_add_f32_e32 v26, 1.0, v13
	v_ldexp_f32 v12, v19, v12
	v_add_f32_e32 v19, 1.0, v18
	v_add_f32_e32 v27, -1.0, v26
	v_sub_f32_e32 v19, v13, v19
	v_sub_f32_e32 v13, v13, v27
	v_add_f32_e32 v19, v12, v19
	v_add_f32_e32 v12, v12, v13
	;; [unrolled: 1-line block ×3, first 2 shown]
	v_rcp_f32_e32 v32, v30
	v_sub_f32_e32 v13, v26, v30
	v_add_f32_e32 v31, v12, v13
	v_add_f32_e32 v13, v18, v19
	v_mul_f32_e32 v34, v13, v32
	v_sub_f32_e32 v12, v18, v13
	v_mul_f32_e32 v18, v30, v34
	v_fma_f32 v26, v34, v30, -v18
	v_fmac_f32_e32 v26, v34, v31
	v_add_f32_e32 v33, v19, v12
	v_add_f32_e32 v12, v18, v26
	v_sub_f32_e32 v19, v13, v12
	v_pk_add_f32 v[28:29], v[12:13], v[18:19] neg_lo:[0,1] neg_hi:[0,1]
	v_mov_b32_e32 v27, v12
	v_pk_add_f32 v[12:13], v[28:29], v[26:27] neg_lo:[0,1] neg_hi:[0,1]
	v_cmp_eq_f32_e32 vcc, s10, v36
	v_add_f32_e32 v13, v33, v13
	v_add_f32_e32 v12, v12, v13
	;; [unrolled: 1-line block ×3, first 2 shown]
	v_mul_f32_e32 v33, v32, v13
	v_mul_f32_e32 v18, v30, v33
	v_fma_f32 v26, v33, v30, -v18
	v_fmac_f32_e32 v26, v33, v31
	v_sub_f32_e32 v19, v19, v13
	v_add_f32_e32 v30, v12, v19
	v_add_f32_e32 v12, v18, v26
	v_sub_f32_e32 v19, v13, v12
	v_pk_add_f32 v[28:29], v[12:13], v[18:19] neg_lo:[0,1] neg_hi:[0,1]
	v_mov_b32_e32 v27, v12
	v_pk_add_f32 v[12:13], v[28:29], v[26:27] neg_lo:[0,1] neg_hi:[0,1]
	scratch_load_dwordx2 v[28:29], off, off offset:164 ; 8-byte Folded Reload
	v_add_f32_e32 v13, v30, v13
	v_add_f32_e32 v12, v12, v13
	;; [unrolled: 1-line block ×4, first 2 shown]
	v_sub_f32_e32 v18, v13, v34
	v_mul_f32_e32 v12, v32, v12
	v_sub_f32_e32 v18, v33, v18
	v_add_f32_e32 v18, v18, v12
	v_add_f32_e32 v26, v13, v18
	v_mul_f32_e32 v27, v26, v26
	v_mov_b32_e32 v12, 0x3ecc95a3
	v_fmamk_f32 v12, v27, 0x3e9b6dac, v12
	s_waitcnt vmcnt(0)
	v_fmaak_f32 v29, v27, v12, 0x3f2aaada
	v_cvt_f32_i32_e32 v12, v22
	v_sub_f32_e32 v13, v26, v13
	v_sub_f32_e32 v13, v18, v13
	v_ldexp_f32 v22, v13, 1
	v_mul_f32_e32 v13, v26, v27
	v_ldexp_f32 v19, v26, 1
	s_or_b64 vcc, s[52:53], vcc
	v_mov_b32_e32 v18, v28
	v_pk_mul_f32 v[26:27], v[12:13], v[28:29]
	scratch_store_dwordx2 off, v[18:19], off offset:164 ; 8-byte Folded Spill
	v_fma_f32 v18, v12, s56, -v26
	v_fmac_f32_e32 v18, 0xb102e308, v12
	v_pk_add_f32 v[12:13], v[26:27], v[18:19]
	v_mov_b32_e32 v28, v26
	v_sub_f32_e32 v19, v13, v19
	v_sub_f32_e32 v19, v27, v19
	v_add_f32_e32 v29, v22, v19
	v_pk_add_f32 v[26:27], v[12:13], v[26:27] neg_lo:[0,1] neg_hi:[0,1]
	v_pk_add_f32 v[30:31], v[12:13], v[28:29]
	v_mov_b32_e32 v19, v12
	v_mov_b32_e32 v27, v31
	v_pk_add_f32 v[32:33], v[18:19], v[26:27] neg_lo:[0,1] neg_hi:[0,1]
	v_pk_add_f32 v[18:19], v[18:19], v[26:27]
	s_nop 0
	v_mov_b32_e32 v22, v19
	v_pk_add_f32 v[26:27], v[22:23], v[12:13] neg_lo:[0,1] neg_hi:[0,1]
	v_mov_b32_e32 v18, v31
	v_mov_b32_e32 v27, v26
	v_pk_add_f32 v[34:35], v[30:31], v[26:27] neg_lo:[0,1] neg_hi:[0,1]
	v_mov_b32_e32 v30, v13
	v_mov_b32_e32 v31, v26
	;; [unrolled: 1-line block ×3, first 2 shown]
	v_pk_add_f32 v[18:19], v[18:19], v[30:31] neg_lo:[0,1] neg_hi:[0,1]
	v_mov_b32_e32 v26, v29
	v_mov_b32_e32 v27, v12
	v_pk_add_f32 v[12:13], v[26:27], v[18:19] neg_lo:[0,1] neg_hi:[0,1]
	v_mov_b32_e32 v34, v32
	v_pk_add_f32 v[18:19], v[34:35], v[12:13]
	s_nop 0
	v_mov_b32_e32 v26, v19
	v_pk_add_f32 v[26:27], v[18:19], v[26:27]
	s_nop 0
	v_pk_add_f32 v[28:29], v[22:23], v[26:27]
	v_mov_b32_e32 v13, v26
	v_mov_b32_e32 v19, v28
	v_pk_add_f32 v[30:31], v[18:19], v[32:33] neg_lo:[0,1] neg_hi:[0,1]
	s_nop 0
	v_sub_f32_e32 v18, v18, v30
	v_pk_add_f32 v[12:13], v[12:13], v[30:31] neg_lo:[0,1] neg_hi:[0,1]
	v_sub_f32_e32 v18, v32, v18
	v_add_f32_e32 v12, v12, v18
	v_add_f32_e32 v12, v12, v13
	;; [unrolled: 1-line block ×3, first 2 shown]
	v_cndmask_b32_e32 v18, v12, v36, vcc
.LBB48_83:                              ;   in Loop: Header=BB48_13 Depth=1
	s_or_b64 exec, exec, s[54:55]
	v_lshlrev_b32_e32 v12, 16, v14
	v_readlane_b32 s0, v95, 2
	s_nop 1
	v_add_f32_e32 v74, s0, v12
	v_cmp_ge_f32_e32 vcc, s4, v74
	s_and_b64 s[0:1], s[6:7], vcc
	s_and_saveexec_b64 s[54:55], s[0:1]
	s_cbranch_execz .LBB48_85
; %bb.84:                               ;   in Loop: Header=BB48_13 Depth=1
	v_mul_f32_e32 v12, 0x3fb8aa3b, v74
	v_rndne_f32_e32 v13, v12
	v_sub_f32_e32 v19, v12, v13
	v_fma_f32 v12, v74, s5, -v12
	v_fmac_f32_e32 v12, 0x32a5705f, v74
	v_add_f32_e32 v12, v19, v12
	v_cvt_i32_f32_e32 v13, v13
	v_exp_f32_e32 v12, v12
	v_cmp_ngt_f32_e32 vcc, s8, v74
	v_ldexp_f32 v12, v12, v13
	s_nop 0
	v_cndmask_b32_e32 v12, 0, v12, vcc
	v_cmp_nlt_f32_e32 vcc, s9, v74
	s_nop 1
	v_cndmask_b32_e32 v38, v39, v12, vcc
	v_add_f32_e32 v19, 1.0, v38
	v_add_f32_e32 v12, -1.0, v19
	v_sub_f32_e32 v13, v12, v19
	v_add_f32_e32 v13, 1.0, v13
	v_sub_f32_e32 v12, v38, v12
	v_add_f32_e32 v22, v12, v13
	v_frexp_mant_f32_e32 v26, v19
	v_cvt_f64_f32_e32 v[12:13], v19
	v_frexp_exp_i32_f64_e32 v12, v[12:13]
	v_cmp_gt_f32_e32 vcc, s11, v26
	v_cmp_gt_f32_e64 s[52:53], s57, v38
	s_nop 0
	v_subbrev_co_u32_e32 v32, vcc, 0, v12, vcc
	v_sub_u32_e32 v12, 0, v32
	v_ldexp_f32 v13, v19, v12
	v_add_f32_e32 v19, -1.0, v13
	v_add_f32_e32 v26, 1.0, v13
	v_ldexp_f32 v12, v22, v12
	v_add_f32_e32 v22, 1.0, v19
	v_add_f32_e32 v27, -1.0, v26
	v_sub_f32_e32 v22, v13, v22
	v_sub_f32_e32 v13, v13, v27
	v_add_f32_e32 v22, v12, v22
	v_add_f32_e32 v12, v12, v13
	;; [unrolled: 1-line block ×3, first 2 shown]
	v_rcp_f32_e32 v35, v33
	v_sub_f32_e32 v13, v26, v33
	v_add_f32_e32 v34, v12, v13
	v_add_f32_e32 v13, v19, v22
	v_sub_f32_e32 v12, v19, v13
	v_add_f32_e32 v19, v22, v12
	v_mul_f32_e32 v22, v13, v35
	v_mul_f32_e32 v26, v33, v22
	v_fma_f32 v28, v22, v33, -v26
	v_fmac_f32_e32 v28, v22, v34
	v_add_f32_e32 v12, v26, v28
	v_sub_f32_e32 v27, v13, v12
	v_pk_add_f32 v[30:31], v[12:13], v[26:27] neg_lo:[0,1] neg_hi:[0,1]
	v_mov_b32_e32 v29, v12
	v_pk_add_f32 v[12:13], v[30:31], v[28:29] neg_lo:[0,1] neg_hi:[0,1]
	v_cmp_eq_f32_e32 vcc, s10, v38
	v_add_f32_e32 v13, v19, v13
	v_add_f32_e32 v12, v12, v13
	;; [unrolled: 1-line block ×3, first 2 shown]
	v_mul_f32_e32 v19, v35, v13
	v_mul_f32_e32 v26, v33, v19
	v_fma_f32 v28, v19, v33, -v26
	v_fmac_f32_e32 v28, v19, v34
	v_sub_f32_e32 v27, v27, v13
	v_add_f32_e32 v33, v12, v27
	v_add_f32_e32 v12, v26, v28
	v_sub_f32_e32 v27, v13, v12
	v_pk_add_f32 v[30:31], v[12:13], v[26:27] neg_lo:[0,1] neg_hi:[0,1]
	v_mov_b32_e32 v29, v12
	v_pk_add_f32 v[12:13], v[30:31], v[28:29] neg_lo:[0,1] neg_hi:[0,1]
	scratch_load_dwordx2 v[28:29], off, off offset:164 ; 8-byte Folded Reload
	v_add_f32_e32 v13, v33, v13
	v_add_f32_e32 v12, v12, v13
	;; [unrolled: 1-line block ×4, first 2 shown]
	v_sub_f32_e32 v22, v13, v22
	v_mul_f32_e32 v12, v35, v12
	v_sub_f32_e32 v19, v19, v22
	v_add_f32_e32 v19, v19, v12
	v_add_f32_e32 v22, v13, v19
	v_mul_f32_e32 v26, v22, v22
	v_mov_b32_e32 v12, 0x3ecc95a3
	v_fmamk_f32 v12, v26, 0x3e9b6dac, v12
	s_waitcnt vmcnt(0)
	v_fmaak_f32 v29, v26, v12, 0x3f2aaada
	v_cvt_f32_i32_e32 v12, v32
	v_sub_f32_e32 v13, v22, v13
	v_sub_f32_e32 v13, v19, v13
	v_ldexp_f32 v19, v13, 1
	v_mul_f32_e32 v13, v22, v26
	v_ldexp_f32 v27, v22, 1
	s_or_b64 vcc, s[52:53], vcc
	v_mov_b32_e32 v22, v28
	v_pk_mul_f32 v[28:29], v[12:13], v[28:29]
	scratch_store_dwordx2 off, v[22:23], off offset:164 ; 8-byte Folded Spill
	v_fma_f32 v26, v12, s56, -v28
	v_fmac_f32_e32 v26, 0xb102e308, v12
	v_pk_add_f32 v[12:13], v[28:29], v[26:27]
	v_mov_b32_e32 v30, v28
	v_sub_f32_e32 v22, v13, v27
	v_sub_f32_e32 v22, v29, v22
	v_add_f32_e32 v31, v19, v22
	v_pk_add_f32 v[28:29], v[12:13], v[28:29] neg_lo:[0,1] neg_hi:[0,1]
	v_pk_add_f32 v[32:33], v[12:13], v[30:31]
	v_mov_b32_e32 v27, v12
	v_mov_b32_e32 v29, v33
	v_pk_add_f32 v[34:35], v[26:27], v[28:29] neg_lo:[0,1] neg_hi:[0,1]
	v_pk_add_f32 v[26:27], v[26:27], v[28:29]
	s_nop 0
	v_mov_b32_e32 v22, v27
	v_pk_add_f32 v[28:29], v[22:23], v[12:13] neg_lo:[0,1] neg_hi:[0,1]
	v_mov_b32_e32 v26, v33
	v_mov_b32_e32 v19, v28
	v_pk_add_f32 v[36:37], v[32:33], v[18:19] neg_lo:[0,1] neg_hi:[0,1]
	v_mov_b32_e32 v32, v13
	v_mov_b32_e32 v33, v28
	;; [unrolled: 1-line block ×3, first 2 shown]
	v_pk_add_f32 v[26:27], v[26:27], v[32:33] neg_lo:[0,1] neg_hi:[0,1]
	v_mov_b32_e32 v28, v31
	v_mov_b32_e32 v29, v12
	v_pk_add_f32 v[12:13], v[28:29], v[26:27] neg_lo:[0,1] neg_hi:[0,1]
	v_mov_b32_e32 v36, v34
	v_pk_add_f32 v[26:27], v[36:37], v[12:13]
	s_nop 0
	v_mov_b32_e32 v28, v27
	v_pk_add_f32 v[28:29], v[26:27], v[28:29]
	s_nop 0
	v_pk_add_f32 v[30:31], v[22:23], v[28:29]
	v_mov_b32_e32 v13, v28
	v_mov_b32_e32 v27, v30
	v_pk_add_f32 v[32:33], v[26:27], v[34:35] neg_lo:[0,1] neg_hi:[0,1]
	s_nop 0
	v_sub_f32_e32 v19, v26, v32
	v_pk_add_f32 v[12:13], v[12:13], v[32:33] neg_lo:[0,1] neg_hi:[0,1]
	v_sub_f32_e32 v19, v34, v19
	v_add_f32_e32 v12, v12, v19
	v_add_f32_e32 v12, v12, v13
	;; [unrolled: 1-line block ×3, first 2 shown]
	v_cndmask_b32_e32 v74, v12, v38, vcc
.LBB48_85:                              ;   in Loop: Header=BB48_13 Depth=1
	s_or_b64 exec, exec, s[54:55]
	v_and_b32_e32 v12, 0xffff0000, v14
	v_readlane_b32 s0, v95, 2
	s_nop 1
	v_add_f32_e32 v92, s0, v12
	v_cmp_ge_f32_e32 vcc, s4, v92
	s_and_b64 s[0:1], s[6:7], vcc
	s_and_saveexec_b64 s[54:55], s[0:1]
	s_cbranch_execz .LBB48_87
; %bb.86:                               ;   in Loop: Header=BB48_13 Depth=1
	v_mul_f32_e32 v12, 0x3fb8aa3b, v92
	v_rndne_f32_e32 v13, v12
	v_sub_f32_e32 v14, v12, v13
	v_fma_f32 v12, v92, s5, -v12
	v_fmac_f32_e32 v12, 0x32a5705f, v92
	v_add_f32_e32 v12, v14, v12
	v_cvt_i32_f32_e32 v13, v13
	v_exp_f32_e32 v12, v12
	v_cmp_ngt_f32_e32 vcc, s8, v92
	v_ldexp_f32 v12, v12, v13
	s_nop 0
	v_cndmask_b32_e32 v12, 0, v12, vcc
	v_cmp_nlt_f32_e32 vcc, s9, v92
	s_nop 1
	v_cndmask_b32_e32 v38, v39, v12, vcc
	v_add_f32_e32 v14, 1.0, v38
	v_add_f32_e32 v12, -1.0, v14
	v_sub_f32_e32 v13, v12, v14
	v_add_f32_e32 v13, 1.0, v13
	v_sub_f32_e32 v12, v38, v12
	v_add_f32_e32 v19, v12, v13
	v_frexp_mant_f32_e32 v22, v14
	v_cvt_f64_f32_e32 v[12:13], v14
	v_frexp_exp_i32_f64_e32 v12, v[12:13]
	v_cmp_gt_f32_e32 vcc, s11, v22
	v_cmp_gt_f32_e64 s[52:53], s57, v38
	s_nop 0
	v_subbrev_co_u32_e32 v22, vcc, 0, v12, vcc
	v_sub_u32_e32 v12, 0, v22
	v_ldexp_f32 v13, v14, v12
	v_add_f32_e32 v14, -1.0, v13
	v_add_f32_e32 v26, 1.0, v13
	v_ldexp_f32 v12, v19, v12
	v_add_f32_e32 v19, 1.0, v14
	v_add_f32_e32 v27, -1.0, v26
	v_sub_f32_e32 v19, v13, v19
	v_sub_f32_e32 v13, v13, v27
	v_add_f32_e32 v19, v12, v19
	v_add_f32_e32 v12, v12, v13
	;; [unrolled: 1-line block ×3, first 2 shown]
	v_rcp_f32_e32 v34, v32
	v_sub_f32_e32 v13, v26, v32
	v_add_f32_e32 v33, v12, v13
	v_add_f32_e32 v13, v14, v19
	v_sub_f32_e32 v12, v14, v13
	v_add_f32_e32 v14, v19, v12
	v_mul_f32_e32 v19, v13, v34
	v_mul_f32_e32 v26, v32, v19
	v_fma_f32 v28, v19, v32, -v26
	v_fmac_f32_e32 v28, v19, v33
	v_add_f32_e32 v12, v26, v28
	v_sub_f32_e32 v27, v13, v12
	v_pk_add_f32 v[30:31], v[12:13], v[26:27] neg_lo:[0,1] neg_hi:[0,1]
	v_mov_b32_e32 v29, v12
	v_pk_add_f32 v[12:13], v[30:31], v[28:29] neg_lo:[0,1] neg_hi:[0,1]
	v_cmp_eq_f32_e32 vcc, s10, v38
	v_add_f32_e32 v13, v14, v13
	v_add_f32_e32 v12, v12, v13
	;; [unrolled: 1-line block ×3, first 2 shown]
	v_mul_f32_e32 v14, v34, v13
	v_mul_f32_e32 v26, v32, v14
	v_fma_f32 v28, v14, v32, -v26
	v_fmac_f32_e32 v28, v14, v33
	v_sub_f32_e32 v27, v27, v13
	v_add_f32_e32 v32, v12, v27
	v_add_f32_e32 v12, v26, v28
	v_sub_f32_e32 v27, v13, v12
	v_pk_add_f32 v[30:31], v[12:13], v[26:27] neg_lo:[0,1] neg_hi:[0,1]
	v_mov_b32_e32 v29, v12
	v_pk_add_f32 v[12:13], v[30:31], v[28:29] neg_lo:[0,1] neg_hi:[0,1]
	scratch_load_dwordx2 v[28:29], off, off offset:164 ; 8-byte Folded Reload
	v_add_f32_e32 v13, v32, v13
	v_add_f32_e32 v12, v12, v13
	;; [unrolled: 1-line block ×4, first 2 shown]
	v_sub_f32_e32 v19, v13, v19
	v_mul_f32_e32 v12, v34, v12
	v_sub_f32_e32 v14, v14, v19
	v_add_f32_e32 v14, v14, v12
	v_add_f32_e32 v19, v13, v14
	v_mul_f32_e32 v26, v19, v19
	v_mov_b32_e32 v12, 0x3ecc95a3
	v_fmamk_f32 v12, v26, 0x3e9b6dac, v12
	s_waitcnt vmcnt(0)
	v_fmaak_f32 v29, v26, v12, 0x3f2aaada
	v_cvt_f32_i32_e32 v12, v22
	v_sub_f32_e32 v13, v19, v13
	v_sub_f32_e32 v13, v14, v13
	v_ldexp_f32 v14, v13, 1
	v_mul_f32_e32 v13, v19, v26
	v_ldexp_f32 v27, v19, 1
	s_or_b64 vcc, s[52:53], vcc
	v_mov_b32_e32 v22, v28
	v_pk_mul_f32 v[28:29], v[12:13], v[28:29]
	scratch_store_dwordx2 off, v[22:23], off offset:164 ; 8-byte Folded Spill
	v_fma_f32 v26, v12, s56, -v28
	v_fmac_f32_e32 v26, 0xb102e308, v12
	v_pk_add_f32 v[12:13], v[28:29], v[26:27]
	v_mov_b32_e32 v30, v28
	v_sub_f32_e32 v19, v13, v27
	v_sub_f32_e32 v19, v29, v19
	v_add_f32_e32 v31, v14, v19
	v_pk_add_f32 v[28:29], v[12:13], v[28:29] neg_lo:[0,1] neg_hi:[0,1]
	v_pk_add_f32 v[32:33], v[12:13], v[30:31]
	v_mov_b32_e32 v27, v12
	v_mov_b32_e32 v29, v33
	v_pk_add_f32 v[34:35], v[26:27], v[28:29] neg_lo:[0,1] neg_hi:[0,1]
	v_pk_add_f32 v[26:27], v[26:27], v[28:29]
	s_nop 0
	v_mov_b32_e32 v14, v27
	v_pk_add_f32 v[28:29], v[14:15], v[12:13] neg_lo:[0,1] neg_hi:[0,1]
	v_mov_b32_e32 v26, v33
	v_mov_b32_e32 v19, v28
	v_pk_add_f32 v[36:37], v[32:33], v[18:19] neg_lo:[0,1] neg_hi:[0,1]
	v_mov_b32_e32 v32, v13
	v_mov_b32_e32 v33, v28
	;; [unrolled: 1-line block ×3, first 2 shown]
	v_pk_add_f32 v[26:27], v[26:27], v[32:33] neg_lo:[0,1] neg_hi:[0,1]
	v_mov_b32_e32 v28, v31
	v_mov_b32_e32 v29, v12
	v_pk_add_f32 v[12:13], v[28:29], v[26:27] neg_lo:[0,1] neg_hi:[0,1]
	v_mov_b32_e32 v36, v34
	v_pk_add_f32 v[26:27], v[36:37], v[12:13]
	s_nop 0
	v_mov_b32_e32 v22, v27
	v_pk_add_f32 v[28:29], v[26:27], v[22:23]
	s_nop 0
	v_pk_add_f32 v[30:31], v[14:15], v[28:29]
	v_mov_b32_e32 v13, v28
	v_mov_b32_e32 v27, v30
	v_pk_add_f32 v[32:33], v[26:27], v[34:35] neg_lo:[0,1] neg_hi:[0,1]
	s_nop 0
	v_sub_f32_e32 v14, v26, v32
	v_pk_add_f32 v[12:13], v[12:13], v[32:33] neg_lo:[0,1] neg_hi:[0,1]
	v_sub_f32_e32 v14, v34, v14
	v_add_f32_e32 v12, v12, v14
	v_add_f32_e32 v12, v12, v13
	;; [unrolled: 1-line block ×3, first 2 shown]
	v_cndmask_b32_e32 v92, v12, v38, vcc
.LBB48_87:                              ;   in Loop: Header=BB48_13 Depth=1
	s_or_b64 exec, exec, s[54:55]
	v_lshlrev_b32_e32 v12, 16, v15
	v_readlane_b32 s0, v95, 2
	s_nop 1
	v_add_f32_e32 v93, s0, v12
	v_cmp_ge_f32_e32 vcc, s4, v93
	s_and_b64 s[0:1], s[6:7], vcc
	s_and_saveexec_b64 s[54:55], s[0:1]
	s_cbranch_execz .LBB48_89
; %bb.88:                               ;   in Loop: Header=BB48_13 Depth=1
	v_mul_f32_e32 v12, 0x3fb8aa3b, v93
	v_rndne_f32_e32 v13, v12
	v_sub_f32_e32 v14, v12, v13
	v_fma_f32 v12, v93, s5, -v12
	v_fmac_f32_e32 v12, 0x32a5705f, v93
	v_add_f32_e32 v12, v14, v12
	v_cvt_i32_f32_e32 v13, v13
	v_exp_f32_e32 v12, v12
	v_cmp_ngt_f32_e32 vcc, s8, v93
	v_ldexp_f32 v12, v12, v13
	s_nop 0
	v_cndmask_b32_e32 v12, 0, v12, vcc
	v_cmp_nlt_f32_e32 vcc, s9, v93
	s_nop 1
	v_cndmask_b32_e32 v38, v39, v12, vcc
	v_add_f32_e32 v14, 1.0, v38
	v_add_f32_e32 v12, -1.0, v14
	v_sub_f32_e32 v13, v12, v14
	v_add_f32_e32 v13, 1.0, v13
	v_sub_f32_e32 v12, v38, v12
	v_add_f32_e32 v19, v12, v13
	v_frexp_mant_f32_e32 v22, v14
	v_cvt_f64_f32_e32 v[12:13], v14
	v_frexp_exp_i32_f64_e32 v12, v[12:13]
	v_cmp_gt_f32_e32 vcc, s11, v22
	v_cmp_gt_f32_e64 s[52:53], s57, v38
	s_nop 0
	v_subbrev_co_u32_e32 v22, vcc, 0, v12, vcc
	v_sub_u32_e32 v12, 0, v22
	v_ldexp_f32 v13, v14, v12
	v_add_f32_e32 v14, -1.0, v13
	v_add_f32_e32 v26, 1.0, v13
	v_ldexp_f32 v12, v19, v12
	v_add_f32_e32 v19, 1.0, v14
	v_add_f32_e32 v27, -1.0, v26
	v_sub_f32_e32 v19, v13, v19
	v_sub_f32_e32 v13, v13, v27
	v_add_f32_e32 v19, v12, v19
	v_add_f32_e32 v12, v12, v13
	;; [unrolled: 1-line block ×3, first 2 shown]
	v_rcp_f32_e32 v34, v32
	v_sub_f32_e32 v13, v26, v32
	v_add_f32_e32 v33, v12, v13
	v_add_f32_e32 v13, v14, v19
	v_sub_f32_e32 v12, v14, v13
	v_add_f32_e32 v14, v19, v12
	v_mul_f32_e32 v19, v13, v34
	v_mul_f32_e32 v26, v32, v19
	v_fma_f32 v28, v19, v32, -v26
	v_fmac_f32_e32 v28, v19, v33
	v_add_f32_e32 v12, v26, v28
	v_sub_f32_e32 v27, v13, v12
	v_pk_add_f32 v[30:31], v[12:13], v[26:27] neg_lo:[0,1] neg_hi:[0,1]
	v_mov_b32_e32 v29, v12
	v_pk_add_f32 v[12:13], v[30:31], v[28:29] neg_lo:[0,1] neg_hi:[0,1]
	v_cmp_eq_f32_e32 vcc, s10, v38
	v_add_f32_e32 v13, v14, v13
	v_add_f32_e32 v12, v12, v13
	;; [unrolled: 1-line block ×3, first 2 shown]
	v_mul_f32_e32 v14, v34, v13
	v_mul_f32_e32 v26, v32, v14
	v_fma_f32 v28, v14, v32, -v26
	v_fmac_f32_e32 v28, v14, v33
	v_sub_f32_e32 v27, v27, v13
	v_add_f32_e32 v32, v12, v27
	v_add_f32_e32 v12, v26, v28
	v_sub_f32_e32 v27, v13, v12
	v_pk_add_f32 v[30:31], v[12:13], v[26:27] neg_lo:[0,1] neg_hi:[0,1]
	v_mov_b32_e32 v29, v12
	v_pk_add_f32 v[12:13], v[30:31], v[28:29] neg_lo:[0,1] neg_hi:[0,1]
	scratch_load_dwordx2 v[28:29], off, off offset:164 ; 8-byte Folded Reload
	v_add_f32_e32 v13, v32, v13
	v_add_f32_e32 v12, v12, v13
	;; [unrolled: 1-line block ×4, first 2 shown]
	v_sub_f32_e32 v19, v13, v19
	v_mul_f32_e32 v12, v34, v12
	v_sub_f32_e32 v14, v14, v19
	v_add_f32_e32 v14, v14, v12
	v_add_f32_e32 v19, v13, v14
	v_mul_f32_e32 v26, v19, v19
	v_mov_b32_e32 v12, 0x3ecc95a3
	v_fmamk_f32 v12, v26, 0x3e9b6dac, v12
	s_waitcnt vmcnt(0)
	v_fmaak_f32 v29, v26, v12, 0x3f2aaada
	v_cvt_f32_i32_e32 v12, v22
	v_sub_f32_e32 v13, v19, v13
	v_sub_f32_e32 v13, v14, v13
	v_ldexp_f32 v14, v13, 1
	v_mul_f32_e32 v13, v19, v26
	v_ldexp_f32 v27, v19, 1
	s_or_b64 vcc, s[52:53], vcc
	v_mov_b32_e32 v22, v28
	v_pk_mul_f32 v[28:29], v[12:13], v[28:29]
	scratch_store_dwordx2 off, v[22:23], off offset:164 ; 8-byte Folded Spill
	v_fma_f32 v26, v12, s56, -v28
	v_fmac_f32_e32 v26, 0xb102e308, v12
	v_pk_add_f32 v[12:13], v[28:29], v[26:27]
	v_mov_b32_e32 v30, v28
	v_sub_f32_e32 v19, v13, v27
	v_sub_f32_e32 v19, v29, v19
	v_add_f32_e32 v31, v14, v19
	v_pk_add_f32 v[28:29], v[12:13], v[28:29] neg_lo:[0,1] neg_hi:[0,1]
	v_pk_add_f32 v[32:33], v[12:13], v[30:31]
	v_mov_b32_e32 v27, v12
	v_mov_b32_e32 v29, v33
	v_pk_add_f32 v[34:35], v[26:27], v[28:29] neg_lo:[0,1] neg_hi:[0,1]
	v_pk_add_f32 v[26:27], v[26:27], v[28:29]
	s_nop 0
	v_mov_b32_e32 v14, v27
	v_pk_add_f32 v[28:29], v[14:15], v[12:13] neg_lo:[0,1] neg_hi:[0,1]
	v_mov_b32_e32 v26, v33
	v_mov_b32_e32 v19, v28
	v_pk_add_f32 v[36:37], v[32:33], v[18:19] neg_lo:[0,1] neg_hi:[0,1]
	v_mov_b32_e32 v32, v13
	v_mov_b32_e32 v33, v28
	v_mov_b32_e32 v35, v27
	v_pk_add_f32 v[26:27], v[26:27], v[32:33] neg_lo:[0,1] neg_hi:[0,1]
	v_mov_b32_e32 v28, v31
	v_mov_b32_e32 v29, v12
	v_pk_add_f32 v[12:13], v[28:29], v[26:27] neg_lo:[0,1] neg_hi:[0,1]
	v_mov_b32_e32 v36, v34
	v_pk_add_f32 v[26:27], v[36:37], v[12:13]
	s_nop 0
	v_mov_b32_e32 v22, v27
	v_pk_add_f32 v[28:29], v[26:27], v[22:23]
	s_nop 0
	v_pk_add_f32 v[30:31], v[14:15], v[28:29]
	v_mov_b32_e32 v13, v28
	v_mov_b32_e32 v27, v30
	v_pk_add_f32 v[32:33], v[26:27], v[34:35] neg_lo:[0,1] neg_hi:[0,1]
	s_nop 0
	v_sub_f32_e32 v14, v26, v32
	v_pk_add_f32 v[12:13], v[12:13], v[32:33] neg_lo:[0,1] neg_hi:[0,1]
	v_sub_f32_e32 v14, v34, v14
	v_add_f32_e32 v12, v12, v14
	v_add_f32_e32 v12, v12, v13
	;; [unrolled: 1-line block ×3, first 2 shown]
	v_cndmask_b32_e32 v93, v12, v38, vcc
.LBB48_89:                              ;   in Loop: Header=BB48_13 Depth=1
	s_or_b64 exec, exec, s[54:55]
	v_and_b32_e32 v12, 0xffff0000, v15
	v_readlane_b32 s0, v95, 2
	s_nop 1
	v_add_f32_e32 v94, s0, v12
	v_cmp_ge_f32_e32 vcc, s4, v94
	s_and_b64 s[0:1], s[6:7], vcc
	s_and_saveexec_b64 s[54:55], s[0:1]
	s_cbranch_execz .LBB48_91
; %bb.90:                               ;   in Loop: Header=BB48_13 Depth=1
	v_mul_f32_e32 v12, 0x3fb8aa3b, v94
	v_rndne_f32_e32 v13, v12
	v_sub_f32_e32 v14, v12, v13
	v_fma_f32 v12, v94, s5, -v12
	v_fmac_f32_e32 v12, 0x32a5705f, v94
	v_add_f32_e32 v12, v14, v12
	v_cvt_i32_f32_e32 v13, v13
	v_exp_f32_e32 v12, v12
	v_cmp_ngt_f32_e32 vcc, s8, v94
	v_ldexp_f32 v12, v12, v13
	s_nop 0
	v_cndmask_b32_e32 v12, 0, v12, vcc
	v_cmp_nlt_f32_e32 vcc, s9, v94
	s_nop 1
	v_cndmask_b32_e32 v36, v39, v12, vcc
	v_add_f32_e32 v14, 1.0, v36
	v_add_f32_e32 v12, -1.0, v14
	v_sub_f32_e32 v13, v12, v14
	v_add_f32_e32 v13, 1.0, v13
	v_sub_f32_e32 v12, v36, v12
	v_add_f32_e32 v15, v12, v13
	v_frexp_mant_f32_e32 v19, v14
	v_cvt_f64_f32_e32 v[12:13], v14
	v_frexp_exp_i32_f64_e32 v12, v[12:13]
	v_cmp_gt_f32_e32 vcc, s11, v19
	v_cmp_gt_f32_e64 s[52:53], s57, v36
	s_nop 0
	v_subbrev_co_u32_e32 v19, vcc, 0, v12, vcc
	v_sub_u32_e32 v12, 0, v19
	v_ldexp_f32 v13, v14, v12
	v_add_f32_e32 v14, -1.0, v13
	v_add_f32_e32 v22, 1.0, v13
	v_ldexp_f32 v12, v15, v12
	v_add_f32_e32 v15, 1.0, v14
	v_add_f32_e32 v26, -1.0, v22
	v_sub_f32_e32 v15, v13, v15
	v_sub_f32_e32 v13, v13, v26
	v_add_f32_e32 v15, v12, v15
	v_add_f32_e32 v12, v12, v13
	;; [unrolled: 1-line block ×3, first 2 shown]
	v_rcp_f32_e32 v31, v30
	v_sub_f32_e32 v13, v22, v30
	v_add_f32_e32 v22, v12, v13
	v_add_f32_e32 v13, v14, v15
	v_mul_f32_e32 v33, v13, v31
	v_sub_f32_e32 v12, v14, v13
	v_mul_f32_e32 v14, v30, v33
	v_fma_f32 v26, v33, v30, -v14
	v_fmac_f32_e32 v26, v33, v22
	v_add_f32_e32 v32, v15, v12
	v_add_f32_e32 v12, v14, v26
	v_sub_f32_e32 v15, v13, v12
	v_pk_add_f32 v[28:29], v[12:13], v[14:15] neg_lo:[0,1] neg_hi:[0,1]
	v_mov_b32_e32 v27, v12
	v_pk_add_f32 v[12:13], v[28:29], v[26:27] neg_lo:[0,1] neg_hi:[0,1]
	v_cmp_eq_f32_e32 vcc, s10, v36
	v_add_f32_e32 v13, v32, v13
	v_add_f32_e32 v12, v12, v13
	;; [unrolled: 1-line block ×3, first 2 shown]
	v_mul_f32_e32 v32, v31, v13
	v_mul_f32_e32 v14, v30, v32
	v_fma_f32 v26, v32, v30, -v14
	v_fmac_f32_e32 v26, v32, v22
	v_sub_f32_e32 v15, v15, v13
	v_add_f32_e32 v22, v12, v15
	v_add_f32_e32 v12, v14, v26
	v_sub_f32_e32 v15, v13, v12
	v_pk_add_f32 v[28:29], v[12:13], v[14:15] neg_lo:[0,1] neg_hi:[0,1]
	v_mov_b32_e32 v27, v12
	v_pk_add_f32 v[12:13], v[28:29], v[26:27] neg_lo:[0,1] neg_hi:[0,1]
	scratch_load_dwordx2 v[28:29], off, off offset:164 ; 8-byte Folded Reload
	v_add_f32_e32 v13, v22, v13
	v_add_f32_e32 v12, v12, v13
	;; [unrolled: 1-line block ×4, first 2 shown]
	v_sub_f32_e32 v14, v13, v33
	v_mul_f32_e32 v12, v31, v12
	v_sub_f32_e32 v14, v32, v14
	v_add_f32_e32 v14, v14, v12
	v_add_f32_e32 v22, v13, v14
	v_mul_f32_e32 v26, v22, v22
	v_mov_b32_e32 v12, 0x3ecc95a3
	v_fmamk_f32 v12, v26, 0x3e9b6dac, v12
	s_waitcnt vmcnt(0)
	v_fmaak_f32 v29, v26, v12, 0x3f2aaada
	v_cvt_f32_i32_e32 v12, v19
	v_sub_f32_e32 v13, v22, v13
	v_sub_f32_e32 v13, v14, v13
	v_ldexp_f32 v19, v13, 1
	v_mul_f32_e32 v13, v22, v26
	v_ldexp_f32 v15, v22, 1
	s_or_b64 vcc, s[52:53], vcc
	v_mov_b32_e32 v14, v28
	v_pk_mul_f32 v[26:27], v[12:13], v[28:29]
	scratch_store_dwordx2 off, v[14:15], off offset:164 ; 8-byte Folded Spill
	v_fma_f32 v14, v12, s56, -v26
	v_fmac_f32_e32 v14, 0xb102e308, v12
	v_pk_add_f32 v[12:13], v[26:27], v[14:15]
	v_mov_b32_e32 v28, v26
	v_sub_f32_e32 v15, v13, v15
	v_sub_f32_e32 v15, v27, v15
	v_add_f32_e32 v29, v19, v15
	v_pk_add_f32 v[26:27], v[12:13], v[26:27] neg_lo:[0,1] neg_hi:[0,1]
	v_pk_add_f32 v[30:31], v[12:13], v[28:29]
	v_mov_b32_e32 v15, v12
	v_mov_b32_e32 v27, v31
	v_pk_add_f32 v[32:33], v[14:15], v[26:27] neg_lo:[0,1] neg_hi:[0,1]
	v_pk_add_f32 v[14:15], v[14:15], v[26:27]
	s_nop 0
	v_mov_b32_e32 v22, v15
	v_pk_add_f32 v[26:27], v[22:23], v[12:13] neg_lo:[0,1] neg_hi:[0,1]
	v_mov_b32_e32 v14, v31
	v_mov_b32_e32 v19, v26
	v_pk_add_f32 v[34:35], v[30:31], v[18:19] neg_lo:[0,1] neg_hi:[0,1]
	v_mov_b32_e32 v30, v13
	v_mov_b32_e32 v31, v26
	v_mov_b32_e32 v33, v15
	v_pk_add_f32 v[14:15], v[14:15], v[30:31] neg_lo:[0,1] neg_hi:[0,1]
	v_mov_b32_e32 v26, v29
	v_mov_b32_e32 v27, v12
	v_pk_add_f32 v[12:13], v[26:27], v[14:15] neg_lo:[0,1] neg_hi:[0,1]
	v_mov_b32_e32 v34, v32
	v_pk_add_f32 v[14:15], v[34:35], v[12:13]
	s_nop 0
	v_mov_b32_e32 v26, v15
	v_pk_add_f32 v[26:27], v[14:15], v[26:27]
	s_nop 0
	v_pk_add_f32 v[28:29], v[22:23], v[26:27]
	v_mov_b32_e32 v13, v26
	v_mov_b32_e32 v15, v28
	v_pk_add_f32 v[30:31], v[14:15], v[32:33] neg_lo:[0,1] neg_hi:[0,1]
	s_nop 0
	v_sub_f32_e32 v14, v14, v30
	v_pk_add_f32 v[12:13], v[12:13], v[30:31] neg_lo:[0,1] neg_hi:[0,1]
	v_sub_f32_e32 v14, v32, v14
	v_add_f32_e32 v12, v12, v14
	v_add_f32_e32 v12, v12, v13
	;; [unrolled: 1-line block ×3, first 2 shown]
	v_cndmask_b32_e32 v94, v12, v36, vcc
.LBB48_91:                              ;   in Loop: Header=BB48_13 Depth=1
	s_or_b64 exec, exec, s[54:55]
	s_waitcnt lgkmcnt(0)
	v_lshlrev_b32_e32 v12, 16, v8
	v_readlane_b32 s0, v95, 2
	s_nop 1
	v_add_f32_e32 v60, s0, v12
	v_cmp_ge_f32_e32 vcc, s4, v60
	s_and_b64 s[0:1], s[6:7], vcc
	s_and_saveexec_b64 s[54:55], s[0:1]
	s_cbranch_execz .LBB48_93
; %bb.92:                               ;   in Loop: Header=BB48_13 Depth=1
	v_mul_f32_e32 v12, 0x3fb8aa3b, v60
	v_rndne_f32_e32 v13, v12
	v_sub_f32_e32 v14, v12, v13
	v_fma_f32 v12, v60, s5, -v12
	v_fmac_f32_e32 v12, 0x32a5705f, v60
	v_add_f32_e32 v12, v14, v12
	v_cvt_i32_f32_e32 v13, v13
	v_exp_f32_e32 v12, v12
	v_cmp_ngt_f32_e32 vcc, s8, v60
	v_ldexp_f32 v12, v12, v13
	s_nop 0
	v_cndmask_b32_e32 v12, 0, v12, vcc
	v_cmp_nlt_f32_e32 vcc, s9, v60
	s_nop 1
	v_cndmask_b32_e32 v36, v39, v12, vcc
	v_add_f32_e32 v14, 1.0, v36
	v_add_f32_e32 v12, -1.0, v14
	v_sub_f32_e32 v13, v12, v14
	v_add_f32_e32 v13, 1.0, v13
	v_sub_f32_e32 v12, v36, v12
	v_add_f32_e32 v15, v12, v13
	v_frexp_mant_f32_e32 v19, v14
	v_cvt_f64_f32_e32 v[12:13], v14
	v_frexp_exp_i32_f64_e32 v12, v[12:13]
	v_cmp_gt_f32_e32 vcc, s11, v19
	v_cmp_gt_f32_e64 s[52:53], s57, v36
	s_nop 0
	v_subbrev_co_u32_e32 v19, vcc, 0, v12, vcc
	v_sub_u32_e32 v12, 0, v19
	v_ldexp_f32 v13, v14, v12
	v_add_f32_e32 v14, -1.0, v13
	v_add_f32_e32 v22, 1.0, v13
	v_ldexp_f32 v12, v15, v12
	v_add_f32_e32 v15, 1.0, v14
	v_add_f32_e32 v26, -1.0, v22
	v_sub_f32_e32 v15, v13, v15
	v_sub_f32_e32 v13, v13, v26
	v_add_f32_e32 v15, v12, v15
	v_add_f32_e32 v12, v12, v13
	;; [unrolled: 1-line block ×3, first 2 shown]
	v_rcp_f32_e32 v31, v30
	v_sub_f32_e32 v13, v22, v30
	v_add_f32_e32 v22, v12, v13
	v_add_f32_e32 v13, v14, v15
	v_mul_f32_e32 v33, v13, v31
	v_sub_f32_e32 v12, v14, v13
	v_mul_f32_e32 v14, v30, v33
	v_fma_f32 v26, v33, v30, -v14
	v_fmac_f32_e32 v26, v33, v22
	v_add_f32_e32 v32, v15, v12
	v_add_f32_e32 v12, v14, v26
	v_sub_f32_e32 v15, v13, v12
	v_pk_add_f32 v[28:29], v[12:13], v[14:15] neg_lo:[0,1] neg_hi:[0,1]
	v_mov_b32_e32 v27, v12
	v_pk_add_f32 v[12:13], v[28:29], v[26:27] neg_lo:[0,1] neg_hi:[0,1]
	v_cmp_eq_f32_e32 vcc, s10, v36
	v_add_f32_e32 v13, v32, v13
	v_add_f32_e32 v12, v12, v13
	;; [unrolled: 1-line block ×3, first 2 shown]
	v_mul_f32_e32 v32, v31, v13
	v_mul_f32_e32 v14, v30, v32
	v_fma_f32 v26, v32, v30, -v14
	v_fmac_f32_e32 v26, v32, v22
	v_sub_f32_e32 v15, v15, v13
	v_add_f32_e32 v22, v12, v15
	v_add_f32_e32 v12, v14, v26
	v_sub_f32_e32 v15, v13, v12
	v_pk_add_f32 v[28:29], v[12:13], v[14:15] neg_lo:[0,1] neg_hi:[0,1]
	v_mov_b32_e32 v27, v12
	v_pk_add_f32 v[12:13], v[28:29], v[26:27] neg_lo:[0,1] neg_hi:[0,1]
	scratch_load_dwordx2 v[28:29], off, off offset:164 ; 8-byte Folded Reload
	v_add_f32_e32 v13, v22, v13
	v_add_f32_e32 v12, v12, v13
	;; [unrolled: 1-line block ×4, first 2 shown]
	v_sub_f32_e32 v14, v13, v33
	v_mul_f32_e32 v12, v31, v12
	v_sub_f32_e32 v14, v32, v14
	v_add_f32_e32 v14, v14, v12
	v_add_f32_e32 v22, v13, v14
	v_mul_f32_e32 v26, v22, v22
	v_mov_b32_e32 v12, 0x3ecc95a3
	v_fmamk_f32 v12, v26, 0x3e9b6dac, v12
	s_waitcnt vmcnt(0)
	v_fmaak_f32 v29, v26, v12, 0x3f2aaada
	v_cvt_f32_i32_e32 v12, v19
	v_sub_f32_e32 v13, v22, v13
	v_sub_f32_e32 v13, v14, v13
	v_ldexp_f32 v19, v13, 1
	v_mul_f32_e32 v13, v22, v26
	v_ldexp_f32 v15, v22, 1
	s_or_b64 vcc, s[52:53], vcc
	v_mov_b32_e32 v14, v28
	v_pk_mul_f32 v[26:27], v[12:13], v[28:29]
	scratch_store_dwordx2 off, v[14:15], off offset:164 ; 8-byte Folded Spill
	v_fma_f32 v14, v12, s56, -v26
	v_fmac_f32_e32 v14, 0xb102e308, v12
	v_pk_add_f32 v[12:13], v[26:27], v[14:15]
	v_mov_b32_e32 v28, v26
	v_sub_f32_e32 v15, v13, v15
	v_sub_f32_e32 v15, v27, v15
	v_add_f32_e32 v29, v19, v15
	v_pk_add_f32 v[26:27], v[12:13], v[26:27] neg_lo:[0,1] neg_hi:[0,1]
	v_pk_add_f32 v[30:31], v[12:13], v[28:29]
	v_mov_b32_e32 v15, v12
	v_mov_b32_e32 v27, v31
	v_pk_add_f32 v[32:33], v[14:15], v[26:27] neg_lo:[0,1] neg_hi:[0,1]
	v_pk_add_f32 v[14:15], v[14:15], v[26:27]
	s_nop 0
	v_mov_b32_e32 v22, v15
	v_pk_add_f32 v[26:27], v[22:23], v[12:13] neg_lo:[0,1] neg_hi:[0,1]
	v_mov_b32_e32 v14, v31
	v_mov_b32_e32 v19, v26
	v_pk_add_f32 v[34:35], v[30:31], v[18:19] neg_lo:[0,1] neg_hi:[0,1]
	v_mov_b32_e32 v30, v13
	v_mov_b32_e32 v31, v26
	;; [unrolled: 1-line block ×3, first 2 shown]
	v_pk_add_f32 v[14:15], v[14:15], v[30:31] neg_lo:[0,1] neg_hi:[0,1]
	v_mov_b32_e32 v26, v29
	v_mov_b32_e32 v27, v12
	v_pk_add_f32 v[12:13], v[26:27], v[14:15] neg_lo:[0,1] neg_hi:[0,1]
	v_mov_b32_e32 v34, v32
	v_pk_add_f32 v[14:15], v[34:35], v[12:13]
	s_nop 0
	v_mov_b32_e32 v26, v15
	v_pk_add_f32 v[26:27], v[14:15], v[26:27]
	s_nop 0
	v_pk_add_f32 v[28:29], v[22:23], v[26:27]
	v_mov_b32_e32 v13, v26
	v_mov_b32_e32 v15, v28
	v_pk_add_f32 v[30:31], v[14:15], v[32:33] neg_lo:[0,1] neg_hi:[0,1]
	s_nop 0
	v_sub_f32_e32 v14, v14, v30
	v_pk_add_f32 v[12:13], v[12:13], v[30:31] neg_lo:[0,1] neg_hi:[0,1]
	v_sub_f32_e32 v14, v32, v14
	v_add_f32_e32 v12, v12, v14
	v_add_f32_e32 v12, v12, v13
	;; [unrolled: 1-line block ×3, first 2 shown]
	v_cndmask_b32_e32 v60, v12, v36, vcc
.LBB48_93:                              ;   in Loop: Header=BB48_13 Depth=1
	s_or_b64 exec, exec, s[54:55]
	v_and_b32_e32 v8, 0xffff0000, v8
	v_readlane_b32 s0, v95, 2
	s_nop 1
	v_add_f32_e32 v61, s0, v8
	v_cmp_ge_f32_e32 vcc, s4, v61
	s_and_b64 s[0:1], s[6:7], vcc
	s_and_saveexec_b64 s[54:55], s[0:1]
	s_cbranch_execz .LBB48_95
; %bb.94:                               ;   in Loop: Header=BB48_13 Depth=1
	v_mul_f32_e32 v8, 0x3fb8aa3b, v61
	v_rndne_f32_e32 v12, v8
	v_sub_f32_e32 v13, v8, v12
	v_fma_f32 v8, v61, s5, -v8
	v_fmac_f32_e32 v8, 0x32a5705f, v61
	v_add_f32_e32 v8, v13, v8
	v_cvt_i32_f32_e32 v12, v12
	v_exp_f32_e32 v8, v8
	v_cmp_ngt_f32_e32 vcc, s8, v61
	v_ldexp_f32 v8, v8, v12
	s_nop 0
	v_cndmask_b32_e32 v8, 0, v8, vcc
	v_cmp_nlt_f32_e32 vcc, s9, v61
	s_nop 1
	v_cndmask_b32_e32 v36, v39, v8, vcc
	v_add_f32_e32 v8, 1.0, v36
	v_add_f32_e32 v12, -1.0, v8
	v_sub_f32_e32 v13, v12, v8
	v_add_f32_e32 v13, 1.0, v13
	v_sub_f32_e32 v12, v36, v12
	v_add_f32_e32 v14, v12, v13
	v_frexp_mant_f32_e32 v15, v8
	v_cvt_f64_f32_e32 v[12:13], v8
	v_frexp_exp_i32_f64_e32 v12, v[12:13]
	v_cmp_gt_f32_e32 vcc, s11, v15
	v_cmp_gt_f32_e64 s[52:53], s57, v36
	s_nop 0
	v_subbrev_co_u32_e32 v19, vcc, 0, v12, vcc
	v_sub_u32_e32 v12, 0, v19
	v_ldexp_f32 v8, v8, v12
	v_ldexp_f32 v12, v14, v12
	v_add_f32_e32 v14, -1.0, v8
	v_add_f32_e32 v13, 1.0, v14
	v_sub_f32_e32 v13, v8, v13
	v_add_f32_e32 v15, v12, v13
	v_add_f32_e32 v13, 1.0, v8
	v_add_f32_e32 v22, -1.0, v13
	v_sub_f32_e32 v8, v8, v22
	v_add_f32_e32 v8, v12, v8
	v_add_f32_e32 v22, v13, v8
	v_rcp_f32_e32 v30, v22
	v_sub_f32_e32 v12, v13, v22
	v_add_f32_e32 v13, v14, v15
	v_add_f32_e32 v8, v8, v12
	v_mul_f32_e32 v32, v13, v30
	v_sub_f32_e32 v12, v14, v13
	v_mul_f32_e32 v14, v22, v32
	v_fma_f32 v26, v32, v22, -v14
	v_fmac_f32_e32 v26, v32, v8
	v_add_f32_e32 v31, v15, v12
	v_add_f32_e32 v12, v14, v26
	v_sub_f32_e32 v15, v13, v12
	v_pk_add_f32 v[28:29], v[12:13], v[14:15] neg_lo:[0,1] neg_hi:[0,1]
	v_mov_b32_e32 v27, v12
	v_pk_add_f32 v[12:13], v[28:29], v[26:27] neg_lo:[0,1] neg_hi:[0,1]
	v_cmp_eq_f32_e32 vcc, s10, v36
	v_add_f32_e32 v13, v31, v13
	v_add_f32_e32 v12, v12, v13
	;; [unrolled: 1-line block ×3, first 2 shown]
	v_mul_f32_e32 v31, v30, v13
	v_mul_f32_e32 v14, v22, v31
	v_fma_f32 v26, v31, v22, -v14
	v_fmac_f32_e32 v26, v31, v8
	v_sub_f32_e32 v8, v15, v13
	v_add_f32_e32 v8, v12, v8
	v_add_f32_e32 v12, v14, v26
	v_sub_f32_e32 v15, v13, v12
	v_pk_add_f32 v[28:29], v[12:13], v[14:15] neg_lo:[0,1] neg_hi:[0,1]
	v_mov_b32_e32 v27, v12
	v_pk_add_f32 v[12:13], v[28:29], v[26:27] neg_lo:[0,1] neg_hi:[0,1]
	scratch_load_dwordx2 v[26:27], off, off offset:164 ; 8-byte Folded Reload
	v_add_f32_e32 v8, v8, v13
	v_add_f32_e32 v8, v12, v8
	;; [unrolled: 1-line block ×4, first 2 shown]
	v_sub_f32_e32 v12, v13, v32
	v_mul_f32_e32 v8, v30, v8
	v_sub_f32_e32 v12, v31, v12
	v_add_f32_e32 v8, v12, v8
	v_add_f32_e32 v14, v13, v8
	v_mul_f32_e32 v22, v14, v14
	v_mov_b32_e32 v12, 0x3ecc95a3
	v_fmamk_f32 v12, v22, 0x3e9b6dac, v12
	s_waitcnt vmcnt(0)
	v_fmaak_f32 v27, v22, v12, 0x3f2aaada
	v_cvt_f32_i32_e32 v12, v19
	v_sub_f32_e32 v13, v14, v13
	v_sub_f32_e32 v8, v8, v13
	v_mul_f32_e32 v13, v14, v22
	v_ldexp_f32 v15, v14, 1
	v_ldexp_f32 v8, v8, 1
	s_or_b64 vcc, s[52:53], vcc
	v_mov_b32_e32 v14, v26
	v_pk_mul_f32 v[26:27], v[12:13], v[26:27]
	scratch_store_dwordx2 off, v[14:15], off offset:164 ; 8-byte Folded Spill
	v_fma_f32 v14, v12, s56, -v26
	v_fmac_f32_e32 v14, 0xb102e308, v12
	v_pk_add_f32 v[12:13], v[26:27], v[14:15]
	v_mov_b32_e32 v28, v26
	v_sub_f32_e32 v15, v13, v15
	v_sub_f32_e32 v15, v27, v15
	v_add_f32_e32 v29, v8, v15
	v_pk_add_f32 v[26:27], v[12:13], v[26:27] neg_lo:[0,1] neg_hi:[0,1]
	v_pk_add_f32 v[30:31], v[12:13], v[28:29]
	v_mov_b32_e32 v15, v12
	v_mov_b32_e32 v27, v31
	v_pk_add_f32 v[32:33], v[14:15], v[26:27] neg_lo:[0,1] neg_hi:[0,1]
	v_pk_add_f32 v[14:15], v[14:15], v[26:27]
	s_nop 0
	v_mov_b32_e32 v8, v15
	v_pk_add_f32 v[26:27], v[8:9], v[12:13] neg_lo:[0,1] neg_hi:[0,1]
	v_mov_b32_e32 v14, v31
	v_mov_b32_e32 v19, v26
	v_pk_add_f32 v[34:35], v[30:31], v[18:19] neg_lo:[0,1] neg_hi:[0,1]
	v_mov_b32_e32 v30, v13
	v_mov_b32_e32 v31, v26
	;; [unrolled: 1-line block ×3, first 2 shown]
	v_pk_add_f32 v[14:15], v[14:15], v[30:31] neg_lo:[0,1] neg_hi:[0,1]
	v_mov_b32_e32 v26, v29
	v_mov_b32_e32 v27, v12
	v_pk_add_f32 v[12:13], v[26:27], v[14:15] neg_lo:[0,1] neg_hi:[0,1]
	v_mov_b32_e32 v34, v32
	v_pk_add_f32 v[14:15], v[34:35], v[12:13]
	s_nop 0
	v_mov_b32_e32 v22, v15
	v_pk_add_f32 v[26:27], v[14:15], v[22:23]
	s_nop 0
	v_pk_add_f32 v[28:29], v[8:9], v[26:27]
	v_mov_b32_e32 v13, v26
	v_mov_b32_e32 v15, v28
	v_pk_add_f32 v[30:31], v[14:15], v[32:33] neg_lo:[0,1] neg_hi:[0,1]
	s_nop 0
	v_sub_f32_e32 v8, v14, v30
	v_pk_add_f32 v[12:13], v[12:13], v[30:31] neg_lo:[0,1] neg_hi:[0,1]
	v_sub_f32_e32 v8, v32, v8
	v_add_f32_e32 v8, v12, v8
	v_add_f32_e32 v8, v8, v13
	;; [unrolled: 1-line block ×3, first 2 shown]
	v_cndmask_b32_e32 v61, v8, v36, vcc
.LBB48_95:                              ;   in Loop: Header=BB48_13 Depth=1
	s_or_b64 exec, exec, s[54:55]
	v_lshlrev_b32_e32 v8, 16, v9
	v_readlane_b32 s0, v95, 2
	s_nop 1
	v_add_f32_e32 v62, s0, v8
	v_cmp_ge_f32_e32 vcc, s4, v62
	s_and_b64 s[0:1], s[6:7], vcc
	s_and_saveexec_b64 s[54:55], s[0:1]
	s_cbranch_execz .LBB48_97
; %bb.96:                               ;   in Loop: Header=BB48_13 Depth=1
	v_mul_f32_e32 v8, 0x3fb8aa3b, v62
	v_rndne_f32_e32 v12, v8
	v_sub_f32_e32 v13, v8, v12
	v_fma_f32 v8, v62, s5, -v8
	v_fmac_f32_e32 v8, 0x32a5705f, v62
	v_add_f32_e32 v8, v13, v8
	v_cvt_i32_f32_e32 v12, v12
	v_exp_f32_e32 v8, v8
	v_cmp_ngt_f32_e32 vcc, s8, v62
	v_ldexp_f32 v8, v8, v12
	s_nop 0
	v_cndmask_b32_e32 v8, 0, v8, vcc
	v_cmp_nlt_f32_e32 vcc, s9, v62
	s_nop 1
	v_cndmask_b32_e32 v36, v39, v8, vcc
	v_add_f32_e32 v8, 1.0, v36
	v_add_f32_e32 v12, -1.0, v8
	v_sub_f32_e32 v13, v12, v8
	v_add_f32_e32 v13, 1.0, v13
	v_sub_f32_e32 v12, v36, v12
	v_add_f32_e32 v14, v12, v13
	v_frexp_mant_f32_e32 v15, v8
	v_cvt_f64_f32_e32 v[12:13], v8
	v_frexp_exp_i32_f64_e32 v12, v[12:13]
	v_cmp_gt_f32_e32 vcc, s11, v15
	v_cmp_gt_f32_e64 s[52:53], s57, v36
	s_nop 0
	v_subbrev_co_u32_e32 v19, vcc, 0, v12, vcc
	v_sub_u32_e32 v12, 0, v19
	v_ldexp_f32 v8, v8, v12
	v_ldexp_f32 v12, v14, v12
	v_add_f32_e32 v14, -1.0, v8
	v_add_f32_e32 v13, 1.0, v14
	v_sub_f32_e32 v13, v8, v13
	v_add_f32_e32 v15, v12, v13
	v_add_f32_e32 v13, 1.0, v8
	v_add_f32_e32 v22, -1.0, v13
	v_sub_f32_e32 v8, v8, v22
	v_add_f32_e32 v8, v12, v8
	v_add_f32_e32 v22, v13, v8
	v_rcp_f32_e32 v30, v22
	v_sub_f32_e32 v12, v13, v22
	v_add_f32_e32 v13, v14, v15
	v_add_f32_e32 v8, v8, v12
	v_mul_f32_e32 v32, v13, v30
	v_sub_f32_e32 v12, v14, v13
	v_mul_f32_e32 v14, v22, v32
	v_fma_f32 v26, v32, v22, -v14
	v_fmac_f32_e32 v26, v32, v8
	v_add_f32_e32 v31, v15, v12
	v_add_f32_e32 v12, v14, v26
	v_sub_f32_e32 v15, v13, v12
	v_pk_add_f32 v[28:29], v[12:13], v[14:15] neg_lo:[0,1] neg_hi:[0,1]
	v_mov_b32_e32 v27, v12
	v_pk_add_f32 v[12:13], v[28:29], v[26:27] neg_lo:[0,1] neg_hi:[0,1]
	v_cmp_eq_f32_e32 vcc, s10, v36
	v_add_f32_e32 v13, v31, v13
	v_add_f32_e32 v12, v12, v13
	v_add_f32_e32 v13, v15, v12
	v_mul_f32_e32 v31, v30, v13
	v_mul_f32_e32 v14, v22, v31
	v_fma_f32 v26, v31, v22, -v14
	v_fmac_f32_e32 v26, v31, v8
	v_sub_f32_e32 v8, v15, v13
	v_add_f32_e32 v8, v12, v8
	v_add_f32_e32 v12, v14, v26
	v_sub_f32_e32 v15, v13, v12
	v_pk_add_f32 v[28:29], v[12:13], v[14:15] neg_lo:[0,1] neg_hi:[0,1]
	v_mov_b32_e32 v27, v12
	v_pk_add_f32 v[12:13], v[28:29], v[26:27] neg_lo:[0,1] neg_hi:[0,1]
	scratch_load_dwordx2 v[26:27], off, off offset:164 ; 8-byte Folded Reload
	v_add_f32_e32 v8, v8, v13
	v_add_f32_e32 v8, v12, v8
	;; [unrolled: 1-line block ×4, first 2 shown]
	v_sub_f32_e32 v12, v13, v32
	v_mul_f32_e32 v8, v30, v8
	v_sub_f32_e32 v12, v31, v12
	v_add_f32_e32 v8, v12, v8
	v_add_f32_e32 v14, v13, v8
	v_mul_f32_e32 v22, v14, v14
	v_mov_b32_e32 v12, 0x3ecc95a3
	v_fmamk_f32 v12, v22, 0x3e9b6dac, v12
	s_waitcnt vmcnt(0)
	v_fmaak_f32 v27, v22, v12, 0x3f2aaada
	v_cvt_f32_i32_e32 v12, v19
	v_sub_f32_e32 v13, v14, v13
	v_sub_f32_e32 v8, v8, v13
	v_mul_f32_e32 v13, v14, v22
	v_ldexp_f32 v15, v14, 1
	v_ldexp_f32 v8, v8, 1
	s_or_b64 vcc, s[52:53], vcc
	v_mov_b32_e32 v14, v26
	v_pk_mul_f32 v[26:27], v[12:13], v[26:27]
	scratch_store_dwordx2 off, v[14:15], off offset:164 ; 8-byte Folded Spill
	v_fma_f32 v14, v12, s56, -v26
	v_fmac_f32_e32 v14, 0xb102e308, v12
	v_pk_add_f32 v[12:13], v[26:27], v[14:15]
	v_mov_b32_e32 v28, v26
	v_sub_f32_e32 v15, v13, v15
	v_sub_f32_e32 v15, v27, v15
	v_add_f32_e32 v29, v8, v15
	v_pk_add_f32 v[26:27], v[12:13], v[26:27] neg_lo:[0,1] neg_hi:[0,1]
	v_pk_add_f32 v[30:31], v[12:13], v[28:29]
	v_mov_b32_e32 v15, v12
	v_mov_b32_e32 v27, v31
	v_pk_add_f32 v[32:33], v[14:15], v[26:27] neg_lo:[0,1] neg_hi:[0,1]
	v_pk_add_f32 v[14:15], v[14:15], v[26:27]
	s_nop 0
	v_mov_b32_e32 v8, v15
	v_pk_add_f32 v[26:27], v[8:9], v[12:13] neg_lo:[0,1] neg_hi:[0,1]
	v_mov_b32_e32 v14, v31
	v_mov_b32_e32 v19, v26
	v_pk_add_f32 v[34:35], v[30:31], v[18:19] neg_lo:[0,1] neg_hi:[0,1]
	v_mov_b32_e32 v30, v13
	v_mov_b32_e32 v31, v26
	;; [unrolled: 1-line block ×3, first 2 shown]
	v_pk_add_f32 v[14:15], v[14:15], v[30:31] neg_lo:[0,1] neg_hi:[0,1]
	v_mov_b32_e32 v26, v29
	v_mov_b32_e32 v27, v12
	v_pk_add_f32 v[12:13], v[26:27], v[14:15] neg_lo:[0,1] neg_hi:[0,1]
	v_mov_b32_e32 v34, v32
	v_pk_add_f32 v[14:15], v[34:35], v[12:13]
	s_nop 0
	v_mov_b32_e32 v22, v15
	v_pk_add_f32 v[26:27], v[14:15], v[22:23]
	s_nop 0
	v_pk_add_f32 v[28:29], v[8:9], v[26:27]
	v_mov_b32_e32 v13, v26
	v_mov_b32_e32 v15, v28
	v_pk_add_f32 v[30:31], v[14:15], v[32:33] neg_lo:[0,1] neg_hi:[0,1]
	s_nop 0
	v_sub_f32_e32 v8, v14, v30
	v_pk_add_f32 v[12:13], v[12:13], v[30:31] neg_lo:[0,1] neg_hi:[0,1]
	v_sub_f32_e32 v8, v32, v8
	v_add_f32_e32 v8, v12, v8
	v_add_f32_e32 v8, v8, v13
	;; [unrolled: 1-line block ×3, first 2 shown]
	v_cndmask_b32_e32 v62, v8, v36, vcc
.LBB48_97:                              ;   in Loop: Header=BB48_13 Depth=1
	s_or_b64 exec, exec, s[54:55]
	v_and_b32_e32 v8, 0xffff0000, v9
	v_readlane_b32 s0, v95, 2
	s_nop 1
	v_add_f32_e32 v63, s0, v8
	v_cmp_ge_f32_e32 vcc, s4, v63
	s_and_b64 s[0:1], s[6:7], vcc
	s_and_saveexec_b64 s[54:55], s[0:1]
	s_cbranch_execz .LBB48_99
; %bb.98:                               ;   in Loop: Header=BB48_13 Depth=1
	v_mul_f32_e32 v8, 0x3fb8aa3b, v63
	v_rndne_f32_e32 v9, v8
	v_sub_f32_e32 v12, v8, v9
	v_fma_f32 v8, v63, s5, -v8
	v_fmac_f32_e32 v8, 0x32a5705f, v63
	v_add_f32_e32 v8, v12, v8
	v_cvt_i32_f32_e32 v9, v9
	v_exp_f32_e32 v8, v8
	v_cmp_ngt_f32_e32 vcc, s8, v63
	v_ldexp_f32 v8, v8, v9
	s_nop 0
	v_cndmask_b32_e32 v8, 0, v8, vcc
	v_cmp_nlt_f32_e32 vcc, s9, v63
	s_nop 1
	v_cndmask_b32_e32 v19, v39, v8, vcc
	v_add_f32_e32 v12, 1.0, v19
	v_add_f32_e32 v8, -1.0, v12
	v_sub_f32_e32 v9, v8, v12
	v_add_f32_e32 v9, 1.0, v9
	v_sub_f32_e32 v8, v19, v8
	v_add_f32_e32 v13, v8, v9
	v_frexp_mant_f32_e32 v14, v12
	v_cvt_f64_f32_e32 v[8:9], v12
	v_frexp_exp_i32_f64_e32 v8, v[8:9]
	v_cmp_gt_f32_e32 vcc, s11, v14
	v_cmp_gt_f32_e64 s[52:53], s57, v19
	s_nop 0
	v_subbrev_co_u32_e32 v22, vcc, 0, v8, vcc
	v_sub_u32_e32 v8, 0, v22
	v_ldexp_f32 v9, v12, v8
	v_add_f32_e32 v12, -1.0, v9
	v_add_f32_e32 v14, 1.0, v9
	v_ldexp_f32 v8, v13, v8
	v_add_f32_e32 v13, 1.0, v12
	v_add_f32_e32 v15, -1.0, v14
	v_sub_f32_e32 v13, v9, v13
	v_sub_f32_e32 v9, v9, v15
	v_add_f32_e32 v13, v8, v13
	v_add_f32_e32 v8, v8, v9
	;; [unrolled: 1-line block ×3, first 2 shown]
	v_rcp_f32_e32 v30, v28
	v_sub_f32_e32 v9, v14, v28
	v_add_f32_e32 v29, v8, v9
	v_add_f32_e32 v9, v12, v13
	v_mul_f32_e32 v32, v9, v30
	v_sub_f32_e32 v8, v12, v9
	v_mul_f32_e32 v12, v28, v32
	v_fma_f32 v14, v32, v28, -v12
	v_fmac_f32_e32 v14, v32, v29
	v_add_f32_e32 v31, v13, v8
	v_add_f32_e32 v8, v12, v14
	v_sub_f32_e32 v13, v9, v8
	v_pk_add_f32 v[26:27], v[8:9], v[12:13] neg_lo:[0,1] neg_hi:[0,1]
	v_mov_b32_e32 v15, v8
	v_pk_add_f32 v[8:9], v[26:27], v[14:15] neg_lo:[0,1] neg_hi:[0,1]
	v_cmp_eq_f32_e32 vcc, s10, v19
	v_add_f32_e32 v9, v31, v9
	v_add_f32_e32 v8, v8, v9
	;; [unrolled: 1-line block ×3, first 2 shown]
	v_mul_f32_e32 v31, v30, v9
	v_mul_f32_e32 v12, v28, v31
	v_fma_f32 v14, v31, v28, -v12
	v_fmac_f32_e32 v14, v31, v29
	v_sub_f32_e32 v13, v13, v9
	v_add_f32_e32 v28, v8, v13
	v_add_f32_e32 v8, v12, v14
	v_sub_f32_e32 v13, v9, v8
	v_pk_add_f32 v[26:27], v[8:9], v[12:13] neg_lo:[0,1] neg_hi:[0,1]
	v_mov_b32_e32 v15, v8
	v_pk_add_f32 v[8:9], v[26:27], v[14:15] neg_lo:[0,1] neg_hi:[0,1]
	scratch_load_dwordx2 v[26:27], off, off offset:164 ; 8-byte Folded Reload
	v_add_f32_e32 v9, v28, v9
	v_add_f32_e32 v8, v8, v9
	v_add_f32_e32 v9, v32, v31
	v_add_f32_e32 v8, v13, v8
	v_sub_f32_e32 v12, v9, v32
	v_mul_f32_e32 v8, v30, v8
	v_sub_f32_e32 v12, v31, v12
	v_add_f32_e32 v12, v12, v8
	v_add_f32_e32 v14, v9, v12
	v_mul_f32_e32 v15, v14, v14
	v_mov_b32_e32 v8, 0x3ecc95a3
	v_fmamk_f32 v8, v15, 0x3e9b6dac, v8
	s_waitcnt vmcnt(0)
	v_fmaak_f32 v27, v15, v8, 0x3f2aaada
	v_cvt_f32_i32_e32 v8, v22
	v_sub_f32_e32 v9, v14, v9
	v_sub_f32_e32 v9, v12, v9
	v_ldexp_f32 v22, v9, 1
	v_mul_f32_e32 v9, v14, v15
	v_ldexp_f32 v13, v14, 1
	s_or_b64 vcc, s[52:53], vcc
	v_mov_b32_e32 v12, v26
	v_pk_mul_f32 v[14:15], v[8:9], v[26:27]
	scratch_store_dwordx2 off, v[12:13], off offset:164 ; 8-byte Folded Spill
	v_fma_f32 v12, v8, s56, -v14
	v_fmac_f32_e32 v12, 0xb102e308, v8
	v_pk_add_f32 v[8:9], v[14:15], v[12:13]
	v_mov_b32_e32 v26, v14
	v_sub_f32_e32 v13, v9, v13
	v_sub_f32_e32 v13, v15, v13
	v_add_f32_e32 v27, v22, v13
	v_pk_add_f32 v[14:15], v[8:9], v[14:15] neg_lo:[0,1] neg_hi:[0,1]
	v_pk_add_f32 v[28:29], v[8:9], v[26:27]
	v_mov_b32_e32 v13, v8
	v_mov_b32_e32 v15, v29
	v_pk_add_f32 v[30:31], v[12:13], v[14:15] neg_lo:[0,1] neg_hi:[0,1]
	v_pk_add_f32 v[12:13], v[12:13], v[14:15]
	v_mov_b32_e32 v26, v27
	v_mov_b32_e32 v14, v13
	v_pk_add_f32 v[32:33], v[14:15], v[8:9] neg_lo:[0,1] neg_hi:[0,1]
	v_mov_b32_e32 v12, v29
	v_mov_b32_e32 v15, v32
	v_pk_add_f32 v[34:35], v[28:29], v[14:15] neg_lo:[0,1] neg_hi:[0,1]
	v_mov_b32_e32 v28, v9
	v_mov_b32_e32 v29, v32
	;; [unrolled: 1-line block ×3, first 2 shown]
	v_pk_add_f32 v[12:13], v[12:13], v[28:29] neg_lo:[0,1] neg_hi:[0,1]
	v_mov_b32_e32 v27, v8
	v_pk_add_f32 v[8:9], v[26:27], v[12:13] neg_lo:[0,1] neg_hi:[0,1]
	v_mov_b32_e32 v34, v30
	v_pk_add_f32 v[12:13], v[34:35], v[8:9]
	s_nop 0
	v_mov_b32_e32 v22, v13
	v_pk_add_f32 v[26:27], v[12:13], v[22:23]
	s_nop 0
	v_pk_add_f32 v[14:15], v[14:15], v[26:27]
	v_mov_b32_e32 v9, v26
	v_mov_b32_e32 v13, v14
	v_pk_add_f32 v[28:29], v[12:13], v[30:31] neg_lo:[0,1] neg_hi:[0,1]
	s_nop 0
	v_sub_f32_e32 v12, v12, v28
	v_pk_add_f32 v[8:9], v[8:9], v[28:29] neg_lo:[0,1] neg_hi:[0,1]
	v_sub_f32_e32 v12, v30, v12
	v_add_f32_e32 v8, v8, v12
	v_add_f32_e32 v8, v8, v9
	;; [unrolled: 1-line block ×3, first 2 shown]
	v_cndmask_b32_e32 v63, v8, v19, vcc
.LBB48_99:                              ;   in Loop: Header=BB48_13 Depth=1
	s_or_b64 exec, exec, s[54:55]
	v_lshlrev_b32_e32 v8, 16, v10
	v_readlane_b32 s0, v95, 2
	s_nop 1
	v_add_f32_e32 v64, s0, v8
	v_cmp_ge_f32_e32 vcc, s4, v64
	s_and_b64 s[0:1], s[6:7], vcc
	s_and_saveexec_b64 s[54:55], s[0:1]
	s_cbranch_execz .LBB48_101
; %bb.100:                              ;   in Loop: Header=BB48_13 Depth=1
	v_mul_f32_e32 v8, 0x3fb8aa3b, v64
	v_rndne_f32_e32 v9, v8
	v_sub_f32_e32 v12, v8, v9
	v_fma_f32 v8, v64, s5, -v8
	v_fmac_f32_e32 v8, 0x32a5705f, v64
	v_add_f32_e32 v8, v12, v8
	v_cvt_i32_f32_e32 v9, v9
	v_exp_f32_e32 v8, v8
	v_cmp_ngt_f32_e32 vcc, s8, v64
	v_ldexp_f32 v8, v8, v9
	s_nop 0
	v_cndmask_b32_e32 v8, 0, v8, vcc
	v_cmp_nlt_f32_e32 vcc, s9, v64
	s_nop 1
	v_cndmask_b32_e32 v19, v39, v8, vcc
	v_add_f32_e32 v12, 1.0, v19
	v_add_f32_e32 v8, -1.0, v12
	v_sub_f32_e32 v9, v8, v12
	v_add_f32_e32 v9, 1.0, v9
	v_sub_f32_e32 v8, v19, v8
	v_add_f32_e32 v13, v8, v9
	v_frexp_mant_f32_e32 v14, v12
	v_cvt_f64_f32_e32 v[8:9], v12
	v_frexp_exp_i32_f64_e32 v8, v[8:9]
	v_cmp_gt_f32_e32 vcc, s11, v14
	v_cmp_gt_f32_e64 s[52:53], s57, v19
	s_nop 0
	v_subbrev_co_u32_e32 v22, vcc, 0, v8, vcc
	v_sub_u32_e32 v8, 0, v22
	v_ldexp_f32 v9, v12, v8
	v_add_f32_e32 v12, -1.0, v9
	v_add_f32_e32 v14, 1.0, v9
	v_ldexp_f32 v8, v13, v8
	v_add_f32_e32 v13, 1.0, v12
	v_add_f32_e32 v15, -1.0, v14
	v_sub_f32_e32 v13, v9, v13
	v_sub_f32_e32 v9, v9, v15
	v_add_f32_e32 v13, v8, v13
	v_add_f32_e32 v8, v8, v9
	;; [unrolled: 1-line block ×3, first 2 shown]
	v_rcp_f32_e32 v30, v28
	v_sub_f32_e32 v9, v14, v28
	v_add_f32_e32 v29, v8, v9
	v_add_f32_e32 v9, v12, v13
	v_mul_f32_e32 v32, v9, v30
	v_sub_f32_e32 v8, v12, v9
	v_mul_f32_e32 v12, v28, v32
	v_fma_f32 v14, v32, v28, -v12
	v_fmac_f32_e32 v14, v32, v29
	v_add_f32_e32 v31, v13, v8
	v_add_f32_e32 v8, v12, v14
	v_sub_f32_e32 v13, v9, v8
	v_pk_add_f32 v[26:27], v[8:9], v[12:13] neg_lo:[0,1] neg_hi:[0,1]
	v_mov_b32_e32 v15, v8
	v_pk_add_f32 v[8:9], v[26:27], v[14:15] neg_lo:[0,1] neg_hi:[0,1]
	v_cmp_eq_f32_e32 vcc, s10, v19
	v_add_f32_e32 v9, v31, v9
	v_add_f32_e32 v8, v8, v9
	;; [unrolled: 1-line block ×3, first 2 shown]
	v_mul_f32_e32 v31, v30, v9
	v_mul_f32_e32 v12, v28, v31
	v_fma_f32 v14, v31, v28, -v12
	v_fmac_f32_e32 v14, v31, v29
	v_sub_f32_e32 v13, v13, v9
	v_add_f32_e32 v28, v8, v13
	v_add_f32_e32 v8, v12, v14
	v_sub_f32_e32 v13, v9, v8
	v_pk_add_f32 v[26:27], v[8:9], v[12:13] neg_lo:[0,1] neg_hi:[0,1]
	v_mov_b32_e32 v15, v8
	v_pk_add_f32 v[8:9], v[26:27], v[14:15] neg_lo:[0,1] neg_hi:[0,1]
	scratch_load_dwordx2 v[26:27], off, off offset:164 ; 8-byte Folded Reload
	v_add_f32_e32 v9, v28, v9
	v_add_f32_e32 v8, v8, v9
	;; [unrolled: 1-line block ×4, first 2 shown]
	v_sub_f32_e32 v12, v9, v32
	v_mul_f32_e32 v8, v30, v8
	v_sub_f32_e32 v12, v31, v12
	v_add_f32_e32 v12, v12, v8
	v_add_f32_e32 v14, v9, v12
	v_mul_f32_e32 v15, v14, v14
	v_mov_b32_e32 v8, 0x3ecc95a3
	v_fmamk_f32 v8, v15, 0x3e9b6dac, v8
	s_waitcnt vmcnt(0)
	v_fmaak_f32 v27, v15, v8, 0x3f2aaada
	v_cvt_f32_i32_e32 v8, v22
	v_sub_f32_e32 v9, v14, v9
	v_sub_f32_e32 v9, v12, v9
	v_ldexp_f32 v22, v9, 1
	v_mul_f32_e32 v9, v14, v15
	v_ldexp_f32 v13, v14, 1
	s_or_b64 vcc, s[52:53], vcc
	v_mov_b32_e32 v12, v26
	v_pk_mul_f32 v[14:15], v[8:9], v[26:27]
	scratch_store_dwordx2 off, v[12:13], off offset:164 ; 8-byte Folded Spill
	v_fma_f32 v12, v8, s56, -v14
	v_fmac_f32_e32 v12, 0xb102e308, v8
	v_pk_add_f32 v[8:9], v[14:15], v[12:13]
	v_mov_b32_e32 v26, v14
	v_sub_f32_e32 v13, v9, v13
	v_sub_f32_e32 v13, v15, v13
	v_add_f32_e32 v27, v22, v13
	v_pk_add_f32 v[14:15], v[8:9], v[14:15] neg_lo:[0,1] neg_hi:[0,1]
	v_pk_add_f32 v[28:29], v[8:9], v[26:27]
	v_mov_b32_e32 v13, v8
	v_mov_b32_e32 v15, v29
	v_pk_add_f32 v[30:31], v[12:13], v[14:15] neg_lo:[0,1] neg_hi:[0,1]
	v_pk_add_f32 v[12:13], v[12:13], v[14:15]
	v_mov_b32_e32 v26, v27
	v_mov_b32_e32 v14, v13
	v_pk_add_f32 v[32:33], v[14:15], v[8:9] neg_lo:[0,1] neg_hi:[0,1]
	v_mov_b32_e32 v12, v29
	v_mov_b32_e32 v15, v32
	v_pk_add_f32 v[34:35], v[28:29], v[14:15] neg_lo:[0,1] neg_hi:[0,1]
	v_mov_b32_e32 v28, v9
	v_mov_b32_e32 v29, v32
	;; [unrolled: 1-line block ×3, first 2 shown]
	v_pk_add_f32 v[12:13], v[12:13], v[28:29] neg_lo:[0,1] neg_hi:[0,1]
	v_mov_b32_e32 v27, v8
	v_pk_add_f32 v[8:9], v[26:27], v[12:13] neg_lo:[0,1] neg_hi:[0,1]
	v_mov_b32_e32 v34, v30
	v_pk_add_f32 v[12:13], v[34:35], v[8:9]
	s_nop 0
	v_mov_b32_e32 v22, v13
	v_pk_add_f32 v[26:27], v[12:13], v[22:23]
	s_nop 0
	v_pk_add_f32 v[14:15], v[14:15], v[26:27]
	v_mov_b32_e32 v9, v26
	v_mov_b32_e32 v13, v14
	v_pk_add_f32 v[28:29], v[12:13], v[30:31] neg_lo:[0,1] neg_hi:[0,1]
	s_nop 0
	v_sub_f32_e32 v12, v12, v28
	v_pk_add_f32 v[8:9], v[8:9], v[28:29] neg_lo:[0,1] neg_hi:[0,1]
	v_sub_f32_e32 v12, v30, v12
	v_add_f32_e32 v8, v8, v12
	v_add_f32_e32 v8, v8, v9
	v_add_f32_e32 v8, v14, v8
	v_cndmask_b32_e32 v64, v8, v19, vcc
.LBB48_101:                             ;   in Loop: Header=BB48_13 Depth=1
	s_or_b64 exec, exec, s[54:55]
	v_and_b32_e32 v8, 0xffff0000, v10
	v_readlane_b32 s0, v95, 2
	s_nop 1
	v_add_f32_e32 v65, s0, v8
	v_cmp_ge_f32_e32 vcc, s4, v65
	s_and_b64 s[0:1], s[6:7], vcc
	s_and_saveexec_b64 s[54:55], s[0:1]
	s_cbranch_execz .LBB48_103
; %bb.102:                              ;   in Loop: Header=BB48_13 Depth=1
	v_mul_f32_e32 v8, 0x3fb8aa3b, v65
	v_rndne_f32_e32 v9, v8
	v_sub_f32_e32 v10, v8, v9
	v_fma_f32 v8, v65, s5, -v8
	v_fmac_f32_e32 v8, 0x32a5705f, v65
	v_add_f32_e32 v8, v10, v8
	v_cvt_i32_f32_e32 v9, v9
	v_exp_f32_e32 v8, v8
	v_cmp_ngt_f32_e32 vcc, s8, v65
	v_ldexp_f32 v8, v8, v9
	s_nop 0
	v_cndmask_b32_e32 v8, 0, v8, vcc
	v_cmp_nlt_f32_e32 vcc, s9, v65
	s_nop 1
	v_cndmask_b32_e32 v19, v39, v8, vcc
	v_add_f32_e32 v10, 1.0, v19
	v_add_f32_e32 v8, -1.0, v10
	v_sub_f32_e32 v9, v8, v10
	v_add_f32_e32 v9, 1.0, v9
	v_sub_f32_e32 v8, v19, v8
	v_add_f32_e32 v12, v8, v9
	v_frexp_mant_f32_e32 v13, v10
	v_cvt_f64_f32_e32 v[8:9], v10
	v_frexp_exp_i32_f64_e32 v8, v[8:9]
	v_cmp_gt_f32_e32 vcc, s11, v13
	v_cmp_gt_f32_e64 s[52:53], s57, v19
	s_nop 0
	v_subbrev_co_u32_e32 v22, vcc, 0, v8, vcc
	v_sub_u32_e32 v8, 0, v22
	v_ldexp_f32 v9, v10, v8
	v_add_f32_e32 v10, -1.0, v9
	v_add_f32_e32 v13, 1.0, v9
	v_ldexp_f32 v8, v12, v8
	v_add_f32_e32 v12, 1.0, v10
	v_add_f32_e32 v14, -1.0, v13
	v_sub_f32_e32 v12, v9, v12
	v_sub_f32_e32 v9, v9, v14
	v_add_f32_e32 v12, v8, v12
	v_add_f32_e32 v8, v8, v9
	;; [unrolled: 1-line block ×3, first 2 shown]
	v_rcp_f32_e32 v30, v28
	v_sub_f32_e32 v9, v13, v28
	v_add_f32_e32 v29, v8, v9
	v_add_f32_e32 v9, v10, v12
	v_sub_f32_e32 v8, v10, v9
	v_mul_f32_e32 v31, v9, v30
	v_add_f32_e32 v10, v12, v8
	v_mul_f32_e32 v12, v28, v31
	v_fma_f32 v14, v31, v28, -v12
	v_fmac_f32_e32 v14, v31, v29
	v_add_f32_e32 v8, v12, v14
	v_sub_f32_e32 v13, v9, v8
	v_pk_add_f32 v[26:27], v[8:9], v[12:13] neg_lo:[0,1] neg_hi:[0,1]
	v_mov_b32_e32 v15, v8
	v_pk_add_f32 v[8:9], v[26:27], v[14:15] neg_lo:[0,1] neg_hi:[0,1]
	v_cmp_eq_f32_e32 vcc, s10, v19
	v_add_f32_e32 v9, v10, v9
	v_add_f32_e32 v8, v8, v9
	;; [unrolled: 1-line block ×3, first 2 shown]
	v_mul_f32_e32 v10, v30, v9
	v_mul_f32_e32 v12, v28, v10
	v_fma_f32 v14, v10, v28, -v12
	v_fmac_f32_e32 v14, v10, v29
	v_sub_f32_e32 v13, v13, v9
	v_add_f32_e32 v28, v8, v13
	v_add_f32_e32 v8, v12, v14
	v_sub_f32_e32 v13, v9, v8
	v_pk_add_f32 v[26:27], v[8:9], v[12:13] neg_lo:[0,1] neg_hi:[0,1]
	v_mov_b32_e32 v15, v8
	v_pk_add_f32 v[8:9], v[26:27], v[14:15] neg_lo:[0,1] neg_hi:[0,1]
	scratch_load_dwordx2 v[26:27], off, off offset:164 ; 8-byte Folded Reload
	v_add_f32_e32 v9, v28, v9
	v_add_f32_e32 v8, v8, v9
	;; [unrolled: 1-line block ×4, first 2 shown]
	v_sub_f32_e32 v12, v9, v31
	v_mul_f32_e32 v8, v30, v8
	v_sub_f32_e32 v10, v10, v12
	v_add_f32_e32 v10, v10, v8
	v_add_f32_e32 v12, v9, v10
	v_mul_f32_e32 v14, v12, v12
	v_mov_b32_e32 v8, 0x3ecc95a3
	v_fmamk_f32 v8, v14, 0x3e9b6dac, v8
	s_waitcnt vmcnt(0)
	v_fmaak_f32 v27, v14, v8, 0x3f2aaada
	v_cvt_f32_i32_e32 v8, v22
	v_sub_f32_e32 v9, v12, v9
	v_sub_f32_e32 v9, v10, v9
	v_ldexp_f32 v10, v9, 1
	v_mul_f32_e32 v9, v12, v14
	v_ldexp_f32 v13, v12, 1
	s_or_b64 vcc, s[52:53], vcc
	v_mov_b32_e32 v12, v26
	v_pk_mul_f32 v[14:15], v[8:9], v[26:27]
	scratch_store_dwordx2 off, v[12:13], off offset:164 ; 8-byte Folded Spill
	v_fma_f32 v12, v8, s56, -v14
	v_fmac_f32_e32 v12, 0xb102e308, v8
	v_pk_add_f32 v[8:9], v[14:15], v[12:13]
	v_mov_b32_e32 v26, v14
	v_sub_f32_e32 v13, v9, v13
	v_sub_f32_e32 v13, v15, v13
	v_add_f32_e32 v27, v10, v13
	v_pk_add_f32 v[14:15], v[8:9], v[14:15] neg_lo:[0,1] neg_hi:[0,1]
	v_pk_add_f32 v[28:29], v[8:9], v[26:27]
	v_mov_b32_e32 v13, v8
	v_mov_b32_e32 v15, v29
	v_pk_add_f32 v[30:31], v[12:13], v[14:15] neg_lo:[0,1] neg_hi:[0,1]
	v_pk_add_f32 v[12:13], v[12:13], v[14:15]
	s_nop 0
	v_mov_b32_e32 v10, v13
	v_pk_add_f32 v[14:15], v[10:11], v[8:9] neg_lo:[0,1] neg_hi:[0,1]
	v_mov_b32_e32 v12, v29
	v_mov_b32_e32 v15, v14
	v_pk_add_f32 v[32:33], v[28:29], v[14:15] neg_lo:[0,1] neg_hi:[0,1]
	v_mov_b32_e32 v28, v9
	v_mov_b32_e32 v29, v14
	;; [unrolled: 1-line block ×3, first 2 shown]
	v_pk_add_f32 v[12:13], v[12:13], v[28:29] neg_lo:[0,1] neg_hi:[0,1]
	v_mov_b32_e32 v14, v27
	v_mov_b32_e32 v15, v8
	v_pk_add_f32 v[8:9], v[14:15], v[12:13] neg_lo:[0,1] neg_hi:[0,1]
	v_mov_b32_e32 v32, v30
	v_pk_add_f32 v[12:13], v[32:33], v[8:9]
	s_nop 0
	v_mov_b32_e32 v14, v13
	v_pk_add_f32 v[14:15], v[12:13], v[14:15]
	s_nop 0
	v_pk_add_f32 v[26:27], v[10:11], v[14:15]
	v_mov_b32_e32 v9, v14
	v_mov_b32_e32 v13, v26
	v_pk_add_f32 v[28:29], v[12:13], v[30:31] neg_lo:[0,1] neg_hi:[0,1]
	s_nop 0
	v_sub_f32_e32 v10, v12, v28
	v_pk_add_f32 v[8:9], v[8:9], v[28:29] neg_lo:[0,1] neg_hi:[0,1]
	v_sub_f32_e32 v10, v30, v10
	v_add_f32_e32 v8, v8, v10
	v_add_f32_e32 v8, v8, v9
	;; [unrolled: 1-line block ×3, first 2 shown]
	v_cndmask_b32_e32 v65, v8, v19, vcc
.LBB48_103:                             ;   in Loop: Header=BB48_13 Depth=1
	s_or_b64 exec, exec, s[54:55]
	v_lshlrev_b32_e32 v8, 16, v11
	v_readlane_b32 s0, v95, 2
	s_nop 1
	v_add_f32_e32 v66, s0, v8
	v_cmp_ge_f32_e32 vcc, s4, v66
	s_and_b64 s[0:1], s[6:7], vcc
	s_and_saveexec_b64 s[54:55], s[0:1]
	s_cbranch_execz .LBB48_105
; %bb.104:                              ;   in Loop: Header=BB48_13 Depth=1
	v_mul_f32_e32 v8, 0x3fb8aa3b, v66
	v_rndne_f32_e32 v9, v8
	v_sub_f32_e32 v10, v8, v9
	v_fma_f32 v8, v66, s5, -v8
	v_fmac_f32_e32 v8, 0x32a5705f, v66
	v_add_f32_e32 v8, v10, v8
	v_cvt_i32_f32_e32 v9, v9
	v_exp_f32_e32 v8, v8
	v_cmp_ngt_f32_e32 vcc, s8, v66
	v_ldexp_f32 v8, v8, v9
	s_nop 0
	v_cndmask_b32_e32 v8, 0, v8, vcc
	v_cmp_nlt_f32_e32 vcc, s9, v66
	s_nop 1
	v_cndmask_b32_e32 v19, v39, v8, vcc
	v_add_f32_e32 v10, 1.0, v19
	v_add_f32_e32 v8, -1.0, v10
	v_sub_f32_e32 v9, v8, v10
	v_add_f32_e32 v9, 1.0, v9
	v_sub_f32_e32 v8, v19, v8
	v_add_f32_e32 v12, v8, v9
	v_frexp_mant_f32_e32 v13, v10
	v_cvt_f64_f32_e32 v[8:9], v10
	v_frexp_exp_i32_f64_e32 v8, v[8:9]
	v_cmp_gt_f32_e32 vcc, s11, v13
	v_cmp_gt_f32_e64 s[52:53], s57, v19
	s_nop 0
	v_subbrev_co_u32_e32 v22, vcc, 0, v8, vcc
	v_sub_u32_e32 v8, 0, v22
	v_ldexp_f32 v9, v10, v8
	v_add_f32_e32 v10, -1.0, v9
	v_add_f32_e32 v13, 1.0, v9
	v_ldexp_f32 v8, v12, v8
	v_add_f32_e32 v12, 1.0, v10
	v_add_f32_e32 v14, -1.0, v13
	v_sub_f32_e32 v12, v9, v12
	v_sub_f32_e32 v9, v9, v14
	v_add_f32_e32 v12, v8, v12
	v_add_f32_e32 v8, v8, v9
	;; [unrolled: 1-line block ×3, first 2 shown]
	v_rcp_f32_e32 v30, v28
	v_sub_f32_e32 v9, v13, v28
	v_add_f32_e32 v29, v8, v9
	v_add_f32_e32 v9, v10, v12
	v_sub_f32_e32 v8, v10, v9
	v_mul_f32_e32 v31, v9, v30
	v_add_f32_e32 v10, v12, v8
	v_mul_f32_e32 v12, v28, v31
	v_fma_f32 v14, v31, v28, -v12
	v_fmac_f32_e32 v14, v31, v29
	v_add_f32_e32 v8, v12, v14
	v_sub_f32_e32 v13, v9, v8
	v_pk_add_f32 v[26:27], v[8:9], v[12:13] neg_lo:[0,1] neg_hi:[0,1]
	v_mov_b32_e32 v15, v8
	v_pk_add_f32 v[8:9], v[26:27], v[14:15] neg_lo:[0,1] neg_hi:[0,1]
	v_cmp_eq_f32_e32 vcc, s10, v19
	v_add_f32_e32 v9, v10, v9
	v_add_f32_e32 v8, v8, v9
	;; [unrolled: 1-line block ×3, first 2 shown]
	v_mul_f32_e32 v10, v30, v9
	v_mul_f32_e32 v12, v28, v10
	v_fma_f32 v14, v10, v28, -v12
	v_fmac_f32_e32 v14, v10, v29
	v_sub_f32_e32 v13, v13, v9
	v_add_f32_e32 v28, v8, v13
	v_add_f32_e32 v8, v12, v14
	v_sub_f32_e32 v13, v9, v8
	v_pk_add_f32 v[26:27], v[8:9], v[12:13] neg_lo:[0,1] neg_hi:[0,1]
	v_mov_b32_e32 v15, v8
	v_pk_add_f32 v[8:9], v[26:27], v[14:15] neg_lo:[0,1] neg_hi:[0,1]
	scratch_load_dwordx2 v[26:27], off, off offset:164 ; 8-byte Folded Reload
	v_add_f32_e32 v9, v28, v9
	v_add_f32_e32 v8, v8, v9
	;; [unrolled: 1-line block ×4, first 2 shown]
	v_sub_f32_e32 v12, v9, v31
	v_mul_f32_e32 v8, v30, v8
	v_sub_f32_e32 v10, v10, v12
	v_add_f32_e32 v10, v10, v8
	v_add_f32_e32 v12, v9, v10
	v_mul_f32_e32 v14, v12, v12
	v_mov_b32_e32 v8, 0x3ecc95a3
	v_fmamk_f32 v8, v14, 0x3e9b6dac, v8
	s_waitcnt vmcnt(0)
	v_fmaak_f32 v27, v14, v8, 0x3f2aaada
	v_cvt_f32_i32_e32 v8, v22
	v_sub_f32_e32 v9, v12, v9
	v_sub_f32_e32 v9, v10, v9
	v_ldexp_f32 v10, v9, 1
	v_mul_f32_e32 v9, v12, v14
	v_ldexp_f32 v13, v12, 1
	s_or_b64 vcc, s[52:53], vcc
	v_mov_b32_e32 v12, v26
	v_pk_mul_f32 v[14:15], v[8:9], v[26:27]
	scratch_store_dwordx2 off, v[12:13], off offset:164 ; 8-byte Folded Spill
	v_fma_f32 v12, v8, s56, -v14
	v_fmac_f32_e32 v12, 0xb102e308, v8
	v_pk_add_f32 v[8:9], v[14:15], v[12:13]
	v_mov_b32_e32 v26, v14
	v_sub_f32_e32 v13, v9, v13
	v_sub_f32_e32 v13, v15, v13
	v_add_f32_e32 v27, v10, v13
	v_pk_add_f32 v[14:15], v[8:9], v[14:15] neg_lo:[0,1] neg_hi:[0,1]
	v_pk_add_f32 v[28:29], v[8:9], v[26:27]
	v_mov_b32_e32 v13, v8
	v_mov_b32_e32 v15, v29
	v_pk_add_f32 v[30:31], v[12:13], v[14:15] neg_lo:[0,1] neg_hi:[0,1]
	v_pk_add_f32 v[12:13], v[12:13], v[14:15]
	s_nop 0
	v_mov_b32_e32 v10, v13
	v_pk_add_f32 v[14:15], v[10:11], v[8:9] neg_lo:[0,1] neg_hi:[0,1]
	v_mov_b32_e32 v12, v29
	v_mov_b32_e32 v15, v14
	v_pk_add_f32 v[32:33], v[28:29], v[14:15] neg_lo:[0,1] neg_hi:[0,1]
	v_mov_b32_e32 v28, v9
	v_mov_b32_e32 v29, v14
	;; [unrolled: 1-line block ×3, first 2 shown]
	v_pk_add_f32 v[12:13], v[12:13], v[28:29] neg_lo:[0,1] neg_hi:[0,1]
	v_mov_b32_e32 v14, v27
	v_mov_b32_e32 v15, v8
	v_pk_add_f32 v[8:9], v[14:15], v[12:13] neg_lo:[0,1] neg_hi:[0,1]
	v_mov_b32_e32 v32, v30
	v_pk_add_f32 v[12:13], v[32:33], v[8:9]
	s_nop 0
	v_mov_b32_e32 v14, v13
	v_pk_add_f32 v[14:15], v[12:13], v[14:15]
	s_nop 0
	v_pk_add_f32 v[26:27], v[10:11], v[14:15]
	v_mov_b32_e32 v9, v14
	v_mov_b32_e32 v13, v26
	v_pk_add_f32 v[28:29], v[12:13], v[30:31] neg_lo:[0,1] neg_hi:[0,1]
	s_nop 0
	v_sub_f32_e32 v10, v12, v28
	v_pk_add_f32 v[8:9], v[8:9], v[28:29] neg_lo:[0,1] neg_hi:[0,1]
	v_sub_f32_e32 v10, v30, v10
	v_add_f32_e32 v8, v8, v10
	v_add_f32_e32 v8, v8, v9
	;; [unrolled: 1-line block ×3, first 2 shown]
	v_cndmask_b32_e32 v66, v8, v19, vcc
.LBB48_105:                             ;   in Loop: Header=BB48_13 Depth=1
	s_or_b64 exec, exec, s[54:55]
	v_and_b32_e32 v8, 0xffff0000, v11
	v_readlane_b32 s0, v95, 2
	s_nop 1
	v_add_f32_e32 v27, s0, v8
	v_cmp_ge_f32_e32 vcc, s4, v27
	s_and_b64 s[0:1], s[6:7], vcc
	s_and_saveexec_b64 s[54:55], s[0:1]
	s_cbranch_execz .LBB48_107
; %bb.106:                              ;   in Loop: Header=BB48_13 Depth=1
	v_mul_f32_e32 v8, 0x3fb8aa3b, v27
	v_rndne_f32_e32 v9, v8
	v_sub_f32_e32 v10, v8, v9
	v_fma_f32 v8, v27, s5, -v8
	v_fmac_f32_e32 v8, 0x32a5705f, v27
	v_add_f32_e32 v8, v10, v8
	v_cvt_i32_f32_e32 v9, v9
	v_exp_f32_e32 v8, v8
	v_cmp_ngt_f32_e32 vcc, s8, v27
	v_ldexp_f32 v8, v8, v9
	s_nop 0
	v_cndmask_b32_e32 v8, 0, v8, vcc
	v_cmp_nlt_f32_e32 vcc, s9, v27
	s_nop 1
	v_cndmask_b32_e32 v19, v39, v8, vcc
	v_add_f32_e32 v10, 1.0, v19
	v_add_f32_e32 v8, -1.0, v10
	v_sub_f32_e32 v9, v8, v10
	v_add_f32_e32 v9, 1.0, v9
	v_sub_f32_e32 v8, v19, v8
	v_add_f32_e32 v11, v8, v9
	v_frexp_mant_f32_e32 v12, v10
	v_cvt_f64_f32_e32 v[8:9], v10
	v_frexp_exp_i32_f64_e32 v8, v[8:9]
	v_cmp_gt_f32_e32 vcc, s11, v12
	v_cmp_gt_f32_e64 s[52:53], s57, v19
	s_nop 0
	v_subbrev_co_u32_e32 v22, vcc, 0, v8, vcc
	v_sub_u32_e32 v8, 0, v22
	v_ldexp_f32 v9, v10, v8
	v_add_f32_e32 v10, -1.0, v9
	v_add_f32_e32 v12, 1.0, v9
	v_ldexp_f32 v8, v11, v8
	v_add_f32_e32 v11, 1.0, v10
	v_add_f32_e32 v13, -1.0, v12
	v_sub_f32_e32 v11, v9, v11
	v_sub_f32_e32 v9, v9, v13
	v_add_f32_e32 v11, v8, v11
	v_add_f32_e32 v8, v8, v9
	;; [unrolled: 1-line block ×3, first 2 shown]
	v_rcp_f32_e32 v28, v26
	v_sub_f32_e32 v9, v12, v26
	v_add_f32_e32 v27, v8, v9
	v_add_f32_e32 v9, v10, v11
	v_mul_f32_e32 v30, v9, v28
	v_sub_f32_e32 v8, v10, v9
	v_mul_f32_e32 v10, v26, v30
	v_fma_f32 v12, v30, v26, -v10
	v_fmac_f32_e32 v12, v30, v27
	v_add_f32_e32 v29, v11, v8
	v_add_f32_e32 v8, v10, v12
	v_sub_f32_e32 v11, v9, v8
	v_pk_add_f32 v[14:15], v[8:9], v[10:11] neg_lo:[0,1] neg_hi:[0,1]
	v_mov_b32_e32 v13, v8
	v_pk_add_f32 v[8:9], v[14:15], v[12:13] neg_lo:[0,1] neg_hi:[0,1]
	v_cmp_eq_f32_e32 vcc, s10, v19
	v_add_f32_e32 v9, v29, v9
	v_add_f32_e32 v8, v8, v9
	;; [unrolled: 1-line block ×3, first 2 shown]
	v_mul_f32_e32 v29, v28, v9
	v_mul_f32_e32 v10, v26, v29
	v_fma_f32 v12, v29, v26, -v10
	v_fmac_f32_e32 v12, v29, v27
	v_sub_f32_e32 v11, v11, v9
	v_add_f32_e32 v26, v8, v11
	v_add_f32_e32 v8, v10, v12
	v_sub_f32_e32 v11, v9, v8
	v_pk_add_f32 v[14:15], v[8:9], v[10:11] neg_lo:[0,1] neg_hi:[0,1]
	v_mov_b32_e32 v13, v8
	v_pk_add_f32 v[8:9], v[14:15], v[12:13] neg_lo:[0,1] neg_hi:[0,1]
	scratch_load_dwordx2 v[14:15], off, off offset:164 ; 8-byte Folded Reload
	v_add_f32_e32 v9, v26, v9
	v_add_f32_e32 v8, v8, v9
	;; [unrolled: 1-line block ×4, first 2 shown]
	v_sub_f32_e32 v10, v9, v30
	v_mul_f32_e32 v8, v28, v8
	v_sub_f32_e32 v10, v29, v10
	v_add_f32_e32 v10, v10, v8
	v_add_f32_e32 v12, v9, v10
	v_mul_f32_e32 v13, v12, v12
	v_mov_b32_e32 v8, 0x3ecc95a3
	v_fmamk_f32 v8, v13, 0x3e9b6dac, v8
	v_fmaak_f32 v27, v13, v8, 0x3f2aaada
	v_cvt_f32_i32_e32 v8, v22
	v_sub_f32_e32 v9, v12, v9
	v_sub_f32_e32 v9, v10, v9
	v_ldexp_f32 v11, v12, 1
	s_or_b64 vcc, s[52:53], vcc
	s_waitcnt vmcnt(0)
	v_mov_b32_e32 v26, v14
	v_ldexp_f32 v14, v9, 1
	v_mul_f32_e32 v9, v12, v13
	v_mov_b32_e32 v10, v26
	v_pk_mul_f32 v[12:13], v[8:9], v[26:27]
	scratch_store_dwordx2 off, v[10:11], off offset:164 ; 8-byte Folded Spill
	v_fma_f32 v10, v8, s56, -v12
	v_fmac_f32_e32 v10, 0xb102e308, v8
	v_pk_add_f32 v[8:9], v[12:13], v[10:11]
	s_nop 0
	v_sub_f32_e32 v11, v9, v11
	v_sub_f32_e32 v11, v13, v11
	v_add_f32_e32 v15, v14, v11
	v_mov_b32_e32 v14, v12
	v_pk_add_f32 v[12:13], v[8:9], v[12:13] neg_lo:[0,1] neg_hi:[0,1]
	v_pk_add_f32 v[26:27], v[8:9], v[14:15]
	v_mov_b32_e32 v11, v8
	v_mov_b32_e32 v13, v27
	v_pk_add_f32 v[28:29], v[10:11], v[12:13] neg_lo:[0,1] neg_hi:[0,1]
	v_pk_add_f32 v[10:11], v[10:11], v[12:13]
	v_mov_b32_e32 v14, v15
	v_mov_b32_e32 v12, v11
	v_pk_add_f32 v[30:31], v[12:13], v[8:9] neg_lo:[0,1] neg_hi:[0,1]
	v_mov_b32_e32 v10, v27
	v_mov_b32_e32 v13, v30
	v_pk_add_f32 v[32:33], v[26:27], v[12:13] neg_lo:[0,1] neg_hi:[0,1]
	v_mov_b32_e32 v26, v9
	v_mov_b32_e32 v27, v30
	;; [unrolled: 1-line block ×3, first 2 shown]
	v_pk_add_f32 v[10:11], v[10:11], v[26:27] neg_lo:[0,1] neg_hi:[0,1]
	v_mov_b32_e32 v15, v8
	v_pk_add_f32 v[8:9], v[14:15], v[10:11] neg_lo:[0,1] neg_hi:[0,1]
	v_mov_b32_e32 v32, v28
	v_pk_add_f32 v[10:11], v[32:33], v[8:9]
	s_nop 0
	v_mov_b32_e32 v14, v11
	v_pk_add_f32 v[14:15], v[10:11], v[14:15]
	s_nop 0
	v_pk_add_f32 v[12:13], v[12:13], v[14:15]
	v_mov_b32_e32 v9, v14
	v_mov_b32_e32 v11, v12
	v_pk_add_f32 v[26:27], v[10:11], v[28:29] neg_lo:[0,1] neg_hi:[0,1]
	s_nop 0
	v_sub_f32_e32 v10, v10, v26
	v_pk_add_f32 v[8:9], v[8:9], v[26:27] neg_lo:[0,1] neg_hi:[0,1]
	v_sub_f32_e32 v10, v28, v10
	v_add_f32_e32 v8, v8, v10
	v_add_f32_e32 v8, v8, v9
	v_add_f32_e32 v8, v12, v8
	v_cndmask_b32_e32 v27, v8, v19, vcc
.LBB48_107:                             ;   in Loop: Header=BB48_13 Depth=1
	s_or_b64 exec, exec, s[54:55]
	v_lshlrev_b32_e32 v8, 16, v7
	v_readlane_b32 s0, v95, 3
	v_and_b32_e32 v13, 0xffff0000, v7
	v_and_b32_e32 v7, 0xffff0000, v6
	v_lshlrev_b32_e32 v6, 16, v6
	v_and_b32_e32 v9, 0xffff0000, v5
	v_lshlrev_b32_e32 v5, 16, v5
	;; [unrolled: 2-line block ×7, first 2 shown]
	v_mul_f32_e32 v28, s0, v8
	v_mul_f32_e32 v31, s0, v7
	;; [unrolled: 1-line block ×16, first 2 shown]
	v_readlane_b32 s0, v95, 23
	v_readlane_b32 s1, v95, 24
	s_and_b64 vcc, exec, s[0:1]
	s_waitcnt lgkmcnt(0)
	; wave barrier
	s_cbranch_vccz .LBB48_200
; %bb.108:                              ;   in Loop: Header=BB48_13 Depth=1
	v_mul_f32_e32 v83, v23, v0
	scratch_load_dword v0, off, off offset:264 ; 4-byte Folded Reload
	v_readlane_b32 s0, v95, 8
	v_readlane_b32 s1, v95, 9
	v_mul_f32_e32 v6, v64, v6
	v_mul_f32_e32 v5, v62, v5
	v_lshl_add_u64 v[44:45], s[0:1], 0, v[16:17]
	v_readlane_b32 s0, v95, 18
	v_readlane_b32 s1, v95, 19
	s_mov_b32 s98, 0
	v_mul_f32_e32 v13, v27, v13
	v_lshl_add_u64 v[46:47], s[0:1], 0, v[16:17]
	v_readlane_b32 s1, v95, 52
	s_cmp_lg_u32 s1, 0
	v_readlane_b32 s0, v95, 29
	s_cselect_b64 s[86:87], -1, 0
	s_cmp_eq_u32 s1, s0
	v_readlane_b32 s0, v95, 26
	v_readlane_b32 s1, v95, 27
	s_cselect_b64 s[90:91], -1, 0
	v_mul_f32_e32 v8, v66, v8
	v_mul_f32_e32 v7, v65, v7
	scratch_store_dword off, v6, off offset:80 ; 4-byte Folded Spill
	v_mul_f32_e32 v6, v63, v9
	scratch_store_dword off, v5, off offset:88 ; 4-byte Folded Spill
	v_mul_f32_e32 v5, v61, v10
	v_mul_f32_e32 v19, v60, v4
	;; [unrolled: 1-line block ×9, first 2 shown]
	s_mov_b32 s92, s98
	s_mov_b32 s94, s98
	;; [unrolled: 1-line block ×3, first 2 shown]
	scratch_store_dword off, v13, off offset:68 ; 4-byte Folded Spill
	scratch_store_dword off, v8, off offset:72 ; 4-byte Folded Spill
	;; [unrolled: 1-line block ×5, first 2 shown]
	s_waitcnt vmcnt(7)
	v_cmp_gt_u32_e32 vcc, s82, v0
	scratch_load_dword v0, off, off offset:268 ; 4-byte Folded Reload
	s_or_b64 s[52:53], s[0:1], vcc
	s_waitcnt vmcnt(0)
	v_cmp_gt_u32_e32 vcc, s82, v0
	scratch_load_dword v0, off, off offset:272 ; 4-byte Folded Reload
	s_or_b64 s[54:55], s[0:1], vcc
	;; [unrolled: 4-line block ×15, first 2 shown]
	s_waitcnt vmcnt(0)
	v_cmp_gt_u32_e32 vcc, s82, v0
	s_or_b64 s[82:83], s[0:1], vcc
	v_readlane_b32 s0, v95, 22
	v_readlane_b32 s1, v95, 48
	s_branch .LBB48_110
.LBB48_109:                             ;   in Loop: Header=BB48_110 Depth=2
	s_or_b64 exec, exec, s[84:85]
	v_mul_f32_e32 v48, v84, v70
	v_fma_f32 v49, v84, v71, v8
	v_cndmask_b32_e64 v8, v49, v8, s[16:17]
	v_cndmask_b32_e64 v48, v48, v84, s[16:17]
	s_waitcnt lgkmcnt(0)
	v_fmac_f32_e32 v8, v58, v48
	v_fmac_f32_e32 v9, v8, v85
	;; [unrolled: 1-line block ×12, first 2 shown]
	v_readlane_b32 s4, v95, 38
	v_fmac_f32_e32 v50, v55, v67
	v_readlane_b32 s5, v95, 39
	v_readlane_b32 s6, v95, 40
	;; [unrolled: 1-line block ×7, first 2 shown]
	v_fmac_f32_e32 v51, v50, v16
	s_add_i32 s94, s94, s4
	v_readlane_b32 s4, v95, 10
	v_fmac_f32_e32 v56, v51, v68
	v_readlane_b32 s5, v95, 11
	v_readlane_b32 s8, v95, 14
	v_fmac_f32_e32 v57, v56, v69
	v_and_b32_e32 v49, 0xffff0000, v4
	v_and_b32_e32 v59, 0xffff0000, v5
	v_lshlrev_b32_e32 v48, 16, v4
	v_lshlrev_b32_e32 v58, 16, v5
	v_and_b32_e32 v5, 0xffff0000, v6
	v_and_b32_e32 v69, 0xffff0000, v7
	v_lshlrev_b32_e32 v4, 16, v6
	v_lshlrev_b32_e32 v68, 16, v7
	;; [unrolled: 4-line block ×4, first 2 shown]
	s_add_i32 s1, s1, 8
	s_add_i32 s0, s0, -1
	s_add_i32 s96, s96, s97
	s_add_i32 s92, s92, s8
	;; [unrolled: 1-line block ×3, first 2 shown]
	v_pk_fma_f32 v[40:41], v[10:11], v[58:59], v[40:41]
	v_pk_fma_f32 v[42:43], v[8:9], v[48:49], v[42:43]
	;; [unrolled: 1-line block ×7, first 2 shown]
	s_cmp_eq_u32 s0, 0
	v_pk_fma_f32 v[30:31], v[50:51], v[0:1], v[30:31]
	v_readlane_b32 s6, v95, 12
	v_readlane_b32 s7, v95, 13
	;; [unrolled: 1-line block ×5, first 2 shown]
	s_cbranch_scc1 .LBB48_199
.LBB48_110:                             ;   Parent Loop BB48_13 Depth=1
                                        ; =>  This Inner Loop Header: Depth=2
	s_lshl_b64 s[84:85], s[98:99], 2
	v_readlane_b32 s4, v95, 6
	s_add_u32 s84, s4, s84
	v_readlane_b32 s4, v95, 7
	s_addc_u32 s85, s4, s85
	global_load_dword v50, v17, s[84:85]
	s_mov_b32 s93, s99
	v_lshl_add_u64 v[0:1], s[92:93], 1, v[44:45]
	v_mov_b32_e32 v2, 0
	v_mov_b32_e32 v3, 0
	s_and_saveexec_b64 s[84:85], s[18:19]
	s_cbranch_execz .LBB48_112
; %bb.111:                              ;   in Loop: Header=BB48_110 Depth=2
	global_load_ushort v3, v[0:1], off
.LBB48_112:                             ;   in Loop: Header=BB48_110 Depth=2
	s_or_b64 exec, exec, s[84:85]
	s_and_saveexec_b64 s[84:85], s[20:21]
	s_cbranch_execz .LBB48_114
; %bb.113:                              ;   in Loop: Header=BB48_110 Depth=2
	global_load_ushort v2, v[0:1], off offset:128
.LBB48_114:                             ;   in Loop: Header=BB48_110 Depth=2
	s_or_b64 exec, exec, s[84:85]
	v_mov_b32_e32 v4, 0
	v_mov_b32_e32 v5, 0
	s_and_saveexec_b64 s[84:85], s[22:23]
	s_cbranch_execz .LBB48_116
; %bb.115:                              ;   in Loop: Header=BB48_110 Depth=2
	global_load_ushort v5, v[0:1], off offset:256
.LBB48_116:                             ;   in Loop: Header=BB48_110 Depth=2
	s_or_b64 exec, exec, s[84:85]
	s_and_saveexec_b64 s[84:85], s[24:25]
	s_cbranch_execz .LBB48_118
; %bb.117:                              ;   in Loop: Header=BB48_110 Depth=2
	global_load_ushort v4, v[0:1], off offset:384
.LBB48_118:                             ;   in Loop: Header=BB48_110 Depth=2
	s_or_b64 exec, exec, s[84:85]
	v_mov_b32_e32 v6, 0
	v_mov_b32_e32 v7, 0
	s_and_saveexec_b64 s[84:85], s[26:27]
	s_cbranch_execz .LBB48_120
; %bb.119:                              ;   in Loop: Header=BB48_110 Depth=2
	global_load_ushort v7, v[0:1], off offset:512
.LBB48_120:                             ;   in Loop: Header=BB48_110 Depth=2
	;; [unrolled: 14-line block ×7, first 2 shown]
	s_or_b64 exec, exec, s[84:85]
	s_and_saveexec_b64 s[84:85], s[50:51]
	s_cbranch_execz .LBB48_142
; %bb.141:                              ;   in Loop: Header=BB48_110 Depth=2
	global_load_ushort v16, v[0:1], off offset:1920
.LBB48_142:                             ;   in Loop: Header=BB48_110 Depth=2
	s_or_b64 exec, exec, s[84:85]
	scratch_load_dword v0, off, off         ; 4-byte Folded Reload
	s_mov_b32 s95, s99
	s_waitcnt vmcnt(0)
	ds_write_b16 v0, v3
	scratch_load_dword v0, off, off offset:8 ; 4-byte Folded Reload
	v_mov_b32_e32 v3, 0
	s_waitcnt vmcnt(0)
	ds_write_b16 v0, v2 offset:128
	scratch_load_dword v0, off, off offset:12 ; 4-byte Folded Reload
	v_mov_b32_e32 v2, 0
	s_waitcnt vmcnt(0)
	ds_write_b16 v0, v5 offset:256
	scratch_load_dword v0, off, off offset:16 ; 4-byte Folded Reload
	s_waitcnt vmcnt(0)
	ds_write_b16 v0, v4 offset:384
	scratch_load_dword v0, off, off offset:20 ; 4-byte Folded Reload
	;; [unrolled: 3-line block ×13, first 2 shown]
	s_waitcnt vmcnt(0)
	ds_write_b16 v0, v16 offset:1920
	; wave barrier
	scratch_load_dword v0, off, off offset:4 ; 4-byte Folded Reload
	s_waitcnt vmcnt(0)
	ds_read_b128 v[12:15], v0
	ds_read_b128 v[8:11], v0 offset:16
	v_lshl_add_u64 v[0:1], s[94:95], 1, v[46:47]
	s_and_saveexec_b64 s[84:85], s[18:19]
	s_cbranch_execz .LBB48_144
; %bb.143:                              ;   in Loop: Header=BB48_110 Depth=2
	global_load_ushort v3, v[0:1], off
.LBB48_144:                             ;   in Loop: Header=BB48_110 Depth=2
	s_or_b64 exec, exec, s[84:85]
	s_and_saveexec_b64 s[84:85], s[20:21]
	s_cbranch_execz .LBB48_146
; %bb.145:                              ;   in Loop: Header=BB48_110 Depth=2
	global_load_ushort v2, v[0:1], off offset:128
.LBB48_146:                             ;   in Loop: Header=BB48_110 Depth=2
	s_or_b64 exec, exec, s[84:85]
	v_mov_b32_e32 v4, 0
	v_mov_b32_e32 v5, 0
	s_and_saveexec_b64 s[84:85], s[22:23]
	s_cbranch_execz .LBB48_148
; %bb.147:                              ;   in Loop: Header=BB48_110 Depth=2
	global_load_ushort v5, v[0:1], off offset:256
.LBB48_148:                             ;   in Loop: Header=BB48_110 Depth=2
	s_or_b64 exec, exec, s[84:85]
	s_and_saveexec_b64 s[84:85], s[24:25]
	s_cbranch_execz .LBB48_150
; %bb.149:                              ;   in Loop: Header=BB48_110 Depth=2
	global_load_ushort v4, v[0:1], off offset:384
.LBB48_150:                             ;   in Loop: Header=BB48_110 Depth=2
	s_or_b64 exec, exec, s[84:85]
	v_mov_b32_e32 v6, 0
	v_mov_b32_e32 v7, 0
	s_and_saveexec_b64 s[84:85], s[26:27]
	s_cbranch_execz .LBB48_152
; %bb.151:                              ;   in Loop: Header=BB48_110 Depth=2
	global_load_ushort v7, v[0:1], off offset:512
.LBB48_152:                             ;   in Loop: Header=BB48_110 Depth=2
	;; [unrolled: 14-line block ×7, first 2 shown]
	s_or_b64 exec, exec, s[84:85]
	s_and_saveexec_b64 s[84:85], s[50:51]
	s_cbranch_execz .LBB48_174
; %bb.173:                              ;   in Loop: Header=BB48_110 Depth=2
	global_load_ushort v54, v[0:1], off offset:1920
.LBB48_174:                             ;   in Loop: Header=BB48_110 Depth=2
	s_or_b64 exec, exec, s[84:85]
	scratch_load_dword v0, off, off         ; 4-byte Folded Reload
	s_andn2_b64 vcc, exec, s[86:87]
	s_waitcnt vmcnt(0)
	ds_write_b16 v0, v3 offset:2112
	scratch_load_dword v0, off, off offset:96 ; 4-byte Folded Reload
	s_waitcnt vmcnt(0)
	ds_write_b16 v0, v2 offset:128
	scratch_load_dword v0, off, off offset:100 ; 4-byte Folded Reload
	;; [unrolled: 3-line block ×15, first 2 shown]
	s_waitcnt vmcnt(0)
	ds_write_b16 v0, v54 offset:1920
	; wave barrier
	scratch_load_dword v0, off, off offset:4 ; 4-byte Folded Reload
	s_waitcnt vmcnt(0)
	ds_read_b128 v[4:7], v0 offset:2112
	scratch_load_dword v0, off, off offset:156 ; 4-byte Folded Reload
	s_waitcnt vmcnt(0)
	ds_read_b128 v[0:3], v0 offset:16
	s_cbranch_vccnz .LBB48_176
; %bb.175:                              ;   in Loop: Header=BB48_110 Depth=2
	v_mov_b32_e32 v16, s1
	ds_read_b64 v[48:49], v16
	s_cbranch_execz .LBB48_177
	s_branch .LBB48_180
.LBB48_176:                             ;   in Loop: Header=BB48_110 Depth=2
                                        ; implicit-def: $vgpr49
.LBB48_177:                             ;   in Loop: Header=BB48_110 Depth=2
	v_readlane_b32 s84, v95, 0
	v_readlane_b32 s85, v95, 1
	s_andn2_b64 vcc, exec, s[84:85]
	s_waitcnt lgkmcnt(0)
	v_mov_b32_e32 v49, 0
	s_cbranch_vccnz .LBB48_179
; %bb.178:                              ;   in Loop: Header=BB48_110 Depth=2
	s_mov_b32 s97, s99
	s_lshl_b64 s[84:85], s[96:97], 2
	v_readlane_b32 s4, v95, 20
	s_add_u32 s84, s4, s84
	v_readlane_b32 s4, v95, 21
	s_addc_u32 s85, s4, s85
	global_load_dword v49, v17, s[84:85]
	v_readlane_b32 s97, v95, 49
.LBB48_179:                             ;   in Loop: Header=BB48_110 Depth=2
	v_mov_b32_e32 v48, 1.0
.LBB48_180:                             ;   in Loop: Header=BB48_110 Depth=2
	v_mul_f32_e32 v56, 0x3fb8aa3b, v50
	s_waitcnt lgkmcnt(14)
	v_lshlrev_b32_e32 v52, 16, v8
	v_and_b32_e32 v53, 0xffff0000, v8
	v_mul_f32_e32 v8, v56, v23
	v_cmp_gt_f32_e32 vcc, s33, v8
	v_lshlrev_b32_e32 v58, 16, v10
	v_and_b32_e32 v59, 0xffff0000, v10
	v_cndmask_b32_e32 v8, 0, v20, vcc
	v_mul_f32_e32 v10, v56, v24
	v_lshlrev_b32_e32 v54, 16, v9
	v_and_b32_e32 v55, 0xffff0000, v9
	v_fmac_f32_e32 v8, v56, v23
	v_cndmask_b32_e32 v9, 1.0, v21, vcc
	v_cmp_gt_f32_e32 vcc, s33, v10
	v_exp_f32_e32 v8, v8
	v_lshlrev_b32_e32 v68, 16, v11
	v_cndmask_b32_e32 v10, 0, v20, vcc
	v_fmac_f32_e32 v10, v56, v24
	v_exp_f32_e32 v10, v10
	v_and_b32_e32 v57, 0xffff0000, v11
	v_mul_f32_e32 v9, v8, v9
	v_mul_f32_e32 v11, v56, v25
	v_lshlrev_b32_e32 v16, 16, v12
	v_and_b32_e32 v12, 0xffff0000, v12
	v_cndmask_b32_e64 v84, 1.0, v9, s[52:53]
	v_cndmask_b32_e32 v9, 1.0, v21, vcc
	v_cmp_gt_f32_e32 vcc, s33, v11
	v_mul_f32_e32 v10, v10, v9
	v_mul_f32_e32 v9, v82, v12
	v_cndmask_b32_e32 v11, 0, v20, vcc
	v_mul_f32_e32 v12, v56, v18
	v_fmac_f32_e32 v11, v56, v25
	v_cndmask_b32_e64 v85, 1.0, v10, s[54:55]
	v_cndmask_b32_e32 v10, 1.0, v21, vcc
	v_cmp_gt_f32_e32 vcc, s33, v12
	v_exp_f32_e32 v11, v11
	v_lshlrev_b32_e32 v22, 16, v13
	v_cndmask_b32_e32 v12, 0, v20, vcc
	v_fmac_f32_e32 v12, v56, v18
	v_exp_f32_e32 v12, v12
	v_mul_f32_e32 v11, v11, v10
	v_and_b32_e32 v13, 0xffff0000, v13
	v_cndmask_b32_e64 v86, 1.0, v11, s[56:57]
	v_cndmask_b32_e32 v11, 1.0, v21, vcc
	v_mul_f32_e32 v12, v12, v11
	v_mul_f32_e32 v11, v80, v13
	;; [unrolled: 1-line block ×3, first 2 shown]
	v_cmp_gt_f32_e32 vcc, s33, v13
	v_mul_f32_e32 v8, v83, v16
	v_mul_f32_e32 v16, v56, v92
	v_cndmask_b32_e32 v13, 0, v20, vcc
	v_fmac_f32_e32 v13, v56, v74
	v_cndmask_b32_e64 v87, 1.0, v12, s[58:59]
	v_cndmask_b32_e32 v12, 1.0, v21, vcc
	v_cmp_gt_f32_e32 vcc, s33, v16
	v_exp_f32_e32 v13, v13
	v_lshlrev_b32_e32 v26, 16, v14
	v_cndmask_b32_e32 v16, 0, v20, vcc
	v_fmac_f32_e32 v16, v56, v92
	v_exp_f32_e32 v16, v16
	v_mul_f32_e32 v13, v13, v12
	v_and_b32_e32 v14, 0xffff0000, v14
	v_cndmask_b32_e64 v88, 1.0, v13, s[60:61]
	v_cndmask_b32_e32 v13, 1.0, v21, vcc
	v_mul_f32_e32 v16, v16, v13
	v_mul_f32_e32 v13, v78, v14
	;; [unrolled: 1-line block ×3, first 2 shown]
	v_cmp_gt_f32_e32 vcc, s33, v14
	v_mul_f32_e32 v10, v81, v22
	v_mul_f32_e32 v22, v56, v94
	v_cndmask_b32_e32 v14, 0, v20, vcc
	v_fmac_f32_e32 v14, v56, v93
	v_cndmask_b32_e64 v89, 1.0, v16, s[62:63]
	v_cndmask_b32_e32 v16, 1.0, v21, vcc
	v_cmp_gt_f32_e32 vcc, s33, v22
	v_exp_f32_e32 v14, v14
	v_mul_f32_e32 v12, v79, v26
	v_cndmask_b32_e32 v22, 0, v20, vcc
	v_fmac_f32_e32 v22, v56, v94
	v_exp_f32_e32 v22, v22
	v_mul_f32_e32 v16, v14, v16
	v_cndmask_b32_e64 v90, 1.0, v16, s[64:65]
	v_cndmask_b32_e32 v16, 1.0, v21, vcc
	v_mul_f32_e32 v16, v22, v16
	v_mul_f32_e32 v22, v56, v60
	v_cmp_gt_f32_e32 vcc, s33, v22
	v_mul_f32_e32 v50, v56, v61
	v_lshlrev_b32_e32 v51, 16, v15
	v_cndmask_b32_e32 v22, 0, v20, vcc
	v_fmac_f32_e32 v22, v56, v60
	v_exp_f32_e32 v26, v22
	v_cndmask_b32_e64 v22, 1.0, v16, s[66:67]
	v_cndmask_b32_e32 v16, 1.0, v21, vcc
	v_cmp_gt_f32_e32 vcc, s33, v50
	v_mul_f32_e32 v16, v26, v16
	v_mul_f32_e32 v26, v19, v52
	v_cndmask_b32_e64 v52, 0, v26, s[68:69]
	scratch_load_dword v26, off, off offset:92 ; 4-byte Folded Reload
	v_cndmask_b32_e32 v50, 0, v20, vcc
	v_fmac_f32_e32 v50, v56, v61
	v_exp_f32_e32 v50, v50
	v_cndmask_b32_e64 v73, 1.0, v16, s[68:69]
	v_cndmask_b32_e32 v16, 1.0, v21, vcc
	v_mul_f32_e32 v14, v77, v51
	v_mul_f32_e32 v16, v50, v16
	v_mul_f32_e32 v50, v56, v62
	v_cmp_gt_f32_e32 vcc, s33, v50
	v_cndmask_b32_e64 v75, 1.0, v16, s[70:71]
	v_mul_f32_e32 v51, v56, v64
	v_cndmask_b32_e32 v50, 0, v20, vcc
	v_fmac_f32_e32 v50, v56, v62
	v_exp_f32_e32 v50, v50
	v_cndmask_b32_e32 v16, 1.0, v21, vcc
	v_cndmask_b32_e64 v8, 0, v8, s[52:53]
	v_cndmask_b32_e64 v9, 0, v9, s[54:55]
	v_mul_f32_e32 v16, v50, v16
	v_mul_f32_e32 v50, v56, v63
	v_cmp_gt_f32_e32 vcc, s33, v50
	v_cndmask_b32_e64 v10, 0, v10, s[56:57]
	v_cndmask_b32_e64 v11, 0, v11, s[58:59]
	v_cndmask_b32_e32 v50, 0, v20, vcc
	v_fmac_f32_e32 v50, v56, v63
	v_exp_f32_e32 v50, v50
	v_cndmask_b32_e64 v12, 0, v12, s[60:61]
	v_and_b32_e32 v15, 0xffff0000, v15
	v_cndmask_b32_e64 v13, 0, v13, s[62:63]
	v_cndmask_b32_e64 v14, 0, v14, s[64:65]
	v_mul_f32_e32 v15, v76, v15
	v_cndmask_b32_e64 v15, 0, v15, s[66:67]
	v_readlane_b32 s4, v95, 30
	v_readlane_b32 s5, v95, 31
	s_waitcnt vmcnt(0)
	v_mul_f32_e32 v26, v26, v53
	v_cndmask_b32_e64 v53, 0, v26, s[70:71]
	scratch_load_dword v26, off, off offset:88 ; 4-byte Folded Reload
	s_waitcnt vmcnt(0)
	v_mul_f32_e32 v26, v26, v54
	v_cndmask_b32_e64 v54, 0, v26, s[72:73]
	v_cndmask_b32_e64 v26, 1.0, v16, s[72:73]
	v_cndmask_b32_e32 v16, 1.0, v21, vcc
	v_mul_f32_e32 v16, v50, v16
	scratch_load_dword v50, off, off offset:84 ; 4-byte Folded Reload
	v_cmp_gt_f32_e32 vcc, s33, v51
	v_cndmask_b32_e64 v91, 1.0, v16, s[74:75]
	s_waitcnt vmcnt(0)
	v_mul_f32_e32 v50, v50, v55
	v_cndmask_b32_e32 v51, 0, v20, vcc
	v_fmac_f32_e32 v51, v56, v64
	v_exp_f32_e32 v51, v51
	v_cndmask_b32_e32 v16, 1.0, v21, vcc
	v_cndmask_b32_e64 v55, 0, v50, s[74:75]
	scratch_load_dword v50, off, off offset:80 ; 4-byte Folded Reload
	v_mul_f32_e32 v16, v51, v16
	v_mul_f32_e32 v51, v56, v65
	v_cmp_gt_f32_e32 vcc, s33, v51
	v_cndmask_b32_e64 v67, 1.0, v16, s[76:77]
	s_nop 0
	v_cndmask_b32_e32 v51, 0, v20, vcc
	v_fmac_f32_e32 v51, v56, v65
	v_exp_f32_e32 v51, v51
	v_cndmask_b32_e32 v16, 1.0, v21, vcc
	v_mul_f32_e32 v16, v51, v16
	scratch_load_dword v51, off, off offset:76 ; 4-byte Folded Reload
	v_cndmask_b32_e64 v16, 1.0, v16, s[78:79]
	s_waitcnt vmcnt(1)
	v_mul_f32_e32 v50, v50, v58
	v_mul_f32_e32 v58, v56, v66
	v_cmp_gt_f32_e32 vcc, s33, v58
	v_cndmask_b32_e64 v50, 0, v50, s[76:77]
	s_waitcnt vmcnt(0)
	v_mul_f32_e32 v51, v51, v59
	v_cndmask_b32_e32 v58, 0, v20, vcc
	v_fmac_f32_e32 v58, v56, v66
	v_exp_f32_e32 v58, v58
	v_cndmask_b32_e32 v59, 1.0, v21, vcc
	v_cndmask_b32_e64 v51, 0, v51, s[78:79]
	v_mul_f32_e32 v58, v58, v59
	scratch_load_dword v59, off, off offset:72 ; 4-byte Folded Reload
	s_waitcnt vmcnt(0)
	v_mul_f32_e32 v59, v59, v68
	v_mul_f32_e32 v68, v56, v27
	v_cmp_gt_f32_e32 vcc, s33, v68
	s_nop 1
	v_cndmask_b32_e32 v68, 0, v20, vcc
	v_fmac_f32_e32 v68, v56, v27
	v_cndmask_b32_e64 v56, 0, v59, s[80:81]
	scratch_load_dword v59, off, off offset:68 ; 4-byte Folded Reload
	v_exp_f32_e32 v69, v68
	v_cndmask_b32_e64 v68, 1.0, v58, s[80:81]
	v_cndmask_b32_e32 v58, 1.0, v21, vcc
	v_mul_f32_e32 v58, v69, v58
	v_cndmask_b32_e64 v69, 1.0, v58, s[82:83]
	v_mul_f32_e32 v58, v85, v84
	v_mul_f32_e32 v58, v58, v86
	;; [unrolled: 1-line block ×15, first 2 shown]
	s_waitcnt vmcnt(0)
	v_mul_f32_e32 v57, v59, v57
	v_fma_f32 v59, v85, v8, v9
	v_fma_f32 v59, v59, v86, v10
	;; [unrolled: 1-line block ×13, first 2 shown]
	v_cndmask_b32_e64 v57, 0, v57, s[82:83]
	v_fma_f32 v59, v59, v68, v56
	v_fma_f32 v72, v59, v69, v57
	v_mov_b32_dpp v71, v58 row_shr:1 row_mask:0xf bank_mask:0xf
	s_nop 0
	v_mov_b32_dpp v70, v72 row_shr:1 row_mask:0xf bank_mask:0xf
	s_and_saveexec_b64 s[84:85], s[4:5]
; %bb.181:                              ;   in Loop: Header=BB48_110 Depth=2
	v_mul_f32_e32 v71, v58, v71
	v_fmac_f32_e32 v72, v58, v70
	v_mov_b32_e32 v58, v71
; %bb.182:                              ;   in Loop: Header=BB48_110 Depth=2
	s_or_b64 exec, exec, s[84:85]
	v_readlane_b32 s4, v95, 32
	v_mov_b32_dpp v70, v58 row_shr:2 row_mask:0xf bank_mask:0xf
	v_mov_b32_dpp v71, v72 row_shr:2 row_mask:0xf bank_mask:0xf
	v_readlane_b32 s5, v95, 33
	s_and_saveexec_b64 s[84:85], s[4:5]
; %bb.183:                              ;   in Loop: Header=BB48_110 Depth=2
	v_fmac_f32_e32 v72, v58, v71
	v_mul_f32_e32 v58, v58, v70
; %bb.184:                              ;   in Loop: Header=BB48_110 Depth=2
	s_or_b64 exec, exec, s[84:85]
	s_nop 0
	v_mov_b32_dpp v70, v58 row_shr:4 row_mask:0xf bank_mask:0xf
	v_mov_b32_dpp v71, v72 row_shr:4 row_mask:0xf bank_mask:0xf
	s_and_saveexec_b64 s[84:85], s[2:3]
; %bb.185:                              ;   in Loop: Header=BB48_110 Depth=2
	v_fmac_f32_e32 v72, v58, v71
	v_mul_f32_e32 v58, v58, v70
; %bb.186:                              ;   in Loop: Header=BB48_110 Depth=2
	s_or_b64 exec, exec, s[84:85]
	v_readlane_b32 s4, v95, 34
	v_mov_b32_dpp v70, v58 row_shr:8 row_mask:0xf bank_mask:0xf
	v_mov_b32_dpp v71, v72 row_shr:8 row_mask:0xf bank_mask:0xf
	v_readlane_b32 s5, v95, 35
	s_and_saveexec_b64 s[84:85], s[4:5]
; %bb.187:                              ;   in Loop: Header=BB48_110 Depth=2
	v_fmac_f32_e32 v72, v58, v71
	v_mul_f32_e32 v58, v58, v70
; %bb.188:                              ;   in Loop: Header=BB48_110 Depth=2
	s_or_b64 exec, exec, s[84:85]
	v_readlane_b32 s4, v95, 36
	v_mov_b32_dpp v70, v58 row_bcast:15 row_mask:0xf bank_mask:0xf
	v_mov_b32_dpp v71, v72 row_bcast:15 row_mask:0xf bank_mask:0xf
	v_readlane_b32 s5, v95, 37
	s_and_saveexec_b64 s[84:85], s[4:5]
; %bb.189:                              ;   in Loop: Header=BB48_110 Depth=2
	v_fmac_f32_e32 v72, v58, v71
	v_mul_f32_e32 v58, v58, v70
; %bb.190:                              ;   in Loop: Header=BB48_110 Depth=2
	s_or_b64 exec, exec, s[84:85]
	s_nop 0
	v_mov_b32_dpp v70, v58 row_bcast:31 row_mask:0xf bank_mask:0xf
	v_mov_b32_dpp v71, v72 row_bcast:31 row_mask:0xf bank_mask:0xf
	v_mov_b32_e32 v59, v72
	v_mul_f32_e32 v70, v58, v70
	v_fmac_f32_e32 v59, v58, v71
	v_readlane_b32 s4, v95, 46
	v_cndmask_b32_e64 v58, v58, v70, s[12:13]
	v_cndmask_b32_e64 v59, v72, v59, s[12:13]
	v_readlane_b32 s5, v95, 47
	s_and_saveexec_b64 s[84:85], s[4:5]
	s_cbranch_execz .LBB48_192
; %bb.191:                              ;   in Loop: Header=BB48_110 Depth=2
	ds_write_b64 v17, v[58:59] offset:4224
.LBB48_192:                             ;   in Loop: Header=BB48_110 Depth=2
	s_or_b64 exec, exec, s[84:85]
	scratch_load_dword v71, off, off offset:160 ; 4-byte Folded Reload
	s_waitcnt lgkmcnt(0)
	; wave barrier
	s_waitcnt vmcnt(0) lgkmcnt(0)
	ds_bpermute_b32 v70, v71, v58
	ds_bpermute_b32 v71, v71, v59
	v_mov_b32_e32 v59, v49
	s_and_saveexec_b64 s[84:85], s[14:15]
	s_cbranch_execz .LBB48_196
; %bb.193:                              ;   in Loop: Header=BB48_110 Depth=2
	ds_read_b64 v[58:59], v17 offset:4224
	s_and_saveexec_b64 s[88:89], s[16:17]
	s_cbranch_execz .LBB48_195
; %bb.194:                              ;   in Loop: Header=BB48_110 Depth=2
	ds_write_b64 v17, v[48:49] offset:4224
.LBB48_195:                             ;   in Loop: Header=BB48_110 Depth=2
	s_or_b64 exec, exec, s[88:89]
	s_waitcnt lgkmcnt(0)
	v_fmac_f32_e32 v59, v49, v58
	v_mul_f32_e32 v48, v48, v58
	v_mov_b32_e32 v49, v59
.LBB48_196:                             ;   in Loop: Header=BB48_110 Depth=2
	s_or_b64 exec, exec, s[84:85]
	s_waitcnt lgkmcnt(0)
	; wave barrier
	s_waitcnt lgkmcnt(0)
	ds_read_b32 v58, v17 offset:4228
	s_and_saveexec_b64 s[84:85], s[16:17]
	s_cbranch_execz .LBB48_109
; %bb.197:                              ;   in Loop: Header=BB48_110 Depth=2
	v_mov_b32_e32 v72, s1
	s_andn2_b64 vcc, exec, s[90:91]
	ds_write_b64 v72, v[48:49]
	s_cbranch_vccnz .LBB48_109
; %bb.198:                              ;   in Loop: Header=BB48_110 Depth=2
	s_mov_b32 s97, s99
	s_lshl_b64 s[88:89], s[96:97], 2
	v_readlane_b32 s4, v95, 20
	s_add_u32 s88, s4, s88
	v_readlane_b32 s4, v95, 21
	v_readlane_b32 s97, v95, 49
	s_addc_u32 s89, s4, s89
	global_store_dword v17, v59, s[88:89]
	s_branch .LBB48_109
.LBB48_199:                             ;   in Loop: Header=BB48_13 Depth=1
	v_readlane_b32 s6, v95, 50
	v_readlane_b32 s7, v95, 51
	s_mov_b32 s4, 0x41a00000
	s_mov_b32 s5, 0x3fb8aa3b
	;; [unrolled: 1-line block ×8, first 2 shown]
.LBB48_200:                             ;   in Loop: Header=BB48_13 Depth=1
	s_waitcnt lgkmcnt(0)
	; wave barrier
	scratch_load_dword v9, off, off offset:4 ; 4-byte Folded Reload
	v_bfe_u32 v0, v42, 16, 1
	s_movk_i32 s0, 0x7fff
	v_bfe_u32 v1, v43, 16, 1
	v_add3_u32 v0, v42, v0, s0
	v_bfe_u32 v2, v40, 16, 1
	v_add3_u32 v1, v43, v1, s0
	v_lshrrev_b32_e32 v0, 16, v0
	v_cmp_o_f32_e32 vcc, v42, v42
	v_mov_b32_e32 v10, 0x7fc0
	v_bfe_u32 v3, v41, 16, 1
	v_add3_u32 v2, v40, v2, s0
	v_lshrrev_b32_e32 v1, 16, v1
	v_cndmask_b32_e32 v0, v10, v0, vcc
	v_cmp_o_f32_e32 vcc, v43, v43
	v_add3_u32 v3, v41, v3, s0
	v_lshrrev_b32_e32 v2, 16, v2
	v_cndmask_b32_e32 v4, v10, v1, vcc
	v_cmp_o_f32_e32 vcc, v40, v40
	v_lshrrev_b32_e32 v3, 16, v3
	v_bfe_u32 v6, v36, 16, 1
	v_cndmask_b32_e32 v1, v10, v2, vcc
	v_cmp_o_f32_e32 vcc, v41, v41
	v_bfe_u32 v2, v38, 16, 1
	v_add3_u32 v2, v38, v2, s0
	v_cndmask_b32_e32 v5, v10, v3, vcc
	v_bfe_u32 v3, v39, 16, 1
	v_add3_u32 v3, v39, v3, s0
	v_lshrrev_b32_e32 v2, 16, v2
	v_cmp_o_f32_e32 vcc, v38, v38
	v_bfe_u32 v7, v37, 16, 1
	v_add3_u32 v6, v36, v6, s0
	v_lshrrev_b32_e32 v3, 16, v3
	v_cndmask_b32_e32 v2, v10, v2, vcc
	v_cmp_o_f32_e32 vcc, v39, v39
	v_add3_u32 v7, v37, v7, s0
	v_lshrrev_b32_e32 v6, 16, v6
	v_cndmask_b32_e32 v8, v10, v3, vcc
	v_cmp_o_f32_e32 vcc, v36, v36
	v_lshrrev_b32_e32 v7, 16, v7
	s_mov_b32 s1, 0x5040100
	v_cndmask_b32_e32 v3, v10, v6, vcc
	v_cmp_o_f32_e32 vcc, v37, v37
	v_perm_b32 v2, v8, v2, s1
	v_perm_b32 v1, v5, v1, s1
	v_cndmask_b32_e32 v6, v10, v7, vcc
	v_perm_b32 v3, v6, v3, s1
	v_perm_b32 v0, v4, v0, s1
	v_cmp_o_f32_e32 vcc, v34, v34
	v_bfe_u32 v6, v28, 16, 1
	v_bfe_u32 v7, v29, 16, 1
	v_add3_u32 v6, v28, v6, s0
	v_add3_u32 v7, v29, v7, s0
	v_lshrrev_b32_e32 v6, 16, v6
	v_lshrrev_b32_e32 v7, 16, v7
	v_readlane_b32 s52, v95, 53
	v_readlane_b32 s53, v95, 54
	s_mov_b32 s53, s99
	s_mov_b64 s[58:59], s[52:53]
	s_waitcnt vmcnt(0)
	ds_write_b128 v9, v[0:3]
	v_bfe_u32 v0, v34, 16, 1
	v_bfe_u32 v1, v35, 16, 1
	v_add3_u32 v0, v34, v0, s0
	v_bfe_u32 v2, v32, 16, 1
	v_add3_u32 v1, v35, v1, s0
	v_lshrrev_b32_e32 v0, 16, v0
	v_bfe_u32 v3, v33, 16, 1
	v_add3_u32 v2, v32, v2, s0
	v_lshrrev_b32_e32 v1, 16, v1
	v_cndmask_b32_e32 v0, v10, v0, vcc
	v_cmp_o_f32_e32 vcc, v35, v35
	v_add3_u32 v3, v33, v3, s0
	v_lshrrev_b32_e32 v2, 16, v2
	v_cndmask_b32_e32 v4, v10, v1, vcc
	v_cmp_o_f32_e32 vcc, v32, v32
	v_lshrrev_b32_e32 v3, 16, v3
	v_perm_b32 v0, v4, v0, s1
	v_cndmask_b32_e32 v1, v10, v2, vcc
	v_cmp_o_f32_e32 vcc, v33, v33
	v_bfe_u32 v2, v30, 16, 1
	v_add3_u32 v2, v30, v2, s0
	v_cndmask_b32_e32 v5, v10, v3, vcc
	v_bfe_u32 v3, v31, 16, 1
	v_add3_u32 v3, v31, v3, s0
	v_lshrrev_b32_e32 v2, 16, v2
	v_cmp_o_f32_e32 vcc, v30, v30
	v_lshrrev_b32_e32 v3, 16, v3
	v_perm_b32 v1, v5, v1, s1
	v_cndmask_b32_e32 v2, v10, v2, vcc
	v_cmp_o_f32_e32 vcc, v31, v31
	s_nop 1
	v_cndmask_b32_e32 v8, v10, v3, vcc
	v_cmp_o_f32_e32 vcc, v28, v28
	v_perm_b32 v2, v8, v2, s1
	s_nop 0
	v_cndmask_b32_e32 v3, v10, v6, vcc
	v_cmp_o_f32_e32 vcc, v29, v29
	s_nop 1
	v_cndmask_b32_e32 v6, v10, v7, vcc
	v_perm_b32 v3, v6, v3, s1
	ds_write_b128 v9, v[0:3] offset:16
	; wave barrier
	scratch_load_dword v0, off, off offset:8 ; 4-byte Folded Reload
	s_waitcnt vmcnt(0)
	ds_read_u16 v16, v0 offset:128
	scratch_load_dword v0, off, off offset:12 ; 4-byte Folded Reload
	s_waitcnt vmcnt(0)
	ds_read_u16 v15, v0 offset:256
	;; [unrolled: 3-line block ×15, first 2 shown]
	scratch_load_dwordx2 v[0:1], off, off offset:240 ; 8-byte Folded Reload
	s_waitcnt vmcnt(0)
	v_lshl_add_u64 v[0:1], s[52:53], 1, v[0:1]
	s_and_saveexec_b64 s[52:53], s[18:19]
	s_cbranch_execnz .LBB48_269
; %bb.201:                              ;   in Loop: Header=BB48_13 Depth=1
	s_or_b64 exec, exec, s[52:53]
	s_and_saveexec_b64 s[52:53], s[20:21]
	s_cbranch_execnz .LBB48_270
.LBB48_202:                             ;   in Loop: Header=BB48_13 Depth=1
	s_or_b64 exec, exec, s[52:53]
	s_and_saveexec_b64 s[52:53], s[22:23]
	s_cbranch_execnz .LBB48_271
.LBB48_203:                             ;   in Loop: Header=BB48_13 Depth=1
	s_or_b64 exec, exec, s[52:53]
	s_and_saveexec_b64 s[52:53], s[24:25]
	s_cbranch_execnz .LBB48_272
.LBB48_204:                             ;   in Loop: Header=BB48_13 Depth=1
	s_or_b64 exec, exec, s[52:53]
	s_and_saveexec_b64 s[52:53], s[26:27]
	s_cbranch_execnz .LBB48_273
.LBB48_205:                             ;   in Loop: Header=BB48_13 Depth=1
	s_or_b64 exec, exec, s[52:53]
	s_and_saveexec_b64 s[52:53], s[28:29]
	s_cbranch_execnz .LBB48_274
.LBB48_206:                             ;   in Loop: Header=BB48_13 Depth=1
	s_or_b64 exec, exec, s[52:53]
	s_and_saveexec_b64 s[52:53], s[30:31]
	s_cbranch_execnz .LBB48_275
.LBB48_207:                             ;   in Loop: Header=BB48_13 Depth=1
	s_or_b64 exec, exec, s[52:53]
	s_and_saveexec_b64 s[52:53], s[34:35]
	s_cbranch_execnz .LBB48_276
.LBB48_208:                             ;   in Loop: Header=BB48_13 Depth=1
	s_or_b64 exec, exec, s[52:53]
	s_and_saveexec_b64 s[52:53], s[36:37]
	s_cbranch_execnz .LBB48_277
.LBB48_209:                             ;   in Loop: Header=BB48_13 Depth=1
	s_or_b64 exec, exec, s[52:53]
	s_and_saveexec_b64 s[52:53], s[38:39]
	s_cbranch_execnz .LBB48_278
.LBB48_210:                             ;   in Loop: Header=BB48_13 Depth=1
	s_or_b64 exec, exec, s[52:53]
	s_and_saveexec_b64 s[52:53], s[40:41]
	s_cbranch_execnz .LBB48_279
.LBB48_211:                             ;   in Loop: Header=BB48_13 Depth=1
	s_or_b64 exec, exec, s[52:53]
	s_and_saveexec_b64 s[52:53], s[42:43]
	s_cbranch_execnz .LBB48_280
.LBB48_212:                             ;   in Loop: Header=BB48_13 Depth=1
	s_or_b64 exec, exec, s[52:53]
	s_and_saveexec_b64 s[52:53], s[44:45]
	s_cbranch_execnz .LBB48_281
.LBB48_213:                             ;   in Loop: Header=BB48_13 Depth=1
	s_or_b64 exec, exec, s[52:53]
	s_and_saveexec_b64 s[52:53], s[46:47]
	s_cbranch_execnz .LBB48_282
.LBB48_214:                             ;   in Loop: Header=BB48_13 Depth=1
	s_or_b64 exec, exec, s[52:53]
	s_and_saveexec_b64 s[52:53], s[48:49]
	s_cbranch_execnz .LBB48_283
.LBB48_215:                             ;   in Loop: Header=BB48_13 Depth=1
	s_or_b64 exec, exec, s[52:53]
	s_and_saveexec_b64 s[52:53], s[50:51]
	s_cbranch_execz .LBB48_217
.LBB48_216:                             ;   in Loop: Header=BB48_13 Depth=1
	s_waitcnt lgkmcnt(0)
	global_store_short v[0:1], v2, off offset:1920
.LBB48_217:                             ;   in Loop: Header=BB48_13 Depth=1
	s_or_b64 exec, exec, s[52:53]
	s_waitcnt lgkmcnt(0)
	; wave barrier
	s_waitcnt lgkmcnt(0)
	scratch_load_dwordx2 v[0:1], off, off offset:248 ; 8-byte Folded Reload
	v_mov_b32_e32 v2, 0
	v_mov_b32_e32 v3, 0
	s_waitcnt vmcnt(0)
	v_lshl_add_u64 v[0:1], s[58:59], 1, v[0:1]
	s_and_saveexec_b64 s[52:53], s[18:19]
	s_cbranch_execz .LBB48_219
; %bb.218:                              ;   in Loop: Header=BB48_13 Depth=1
	global_load_ushort v3, v[0:1], off
.LBB48_219:                             ;   in Loop: Header=BB48_13 Depth=1
	s_or_b64 exec, exec, s[52:53]
	s_and_saveexec_b64 s[52:53], s[20:21]
	s_cbranch_execz .LBB48_221
; %bb.220:                              ;   in Loop: Header=BB48_13 Depth=1
	global_load_ushort v2, v[0:1], off offset:128
.LBB48_221:                             ;   in Loop: Header=BB48_13 Depth=1
	s_or_b64 exec, exec, s[52:53]
	v_mov_b32_e32 v4, 0
	v_mov_b32_e32 v5, 0
	s_and_saveexec_b64 s[52:53], s[22:23]
	s_cbranch_execz .LBB48_223
; %bb.222:                              ;   in Loop: Header=BB48_13 Depth=1
	global_load_ushort v5, v[0:1], off offset:256
.LBB48_223:                             ;   in Loop: Header=BB48_13 Depth=1
	s_or_b64 exec, exec, s[52:53]
	s_and_saveexec_b64 s[52:53], s[24:25]
	s_cbranch_execz .LBB48_225
; %bb.224:                              ;   in Loop: Header=BB48_13 Depth=1
	global_load_ushort v4, v[0:1], off offset:384
.LBB48_225:                             ;   in Loop: Header=BB48_13 Depth=1
	s_or_b64 exec, exec, s[52:53]
	v_mov_b32_e32 v6, 0
	v_mov_b32_e32 v7, 0
	s_and_saveexec_b64 s[52:53], s[26:27]
	s_cbranch_execz .LBB48_227
; %bb.226:                              ;   in Loop: Header=BB48_13 Depth=1
	global_load_ushort v7, v[0:1], off offset:512
.LBB48_227:                             ;   in Loop: Header=BB48_13 Depth=1
	;; [unrolled: 14-line block ×7, first 2 shown]
	s_or_b64 exec, exec, s[52:53]
	s_and_saveexec_b64 s[52:53], s[50:51]
	s_cbranch_execz .LBB48_249
; %bb.248:                              ;   in Loop: Header=BB48_13 Depth=1
	global_load_ushort v16, v[0:1], off offset:1920
.LBB48_249:                             ;   in Loop: Header=BB48_13 Depth=1
	s_or_b64 exec, exec, s[52:53]
	scratch_load_dword v0, off, off         ; 4-byte Folded Reload
	scratch_load_dword v44, off, off offset:8 ; 4-byte Folded Reload
	scratch_load_dword v45, off, off offset:12 ; 4-byte Folded Reload
	;; [unrolled: 1-line block ×15, first 2 shown]
	s_mov_b32 s53, 0xbfb8aa3b
	s_mov_b32 s54, 0x42ce8ed0
	;; [unrolled: 1-line block ×3, first 2 shown]
	v_mov_b32_e32 v26, 0x7f800000
	s_movk_i32 s52, 0x7fff
	s_waitcnt vmcnt(15)
	ds_write_b16 v0, v3
	s_waitcnt vmcnt(14)
	ds_write_b16 v44, v2 offset:128
	s_waitcnt vmcnt(13)
	ds_write_b16 v45, v5 offset:256
	;; [unrolled: 2-line block ×15, first 2 shown]
	; wave barrier
	scratch_load_dword v59, off, off offset:4 ; 4-byte Folded Reload
	s_waitcnt vmcnt(0)
	ds_read_b128 v[4:7], v59
	ds_read_b128 v[0:3], v59 offset:16
	s_waitcnt lgkmcnt(0)
	; wave barrier
	s_waitcnt lgkmcnt(0)
	v_and_b32_e32 v13, 0xffff0000, v5
	v_and_b32_e32 v11, 0xffff0000, v4
	v_lshlrev_b32_e32 v10, 16, v4
	v_mul_f32_e32 v4, 0xbfb8aa3b, v13
	v_lshlrev_b32_e32 v12, 16, v5
	v_fma_f32 v5, v13, s53, -v4
	v_rndne_f32_e32 v8, v4
	v_fmac_f32_e32 v5, 0xb2a5705f, v13
	v_sub_f32_e32 v4, v4, v8
	v_add_f32_e32 v4, v4, v5
	v_exp_f32_e32 v4, v4
	v_cvt_i32_f32_e32 v5, v8
	v_cmp_nlt_f32_e32 vcc, s54, v13
	v_ldexp_f32 v4, v4, v5
	s_nop 0
	v_cndmask_b32_e32 v4, 0, v4, vcc
	v_cmp_ngt_f32_e32 vcc, s55, v13
	s_nop 1
	v_cndmask_b32_e32 v9, v26, v4, vcc
	v_mul_f32_e32 v4, 0xbfb8aa3b, v11
	v_fma_f32 v5, v11, s53, -v4
	v_rndne_f32_e32 v8, v4
	v_fmac_f32_e32 v5, 0xb2a5705f, v11
	v_sub_f32_e32 v4, v4, v8
	v_add_f32_e32 v4, v4, v5
	v_exp_f32_e32 v4, v4
	v_cvt_i32_f32_e32 v5, v8
	v_cmp_nlt_f32_e32 vcc, s54, v11
	v_ldexp_f32 v4, v4, v5
	s_nop 0
	v_cndmask_b32_e32 v4, 0, v4, vcc
	v_cmp_ngt_f32_e32 vcc, s55, v11
	s_nop 1
	v_cndmask_b32_e32 v5, v26, v4, vcc
	v_mul_f32_e32 v4, 0xbfb8aa3b, v12
	v_rndne_f32_e32 v8, v4
	v_sub_f32_e32 v14, v4, v8
	v_fma_f32 v4, v12, s53, -v4
	v_fmac_f32_e32 v4, 0xb2a5705f, v12
	v_add_f32_e32 v4, v14, v4
	v_exp_f32_e32 v4, v4
	v_cvt_i32_f32_e32 v8, v8
	v_cmp_nlt_f32_e32 vcc, s54, v12
	v_ldexp_f32 v4, v4, v8
	s_nop 0
	v_cndmask_b32_e32 v4, 0, v4, vcc
	v_cmp_ngt_f32_e32 vcc, s55, v12
	s_nop 1
	v_cndmask_b32_e32 v8, v26, v4, vcc
	v_mul_f32_e32 v4, 0xbfb8aa3b, v10
	v_rndne_f32_e32 v14, v4
	v_sub_f32_e32 v15, v4, v14
	v_fma_f32 v4, v10, s53, -v4
	v_fmac_f32_e32 v4, 0xb2a5705f, v10
	v_add_f32_e32 v4, v15, v4
	v_exp_f32_e32 v4, v4
	v_cvt_i32_f32_e32 v14, v14
	v_pk_add_f32 v[8:9], v[8:9], 1.0 op_sel_hi:[1,0]
	v_cmp_nlt_f32_e32 vcc, s54, v10
	v_ldexp_f32 v4, v4, v14
	v_div_scale_f32 v14, s[0:1], v9, v9, v13
	v_rcp_f32_e32 v15, v14
	v_cndmask_b32_e32 v4, 0, v4, vcc
	v_cmp_ngt_f32_e32 vcc, s55, v10
	v_fma_f32 v16, -v14, v15, 1.0
	s_nop 0
	v_cndmask_b32_e32 v4, v26, v4, vcc
	v_fmac_f32_e32 v15, v16, v15
	v_div_scale_f32 v16, vcc, v13, v9, v13
	v_mul_f32_e32 v18, v16, v15
	v_fma_f32 v19, -v14, v18, v16
	v_fmac_f32_e32 v18, v19, v15
	v_fma_f32 v14, -v14, v18, v16
	v_div_fmas_f32 v14, v14, v15, v18
	v_div_fixup_f32 v9, v14, v9, v13
	v_div_scale_f32 v13, s[0:1], v8, v8, v12
	v_rcp_f32_e32 v14, v13
	v_pk_add_f32 v[4:5], v[4:5], 1.0 op_sel_hi:[1,0]
	v_fma_f32 v15, -v13, v14, 1.0
	v_fmac_f32_e32 v14, v15, v14
	v_div_scale_f32 v15, vcc, v12, v8, v12
	v_mul_f32_e32 v16, v15, v14
	v_fma_f32 v18, -v13, v16, v15
	v_fmac_f32_e32 v16, v18, v14
	v_fma_f32 v13, -v13, v16, v15
	v_div_fmas_f32 v13, v13, v14, v16
	v_div_fixup_f32 v8, v13, v8, v12
	v_div_scale_f32 v12, s[0:1], v5, v5, v11
	v_rcp_f32_e32 v13, v12
	s_nop 0
	v_fma_f32 v14, -v12, v13, 1.0
	v_fmac_f32_e32 v13, v14, v13
	v_div_scale_f32 v14, vcc, v11, v5, v11
	v_mul_f32_e32 v15, v14, v13
	v_fma_f32 v16, -v12, v15, v14
	v_fmac_f32_e32 v15, v16, v13
	v_fma_f32 v12, -v12, v15, v14
	v_div_fmas_f32 v12, v12, v13, v15
	v_div_fixup_f32 v5, v12, v5, v11
	v_div_scale_f32 v11, s[0:1], v4, v4, v10
	v_rcp_f32_e32 v12, v11
	s_nop 0
	v_fma_f32 v13, -v11, v12, 1.0
	v_fmac_f32_e32 v12, v13, v12
	v_div_scale_f32 v13, vcc, v10, v4, v10
	v_mul_f32_e32 v14, v13, v12
	v_fma_f32 v15, -v11, v14, v13
	v_fmac_f32_e32 v14, v15, v12
	v_fma_f32 v11, -v11, v14, v13
	v_div_fmas_f32 v11, v11, v12, v14
	v_div_fixup_f32 v4, v11, v4, v10
	v_pk_mul_f32 v[4:5], v[42:43], v[4:5]
	v_pk_mul_f32 v[10:11], v[40:41], v[8:9]
	v_bfe_u32 v8, v4, 16, 1
	v_bfe_u32 v9, v5, 16, 1
	v_add3_u32 v8, v4, v8, s52
	v_bfe_u32 v12, v10, 16, 1
	v_add3_u32 v9, v5, v9, s52
	v_lshrrev_b32_e32 v8, 16, v8
	v_cmp_o_f32_e32 vcc, v4, v4
	v_mov_b32_e32 v40, 0x7fc0
	v_bfe_u32 v13, v11, 16, 1
	v_add3_u32 v12, v10, v12, s52
	v_lshrrev_b32_e32 v9, 16, v9
	v_cndmask_b32_e32 v8, v40, v8, vcc
	v_cmp_o_f32_e32 vcc, v5, v5
	v_add3_u32 v13, v11, v13, s52
	v_lshrrev_b32_e32 v12, 16, v12
	v_cndmask_b32_e32 v9, v40, v9, vcc
	v_cmp_o_f32_e32 vcc, v10, v10
	v_and_b32_e32 v15, 0xffff0000, v7
	v_lshrrev_b32_e32 v13, 16, v13
	v_cndmask_b32_e32 v10, v40, v12, vcc
	v_cmp_o_f32_e32 vcc, v11, v11
	v_mul_f32_e32 v4, 0xbfb8aa3b, v15
	v_lshlrev_b32_e32 v12, 16, v6
	v_cndmask_b32_e32 v11, v40, v13, vcc
	v_and_b32_e32 v13, 0xffff0000, v6
	v_fma_f32 v5, v15, s53, -v4
	v_rndne_f32_e32 v6, v4
	v_fmac_f32_e32 v5, 0xb2a5705f, v15
	v_sub_f32_e32 v4, v4, v6
	v_add_f32_e32 v4, v4, v5
	v_exp_f32_e32 v4, v4
	v_cvt_i32_f32_e32 v5, v6
	v_cmp_nlt_f32_e32 vcc, s54, v15
	v_lshlrev_b32_e32 v14, 16, v7
	v_ldexp_f32 v4, v4, v5
	v_cndmask_b32_e32 v4, 0, v4, vcc
	v_cmp_ngt_f32_e32 vcc, s55, v15
	s_nop 1
	v_cndmask_b32_e32 v7, v26, v4, vcc
	v_mul_f32_e32 v4, 0xbfb8aa3b, v13
	v_fma_f32 v5, v13, s53, -v4
	v_rndne_f32_e32 v6, v4
	v_fmac_f32_e32 v5, 0xb2a5705f, v13
	v_sub_f32_e32 v4, v4, v6
	v_add_f32_e32 v4, v4, v5
	v_exp_f32_e32 v4, v4
	v_cvt_i32_f32_e32 v5, v6
	v_cmp_nlt_f32_e32 vcc, s54, v13
	v_ldexp_f32 v4, v4, v5
	s_nop 0
	v_cndmask_b32_e32 v4, 0, v4, vcc
	v_cmp_ngt_f32_e32 vcc, s55, v13
	s_nop 1
	v_cndmask_b32_e32 v5, v26, v4, vcc
	v_mul_f32_e32 v4, 0xbfb8aa3b, v14
	v_rndne_f32_e32 v6, v4
	v_sub_f32_e32 v16, v4, v6
	v_fma_f32 v4, v14, s53, -v4
	v_fmac_f32_e32 v4, 0xb2a5705f, v14
	v_add_f32_e32 v4, v16, v4
	v_exp_f32_e32 v4, v4
	v_cvt_i32_f32_e32 v6, v6
	v_cmp_nlt_f32_e32 vcc, s54, v14
	v_ldexp_f32 v4, v4, v6
	s_nop 0
	v_cndmask_b32_e32 v4, 0, v4, vcc
	v_cmp_ngt_f32_e32 vcc, s55, v14
	s_nop 1
	v_cndmask_b32_e32 v6, v26, v4, vcc
	v_mul_f32_e32 v4, 0xbfb8aa3b, v12
	v_rndne_f32_e32 v16, v4
	v_sub_f32_e32 v18, v4, v16
	v_fma_f32 v4, v12, s53, -v4
	v_fmac_f32_e32 v4, 0xb2a5705f, v12
	v_add_f32_e32 v4, v18, v4
	v_exp_f32_e32 v4, v4
	v_cvt_i32_f32_e32 v16, v16
	v_pk_add_f32 v[6:7], v[6:7], 1.0 op_sel_hi:[1,0]
	v_cmp_nlt_f32_e32 vcc, s54, v12
	v_ldexp_f32 v4, v4, v16
	v_div_scale_f32 v16, s[0:1], v7, v7, v15
	v_rcp_f32_e32 v18, v16
	v_cndmask_b32_e32 v4, 0, v4, vcc
	v_cmp_ngt_f32_e32 vcc, s55, v12
	v_fma_f32 v19, -v16, v18, 1.0
	s_nop 0
	v_cndmask_b32_e32 v4, v26, v4, vcc
	v_fmac_f32_e32 v18, v19, v18
	v_div_scale_f32 v19, vcc, v15, v7, v15
	v_mul_f32_e32 v22, v19, v18
	v_fma_f32 v23, -v16, v22, v19
	v_fmac_f32_e32 v22, v23, v18
	v_fma_f32 v16, -v16, v22, v19
	v_div_fmas_f32 v16, v16, v18, v22
	v_div_fixup_f32 v7, v16, v7, v15
	v_div_scale_f32 v15, s[0:1], v6, v6, v14
	v_rcp_f32_e32 v16, v15
	v_pk_add_f32 v[4:5], v[4:5], 1.0 op_sel_hi:[1,0]
	v_fma_f32 v18, -v15, v16, 1.0
	v_fmac_f32_e32 v16, v18, v16
	v_div_scale_f32 v18, vcc, v14, v6, v14
	v_mul_f32_e32 v19, v18, v16
	v_fma_f32 v22, -v15, v19, v18
	v_fmac_f32_e32 v19, v22, v16
	v_fma_f32 v15, -v15, v19, v18
	v_div_fmas_f32 v15, v15, v16, v19
	v_div_fixup_f32 v6, v15, v6, v14
	v_div_scale_f32 v14, s[0:1], v5, v5, v13
	v_rcp_f32_e32 v15, v14
	s_nop 0
	v_fma_f32 v16, -v14, v15, 1.0
	v_fmac_f32_e32 v15, v16, v15
	v_div_scale_f32 v16, vcc, v13, v5, v13
	v_mul_f32_e32 v18, v16, v15
	v_fma_f32 v19, -v14, v18, v16
	v_fmac_f32_e32 v18, v19, v15
	v_fma_f32 v14, -v14, v18, v16
	v_div_fmas_f32 v14, v14, v15, v18
	v_div_fixup_f32 v5, v14, v5, v13
	v_div_scale_f32 v13, s[0:1], v4, v4, v12
	v_rcp_f32_e32 v14, v13
	s_nop 0
	v_fma_f32 v15, -v13, v14, 1.0
	v_fmac_f32_e32 v14, v15, v14
	v_div_scale_f32 v15, vcc, v12, v4, v12
	v_mul_f32_e32 v16, v15, v14
	v_fma_f32 v18, -v13, v16, v15
	v_fmac_f32_e32 v16, v18, v14
	v_fma_f32 v13, -v13, v16, v15
	v_div_fmas_f32 v13, v13, v14, v16
	v_div_fixup_f32 v4, v13, v4, v12
	v_pk_mul_f32 v[4:5], v[38:39], v[4:5]
	v_pk_mul_f32 v[12:13], v[36:37], v[6:7]
	v_bfe_u32 v6, v4, 16, 1
	v_bfe_u32 v7, v5, 16, 1
	v_add3_u32 v6, v4, v6, s52
	v_bfe_u32 v14, v12, 16, 1
	v_add3_u32 v7, v5, v7, s52
	v_lshrrev_b32_e32 v6, 16, v6
	v_cmp_o_f32_e32 vcc, v4, v4
	v_bfe_u32 v15, v13, 16, 1
	v_add3_u32 v14, v12, v14, s52
	v_lshrrev_b32_e32 v7, 16, v7
	v_cndmask_b32_e32 v6, v40, v6, vcc
	v_cmp_o_f32_e32 vcc, v5, v5
	v_add3_u32 v15, v13, v15, s52
	v_lshrrev_b32_e32 v14, 16, v14
	v_cndmask_b32_e32 v7, v40, v7, vcc
	v_cmp_o_f32_e32 vcc, v12, v12
	v_lshrrev_b32_e32 v15, 16, v15
	v_and_b32_e32 v18, 0xffff0000, v1
	v_cndmask_b32_e32 v12, v40, v14, vcc
	v_cmp_o_f32_e32 vcc, v13, v13
	v_lshlrev_b32_e32 v14, 16, v0
	v_lshlrev_b32_e32 v16, 16, v1
	v_cndmask_b32_e32 v13, v40, v15, vcc
	v_and_b32_e32 v15, 0xffff0000, v0
	v_mul_f32_e32 v0, 0xbfb8aa3b, v18
	v_fma_f32 v1, v18, s53, -v0
	v_rndne_f32_e32 v4, v0
	v_fmac_f32_e32 v1, 0xb2a5705f, v18
	v_sub_f32_e32 v0, v0, v4
	v_add_f32_e32 v0, v0, v1
	v_exp_f32_e32 v0, v0
	v_cvt_i32_f32_e32 v1, v4
	v_cmp_nlt_f32_e32 vcc, s54, v18
	v_ldexp_f32 v0, v0, v1
	s_nop 0
	v_cndmask_b32_e32 v0, 0, v0, vcc
	v_cmp_ngt_f32_e32 vcc, s55, v18
	s_nop 1
	v_cndmask_b32_e32 v5, v26, v0, vcc
	v_mul_f32_e32 v0, 0xbfb8aa3b, v15
	v_fma_f32 v1, v15, s53, -v0
	v_rndne_f32_e32 v4, v0
	v_fmac_f32_e32 v1, 0xb2a5705f, v15
	v_sub_f32_e32 v0, v0, v4
	v_add_f32_e32 v0, v0, v1
	v_exp_f32_e32 v0, v0
	v_cvt_i32_f32_e32 v1, v4
	v_cmp_nlt_f32_e32 vcc, s54, v15
	v_ldexp_f32 v0, v0, v1
	s_nop 0
	v_cndmask_b32_e32 v0, 0, v0, vcc
	v_cmp_ngt_f32_e32 vcc, s55, v15
	s_nop 1
	v_cndmask_b32_e32 v1, v26, v0, vcc
	v_mul_f32_e32 v0, 0xbfb8aa3b, v16
	v_rndne_f32_e32 v4, v0
	v_sub_f32_e32 v19, v0, v4
	v_fma_f32 v0, v16, s53, -v0
	v_fmac_f32_e32 v0, 0xb2a5705f, v16
	v_add_f32_e32 v0, v19, v0
	v_exp_f32_e32 v0, v0
	v_cvt_i32_f32_e32 v4, v4
	v_cmp_nlt_f32_e32 vcc, s54, v16
	v_ldexp_f32 v0, v0, v4
	s_nop 0
	v_cndmask_b32_e32 v0, 0, v0, vcc
	v_cmp_ngt_f32_e32 vcc, s55, v16
	s_nop 1
	v_cndmask_b32_e32 v4, v26, v0, vcc
	v_mul_f32_e32 v0, 0xbfb8aa3b, v14
	v_rndne_f32_e32 v19, v0
	v_sub_f32_e32 v22, v0, v19
	v_fma_f32 v0, v14, s53, -v0
	v_fmac_f32_e32 v0, 0xb2a5705f, v14
	v_add_f32_e32 v0, v22, v0
	v_exp_f32_e32 v0, v0
	v_cvt_i32_f32_e32 v19, v19
	v_pk_add_f32 v[4:5], v[4:5], 1.0 op_sel_hi:[1,0]
	v_cmp_nlt_f32_e32 vcc, s54, v14
	v_ldexp_f32 v0, v0, v19
	v_div_scale_f32 v19, s[0:1], v5, v5, v18
	v_rcp_f32_e32 v22, v19
	v_cndmask_b32_e32 v0, 0, v0, vcc
	v_cmp_ngt_f32_e32 vcc, s55, v14
	v_fma_f32 v23, -v19, v22, 1.0
	s_nop 0
	v_cndmask_b32_e32 v0, v26, v0, vcc
	v_fmac_f32_e32 v22, v23, v22
	v_div_scale_f32 v23, vcc, v18, v5, v18
	v_mul_f32_e32 v24, v23, v22
	v_fma_f32 v25, -v19, v24, v23
	v_fmac_f32_e32 v24, v25, v22
	v_fma_f32 v19, -v19, v24, v23
	v_div_fmas_f32 v19, v19, v22, v24
	v_div_fixup_f32 v5, v19, v5, v18
	v_div_scale_f32 v18, s[0:1], v4, v4, v16
	v_rcp_f32_e32 v19, v18
	v_pk_add_f32 v[0:1], v[0:1], 1.0 op_sel_hi:[1,0]
	v_fma_f32 v22, -v18, v19, 1.0
	v_fmac_f32_e32 v19, v22, v19
	v_div_scale_f32 v22, vcc, v16, v4, v16
	v_mul_f32_e32 v23, v22, v19
	v_fma_f32 v24, -v18, v23, v22
	v_fmac_f32_e32 v23, v24, v19
	v_fma_f32 v18, -v18, v23, v22
	v_div_fmas_f32 v18, v18, v19, v23
	v_div_fixup_f32 v4, v18, v4, v16
	v_div_scale_f32 v16, s[0:1], v1, v1, v15
	v_rcp_f32_e32 v18, v16
	s_nop 0
	v_fma_f32 v19, -v16, v18, 1.0
	v_fmac_f32_e32 v18, v19, v18
	v_div_scale_f32 v19, vcc, v15, v1, v15
	v_mul_f32_e32 v22, v19, v18
	v_fma_f32 v23, -v16, v22, v19
	v_fmac_f32_e32 v22, v23, v18
	v_fma_f32 v16, -v16, v22, v19
	v_div_fmas_f32 v16, v16, v18, v22
	v_div_fixup_f32 v1, v16, v1, v15
	v_div_scale_f32 v15, s[0:1], v0, v0, v14
	v_rcp_f32_e32 v16, v15
	s_nop 0
	v_fma_f32 v18, -v15, v16, 1.0
	v_fmac_f32_e32 v16, v18, v16
	v_div_scale_f32 v18, vcc, v14, v0, v14
	v_mul_f32_e32 v19, v18, v16
	v_fma_f32 v22, -v15, v19, v18
	v_fmac_f32_e32 v19, v22, v16
	v_fma_f32 v15, -v15, v19, v18
	v_div_fmas_f32 v15, v15, v16, v19
	v_div_fixup_f32 v0, v15, v0, v14
	v_pk_mul_f32 v[0:1], v[34:35], v[0:1]
	v_pk_mul_f32 v[14:15], v[32:33], v[4:5]
	v_bfe_u32 v4, v0, 16, 1
	v_bfe_u32 v5, v1, 16, 1
	v_add3_u32 v4, v0, v4, s52
	v_bfe_u32 v16, v14, 16, 1
	v_add3_u32 v5, v1, v5, s52
	v_lshrrev_b32_e32 v4, 16, v4
	v_cmp_o_f32_e32 vcc, v0, v0
	v_bfe_u32 v18, v15, 16, 1
	v_add3_u32 v16, v14, v16, s52
	v_lshrrev_b32_e32 v5, 16, v5
	v_cndmask_b32_e32 v4, v40, v4, vcc
	v_cmp_o_f32_e32 vcc, v1, v1
	v_add3_u32 v18, v15, v18, s52
	v_lshrrev_b32_e32 v16, 16, v16
	v_cndmask_b32_e32 v5, v40, v5, vcc
	v_cmp_o_f32_e32 vcc, v14, v14
	v_and_b32_e32 v22, 0xffff0000, v3
	v_lshrrev_b32_e32 v18, 16, v18
	v_cndmask_b32_e32 v14, v40, v16, vcc
	v_cmp_o_f32_e32 vcc, v15, v15
	v_mul_f32_e32 v0, 0xbfb8aa3b, v22
	v_lshlrev_b32_e32 v16, 16, v2
	v_cndmask_b32_e32 v15, v40, v18, vcc
	v_and_b32_e32 v18, 0xffff0000, v2
	v_fma_f32 v1, v22, s53, -v0
	v_rndne_f32_e32 v2, v0
	v_fmac_f32_e32 v1, 0xb2a5705f, v22
	v_sub_f32_e32 v0, v0, v2
	v_add_f32_e32 v0, v0, v1
	v_exp_f32_e32 v0, v0
	v_cvt_i32_f32_e32 v1, v2
	v_cmp_nlt_f32_e32 vcc, s54, v22
	v_lshlrev_b32_e32 v19, 16, v3
	v_ldexp_f32 v0, v0, v1
	v_cndmask_b32_e32 v0, 0, v0, vcc
	v_cmp_ngt_f32_e32 vcc, s55, v22
	s_nop 1
	v_cndmask_b32_e32 v3, v26, v0, vcc
	v_mul_f32_e32 v0, 0xbfb8aa3b, v18
	v_fma_f32 v1, v18, s53, -v0
	v_rndne_f32_e32 v2, v0
	v_fmac_f32_e32 v1, 0xb2a5705f, v18
	v_sub_f32_e32 v0, v0, v2
	v_add_f32_e32 v0, v0, v1
	v_exp_f32_e32 v0, v0
	v_cvt_i32_f32_e32 v1, v2
	v_cmp_nlt_f32_e32 vcc, s54, v18
	v_ldexp_f32 v0, v0, v1
	s_nop 0
	v_cndmask_b32_e32 v0, 0, v0, vcc
	v_cmp_ngt_f32_e32 vcc, s55, v18
	s_nop 1
	v_cndmask_b32_e32 v1, v26, v0, vcc
	v_mul_f32_e32 v0, 0xbfb8aa3b, v19
	v_rndne_f32_e32 v2, v0
	v_sub_f32_e32 v23, v0, v2
	v_fma_f32 v0, v19, s53, -v0
	v_fmac_f32_e32 v0, 0xb2a5705f, v19
	v_add_f32_e32 v0, v23, v0
	v_exp_f32_e32 v0, v0
	v_cvt_i32_f32_e32 v2, v2
	v_cmp_nlt_f32_e32 vcc, s54, v19
	v_ldexp_f32 v0, v0, v2
	s_nop 0
	v_cndmask_b32_e32 v0, 0, v0, vcc
	v_cmp_ngt_f32_e32 vcc, s55, v19
	s_nop 1
	v_cndmask_b32_e32 v2, v26, v0, vcc
	v_mul_f32_e32 v0, 0xbfb8aa3b, v16
	v_rndne_f32_e32 v23, v0
	v_sub_f32_e32 v24, v0, v23
	v_fma_f32 v0, v16, s53, -v0
	v_fmac_f32_e32 v0, 0xb2a5705f, v16
	v_add_f32_e32 v0, v24, v0
	v_exp_f32_e32 v0, v0
	v_cvt_i32_f32_e32 v23, v23
	v_pk_add_f32 v[2:3], v[2:3], 1.0 op_sel_hi:[1,0]
	v_cmp_nlt_f32_e32 vcc, s54, v16
	v_ldexp_f32 v0, v0, v23
	v_div_scale_f32 v23, s[0:1], v3, v3, v22
	v_rcp_f32_e32 v24, v23
	v_cndmask_b32_e32 v0, 0, v0, vcc
	v_cmp_ngt_f32_e32 vcc, s55, v16
	v_fma_f32 v25, -v23, v24, 1.0
	s_nop 0
	v_cndmask_b32_e32 v0, v26, v0, vcc
	v_fmac_f32_e32 v24, v25, v24
	v_div_scale_f32 v25, vcc, v22, v3, v22
	v_mul_f32_e32 v26, v25, v24
	v_fma_f32 v27, -v23, v26, v25
	v_fmac_f32_e32 v26, v27, v24
	v_fma_f32 v23, -v23, v26, v25
	v_div_fmas_f32 v23, v23, v24, v26
	v_div_fixup_f32 v3, v23, v3, v22
	v_div_scale_f32 v22, s[0:1], v2, v2, v19
	v_rcp_f32_e32 v23, v22
	v_pk_add_f32 v[0:1], v[0:1], 1.0 op_sel_hi:[1,0]
	v_fma_f32 v24, -v22, v23, 1.0
	v_fmac_f32_e32 v23, v24, v23
	v_div_scale_f32 v24, vcc, v19, v2, v19
	v_mul_f32_e32 v25, v24, v23
	v_fma_f32 v26, -v22, v25, v24
	v_fmac_f32_e32 v25, v26, v23
	v_fma_f32 v22, -v22, v25, v24
	v_div_fmas_f32 v22, v22, v23, v25
	v_div_fixup_f32 v2, v22, v2, v19
	v_div_scale_f32 v19, s[0:1], v1, v1, v18
	v_rcp_f32_e32 v22, v19
	v_pk_mul_f32 v[2:3], v[28:29], v[2:3]
	v_fma_f32 v23, -v19, v22, 1.0
	v_fmac_f32_e32 v22, v23, v22
	v_div_scale_f32 v23, vcc, v18, v1, v18
	v_mul_f32_e32 v24, v23, v22
	v_fma_f32 v25, -v19, v24, v23
	v_fmac_f32_e32 v24, v25, v22
	v_fma_f32 v19, -v19, v24, v23
	v_div_fmas_f32 v19, v19, v22, v24
	v_div_fixup_f32 v1, v19, v1, v18
	v_div_scale_f32 v18, s[0:1], v0, v0, v16
	v_rcp_f32_e32 v19, v18
	s_mov_b32 s0, 0x5040100
	v_fma_f32 v22, -v18, v19, 1.0
	v_fmac_f32_e32 v19, v22, v19
	v_div_scale_f32 v22, vcc, v16, v0, v16
	v_mul_f32_e32 v23, v22, v19
	v_fma_f32 v24, -v18, v23, v22
	v_fmac_f32_e32 v23, v24, v19
	v_fma_f32 v18, -v18, v23, v22
	v_div_fmas_f32 v18, v18, v19, v23
	v_div_fixup_f32 v0, v18, v0, v16
	v_pk_mul_f32 v[0:1], v[30:31], v[0:1]
	v_bfe_u32 v19, v2, 16, 1
	v_bfe_u32 v16, v0, 16, 1
	;; [unrolled: 1-line block ×3, first 2 shown]
	v_add3_u32 v16, v0, v16, s52
	v_add3_u32 v18, v1, v18, s52
	v_lshrrev_b32_e32 v16, 16, v16
	v_cmp_o_f32_e32 vcc, v0, v0
	v_bfe_u32 v22, v3, 16, 1
	v_add3_u32 v19, v2, v19, s52
	v_lshrrev_b32_e32 v18, 16, v18
	v_cndmask_b32_e32 v16, v40, v16, vcc
	v_cmp_o_f32_e32 vcc, v1, v1
	v_add3_u32 v22, v3, v22, s52
	v_lshrrev_b32_e32 v19, 16, v19
	v_cndmask_b32_e32 v18, v40, v18, vcc
	v_cmp_o_f32_e32 vcc, v2, v2
	v_lshrrev_b32_e32 v22, 16, v22
	v_perm_b32 v2, v7, v6, s0
	v_cndmask_b32_e32 v19, v40, v19, vcc
	v_cmp_o_f32_e32 vcc, v3, v3
	v_perm_b32 v3, v13, v12, s0
	v_perm_b32 v1, v11, v10, s0
	v_cndmask_b32_e32 v22, v40, v22, vcc
	v_perm_b32 v0, v9, v8, s0
	ds_write_b128 v59, v[0:3]
	v_perm_b32 v3, v22, v19, s0
	v_perm_b32 v2, v18, v16, s0
	;; [unrolled: 1-line block ×4, first 2 shown]
	ds_write_b128 v59, v[0:3] offset:16
	; wave barrier
	ds_read_u16 v16, v44 offset:128
	ds_read_u16 v15, v45 offset:256
	;; [unrolled: 1-line block ×15, first 2 shown]
	scratch_load_dwordx2 v[0:1], off, off offset:256 ; 8-byte Folded Reload
	s_waitcnt vmcnt(0)
	v_lshl_add_u64 v[0:1], s[58:59], 1, v[0:1]
	s_and_saveexec_b64 s[52:53], s[18:19]
	s_cbranch_execz .LBB48_251
; %bb.250:                              ;   in Loop: Header=BB48_13 Depth=1
	scratch_load_dword v18, off, off        ; 4-byte Folded Reload
	s_waitcnt vmcnt(0)
	ds_read_u16 v18, v18
	s_waitcnt lgkmcnt(0)
	global_store_short v[0:1], v18, off
.LBB48_251:                             ;   in Loop: Header=BB48_13 Depth=1
	s_or_b64 exec, exec, s[52:53]
	s_and_saveexec_b64 s[18:19], s[20:21]
	s_cbranch_execz .LBB48_253
; %bb.252:                              ;   in Loop: Header=BB48_13 Depth=1
	s_waitcnt lgkmcnt(14)
	global_store_short v[0:1], v16, off offset:128
.LBB48_253:                             ;   in Loop: Header=BB48_13 Depth=1
	s_or_b64 exec, exec, s[18:19]
	s_mov_b64 s[18:19], exec
	s_and_b64 s[0:1], s[18:19], s[22:23]
	v_mov_b32_e32 v39, 0x7f800000
	s_mov_b64 exec, s[0:1]
	s_cbranch_execnz .LBB48_284
; %bb.254:                              ;   in Loop: Header=BB48_13 Depth=1
	s_or_b64 exec, exec, s[18:19]
	s_and_saveexec_b64 s[18:19], s[24:25]
	s_cbranch_execnz .LBB48_285
.LBB48_255:                             ;   in Loop: Header=BB48_13 Depth=1
	s_or_b64 exec, exec, s[18:19]
	s_and_saveexec_b64 s[18:19], s[26:27]
	s_cbranch_execnz .LBB48_286
.LBB48_256:                             ;   in Loop: Header=BB48_13 Depth=1
	s_or_b64 exec, exec, s[18:19]
	s_and_saveexec_b64 s[18:19], s[28:29]
	s_cbranch_execnz .LBB48_287
.LBB48_257:                             ;   in Loop: Header=BB48_13 Depth=1
	s_or_b64 exec, exec, s[18:19]
	s_and_saveexec_b64 s[18:19], s[30:31]
	s_cbranch_execnz .LBB48_288
.LBB48_258:                             ;   in Loop: Header=BB48_13 Depth=1
	s_or_b64 exec, exec, s[18:19]
	s_and_saveexec_b64 s[18:19], s[34:35]
	s_cbranch_execnz .LBB48_289
.LBB48_259:                             ;   in Loop: Header=BB48_13 Depth=1
	s_or_b64 exec, exec, s[18:19]
	s_and_saveexec_b64 s[18:19], s[36:37]
	s_cbranch_execnz .LBB48_290
.LBB48_260:                             ;   in Loop: Header=BB48_13 Depth=1
	s_or_b64 exec, exec, s[18:19]
	s_and_saveexec_b64 s[18:19], s[38:39]
	s_cbranch_execnz .LBB48_291
.LBB48_261:                             ;   in Loop: Header=BB48_13 Depth=1
	s_or_b64 exec, exec, s[18:19]
	s_and_saveexec_b64 s[18:19], s[40:41]
	s_cbranch_execnz .LBB48_292
.LBB48_262:                             ;   in Loop: Header=BB48_13 Depth=1
	s_or_b64 exec, exec, s[18:19]
	s_and_saveexec_b64 s[18:19], s[42:43]
	s_cbranch_execnz .LBB48_293
.LBB48_263:                             ;   in Loop: Header=BB48_13 Depth=1
	s_or_b64 exec, exec, s[18:19]
	s_and_saveexec_b64 s[18:19], s[44:45]
	s_cbranch_execnz .LBB48_294
.LBB48_264:                             ;   in Loop: Header=BB48_13 Depth=1
	s_or_b64 exec, exec, s[18:19]
	s_and_saveexec_b64 s[18:19], s[46:47]
	s_cbranch_execnz .LBB48_295
.LBB48_265:                             ;   in Loop: Header=BB48_13 Depth=1
	s_or_b64 exec, exec, s[18:19]
	s_and_saveexec_b64 s[18:19], s[48:49]
	s_cbranch_execnz .LBB48_296
.LBB48_266:                             ;   in Loop: Header=BB48_13 Depth=1
	s_or_b64 exec, exec, s[18:19]
	s_and_saveexec_b64 s[18:19], s[50:51]
	s_cbranch_execz .LBB48_12
	s_branch .LBB48_297
.LBB48_267:                             ;   in Loop: Header=BB48_13 Depth=1
	global_load_ushort v28, v[8:9], off offset:1664
	s_or_b64 exec, exec, s[52:53]
	s_and_saveexec_b64 s[52:53], s[48:49]
	s_cbranch_execz .LBB48_73
.LBB48_268:                             ;   in Loop: Header=BB48_13 Depth=1
	global_load_ushort v27, v[8:9], off offset:1792
	s_or_b64 exec, exec, s[52:53]
	v_mov_b32_e32 v29, 0
	s_and_saveexec_b64 s[52:53], s[50:51]
	s_cbranch_execnz .LBB48_74
	s_branch .LBB48_75
.LBB48_269:                             ;   in Loop: Header=BB48_13 Depth=1
	scratch_load_dword v18, off, off        ; 4-byte Folded Reload
	s_waitcnt vmcnt(0)
	ds_read_u16 v18, v18
	s_waitcnt lgkmcnt(0)
	global_store_short v[0:1], v18, off
	s_or_b64 exec, exec, s[52:53]
	s_and_saveexec_b64 s[52:53], s[20:21]
	s_cbranch_execz .LBB48_202
.LBB48_270:                             ;   in Loop: Header=BB48_13 Depth=1
	s_waitcnt lgkmcnt(14)
	global_store_short v[0:1], v16, off offset:128
	s_or_b64 exec, exec, s[52:53]
	s_and_saveexec_b64 s[52:53], s[22:23]
	s_cbranch_execz .LBB48_203
.LBB48_271:                             ;   in Loop: Header=BB48_13 Depth=1
	s_waitcnt lgkmcnt(13)
	global_store_short v[0:1], v15, off offset:256
	s_or_b64 exec, exec, s[52:53]
	s_and_saveexec_b64 s[52:53], s[24:25]
	s_cbranch_execz .LBB48_204
.LBB48_272:                             ;   in Loop: Header=BB48_13 Depth=1
	s_waitcnt lgkmcnt(12)
	global_store_short v[0:1], v14, off offset:384
	s_or_b64 exec, exec, s[52:53]
	s_and_saveexec_b64 s[52:53], s[26:27]
	s_cbranch_execz .LBB48_205
.LBB48_273:                             ;   in Loop: Header=BB48_13 Depth=1
	s_waitcnt lgkmcnt(11)
	global_store_short v[0:1], v13, off offset:512
	s_or_b64 exec, exec, s[52:53]
	s_and_saveexec_b64 s[52:53], s[28:29]
	s_cbranch_execz .LBB48_206
.LBB48_274:                             ;   in Loop: Header=BB48_13 Depth=1
	s_waitcnt lgkmcnt(10)
	global_store_short v[0:1], v12, off offset:640
	s_or_b64 exec, exec, s[52:53]
	s_and_saveexec_b64 s[52:53], s[30:31]
	s_cbranch_execz .LBB48_207
.LBB48_275:                             ;   in Loop: Header=BB48_13 Depth=1
	s_waitcnt lgkmcnt(9)
	global_store_short v[0:1], v11, off offset:768
	s_or_b64 exec, exec, s[52:53]
	s_and_saveexec_b64 s[52:53], s[34:35]
	s_cbranch_execz .LBB48_208
.LBB48_276:                             ;   in Loop: Header=BB48_13 Depth=1
	s_waitcnt lgkmcnt(8)
	global_store_short v[0:1], v10, off offset:896
	s_or_b64 exec, exec, s[52:53]
	s_and_saveexec_b64 s[52:53], s[36:37]
	s_cbranch_execz .LBB48_209
.LBB48_277:                             ;   in Loop: Header=BB48_13 Depth=1
	s_waitcnt lgkmcnt(7)
	global_store_short v[0:1], v9, off offset:1024
	s_or_b64 exec, exec, s[52:53]
	s_and_saveexec_b64 s[52:53], s[38:39]
	s_cbranch_execz .LBB48_210
.LBB48_278:                             ;   in Loop: Header=BB48_13 Depth=1
	s_waitcnt lgkmcnt(6)
	global_store_short v[0:1], v8, off offset:1152
	s_or_b64 exec, exec, s[52:53]
	s_and_saveexec_b64 s[52:53], s[40:41]
	s_cbranch_execz .LBB48_211
.LBB48_279:                             ;   in Loop: Header=BB48_13 Depth=1
	s_waitcnt lgkmcnt(5)
	global_store_short v[0:1], v7, off offset:1280
	s_or_b64 exec, exec, s[52:53]
	s_and_saveexec_b64 s[52:53], s[42:43]
	s_cbranch_execz .LBB48_212
.LBB48_280:                             ;   in Loop: Header=BB48_13 Depth=1
	s_waitcnt lgkmcnt(4)
	global_store_short v[0:1], v6, off offset:1408
	s_or_b64 exec, exec, s[52:53]
	s_and_saveexec_b64 s[52:53], s[44:45]
	s_cbranch_execz .LBB48_213
.LBB48_281:                             ;   in Loop: Header=BB48_13 Depth=1
	s_waitcnt lgkmcnt(3)
	global_store_short v[0:1], v5, off offset:1536
	s_or_b64 exec, exec, s[52:53]
	s_and_saveexec_b64 s[52:53], s[46:47]
	s_cbranch_execz .LBB48_214
.LBB48_282:                             ;   in Loop: Header=BB48_13 Depth=1
	s_waitcnt lgkmcnt(2)
	global_store_short v[0:1], v4, off offset:1664
	s_or_b64 exec, exec, s[52:53]
	s_and_saveexec_b64 s[52:53], s[48:49]
	s_cbranch_execz .LBB48_215
.LBB48_283:                             ;   in Loop: Header=BB48_13 Depth=1
	s_waitcnt lgkmcnt(1)
	global_store_short v[0:1], v3, off offset:1792
	s_or_b64 exec, exec, s[52:53]
	s_and_saveexec_b64 s[52:53], s[50:51]
	s_cbranch_execnz .LBB48_216
	s_branch .LBB48_217
.LBB48_284:                             ;   in Loop: Header=BB48_13 Depth=1
	s_waitcnt lgkmcnt(13)
	global_store_short v[0:1], v15, off offset:256
	s_or_b64 exec, exec, s[18:19]
	s_and_saveexec_b64 s[18:19], s[24:25]
	s_cbranch_execz .LBB48_255
.LBB48_285:                             ;   in Loop: Header=BB48_13 Depth=1
	s_waitcnt lgkmcnt(12)
	global_store_short v[0:1], v14, off offset:384
	s_or_b64 exec, exec, s[18:19]
	s_and_saveexec_b64 s[18:19], s[26:27]
	s_cbranch_execz .LBB48_256
.LBB48_286:                             ;   in Loop: Header=BB48_13 Depth=1
	s_waitcnt lgkmcnt(11)
	global_store_short v[0:1], v13, off offset:512
	s_or_b64 exec, exec, s[18:19]
	s_and_saveexec_b64 s[18:19], s[28:29]
	s_cbranch_execz .LBB48_257
.LBB48_287:                             ;   in Loop: Header=BB48_13 Depth=1
	s_waitcnt lgkmcnt(10)
	global_store_short v[0:1], v12, off offset:640
	s_or_b64 exec, exec, s[18:19]
	s_and_saveexec_b64 s[18:19], s[30:31]
	s_cbranch_execz .LBB48_258
.LBB48_288:                             ;   in Loop: Header=BB48_13 Depth=1
	s_waitcnt lgkmcnt(9)
	global_store_short v[0:1], v11, off offset:768
	s_or_b64 exec, exec, s[18:19]
	s_and_saveexec_b64 s[18:19], s[34:35]
	s_cbranch_execz .LBB48_259
.LBB48_289:                             ;   in Loop: Header=BB48_13 Depth=1
	s_waitcnt lgkmcnt(8)
	global_store_short v[0:1], v10, off offset:896
	s_or_b64 exec, exec, s[18:19]
	s_and_saveexec_b64 s[18:19], s[36:37]
	s_cbranch_execz .LBB48_260
.LBB48_290:                             ;   in Loop: Header=BB48_13 Depth=1
	s_waitcnt lgkmcnt(7)
	global_store_short v[0:1], v9, off offset:1024
	s_or_b64 exec, exec, s[18:19]
	s_and_saveexec_b64 s[18:19], s[38:39]
	s_cbranch_execz .LBB48_261
.LBB48_291:                             ;   in Loop: Header=BB48_13 Depth=1
	s_waitcnt lgkmcnt(6)
	global_store_short v[0:1], v8, off offset:1152
	s_or_b64 exec, exec, s[18:19]
	s_and_saveexec_b64 s[18:19], s[40:41]
	s_cbranch_execz .LBB48_262
.LBB48_292:                             ;   in Loop: Header=BB48_13 Depth=1
	s_waitcnt lgkmcnt(5)
	global_store_short v[0:1], v7, off offset:1280
	s_or_b64 exec, exec, s[18:19]
	s_and_saveexec_b64 s[18:19], s[42:43]
	s_cbranch_execz .LBB48_263
.LBB48_293:                             ;   in Loop: Header=BB48_13 Depth=1
	s_waitcnt lgkmcnt(4)
	global_store_short v[0:1], v6, off offset:1408
	s_or_b64 exec, exec, s[18:19]
	s_and_saveexec_b64 s[18:19], s[44:45]
	s_cbranch_execz .LBB48_264
.LBB48_294:                             ;   in Loop: Header=BB48_13 Depth=1
	s_waitcnt lgkmcnt(3)
	global_store_short v[0:1], v5, off offset:1536
	s_or_b64 exec, exec, s[18:19]
	s_and_saveexec_b64 s[18:19], s[46:47]
	s_cbranch_execz .LBB48_265
.LBB48_295:                             ;   in Loop: Header=BB48_13 Depth=1
	s_waitcnt lgkmcnt(2)
	global_store_short v[0:1], v4, off offset:1664
	s_or_b64 exec, exec, s[18:19]
	s_and_saveexec_b64 s[18:19], s[48:49]
	s_cbranch_execz .LBB48_266
.LBB48_296:                             ;   in Loop: Header=BB48_13 Depth=1
	s_waitcnt lgkmcnt(1)
	global_store_short v[0:1], v3, off offset:1792
	s_or_b64 exec, exec, s[18:19]
	s_and_saveexec_b64 s[18:19], s[50:51]
	s_cbranch_execz .LBB48_12
.LBB48_297:                             ;   in Loop: Header=BB48_13 Depth=1
	s_waitcnt lgkmcnt(0)
	global_store_short v[0:1], v2, off offset:1920
	s_branch .LBB48_12
.LBB48_298:
	s_endpgm
	.section	.rodata,"a",@progbits
	.p2align	6, 0x0
	.amdhsa_kernel _Z25selective_scan_fwd_kernelI32Selective_Scan_fwd_kernel_traitsILi64ELi16ELi1ELb1ELb1ELb1ELb1ELb1EN3c108BFloat16EffEEv13SSMParamsBase
		.amdhsa_group_segment_fixed_size 0
		.amdhsa_private_segment_fixed_size 332
		.amdhsa_kernarg_size 248
		.amdhsa_user_sgpr_count 2
		.amdhsa_user_sgpr_dispatch_ptr 0
		.amdhsa_user_sgpr_queue_ptr 0
		.amdhsa_user_sgpr_kernarg_segment_ptr 1
		.amdhsa_user_sgpr_dispatch_id 0
		.amdhsa_user_sgpr_kernarg_preload_length 0
		.amdhsa_user_sgpr_kernarg_preload_offset 0
		.amdhsa_user_sgpr_private_segment_size 0
		.amdhsa_uses_dynamic_stack 0
		.amdhsa_enable_private_segment 1
		.amdhsa_system_sgpr_workgroup_id_x 1
		.amdhsa_system_sgpr_workgroup_id_y 1
		.amdhsa_system_sgpr_workgroup_id_z 0
		.amdhsa_system_sgpr_workgroup_info 0
		.amdhsa_system_vgpr_workitem_id 0
		.amdhsa_next_free_vgpr 96
		.amdhsa_next_free_sgpr 100
		.amdhsa_accum_offset 96
		.amdhsa_reserve_vcc 1
		.amdhsa_float_round_mode_32 0
		.amdhsa_float_round_mode_16_64 0
		.amdhsa_float_denorm_mode_32 3
		.amdhsa_float_denorm_mode_16_64 3
		.amdhsa_dx10_clamp 1
		.amdhsa_ieee_mode 1
		.amdhsa_fp16_overflow 0
		.amdhsa_tg_split 0
		.amdhsa_exception_fp_ieee_invalid_op 0
		.amdhsa_exception_fp_denorm_src 0
		.amdhsa_exception_fp_ieee_div_zero 0
		.amdhsa_exception_fp_ieee_overflow 0
		.amdhsa_exception_fp_ieee_underflow 0
		.amdhsa_exception_fp_ieee_inexact 0
		.amdhsa_exception_int_div_zero 0
	.end_amdhsa_kernel
	.section	.text._Z25selective_scan_fwd_kernelI32Selective_Scan_fwd_kernel_traitsILi64ELi16ELi1ELb1ELb1ELb1ELb1ELb1EN3c108BFloat16EffEEv13SSMParamsBase,"axG",@progbits,_Z25selective_scan_fwd_kernelI32Selective_Scan_fwd_kernel_traitsILi64ELi16ELi1ELb1ELb1ELb1ELb1ELb1EN3c108BFloat16EffEEv13SSMParamsBase,comdat
.Lfunc_end48:
	.size	_Z25selective_scan_fwd_kernelI32Selective_Scan_fwd_kernel_traitsILi64ELi16ELi1ELb1ELb1ELb1ELb1ELb1EN3c108BFloat16EffEEv13SSMParamsBase, .Lfunc_end48-_Z25selective_scan_fwd_kernelI32Selective_Scan_fwd_kernel_traitsILi64ELi16ELi1ELb1ELb1ELb1ELb1ELb1EN3c108BFloat16EffEEv13SSMParamsBase
                                        ; -- End function
	.section	.AMDGPU.csdata,"",@progbits
; Kernel info:
; codeLenInByte = 27464
; NumSgprs: 106
; NumVgprs: 96
; NumAgprs: 0
; TotalNumVgprs: 96
; ScratchSize: 332
; MemoryBound: 0
; FloatMode: 240
; IeeeMode: 1
; LDSByteSize: 0 bytes/workgroup (compile time only)
; SGPRBlocks: 13
; VGPRBlocks: 11
; NumSGPRsForWavesPerEU: 106
; NumVGPRsForWavesPerEU: 96
; AccumOffset: 96
; Occupancy: 5
; WaveLimiterHint : 1
; COMPUTE_PGM_RSRC2:SCRATCH_EN: 1
; COMPUTE_PGM_RSRC2:USER_SGPR: 2
; COMPUTE_PGM_RSRC2:TRAP_HANDLER: 0
; COMPUTE_PGM_RSRC2:TGID_X_EN: 1
; COMPUTE_PGM_RSRC2:TGID_Y_EN: 1
; COMPUTE_PGM_RSRC2:TGID_Z_EN: 0
; COMPUTE_PGM_RSRC2:TIDIG_COMP_CNT: 0
; COMPUTE_PGM_RSRC3_GFX90A:ACCUM_OFFSET: 23
; COMPUTE_PGM_RSRC3_GFX90A:TG_SPLIT: 0
	.section	.text._Z25selective_scan_fwd_kernelI32Selective_Scan_fwd_kernel_traitsILi64ELi16ELi1ELb1ELb1ELb1ELb1ELb0EN3c108BFloat16EffEEv13SSMParamsBase,"axG",@progbits,_Z25selective_scan_fwd_kernelI32Selective_Scan_fwd_kernel_traitsILi64ELi16ELi1ELb1ELb1ELb1ELb1ELb0EN3c108BFloat16EffEEv13SSMParamsBase,comdat
	.protected	_Z25selective_scan_fwd_kernelI32Selective_Scan_fwd_kernel_traitsILi64ELi16ELi1ELb1ELb1ELb1ELb1ELb0EN3c108BFloat16EffEEv13SSMParamsBase ; -- Begin function _Z25selective_scan_fwd_kernelI32Selective_Scan_fwd_kernel_traitsILi64ELi16ELi1ELb1ELb1ELb1ELb1ELb0EN3c108BFloat16EffEEv13SSMParamsBase
	.globl	_Z25selective_scan_fwd_kernelI32Selective_Scan_fwd_kernel_traitsILi64ELi16ELi1ELb1ELb1ELb1ELb1ELb0EN3c108BFloat16EffEEv13SSMParamsBase
	.p2align	8
	.type	_Z25selective_scan_fwd_kernelI32Selective_Scan_fwd_kernel_traitsILi64ELi16ELi1ELb1ELb1ELb1ELb1ELb0EN3c108BFloat16EffEEv13SSMParamsBase,@function
_Z25selective_scan_fwd_kernelI32Selective_Scan_fwd_kernel_traitsILi64ELi16ELi1ELb1ELb1ELb1ELb1ELb0EN3c108BFloat16EffEEv13SSMParamsBase: ; @_Z25selective_scan_fwd_kernelI32Selective_Scan_fwd_kernel_traitsILi64ELi16ELi1ELb1ELb1ELb1ELb1ELb0EN3c108BFloat16EffEEv13SSMParamsBase
; %bb.0:
	s_load_dword s37, s[0:1], 0x18
	s_load_dwordx4 s[4:7], s[0:1], 0xe8
	s_mov_b32 s28, s3
	s_waitcnt lgkmcnt(0)
	s_abs_i32 s36, s37
	v_cvt_f32_u32_e32 v1, s36
	s_cmp_eq_u64 s[6:7], 0
	v_rcp_iflag_f32_e32 v1, v1
	s_nop 0
	v_mul_f32_e32 v1, 0x4f7ffffe, v1
	v_cvt_u32_f32_e32 v1, v1
	s_nop 0
	v_readfirstlane_b32 s24, v1
	s_cbranch_scc1 .LBB49_3
; %bb.1:
	s_ashr_i32 s3, s2, 31
	s_add_u32 s6, s6, s2
	s_addc_u32 s7, s7, s3
	v_mov_b32_e32 v1, 0
	global_load_ubyte v1, v1, s[6:7]
	s_waitcnt vmcnt(0)
	v_and_b32_e32 v1, 1, v1
	v_cmp_eq_u32_e64 s[58:59], 1, v1
	s_load_dwordx2 s[6:7], s[0:1], 0x20
	s_cmp_eq_u64 s[4:5], 0
	s_cbranch_scc1 .LBB49_4
.LBB49_2:
	s_ashr_i32 s3, s2, 31
	s_lshl_b64 s[8:9], s[2:3], 2
	s_add_u32 s4, s4, s8
	s_addc_u32 s5, s5, s9
	s_load_dword s34, s[4:5], 0x0
	s_waitcnt lgkmcnt(0)
	s_ashr_i32 s35, s34, 31
	s_cmp_eq_u64 s[6:7], s[34:35]
	s_cbranch_scc0 .LBB49_5
	s_branch .LBB49_85
.LBB49_3:
	s_mov_b64 s[58:59], 0
	s_load_dwordx2 s[6:7], s[0:1], 0x20
	s_cmp_eq_u64 s[4:5], 0
	s_cbranch_scc0 .LBB49_2
.LBB49_4:
	s_mov_b32 s34, s2
	s_ashr_i32 s35, s34, 31
	s_waitcnt lgkmcnt(0)
	s_cmp_eq_u64 s[6:7], s[34:35]
	s_cbranch_scc1 .LBB49_85
.LBB49_5:
	s_load_dwordx16 s[4:19], s[0:1], 0x88
	s_load_dwordx2 s[38:39], s[0:1], 0x8
	s_mov_b32 s33, 0
	s_mov_b32 s98, 0
	s_waitcnt lgkmcnt(0)
	s_cmp_eq_u64 s[10:11], 0
	s_cbranch_scc1 .LBB49_7
; %bb.6:
	s_ashr_i32 s29, s28, 31
	s_lshl_b64 s[20:21], s[28:29], 2
	s_add_u32 s10, s10, s20
	s_addc_u32 s11, s11, s21
	s_load_dword s98, s[10:11], 0x0
.LBB49_7:
	s_cmp_eq_u64 s[16:17], 0
	s_cbranch_scc1 .LBB49_9
; %bb.8:
	s_ashr_i32 s29, s28, 31
	s_lshl_b64 s[10:11], s[28:29], 2
	s_add_u32 s10, s16, s10
	s_addc_u32 s11, s17, s11
	s_load_dword s33, s[10:11], 0x0
.LBB49_9:
	s_cmp_lt_i32 s38, 1
	s_cbranch_scc1 .LBB49_85
; %bb.10:
	s_sub_i32 s3, 0, s36
	s_mul_i32 s3, s3, s24
	s_mul_hi_u32 s3, s24, s3
	s_abs_i32 s16, s28
	s_add_i32 s3, s24, s3
	s_load_dwordx8 s[60:67], s[0:1], 0x2c
	s_load_dwordx2 s[10:11], s[0:1], 0x7c
	s_load_dwordx4 s[20:23], s[0:1], 0x6c
	s_load_dwordx8 s[68:75], s[0:1], 0x4c
	s_load_dwordx2 s[30:31], s[0:1], 0xd8
	s_load_dwordx4 s[24:27], s[0:1], 0xc8
	s_load_dword s99, s[0:1], 0x84
	s_mul_hi_u32 s3, s16, s3
	s_load_dword s17, s[0:1], 0x28
	s_ashr_i32 s0, s28, 31
	s_ashr_i32 s1, s37, 31
	s_xor_b32 s0, s0, s1
	s_mul_i32 s1, s3, s36
	s_sub_i32 s1, s16, s1
	s_add_i32 s16, s3, 1
	s_sub_i32 s29, s1, s36
	s_cmp_ge_u32 s1, s36
	s_cselect_b32 s3, s16, s3
	s_cselect_b32 s1, s29, s1
	s_add_i32 s16, s3, 1
	s_cmp_ge_u32 s1, s36
	s_cselect_b32 s1, s16, s3
	s_xor_b32 s1, s1, s0
	s_waitcnt lgkmcnt(0)
	s_mul_i32 s78, s70, s2
	s_mov_b32 s79, 0
	s_sub_i32 s3, s1, s0
	s_lshl_b64 s[0:1], s[78:79], 1
	s_add_u32 s12, s12, s0
	s_mul_i32 s78, s71, s28
	s_addc_u32 s13, s13, s1
	s_lshl_b64 s[0:1], s[78:79], 1
	s_add_u32 s70, s12, s0
	s_mul_i32 s78, s72, s2
	s_addc_u32 s71, s13, s1
	;; [unrolled: 4-line block ×10, first 2 shown]
	s_lshl_b64 s[0:1], s[78:79], 2
	s_add_u32 s65, s3, s0
	s_addc_u32 s69, s4, s1
	s_add_i32 s0, s38, 0x7ff
	s_lshr_b32 s1, s0, 11
	s_bitcmp1_b32 s17, 0
	s_cselect_b64 s[80:81], -1, 0
	s_cmp_gt_i32 s39, 0
	s_cselect_b64 s[4:5], -1, 0
                                        ; implicit-def: $vgpr95 : SGPR spill to VGPR lane
	s_mul_i32 s78, s20, s2
	v_writelane_b32 v95, s4, 0
	v_mbcnt_lo_u32_b32 v1, -1, 0
	v_mbcnt_hi_u32_b32 v2, -1, v1
	v_writelane_b32 v95, s5, 1
	s_add_i32 s4, 0, 0x840
	v_writelane_b32 v95, s38, 2
	s_and_b32 s0, s38, 0x3ff
	s_cmp_eq_u32 s0, 0
	v_writelane_b32 v95, s39, 3
	s_cselect_b64 s[84:85], -1, 0
	v_writelane_b32 v95, s1, 4
	s_add_i32 s0, s1, -1
	v_writelane_b32 v95, s0, 5
	s_lshl_b64 s[0:1], s[78:79], 1
	s_movk_i32 s3, 0x80
	s_add_u32 s16, s18, s0
	s_addc_u32 s17, s19, s1
	v_cmp_gt_u32_e64 s[0:1], s3, v2
	v_add_u32_e32 v1, 64, v2
	v_lshrrev_b32_e32 v3, 5, v2
	v_writelane_b32 v95, s0, 6
	v_add_u32_e32 v3, v3, v2
	v_lshl_add_u32 v3, v3, 4, 0
	v_writelane_b32 v95, s1, 7
	v_cmp_gt_u32_e64 s[0:1], s3, v1
	v_lshrrev_b32_e32 v1, 5, v1
	v_add_lshl_u32 v1, v1, v2, 4
	scratch_store_dword off, v3, off        ; 4-byte Folded Spill
	v_add_u32_e32 v3, 0, v1
	scratch_store_dword off, v3, off offset:4 ; 4-byte Folded Spill
	v_lshlrev_b32_e32 v3, 1, v2
	v_bfe_u32 v4, v2, 4, 27
	v_add_lshl_u32 v3, v4, v3, 4
	v_add_u32_e32 v1, s4, v1
	scratch_store_dword off, v1, off offset:44 ; 4-byte Folded Spill
	v_add_u32_e32 v1, s4, v3
	scratch_store_dword off, v1, off offset:48 ; 4-byte Folded Spill
	v_and_b32_e32 v1, 15, v2
	v_cmp_ne_u32_e64 s[4:5], 0, v1
	v_cmp_lt_u32_e64 s[6:7], 1, v1
	v_cmp_lt_u32_e64 s[8:9], 3, v1
	;; [unrolled: 1-line block ×3, first 2 shown]
	v_and_b32_e32 v1, 16, v2
	v_add_u32_e32 v4, 0, v3
	v_cmp_ne_u32_e64 s[12:13], 0, v1
	v_add_u32_e32 v1, -1, v2
	v_and_b32_e32 v3, 64, v2
	v_cmp_lt_i32_e32 vcc, v1, v3
	scratch_store_dword off, v4, off offset:8 ; 4-byte Folded Spill
	v_lshlrev_b32_e32 v4, 4, v0
	v_cndmask_b32_e32 v1, v1, v2, vcc
	v_lshlrev_b32_e32 v1, 2, v1
	scratch_store_dword off, v1, off offset:52 ; 4-byte Folded Spill
	v_or_b32_e32 v1, 1, v4
	v_writelane_b32 v95, s0, 8
	s_mul_i32 s78, s21, s28
	scratch_store_dword off, v1, off offset:188 ; 4-byte Folded Spill
	v_or_b32_e32 v1, 2, v4
	v_writelane_b32 v95, s1, 9
	s_lshl_b64 s[0:1], s[78:79], 1
	scratch_store_dword off, v1, off offset:192 ; 4-byte Folded Spill
	v_or_b32_e32 v1, 3, v4
	s_add_u32 s0, s16, s0
	s_mul_i32 s78, s74, s2
	scratch_store_dword off, v1, off offset:196 ; 4-byte Folded Spill
	v_or_b32_e32 v1, 4, v4
	s_addc_u32 s1, s17, s1
	s_lshl_b64 s[16:17], s[78:79], 1
	scratch_store_dword off, v1, off offset:200 ; 4-byte Folded Spill
	v_or_b32_e32 v1, 5, v4
	v_mov_b32_e32 v43, 0
	s_add_u32 s3, s26, s16
	v_lshlrev_b32_e32 v42, 4, v2
	s_mul_i32 s78, s75, s28
	scratch_store_dword off, v1, off offset:204 ; 4-byte Folded Spill
	v_or_b32_e32 v1, 6, v4
	s_addc_u32 s20, s27, s17
	v_lshl_add_u64 v[6:7], s[0:1], 0, v[42:43]
	s_lshl_b64 s[0:1], s[78:79], 1
	scratch_store_dword off, v1, off offset:208 ; 4-byte Folded Spill
	v_or_b32_e32 v1, 7, v4
	s_add_u32 s0, s3, s0
	s_mul_i32 s78, s22, s2
	scratch_store_dword off, v1, off offset:212 ; 4-byte Folded Spill
	v_or_b32_e32 v1, 8, v4
	s_addc_u32 s1, s20, s1
	s_lshl_b64 s[2:3], s[78:79], 1
	scratch_store_dword off, v1, off offset:216 ; 4-byte Folded Spill
	v_or_b32_e32 v1, 9, v4
	s_add_u32 s20, s30, s2
	s_mul_i32 s78, s23, s28
	scratch_store_dword off, v1, off offset:220 ; 4-byte Folded Spill
	v_or_b32_e32 v1, 10, v4
	s_addc_u32 s21, s31, s3
	s_lshl_b64 s[2:3], s[78:79], 1
	scratch_store_dword off, v1, off offset:224 ; 4-byte Folded Spill
	v_or_b32_e32 v1, 11, v4
	s_add_u32 s2, s20, s2
	scratch_store_dword off, v1, off offset:228 ; 4-byte Folded Spill
	v_or_b32_e32 v1, 12, v4
	scratch_store_dwordx2 off, v[6:7], off offset:160 ; 8-byte Folded Spill
	s_addc_u32 s3, s21, s3
	v_lshl_add_u64 v[6:7], s[0:1], 0, v[42:43]
	scratch_store_dword off, v1, off offset:232 ; 4-byte Folded Spill
	v_or_b32_e32 v1, 13, v4
	scratch_store_dwordx2 off, v[6:7], off offset:168 ; 8-byte Folded Spill
	v_lshl_add_u64 v[6:7], s[2:3], 0, v[42:43]
	scratch_store_dword off, v1, off offset:236 ; 4-byte Folded Spill
	v_or_b32_e32 v1, 14, v4
	s_add_i32 s0, 0, 0x1088
	v_cmp_lt_u32_e64 s[14:15], 31, v2
	v_cmp_eq_u32_e64 s[16:17], 63, v0
	v_cmp_gt_u32_e64 s[18:19], 64, v0
	scratch_store_dwordx2 off, v[6:7], off offset:176 ; 8-byte Folded Spill
	scratch_store_dword off, v1, off offset:240 ; 4-byte Folded Spill
	scratch_store_dword off, v4, off offset:184 ; 4-byte Folded Spill
	v_or_b32_e32 v1, 15, v4
	s_mov_b32 s26, 0x3fb8aa3b
	s_mov_b32 s27, 0xc2ce8ed0
	;; [unrolled: 1-line block ×5, first 2 shown]
	v_mov_b32_e32 v22, 0x3ecc95a3
	s_mov_b32 s31, 0x3f317218
	s_mov_b32 s34, 0x33800000
	v_writelane_b32 v95, s0, 10
	s_mov_b32 s77, 0xc2fc0000
	s_movk_i32 s0, 0x7fff
	s_mov_b32 s56, 0xbfb8aa3b
	s_mov_b32 s57, 0x42ce8ed0
	;; [unrolled: 1-line block ×3, first 2 shown]
	v_lshlrev_b32_e32 v42, 4, v2
	v_mov_b32_e32 v23, 0x7f800000
	v_mov_b32_e32 v28, 0x3f317218
	;; [unrolled: 1-line block ×4, first 2 shown]
                                        ; implicit-def: $vgpr2_vgpr3
	s_mov_b32 s82, 0
	v_cmp_eq_u32_e64 s[20:21], 0, v0
	scratch_store_dword off, v1, off offset:244 ; 4-byte Folded Spill
                                        ; implicit-def: $vgpr1
	scratch_store_dwordx4 off, v[2:5], off offset:120 ; 16-byte Folded Spill
                                        ; implicit-def: $vgpr2_vgpr3
	scratch_store_dwordx4 off, v[2:5], off offset:104 ; 16-byte Folded Spill
                                        ; implicit-def: $vgpr2_vgpr3
	scratch_store_dwordx4 off, v[2:5], off offset:56 ; 16-byte Folded Spill
                                        ; implicit-def: $vgpr34_vgpr35
                                        ; implicit-def: $vgpr2_vgpr3
	scratch_store_dwordx4 off, v[2:5], off offset:88 ; 16-byte Folded Spill
                                        ; implicit-def: $vgpr2_vgpr3
	scratch_store_dwordx4 off, v[2:5], off offset:72 ; 16-byte Folded Spill
	s_branch .LBB49_12
.LBB49_11:                              ;   in Loop: Header=BB49_12 Depth=1
	s_or_b64 exec, exec, s[22:23]
	scratch_load_dword v19, off, off        ; 4-byte Folded Reload
	scratch_load_dword v20, off, off offset:4 ; 4-byte Folded Reload
	v_mov_b32_e32 v24, 0x7f800000
	v_mov_b32_e32 v25, 0x7fc0
	s_add_u32 s72, s72, 0x800
	s_addc_u32 s73, s73, 0
	s_add_u32 s70, s70, 0x800
	s_addc_u32 s71, s71, 0
	;; [unrolled: 2-line block ×4, first 2 shown]
	s_add_i32 s82, s82, 1
	v_mov_b32_e32 v23, 0x7f800000
	s_waitcnt vmcnt(1)
	ds_write_b128 v19, v[6:9]
	s_waitcnt vmcnt(0)
	ds_write_b128 v20, v[2:5] offset:1024
	; wave barrier
	scratch_load_dword v21, off, off offset:8 ; 4-byte Folded Reload
	s_waitcnt vmcnt(0)
	ds_read_b128 v[38:41], v21
	ds_read_b128 v[30:33], v21 offset:16
	s_waitcnt lgkmcnt(0)
	; wave barrier
	s_waitcnt lgkmcnt(0)
	v_and_b32_e32 v6, 0xffff0000, v39
	v_mul_f32_e32 v2, 0xbfb8aa3b, v6
	v_fma_f32 v3, v6, s56, -v2
	v_rndne_f32_e32 v4, v2
	v_fmac_f32_e32 v3, 0xb2a5705f, v6
	v_sub_f32_e32 v2, v2, v4
	v_add_f32_e32 v2, v2, v3
	v_exp_f32_e32 v2, v2
	v_cvt_i32_f32_e32 v3, v4
	v_and_b32_e32 v7, 0xffff0000, v38
	v_cmp_nlt_f32_e32 vcc, s57, v6
	v_lshlrev_b32_e32 v9, 16, v39
	v_ldexp_f32 v2, v2, v3
	v_mul_f32_e32 v3, 0xbfb8aa3b, v7
	v_fma_f32 v4, v7, s56, -v3
	v_rndne_f32_e32 v5, v3
	v_fmac_f32_e32 v4, 0xb2a5705f, v7
	v_sub_f32_e32 v3, v3, v5
	v_add_f32_e32 v3, v3, v4
	v_exp_f32_e32 v4, v3
	v_cvt_i32_f32_e32 v5, v5
	v_cndmask_b32_e32 v2, 0, v2, vcc
	v_cmp_ngt_f32_e32 vcc, s83, v6
	v_lshlrev_b32_e32 v8, 16, v38
	scratch_store_dwordx4 off, v[38:41], off offset:120 ; 16-byte Folded Spill
	v_cndmask_b32_e32 v3, v24, v2, vcc
	v_ldexp_f32 v2, v4, v5
	v_mul_f32_e32 v4, 0xbfb8aa3b, v9
	v_rndne_f32_e32 v5, v4
	v_sub_f32_e32 v10, v4, v5
	v_fma_f32 v4, v9, s56, -v4
	v_fmac_f32_e32 v4, 0xb2a5705f, v9
	v_add_f32_e32 v4, v10, v4
	v_exp_f32_e32 v4, v4
	v_cvt_i32_f32_e32 v10, v5
	v_cmp_nlt_f32_e32 vcc, s57, v7
	scratch_store_dwordx4 off, v[30:33], off offset:104 ; 16-byte Folded Spill
	s_nop 0
	v_cndmask_b32_e32 v2, 0, v2, vcc
	v_cmp_ngt_f32_e32 vcc, s83, v7
	s_nop 1
	v_cndmask_b32_e32 v5, v24, v2, vcc
	v_ldexp_f32 v2, v4, v10
	v_mul_f32_e32 v4, 0xbfb8aa3b, v8
	v_rndne_f32_e32 v10, v4
	v_sub_f32_e32 v11, v4, v10
	v_fma_f32 v4, v8, s56, -v4
	v_fmac_f32_e32 v4, 0xb2a5705f, v8
	v_add_f32_e32 v4, v11, v4
	v_exp_f32_e32 v4, v4
	v_cvt_i32_f32_e32 v10, v10
	v_cmp_nlt_f32_e32 vcc, s57, v9
	v_ldexp_f32 v4, v4, v10
	s_nop 0
	v_cndmask_b32_e32 v2, 0, v2, vcc
	v_cmp_ngt_f32_e32 vcc, s83, v9
	s_nop 1
	v_cndmask_b32_e32 v2, v24, v2, vcc
	v_pk_add_f32 v[2:3], v[2:3], 1.0 op_sel_hi:[1,0]
	v_cmp_nlt_f32_e32 vcc, s57, v8
	v_div_scale_f32 v10, s[22:23], v3, v3, v6
	v_rcp_f32_e32 v11, v10
	v_cndmask_b32_e32 v4, 0, v4, vcc
	v_cmp_ngt_f32_e32 vcc, s83, v8
	v_fma_f32 v12, -v10, v11, 1.0
	s_nop 0
	v_cndmask_b32_e32 v4, v24, v4, vcc
	v_fmac_f32_e32 v11, v12, v11
	v_div_scale_f32 v12, vcc, v6, v3, v6
	v_mul_f32_e32 v13, v12, v11
	v_fma_f32 v14, -v10, v13, v12
	v_fmac_f32_e32 v13, v14, v11
	v_fma_f32 v10, -v10, v13, v12
	v_div_scale_f32 v12, s[22:23], v2, v2, v9
	v_rcp_f32_e32 v14, v12
	v_div_fmas_f32 v10, v10, v11, v13
	v_div_fixup_f32 v3, v10, v3, v6
	v_pk_add_f32 v[4:5], v[4:5], 1.0 op_sel_hi:[1,0]
	v_fma_f32 v6, -v12, v14, 1.0
	v_fmac_f32_e32 v14, v6, v14
	v_div_scale_f32 v6, vcc, v9, v2, v9
	v_mul_f32_e32 v10, v6, v14
	v_fma_f32 v11, -v12, v10, v6
	v_fmac_f32_e32 v10, v11, v14
	v_div_scale_f32 v11, s[22:23], v5, v5, v7
	v_fma_f32 v6, -v12, v10, v6
	v_rcp_f32_e32 v12, v11
	v_div_fmas_f32 v6, v6, v14, v10
	v_div_fixup_f32 v2, v6, v2, v9
	v_pk_mul_f32 v[2:3], v[62:63], v[2:3]
	v_fma_f32 v6, -v11, v12, 1.0
	v_fmac_f32_e32 v12, v6, v12
	v_div_scale_f32 v6, vcc, v7, v5, v7
	v_mul_f32_e32 v9, v6, v12
	v_fma_f32 v10, -v11, v9, v6
	v_fmac_f32_e32 v9, v10, v12
	v_div_scale_f32 v10, s[22:23], v4, v4, v8
	v_fma_f32 v6, -v11, v9, v6
	v_rcp_f32_e32 v11, v10
	v_div_fmas_f32 v6, v6, v12, v9
	v_div_fixup_f32 v5, v6, v5, v7
	v_lshlrev_b32_e32 v13, 16, v41
	v_fma_f32 v6, -v10, v11, 1.0
	v_fmac_f32_e32 v11, v6, v11
	v_div_scale_f32 v6, vcc, v8, v4, v8
	v_mul_f32_e32 v7, v6, v11
	v_fma_f32 v9, -v10, v7, v6
	v_fmac_f32_e32 v7, v9, v11
	v_fma_f32 v6, -v10, v7, v6
	v_div_fmas_f32 v6, v6, v11, v7
	v_div_fixup_f32 v4, v6, v4, v8
	v_pk_mul_f32 v[4:5], v[64:65], v[4:5]
	v_bfe_u32 v8, v2, 16, 1
	v_bfe_u32 v6, v4, 16, 1
	;; [unrolled: 1-line block ×3, first 2 shown]
	v_add3_u32 v6, v4, v6, s0
	v_add3_u32 v7, v5, v7, s0
	v_lshrrev_b32_e32 v6, 16, v6
	v_cmp_o_f32_e32 vcc, v4, v4
	v_add3_u32 v8, v2, v8, s0
	v_lshrrev_b32_e32 v7, 16, v7
	v_cndmask_b32_e32 v6, v25, v6, vcc
	v_cmp_o_f32_e32 vcc, v5, v5
	v_and_b32_e32 v10, 0xffff0000, v41
	v_bfe_u32 v9, v3, 16, 1
	v_lshrrev_b32_e32 v8, 16, v8
	v_cndmask_b32_e32 v7, v25, v7, vcc
	v_cmp_o_f32_e32 vcc, v2, v2
	v_mul_f32_e32 v2, 0xbfb8aa3b, v10
	v_add3_u32 v9, v3, v9, s0
	v_cndmask_b32_e32 v8, v25, v8, vcc
	v_cmp_o_f32_e32 vcc, v3, v3
	v_fma_f32 v3, v10, s56, -v2
	v_rndne_f32_e32 v4, v2
	v_fmac_f32_e32 v3, 0xb2a5705f, v10
	v_sub_f32_e32 v2, v2, v4
	v_add_f32_e32 v2, v2, v3
	v_exp_f32_e32 v2, v2
	v_cvt_i32_f32_e32 v3, v4
	v_and_b32_e32 v11, 0xffff0000, v40
	v_lshrrev_b32_e32 v9, 16, v9
	v_cndmask_b32_e32 v9, v25, v9, vcc
	v_ldexp_f32 v2, v2, v3
	v_mul_f32_e32 v3, 0xbfb8aa3b, v11
	v_fma_f32 v4, v11, s56, -v3
	v_rndne_f32_e32 v5, v3
	v_fmac_f32_e32 v4, 0xb2a5705f, v11
	v_sub_f32_e32 v3, v3, v5
	v_add_f32_e32 v3, v3, v4
	v_exp_f32_e32 v4, v3
	v_cvt_i32_f32_e32 v5, v5
	v_cmp_nlt_f32_e32 vcc, s57, v10
	v_lshlrev_b32_e32 v12, 16, v40
	s_nop 0
	v_cndmask_b32_e32 v2, 0, v2, vcc
	v_cmp_ngt_f32_e32 vcc, s83, v10
	s_nop 1
	v_cndmask_b32_e32 v3, v24, v2, vcc
	v_ldexp_f32 v2, v4, v5
	v_mul_f32_e32 v4, 0xbfb8aa3b, v13
	v_rndne_f32_e32 v5, v4
	v_sub_f32_e32 v14, v4, v5
	v_fma_f32 v4, v13, s56, -v4
	v_fmac_f32_e32 v4, 0xb2a5705f, v13
	v_add_f32_e32 v4, v14, v4
	v_exp_f32_e32 v4, v4
	v_cvt_i32_f32_e32 v14, v5
	v_cmp_nlt_f32_e32 vcc, s57, v11
	s_nop 1
	v_cndmask_b32_e32 v2, 0, v2, vcc
	v_cmp_ngt_f32_e32 vcc, s83, v11
	s_nop 1
	v_cndmask_b32_e32 v5, v24, v2, vcc
	v_ldexp_f32 v2, v4, v14
	v_mul_f32_e32 v4, 0xbfb8aa3b, v12
	v_rndne_f32_e32 v14, v4
	v_sub_f32_e32 v15, v4, v14
	v_fma_f32 v4, v12, s56, -v4
	v_fmac_f32_e32 v4, 0xb2a5705f, v12
	v_add_f32_e32 v4, v15, v4
	v_exp_f32_e32 v4, v4
	v_cvt_i32_f32_e32 v14, v14
	v_cmp_nlt_f32_e32 vcc, s57, v13
	v_ldexp_f32 v4, v4, v14
	s_nop 0
	v_cndmask_b32_e32 v2, 0, v2, vcc
	v_cmp_ngt_f32_e32 vcc, s83, v13
	s_nop 1
	v_cndmask_b32_e32 v2, v24, v2, vcc
	v_pk_add_f32 v[2:3], v[2:3], 1.0 op_sel_hi:[1,0]
	v_cmp_nlt_f32_e32 vcc, s57, v12
	v_div_scale_f32 v14, s[22:23], v3, v3, v10
	v_rcp_f32_e32 v15, v14
	v_cndmask_b32_e32 v4, 0, v4, vcc
	v_cmp_ngt_f32_e32 vcc, s83, v12
	v_fma_f32 v16, -v14, v15, 1.0
	s_nop 0
	v_cndmask_b32_e32 v4, v24, v4, vcc
	v_fmac_f32_e32 v15, v16, v15
	v_div_scale_f32 v16, vcc, v10, v3, v10
	v_mul_f32_e32 v17, v16, v15
	v_fma_f32 v18, -v14, v17, v16
	v_fmac_f32_e32 v17, v18, v15
	v_fma_f32 v14, -v14, v17, v16
	v_div_scale_f32 v16, s[22:23], v2, v2, v13
	v_rcp_f32_e32 v18, v16
	v_div_fmas_f32 v14, v14, v15, v17
	v_div_fixup_f32 v3, v14, v3, v10
	v_pk_add_f32 v[4:5], v[4:5], 1.0 op_sel_hi:[1,0]
	v_fma_f32 v10, -v16, v18, 1.0
	v_fmac_f32_e32 v18, v10, v18
	v_div_scale_f32 v10, vcc, v13, v2, v13
	v_mul_f32_e32 v14, v10, v18
	v_fma_f32 v15, -v16, v14, v10
	v_fmac_f32_e32 v14, v15, v18
	v_div_scale_f32 v15, s[22:23], v5, v5, v11
	v_fma_f32 v10, -v16, v14, v10
	v_rcp_f32_e32 v16, v15
	v_div_fmas_f32 v10, v10, v18, v14
	v_div_fixup_f32 v2, v10, v2, v13
	v_pk_mul_f32 v[2:3], v[58:59], v[2:3]
	v_fma_f32 v10, -v15, v16, 1.0
	v_fmac_f32_e32 v16, v10, v16
	v_div_scale_f32 v10, vcc, v11, v5, v11
	v_mul_f32_e32 v13, v10, v16
	v_fma_f32 v14, -v15, v13, v10
	v_fmac_f32_e32 v13, v14, v16
	v_div_scale_f32 v14, s[22:23], v4, v4, v12
	v_fma_f32 v10, -v15, v13, v10
	v_rcp_f32_e32 v15, v14
	v_div_fmas_f32 v10, v10, v16, v13
	v_div_fixup_f32 v5, v10, v5, v11
	v_fma_f32 v10, -v14, v15, 1.0
	v_fmac_f32_e32 v15, v10, v15
	v_div_scale_f32 v10, vcc, v12, v4, v12
	v_mul_f32_e32 v11, v10, v15
	v_fma_f32 v13, -v14, v11, v10
	v_fmac_f32_e32 v11, v13, v15
	v_fma_f32 v10, -v14, v11, v10
	v_div_fmas_f32 v10, v10, v15, v11
	v_div_fixup_f32 v4, v10, v4, v12
	v_pk_mul_f32 v[4:5], v[60:61], v[4:5]
	v_bfe_u32 v12, v2, 16, 1
	v_bfe_u32 v10, v4, 16, 1
	;; [unrolled: 1-line block ×3, first 2 shown]
	v_add3_u32 v10, v4, v10, s0
	v_add3_u32 v11, v5, v11, s0
	v_lshrrev_b32_e32 v10, 16, v10
	v_cmp_o_f32_e32 vcc, v4, v4
	v_bfe_u32 v13, v3, 16, 1
	v_add3_u32 v12, v2, v12, s0
	v_lshrrev_b32_e32 v11, 16, v11
	v_cndmask_b32_e32 v4, v25, v10, vcc
	v_cmp_o_f32_e32 vcc, v5, v5
	v_add3_u32 v13, v3, v13, s0
	v_lshrrev_b32_e32 v12, 16, v12
	v_cndmask_b32_e32 v10, v25, v11, vcc
	v_cmp_o_f32_e32 vcc, v2, v2
	v_lshrrev_b32_e32 v13, 16, v13
	v_perm_b32 v4, v10, v4, s1
	v_cndmask_b32_e32 v2, v25, v12, vcc
	v_cmp_o_f32_e32 vcc, v3, v3
	s_nop 1
	v_cndmask_b32_e32 v3, v25, v13, vcc
	v_perm_b32 v5, v3, v2, s1
	v_perm_b32 v3, v9, v8, s1
	;; [unrolled: 1-line block ×3, first 2 shown]
	v_and_b32_e32 v6, 0xffff0000, v31
	ds_write_b128 v21, v[2:5]
	v_mul_f32_e32 v2, 0xbfb8aa3b, v6
	v_fma_f32 v3, v6, s56, -v2
	v_rndne_f32_e32 v4, v2
	v_fmac_f32_e32 v3, 0xb2a5705f, v6
	v_sub_f32_e32 v2, v2, v4
	v_add_f32_e32 v2, v2, v3
	v_exp_f32_e32 v2, v2
	v_cvt_i32_f32_e32 v3, v4
	v_and_b32_e32 v7, 0xffff0000, v30
	v_cmp_nlt_f32_e32 vcc, s57, v6
	v_lshlrev_b32_e32 v9, 16, v31
	v_ldexp_f32 v2, v2, v3
	v_mul_f32_e32 v3, 0xbfb8aa3b, v7
	v_fma_f32 v4, v7, s56, -v3
	v_rndne_f32_e32 v5, v3
	v_fmac_f32_e32 v4, 0xb2a5705f, v7
	v_sub_f32_e32 v3, v3, v5
	v_add_f32_e32 v3, v3, v4
	v_exp_f32_e32 v4, v3
	v_cvt_i32_f32_e32 v5, v5
	v_cndmask_b32_e32 v2, 0, v2, vcc
	v_cmp_ngt_f32_e32 vcc, s83, v6
	v_lshlrev_b32_e32 v8, 16, v30
	s_nop 0
	v_cndmask_b32_e32 v3, v24, v2, vcc
	v_ldexp_f32 v2, v4, v5
	v_mul_f32_e32 v4, 0xbfb8aa3b, v9
	v_rndne_f32_e32 v5, v4
	v_sub_f32_e32 v10, v4, v5
	v_fma_f32 v4, v9, s56, -v4
	v_fmac_f32_e32 v4, 0xb2a5705f, v9
	v_add_f32_e32 v4, v10, v4
	v_exp_f32_e32 v4, v4
	v_cvt_i32_f32_e32 v10, v5
	v_cmp_nlt_f32_e32 vcc, s57, v7
	s_nop 1
	v_cndmask_b32_e32 v2, 0, v2, vcc
	v_cmp_ngt_f32_e32 vcc, s83, v7
	s_nop 1
	v_cndmask_b32_e32 v5, v24, v2, vcc
	v_ldexp_f32 v2, v4, v10
	v_mul_f32_e32 v4, 0xbfb8aa3b, v8
	v_rndne_f32_e32 v10, v4
	v_sub_f32_e32 v11, v4, v10
	v_fma_f32 v4, v8, s56, -v4
	v_fmac_f32_e32 v4, 0xb2a5705f, v8
	v_add_f32_e32 v4, v11, v4
	v_exp_f32_e32 v4, v4
	v_cvt_i32_f32_e32 v10, v10
	v_cmp_nlt_f32_e32 vcc, s57, v9
	v_ldexp_f32 v4, v4, v10
	s_nop 0
	v_cndmask_b32_e32 v2, 0, v2, vcc
	v_cmp_ngt_f32_e32 vcc, s83, v9
	s_nop 1
	v_cndmask_b32_e32 v2, v24, v2, vcc
	v_pk_add_f32 v[2:3], v[2:3], 1.0 op_sel_hi:[1,0]
	v_cmp_nlt_f32_e32 vcc, s57, v8
	v_div_scale_f32 v10, s[22:23], v3, v3, v6
	v_rcp_f32_e32 v11, v10
	v_cndmask_b32_e32 v4, 0, v4, vcc
	v_cmp_ngt_f32_e32 vcc, s83, v8
	v_fma_f32 v12, -v10, v11, 1.0
	s_nop 0
	v_cndmask_b32_e32 v4, v24, v4, vcc
	v_fmac_f32_e32 v11, v12, v11
	v_div_scale_f32 v12, vcc, v6, v3, v6
	v_mul_f32_e32 v13, v12, v11
	v_fma_f32 v14, -v10, v13, v12
	v_fmac_f32_e32 v13, v14, v11
	v_fma_f32 v10, -v10, v13, v12
	v_div_scale_f32 v12, s[22:23], v2, v2, v9
	v_rcp_f32_e32 v14, v12
	v_div_fmas_f32 v10, v10, v11, v13
	v_div_fixup_f32 v3, v10, v3, v6
	v_pk_add_f32 v[4:5], v[4:5], 1.0 op_sel_hi:[1,0]
	v_fma_f32 v6, -v12, v14, 1.0
	v_fmac_f32_e32 v14, v6, v14
	v_div_scale_f32 v6, vcc, v9, v2, v9
	v_mul_f32_e32 v10, v6, v14
	v_fma_f32 v11, -v12, v10, v6
	v_fmac_f32_e32 v10, v11, v14
	v_div_scale_f32 v11, s[22:23], v5, v5, v7
	v_fma_f32 v6, -v12, v10, v6
	v_rcp_f32_e32 v12, v11
	v_div_fmas_f32 v6, v6, v14, v10
	v_div_fixup_f32 v2, v6, v2, v9
	v_pk_mul_f32 v[2:3], v[54:55], v[2:3]
	v_fma_f32 v6, -v11, v12, 1.0
	v_fmac_f32_e32 v12, v6, v12
	v_div_scale_f32 v6, vcc, v7, v5, v7
	v_mul_f32_e32 v9, v6, v12
	v_fma_f32 v10, -v11, v9, v6
	v_fmac_f32_e32 v9, v10, v12
	v_div_scale_f32 v10, s[22:23], v4, v4, v8
	v_fma_f32 v6, -v11, v9, v6
	v_rcp_f32_e32 v11, v10
	v_div_fmas_f32 v6, v6, v12, v9
	v_div_fixup_f32 v5, v6, v5, v7
	v_lshlrev_b32_e32 v13, 16, v33
	v_fma_f32 v6, -v10, v11, 1.0
	v_fmac_f32_e32 v11, v6, v11
	v_div_scale_f32 v6, vcc, v8, v4, v8
	v_mul_f32_e32 v7, v6, v11
	v_fma_f32 v9, -v10, v7, v6
	v_fmac_f32_e32 v7, v9, v11
	v_fma_f32 v6, -v10, v7, v6
	v_div_fmas_f32 v6, v6, v11, v7
	v_div_fixup_f32 v4, v6, v4, v8
	v_pk_mul_f32 v[4:5], v[56:57], v[4:5]
	v_bfe_u32 v8, v2, 16, 1
	v_bfe_u32 v6, v4, 16, 1
	;; [unrolled: 1-line block ×3, first 2 shown]
	v_add3_u32 v6, v4, v6, s0
	v_add3_u32 v7, v5, v7, s0
	v_lshrrev_b32_e32 v6, 16, v6
	v_cmp_o_f32_e32 vcc, v4, v4
	v_add3_u32 v8, v2, v8, s0
	v_lshrrev_b32_e32 v7, 16, v7
	v_cndmask_b32_e32 v6, v25, v6, vcc
	v_cmp_o_f32_e32 vcc, v5, v5
	v_and_b32_e32 v10, 0xffff0000, v33
	v_bfe_u32 v9, v3, 16, 1
	v_lshrrev_b32_e32 v8, 16, v8
	v_cndmask_b32_e32 v7, v25, v7, vcc
	v_cmp_o_f32_e32 vcc, v2, v2
	v_mul_f32_e32 v2, 0xbfb8aa3b, v10
	v_add3_u32 v9, v3, v9, s0
	v_cndmask_b32_e32 v8, v25, v8, vcc
	v_cmp_o_f32_e32 vcc, v3, v3
	v_fma_f32 v3, v10, s56, -v2
	v_rndne_f32_e32 v4, v2
	v_fmac_f32_e32 v3, 0xb2a5705f, v10
	v_sub_f32_e32 v2, v2, v4
	v_add_f32_e32 v2, v2, v3
	v_exp_f32_e32 v2, v2
	v_cvt_i32_f32_e32 v3, v4
	v_and_b32_e32 v11, 0xffff0000, v32
	v_lshrrev_b32_e32 v9, 16, v9
	v_cndmask_b32_e32 v9, v25, v9, vcc
	v_ldexp_f32 v2, v2, v3
	v_mul_f32_e32 v3, 0xbfb8aa3b, v11
	v_fma_f32 v4, v11, s56, -v3
	v_rndne_f32_e32 v5, v3
	v_fmac_f32_e32 v4, 0xb2a5705f, v11
	v_sub_f32_e32 v3, v3, v5
	v_add_f32_e32 v3, v3, v4
	v_exp_f32_e32 v4, v3
	v_cvt_i32_f32_e32 v5, v5
	v_cmp_nlt_f32_e32 vcc, s57, v10
	v_lshlrev_b32_e32 v12, 16, v32
	s_nop 0
	v_cndmask_b32_e32 v2, 0, v2, vcc
	v_cmp_ngt_f32_e32 vcc, s83, v10
	s_nop 1
	v_cndmask_b32_e32 v3, v24, v2, vcc
	v_ldexp_f32 v2, v4, v5
	v_mul_f32_e32 v4, 0xbfb8aa3b, v13
	v_rndne_f32_e32 v5, v4
	v_sub_f32_e32 v14, v4, v5
	v_fma_f32 v4, v13, s56, -v4
	v_fmac_f32_e32 v4, 0xb2a5705f, v13
	v_add_f32_e32 v4, v14, v4
	v_exp_f32_e32 v4, v4
	v_cvt_i32_f32_e32 v14, v5
	v_cmp_nlt_f32_e32 vcc, s57, v11
	s_nop 1
	v_cndmask_b32_e32 v2, 0, v2, vcc
	v_cmp_ngt_f32_e32 vcc, s83, v11
	s_nop 1
	v_cndmask_b32_e32 v5, v24, v2, vcc
	v_ldexp_f32 v2, v4, v14
	v_mul_f32_e32 v4, 0xbfb8aa3b, v12
	v_rndne_f32_e32 v14, v4
	v_sub_f32_e32 v15, v4, v14
	v_fma_f32 v4, v12, s56, -v4
	v_fmac_f32_e32 v4, 0xb2a5705f, v12
	v_add_f32_e32 v4, v15, v4
	v_exp_f32_e32 v4, v4
	v_cvt_i32_f32_e32 v14, v14
	v_cmp_nlt_f32_e32 vcc, s57, v13
	v_ldexp_f32 v4, v4, v14
	s_nop 0
	v_cndmask_b32_e32 v2, 0, v2, vcc
	v_cmp_ngt_f32_e32 vcc, s83, v13
	s_nop 1
	v_cndmask_b32_e32 v2, v24, v2, vcc
	v_pk_add_f32 v[2:3], v[2:3], 1.0 op_sel_hi:[1,0]
	v_cmp_nlt_f32_e32 vcc, s57, v12
	v_div_scale_f32 v14, s[22:23], v3, v3, v10
	v_rcp_f32_e32 v15, v14
	v_cndmask_b32_e32 v4, 0, v4, vcc
	v_cmp_ngt_f32_e32 vcc, s83, v12
	v_fma_f32 v16, -v14, v15, 1.0
	s_nop 0
	v_cndmask_b32_e32 v4, v24, v4, vcc
	v_fmac_f32_e32 v15, v16, v15
	v_div_scale_f32 v16, vcc, v10, v3, v10
	v_mul_f32_e32 v17, v16, v15
	v_fma_f32 v18, -v14, v17, v16
	v_fmac_f32_e32 v17, v18, v15
	v_fma_f32 v14, -v14, v17, v16
	v_div_scale_f32 v16, s[22:23], v2, v2, v13
	v_rcp_f32_e32 v18, v16
	v_div_fmas_f32 v14, v14, v15, v17
	v_div_fixup_f32 v3, v14, v3, v10
	v_pk_add_f32 v[4:5], v[4:5], 1.0 op_sel_hi:[1,0]
	v_fma_f32 v10, -v16, v18, 1.0
	v_fmac_f32_e32 v18, v10, v18
	v_div_scale_f32 v10, vcc, v13, v2, v13
	v_mul_f32_e32 v14, v10, v18
	v_fma_f32 v15, -v16, v14, v10
	v_fmac_f32_e32 v14, v15, v18
	v_div_scale_f32 v15, s[22:23], v5, v5, v11
	v_fma_f32 v10, -v16, v14, v10
	v_rcp_f32_e32 v16, v15
	v_div_fmas_f32 v10, v10, v18, v14
	v_div_fixup_f32 v2, v10, v2, v13
	v_pk_mul_f32 v[0:1], v[0:1], v[2:3]
	v_fma_f32 v10, -v15, v16, 1.0
	v_fmac_f32_e32 v16, v10, v16
	v_div_scale_f32 v10, vcc, v11, v5, v11
	v_mul_f32_e32 v13, v10, v16
	v_fma_f32 v14, -v15, v13, v10
	v_fmac_f32_e32 v13, v14, v16
	v_div_scale_f32 v14, s[22:23], v4, v4, v12
	v_fma_f32 v10, -v15, v13, v10
	v_rcp_f32_e32 v15, v14
	v_div_fmas_f32 v10, v10, v16, v13
	v_div_fixup_f32 v5, v10, v5, v11
	v_fma_f32 v10, -v14, v15, 1.0
	v_fmac_f32_e32 v15, v10, v15
	v_div_scale_f32 v10, vcc, v12, v4, v12
	v_mul_f32_e32 v11, v10, v15
	v_fma_f32 v13, -v14, v11, v10
	v_fmac_f32_e32 v11, v13, v15
	v_fma_f32 v10, -v14, v11, v10
	v_div_fmas_f32 v10, v10, v15, v11
	v_div_fixup_f32 v4, v10, v4, v12
	v_pk_mul_f32 v[4:5], v[52:53], v[4:5]
	v_bfe_u32 v10, v0, 16, 1
	v_bfe_u32 v2, v4, 16, 1
	;; [unrolled: 1-line block ×3, first 2 shown]
	v_add3_u32 v2, v4, v2, s0
	v_add3_u32 v3, v5, v3, s0
	v_lshrrev_b32_e32 v2, 16, v2
	v_cmp_o_f32_e32 vcc, v4, v4
	v_bfe_u32 v11, v1, 16, 1
	v_add3_u32 v10, v0, v10, s0
	v_lshrrev_b32_e32 v3, 16, v3
	v_cndmask_b32_e32 v2, v25, v2, vcc
	v_cmp_o_f32_e32 vcc, v5, v5
	v_add3_u32 v11, v1, v11, s0
	v_lshrrev_b32_e32 v10, 16, v10
	v_cndmask_b32_e32 v4, v25, v3, vcc
	v_cmp_o_f32_e32 vcc, v0, v0
	v_lshrrev_b32_e32 v11, 16, v11
	v_perm_b32 v2, v4, v2, s1
	v_cndmask_b32_e32 v0, v25, v10, vcc
	v_cmp_o_f32_e32 vcc, v1, v1
	s_nop 1
	v_cndmask_b32_e32 v1, v25, v11, vcc
	v_perm_b32 v3, v1, v0, s1
	v_perm_b32 v1, v9, v8, s1
	;; [unrolled: 1-line block ×3, first 2 shown]
	ds_write_b128 v21, v[0:3] offset:16
	; wave barrier
	scratch_load_dwordx2 v[4:5], off, off offset:176 ; 8-byte Folded Reload
	ds_read_b128 v[0:3], v19
	v_readlane_b32 s1, v95, 4
	s_cmp_eq_u32 s82, s1
	s_waitcnt vmcnt(0)
	v_lshl_add_u64 v[8:9], s[2:3], 1, v[4:5]
	ds_read_b128 v[4:7], v20 offset:1024
	s_waitcnt lgkmcnt(1)
	global_store_short v[8:9], v0, off
	v_alignbit_b32 v11, v2, v1, 16
	v_alignbit_b32 v10, v1, v0, 16
	;; [unrolled: 1-line block ×3, first 2 shown]
	global_store_short_d16_hi v[8:9], v3, off offset:14
	global_store_dword v[8:9], v0, off offset:10
	global_store_dwordx2 v[8:9], v[10:11], off offset:2
	s_waitcnt lgkmcnt(0)
	global_store_dwordx4 v[8:9], v[4:7], off offset:1024
	s_cbranch_scc1 .LBB49_85
.LBB49_12:                              ; =>This Loop Header: Depth=1
                                        ;     Child Loop BB49_55 Depth 2
	v_lshl_add_u64 v[0:1], s[70:71], 0, v[42:43]
	s_waitcnt lgkmcnt(0)
	; wave barrier
	s_mov_b64 s[2:3], exec
	v_readlane_b32 s22, v95, 6
	v_readlane_b32 s23, v95, 7
	s_and_b64 s[22:23], s[2:3], s[22:23]
	s_mov_b64 exec, s[22:23]
	s_cbranch_execz .LBB49_14
; %bb.13:                               ;   in Loop: Header=BB49_12 Depth=1
	global_load_dwordx4 v[2:5], v[0:1], off
	s_waitcnt vmcnt(0)
	scratch_store_dwordx4 off, v[2:5], off offset:88 ; 16-byte Folded Spill
.LBB49_14:                              ;   in Loop: Header=BB49_12 Depth=1
	s_or_b64 exec, exec, s[2:3]
	s_mov_b64 s[2:3], exec
	v_readlane_b32 s22, v95, 8
	v_readlane_b32 s23, v95, 9
	s_and_b64 s[22:23], s[2:3], s[22:23]
	s_mov_b64 exec, s[22:23]
	s_cbranch_execz .LBB49_16
; %bb.15:                               ;   in Loop: Header=BB49_12 Depth=1
	global_load_dwordx4 v[0:3], v[0:1], off offset:1024
	s_waitcnt vmcnt(0)
	scratch_store_dwordx4 off, v[0:3], off offset:72 ; 16-byte Folded Spill
.LBB49_16:                              ;   in Loop: Header=BB49_12 Depth=1
	s_or_b64 exec, exec, s[2:3]
	scratch_load_dword v0, off, off         ; 4-byte Folded Reload
	scratch_load_dwordx4 v[2:5], off, off offset:88 ; 16-byte Folded Reload
	s_waitcnt vmcnt(0)
	ds_write_b128 v0, v[2:5]
	scratch_load_dword v0, off, off offset:4 ; 4-byte Folded Reload
	scratch_load_dwordx4 v[2:5], off, off offset:72 ; 16-byte Folded Reload
	s_waitcnt vmcnt(0)
	ds_write_b128 v0, v[2:5] offset:1024
	; wave barrier
	scratch_load_dword v0, off, off offset:8 ; 4-byte Folded Reload
	s_waitcnt vmcnt(0)
	ds_read_b128 v[2:5], v0
	s_waitcnt lgkmcnt(0)
	scratch_store_dwordx4 off, v[2:5], off offset:88 ; 16-byte Folded Spill
	ds_read_b128 v[0:3], v0 offset:16
	s_waitcnt lgkmcnt(0)
	scratch_store_dwordx4 off, v[0:3], off offset:72 ; 16-byte Folded Spill
	s_nop 1
	v_lshl_add_u64 v[0:1], s[72:73], 0, v[42:43]
	s_waitcnt lgkmcnt(0)
	; wave barrier
	s_mov_b64 s[2:3], exec
	v_readlane_b32 s22, v95, 6
	v_readlane_b32 s23, v95, 7
	s_and_b64 s[22:23], s[2:3], s[22:23]
	s_mov_b64 exec, s[22:23]
	s_cbranch_execz .LBB49_18
; %bb.17:                               ;   in Loop: Header=BB49_12 Depth=1
	global_load_dwordx4 v[2:5], v[0:1], off
	s_waitcnt vmcnt(0)
	scratch_store_dwordx4 off, v[2:5], off offset:56 ; 16-byte Folded Spill
.LBB49_18:                              ;   in Loop: Header=BB49_12 Depth=1
	s_or_b64 exec, exec, s[2:3]
	s_mov_b64 s[2:3], exec
	v_readlane_b32 s22, v95, 8
	v_readlane_b32 s23, v95, 9
	s_and_b64 s[22:23], s[2:3], s[22:23]
	s_mov_b64 exec, s[22:23]
	s_cbranch_execz .LBB49_20
; %bb.19:                               ;   in Loop: Header=BB49_12 Depth=1
	global_load_dwordx4 v[34:37], v[0:1], off offset:1024
.LBB49_20:                              ;   in Loop: Header=BB49_12 Depth=1
	s_or_b64 exec, exec, s[2:3]
	scratch_load_dword v0, off, off         ; 4-byte Folded Reload
	scratch_load_dwordx4 v[2:5], off, off offset:56 ; 16-byte Folded Reload
	s_mov_b32 s1, 0x41a00000
	s_waitcnt vmcnt(0)
	ds_write_b128 v0, v[2:5]
	scratch_load_dword v0, off, off offset:4 ; 4-byte Folded Reload
	s_waitcnt vmcnt(0)
	ds_write_b128 v0, v[34:37] offset:1024
	; wave barrier
	scratch_load_dword v0, off, off offset:8 ; 4-byte Folded Reload
	s_waitcnt vmcnt(0)
	ds_read_b128 v[2:5], v0
	ds_read_b128 v[34:37], v0 offset:16
	s_waitcnt lgkmcnt(1)
	v_lshlrev_b32_e32 v0, 16, v2
	v_add_f32_e32 v91, s33, v0
	v_cmp_ge_f32_e32 vcc, s1, v91
	s_and_b64 s[2:3], s[80:81], vcc
	scratch_store_dwordx4 off, v[2:5], off offset:56 ; 16-byte Folded Spill
	s_and_saveexec_b64 s[22:23], s[2:3]
	s_cbranch_execz .LBB49_22
; %bb.21:                               ;   in Loop: Header=BB49_12 Depth=1
	v_mul_f32_e32 v0, 0x3fb8aa3b, v91
	v_rndne_f32_e32 v1, v0
	v_sub_f32_e32 v2, v0, v1
	v_fma_f32 v0, v91, s26, -v0
	v_fmac_f32_e32 v0, 0x32a5705f, v91
	v_add_f32_e32 v0, v2, v0
	v_cvt_i32_f32_e32 v1, v1
	v_exp_f32_e32 v0, v0
	v_cmp_ngt_f32_e32 vcc, s27, v91
	v_ldexp_f32 v0, v0, v1
	s_nop 0
	v_cndmask_b32_e32 v0, 0, v0, vcc
	v_cmp_nlt_f32_e32 vcc, s28, v91
	s_nop 1
	v_cndmask_b32_e32 v16, v23, v0, vcc
	v_add_f32_e32 v2, 1.0, v16
	v_add_f32_e32 v0, -1.0, v2
	v_sub_f32_e32 v1, v0, v2
	v_add_f32_e32 v1, 1.0, v1
	v_sub_f32_e32 v0, v16, v0
	v_add_f32_e32 v3, v0, v1
	v_frexp_mant_f32_e32 v4, v2
	v_cvt_f64_f32_e32 v[0:1], v2
	v_frexp_exp_i32_f64_e32 v0, v[0:1]
	v_cmp_gt_f32_e32 vcc, s30, v4
	v_cmp_gt_f32_e64 s[2:3], s34, v16
	s_nop 0
	v_subbrev_co_u32_e32 v8, vcc, 0, v0, vcc
	v_sub_u32_e32 v0, 0, v8
	v_ldexp_f32 v1, v2, v0
	v_add_f32_e32 v2, -1.0, v1
	v_add_f32_e32 v4, 1.0, v1
	v_ldexp_f32 v0, v3, v0
	v_add_f32_e32 v3, 1.0, v2
	v_add_f32_e32 v5, -1.0, v4
	v_sub_f32_e32 v3, v1, v3
	v_sub_f32_e32 v1, v1, v5
	v_add_f32_e32 v3, v0, v3
	v_add_f32_e32 v0, v0, v1
	;; [unrolled: 1-line block ×3, first 2 shown]
	v_rcp_f32_e32 v11, v9
	v_sub_f32_e32 v1, v4, v9
	v_add_f32_e32 v10, v0, v1
	v_add_f32_e32 v1, v2, v3
	v_mul_f32_e32 v13, v1, v11
	v_sub_f32_e32 v0, v2, v1
	v_mul_f32_e32 v2, v9, v13
	v_fma_f32 v4, v13, v9, -v2
	v_fmac_f32_e32 v4, v13, v10
	v_add_f32_e32 v12, v3, v0
	v_add_f32_e32 v0, v2, v4
	v_sub_f32_e32 v3, v1, v0
	v_pk_add_f32 v[6:7], v[0:1], v[2:3] neg_lo:[0,1] neg_hi:[0,1]
	v_mov_b32_e32 v5, v0
	v_pk_add_f32 v[0:1], v[6:7], v[4:5] neg_lo:[0,1] neg_hi:[0,1]
	v_cmp_eq_f32_e32 vcc, s29, v16
	v_add_f32_e32 v1, v12, v1
	v_add_f32_e32 v0, v0, v1
	;; [unrolled: 1-line block ×3, first 2 shown]
	v_mul_f32_e32 v12, v11, v1
	v_mul_f32_e32 v2, v9, v12
	v_fma_f32 v4, v12, v9, -v2
	v_fmac_f32_e32 v4, v12, v10
	v_sub_f32_e32 v3, v3, v1
	v_add_f32_e32 v9, v0, v3
	v_add_f32_e32 v0, v2, v4
	v_sub_f32_e32 v3, v1, v0
	v_pk_add_f32 v[6:7], v[0:1], v[2:3] neg_lo:[0,1] neg_hi:[0,1]
	v_mov_b32_e32 v5, v0
	v_pk_add_f32 v[0:1], v[6:7], v[4:5] neg_lo:[0,1] neg_hi:[0,1]
	s_or_b64 vcc, s[2:3], vcc
	v_add_f32_e32 v1, v9, v1
	v_add_f32_e32 v0, v0, v1
	;; [unrolled: 1-line block ×4, first 2 shown]
	v_sub_f32_e32 v2, v1, v13
	v_mul_f32_e32 v0, v11, v0
	v_sub_f32_e32 v2, v12, v2
	v_add_f32_e32 v2, v2, v0
	v_add_f32_e32 v4, v1, v2
	v_mul_f32_e32 v5, v4, v4
	v_fmamk_f32 v0, v5, 0x3e9b6dac, v22
	v_fmaak_f32 v29, v5, v0, 0x3f2aaada
	v_cvt_f32_i32_e32 v0, v8
	v_sub_f32_e32 v1, v4, v1
	v_sub_f32_e32 v1, v2, v1
	v_ldexp_f32 v6, v1, 1
	v_mul_f32_e32 v1, v4, v5
	v_ldexp_f32 v3, v4, 1
	v_pk_mul_f32 v[4:5], v[0:1], v[28:29]
	s_nop 0
	v_fma_f32 v2, v0, s31, -v4
	v_fmac_f32_e32 v2, 0xb102e308, v0
	v_pk_add_f32 v[0:1], v[4:5], v[2:3]
	s_nop 0
	v_sub_f32_e32 v3, v1, v3
	v_sub_f32_e32 v3, v5, v3
	v_add_f32_e32 v7, v6, v3
	v_mov_b32_e32 v6, v4
	v_pk_add_f32 v[4:5], v[0:1], v[4:5] neg_lo:[0,1] neg_hi:[0,1]
	v_pk_add_f32 v[8:9], v[0:1], v[6:7]
	v_mov_b32_e32 v3, v0
	v_mov_b32_e32 v5, v9
	v_pk_add_f32 v[10:11], v[2:3], v[4:5] neg_lo:[0,1] neg_hi:[0,1]
	v_pk_add_f32 v[2:3], v[2:3], v[4:5]
	v_mov_b32_e32 v6, v7
	v_mov_b32_e32 v4, v3
	v_pk_add_f32 v[12:13], v[4:5], v[0:1] neg_lo:[0,1] neg_hi:[0,1]
	v_mov_b32_e32 v2, v9
	v_mov_b32_e32 v5, v12
	v_pk_add_f32 v[14:15], v[8:9], v[4:5] neg_lo:[0,1] neg_hi:[0,1]
	v_mov_b32_e32 v8, v1
	v_mov_b32_e32 v9, v12
	;; [unrolled: 1-line block ×3, first 2 shown]
	v_pk_add_f32 v[2:3], v[2:3], v[8:9] neg_lo:[0,1] neg_hi:[0,1]
	v_mov_b32_e32 v7, v0
	v_pk_add_f32 v[0:1], v[6:7], v[2:3] neg_lo:[0,1] neg_hi:[0,1]
	v_mov_b32_e32 v14, v10
	v_pk_add_f32 v[2:3], v[14:15], v[0:1]
	s_nop 0
	v_mov_b32_e32 v6, v3
	v_pk_add_f32 v[6:7], v[2:3], v[6:7]
	s_nop 0
	v_pk_add_f32 v[4:5], v[4:5], v[6:7]
	v_mov_b32_e32 v1, v6
	v_mov_b32_e32 v3, v4
	v_pk_add_f32 v[8:9], v[2:3], v[10:11] neg_lo:[0,1] neg_hi:[0,1]
	s_nop 0
	v_sub_f32_e32 v2, v2, v8
	v_pk_add_f32 v[0:1], v[0:1], v[8:9] neg_lo:[0,1] neg_hi:[0,1]
	v_sub_f32_e32 v2, v10, v2
	v_add_f32_e32 v0, v0, v2
	v_add_f32_e32 v0, v0, v1
	;; [unrolled: 1-line block ×3, first 2 shown]
	v_cndmask_b32_e32 v91, v0, v16, vcc
.LBB49_22:                              ;   in Loop: Header=BB49_12 Depth=1
	s_or_b64 exec, exec, s[22:23]
	scratch_load_dwordx4 v[0:3], off, off offset:56 ; 16-byte Folded Reload
	s_waitcnt vmcnt(0)
	v_and_b32_e32 v0, 0xffff0000, v0
	v_add_f32_e32 v87, s33, v0
	v_cmp_ge_f32_e32 vcc, s1, v87
	s_and_b64 s[2:3], s[80:81], vcc
	s_and_saveexec_b64 s[22:23], s[2:3]
	s_cbranch_execz .LBB49_24
; %bb.23:                               ;   in Loop: Header=BB49_12 Depth=1
	v_mul_f32_e32 v0, 0x3fb8aa3b, v87
	v_rndne_f32_e32 v1, v0
	v_sub_f32_e32 v2, v0, v1
	v_fma_f32 v0, v87, s26, -v0
	v_fmac_f32_e32 v0, 0x32a5705f, v87
	v_add_f32_e32 v0, v2, v0
	v_cvt_i32_f32_e32 v1, v1
	v_exp_f32_e32 v0, v0
	v_cmp_ngt_f32_e32 vcc, s27, v87
	v_ldexp_f32 v0, v0, v1
	s_nop 0
	v_cndmask_b32_e32 v0, 0, v0, vcc
	v_cmp_nlt_f32_e32 vcc, s28, v87
	s_nop 1
	v_cndmask_b32_e32 v16, v23, v0, vcc
	v_add_f32_e32 v2, 1.0, v16
	v_add_f32_e32 v0, -1.0, v2
	v_sub_f32_e32 v1, v0, v2
	v_add_f32_e32 v1, 1.0, v1
	v_sub_f32_e32 v0, v16, v0
	v_add_f32_e32 v3, v0, v1
	v_frexp_mant_f32_e32 v4, v2
	v_cvt_f64_f32_e32 v[0:1], v2
	v_frexp_exp_i32_f64_e32 v0, v[0:1]
	v_cmp_gt_f32_e32 vcc, s30, v4
	v_cmp_gt_f32_e64 s[2:3], s34, v16
	s_nop 0
	v_subbrev_co_u32_e32 v8, vcc, 0, v0, vcc
	v_sub_u32_e32 v0, 0, v8
	v_ldexp_f32 v1, v2, v0
	v_add_f32_e32 v2, -1.0, v1
	v_add_f32_e32 v4, 1.0, v1
	v_ldexp_f32 v0, v3, v0
	v_add_f32_e32 v3, 1.0, v2
	v_add_f32_e32 v5, -1.0, v4
	v_sub_f32_e32 v3, v1, v3
	v_sub_f32_e32 v1, v1, v5
	v_add_f32_e32 v3, v0, v3
	v_add_f32_e32 v0, v0, v1
	;; [unrolled: 1-line block ×3, first 2 shown]
	v_rcp_f32_e32 v11, v9
	v_sub_f32_e32 v1, v4, v9
	v_add_f32_e32 v10, v0, v1
	v_add_f32_e32 v1, v2, v3
	v_mul_f32_e32 v13, v1, v11
	v_sub_f32_e32 v0, v2, v1
	v_mul_f32_e32 v2, v9, v13
	v_fma_f32 v4, v13, v9, -v2
	v_fmac_f32_e32 v4, v13, v10
	v_add_f32_e32 v12, v3, v0
	v_add_f32_e32 v0, v2, v4
	v_sub_f32_e32 v3, v1, v0
	v_pk_add_f32 v[6:7], v[0:1], v[2:3] neg_lo:[0,1] neg_hi:[0,1]
	v_mov_b32_e32 v5, v0
	v_pk_add_f32 v[0:1], v[6:7], v[4:5] neg_lo:[0,1] neg_hi:[0,1]
	v_cmp_eq_f32_e32 vcc, s29, v16
	v_add_f32_e32 v1, v12, v1
	v_add_f32_e32 v0, v0, v1
	;; [unrolled: 1-line block ×3, first 2 shown]
	v_mul_f32_e32 v12, v11, v1
	v_mul_f32_e32 v2, v9, v12
	v_fma_f32 v4, v12, v9, -v2
	v_fmac_f32_e32 v4, v12, v10
	v_sub_f32_e32 v3, v3, v1
	v_add_f32_e32 v9, v0, v3
	v_add_f32_e32 v0, v2, v4
	v_sub_f32_e32 v3, v1, v0
	v_pk_add_f32 v[6:7], v[0:1], v[2:3] neg_lo:[0,1] neg_hi:[0,1]
	v_mov_b32_e32 v5, v0
	v_pk_add_f32 v[0:1], v[6:7], v[4:5] neg_lo:[0,1] neg_hi:[0,1]
	s_or_b64 vcc, s[2:3], vcc
	v_add_f32_e32 v1, v9, v1
	v_add_f32_e32 v0, v0, v1
	;; [unrolled: 1-line block ×4, first 2 shown]
	v_sub_f32_e32 v2, v1, v13
	v_mul_f32_e32 v0, v11, v0
	v_sub_f32_e32 v2, v12, v2
	v_add_f32_e32 v2, v2, v0
	v_add_f32_e32 v4, v1, v2
	v_mul_f32_e32 v5, v4, v4
	v_fmamk_f32 v0, v5, 0x3e9b6dac, v22
	v_fmaak_f32 v29, v5, v0, 0x3f2aaada
	v_cvt_f32_i32_e32 v0, v8
	v_sub_f32_e32 v1, v4, v1
	v_sub_f32_e32 v1, v2, v1
	v_ldexp_f32 v6, v1, 1
	v_mul_f32_e32 v1, v4, v5
	v_ldexp_f32 v3, v4, 1
	v_pk_mul_f32 v[4:5], v[0:1], v[28:29]
	s_nop 0
	v_fma_f32 v2, v0, s31, -v4
	v_fmac_f32_e32 v2, 0xb102e308, v0
	v_pk_add_f32 v[0:1], v[4:5], v[2:3]
	s_nop 0
	v_sub_f32_e32 v3, v1, v3
	v_sub_f32_e32 v3, v5, v3
	v_add_f32_e32 v7, v6, v3
	v_mov_b32_e32 v6, v4
	v_pk_add_f32 v[4:5], v[0:1], v[4:5] neg_lo:[0,1] neg_hi:[0,1]
	v_pk_add_f32 v[8:9], v[0:1], v[6:7]
	v_mov_b32_e32 v3, v0
	v_mov_b32_e32 v5, v9
	v_pk_add_f32 v[10:11], v[2:3], v[4:5] neg_lo:[0,1] neg_hi:[0,1]
	v_pk_add_f32 v[2:3], v[2:3], v[4:5]
	v_mov_b32_e32 v6, v7
	v_mov_b32_e32 v4, v3
	v_pk_add_f32 v[12:13], v[4:5], v[0:1] neg_lo:[0,1] neg_hi:[0,1]
	v_mov_b32_e32 v2, v9
	v_mov_b32_e32 v5, v12
	v_pk_add_f32 v[14:15], v[8:9], v[4:5] neg_lo:[0,1] neg_hi:[0,1]
	v_mov_b32_e32 v8, v1
	v_mov_b32_e32 v9, v12
	;; [unrolled: 1-line block ×3, first 2 shown]
	v_pk_add_f32 v[2:3], v[2:3], v[8:9] neg_lo:[0,1] neg_hi:[0,1]
	v_mov_b32_e32 v7, v0
	v_pk_add_f32 v[0:1], v[6:7], v[2:3] neg_lo:[0,1] neg_hi:[0,1]
	v_mov_b32_e32 v14, v10
	v_pk_add_f32 v[2:3], v[14:15], v[0:1]
	s_nop 0
	v_mov_b32_e32 v6, v3
	v_pk_add_f32 v[6:7], v[2:3], v[6:7]
	s_nop 0
	v_pk_add_f32 v[4:5], v[4:5], v[6:7]
	v_mov_b32_e32 v1, v6
	v_mov_b32_e32 v3, v4
	v_pk_add_f32 v[8:9], v[2:3], v[10:11] neg_lo:[0,1] neg_hi:[0,1]
	s_nop 0
	v_sub_f32_e32 v2, v2, v8
	v_pk_add_f32 v[0:1], v[0:1], v[8:9] neg_lo:[0,1] neg_hi:[0,1]
	v_sub_f32_e32 v2, v10, v2
	v_add_f32_e32 v0, v0, v2
	v_add_f32_e32 v0, v0, v1
	;; [unrolled: 1-line block ×3, first 2 shown]
	v_cndmask_b32_e32 v87, v0, v16, vcc
.LBB49_24:                              ;   in Loop: Header=BB49_12 Depth=1
	s_or_b64 exec, exec, s[22:23]
	scratch_load_dwordx4 v[0:3], off, off offset:56 ; 16-byte Folded Reload
	s_waitcnt vmcnt(0)
	v_lshlrev_b32_e32 v0, 16, v1
	v_add_f32_e32 v44, s33, v0
	v_cmp_ge_f32_e32 vcc, s1, v44
	s_and_b64 s[2:3], s[80:81], vcc
	s_and_saveexec_b64 s[22:23], s[2:3]
	s_cbranch_execz .LBB49_26
; %bb.25:                               ;   in Loop: Header=BB49_12 Depth=1
	v_mul_f32_e32 v0, 0x3fb8aa3b, v44
	v_rndne_f32_e32 v1, v0
	v_sub_f32_e32 v2, v0, v1
	v_fma_f32 v0, v44, s26, -v0
	v_fmac_f32_e32 v0, 0x32a5705f, v44
	v_add_f32_e32 v0, v2, v0
	v_cvt_i32_f32_e32 v1, v1
	v_exp_f32_e32 v0, v0
	v_cmp_ngt_f32_e32 vcc, s27, v44
	v_ldexp_f32 v0, v0, v1
	s_nop 0
	v_cndmask_b32_e32 v0, 0, v0, vcc
	v_cmp_nlt_f32_e32 vcc, s28, v44
	s_nop 1
	v_cndmask_b32_e32 v16, v23, v0, vcc
	v_add_f32_e32 v2, 1.0, v16
	v_add_f32_e32 v0, -1.0, v2
	v_sub_f32_e32 v1, v0, v2
	v_add_f32_e32 v1, 1.0, v1
	v_sub_f32_e32 v0, v16, v0
	v_add_f32_e32 v3, v0, v1
	v_frexp_mant_f32_e32 v4, v2
	v_cvt_f64_f32_e32 v[0:1], v2
	v_frexp_exp_i32_f64_e32 v0, v[0:1]
	v_cmp_gt_f32_e32 vcc, s30, v4
	v_cmp_gt_f32_e64 s[2:3], s34, v16
	s_nop 0
	v_subbrev_co_u32_e32 v8, vcc, 0, v0, vcc
	v_sub_u32_e32 v0, 0, v8
	v_ldexp_f32 v1, v2, v0
	v_add_f32_e32 v2, -1.0, v1
	v_add_f32_e32 v4, 1.0, v1
	v_ldexp_f32 v0, v3, v0
	v_add_f32_e32 v3, 1.0, v2
	v_add_f32_e32 v5, -1.0, v4
	v_sub_f32_e32 v3, v1, v3
	v_sub_f32_e32 v1, v1, v5
	v_add_f32_e32 v3, v0, v3
	v_add_f32_e32 v0, v0, v1
	;; [unrolled: 1-line block ×3, first 2 shown]
	v_rcp_f32_e32 v11, v9
	v_sub_f32_e32 v1, v4, v9
	v_add_f32_e32 v10, v0, v1
	v_add_f32_e32 v1, v2, v3
	v_mul_f32_e32 v13, v1, v11
	v_sub_f32_e32 v0, v2, v1
	v_mul_f32_e32 v2, v9, v13
	v_fma_f32 v4, v13, v9, -v2
	v_fmac_f32_e32 v4, v13, v10
	v_add_f32_e32 v12, v3, v0
	v_add_f32_e32 v0, v2, v4
	v_sub_f32_e32 v3, v1, v0
	v_pk_add_f32 v[6:7], v[0:1], v[2:3] neg_lo:[0,1] neg_hi:[0,1]
	v_mov_b32_e32 v5, v0
	v_pk_add_f32 v[0:1], v[6:7], v[4:5] neg_lo:[0,1] neg_hi:[0,1]
	v_cmp_eq_f32_e32 vcc, s29, v16
	v_add_f32_e32 v1, v12, v1
	v_add_f32_e32 v0, v0, v1
	;; [unrolled: 1-line block ×3, first 2 shown]
	v_mul_f32_e32 v12, v11, v1
	v_mul_f32_e32 v2, v9, v12
	v_fma_f32 v4, v12, v9, -v2
	v_fmac_f32_e32 v4, v12, v10
	v_sub_f32_e32 v3, v3, v1
	v_add_f32_e32 v9, v0, v3
	v_add_f32_e32 v0, v2, v4
	v_sub_f32_e32 v3, v1, v0
	v_pk_add_f32 v[6:7], v[0:1], v[2:3] neg_lo:[0,1] neg_hi:[0,1]
	v_mov_b32_e32 v5, v0
	v_pk_add_f32 v[0:1], v[6:7], v[4:5] neg_lo:[0,1] neg_hi:[0,1]
	s_or_b64 vcc, s[2:3], vcc
	v_add_f32_e32 v1, v9, v1
	v_add_f32_e32 v0, v0, v1
	;; [unrolled: 1-line block ×4, first 2 shown]
	v_sub_f32_e32 v2, v1, v13
	v_mul_f32_e32 v0, v11, v0
	v_sub_f32_e32 v2, v12, v2
	v_add_f32_e32 v2, v2, v0
	v_add_f32_e32 v4, v1, v2
	v_mul_f32_e32 v5, v4, v4
	v_fmamk_f32 v0, v5, 0x3e9b6dac, v22
	v_fmaak_f32 v29, v5, v0, 0x3f2aaada
	v_cvt_f32_i32_e32 v0, v8
	v_sub_f32_e32 v1, v4, v1
	v_sub_f32_e32 v1, v2, v1
	v_ldexp_f32 v6, v1, 1
	v_mul_f32_e32 v1, v4, v5
	v_ldexp_f32 v3, v4, 1
	v_pk_mul_f32 v[4:5], v[0:1], v[28:29]
	s_nop 0
	v_fma_f32 v2, v0, s31, -v4
	v_fmac_f32_e32 v2, 0xb102e308, v0
	v_pk_add_f32 v[0:1], v[4:5], v[2:3]
	s_nop 0
	v_sub_f32_e32 v3, v1, v3
	v_sub_f32_e32 v3, v5, v3
	v_add_f32_e32 v7, v6, v3
	v_mov_b32_e32 v6, v4
	v_pk_add_f32 v[4:5], v[0:1], v[4:5] neg_lo:[0,1] neg_hi:[0,1]
	v_pk_add_f32 v[8:9], v[0:1], v[6:7]
	v_mov_b32_e32 v3, v0
	v_mov_b32_e32 v5, v9
	v_pk_add_f32 v[10:11], v[2:3], v[4:5] neg_lo:[0,1] neg_hi:[0,1]
	v_pk_add_f32 v[2:3], v[2:3], v[4:5]
	v_mov_b32_e32 v6, v7
	v_mov_b32_e32 v4, v3
	v_pk_add_f32 v[12:13], v[4:5], v[0:1] neg_lo:[0,1] neg_hi:[0,1]
	v_mov_b32_e32 v2, v9
	v_mov_b32_e32 v5, v12
	v_pk_add_f32 v[14:15], v[8:9], v[4:5] neg_lo:[0,1] neg_hi:[0,1]
	v_mov_b32_e32 v8, v1
	v_mov_b32_e32 v9, v12
	;; [unrolled: 1-line block ×3, first 2 shown]
	v_pk_add_f32 v[2:3], v[2:3], v[8:9] neg_lo:[0,1] neg_hi:[0,1]
	v_mov_b32_e32 v7, v0
	v_pk_add_f32 v[0:1], v[6:7], v[2:3] neg_lo:[0,1] neg_hi:[0,1]
	v_mov_b32_e32 v14, v10
	v_pk_add_f32 v[2:3], v[14:15], v[0:1]
	s_nop 0
	v_mov_b32_e32 v6, v3
	v_pk_add_f32 v[6:7], v[2:3], v[6:7]
	s_nop 0
	v_pk_add_f32 v[4:5], v[4:5], v[6:7]
	v_mov_b32_e32 v1, v6
	v_mov_b32_e32 v3, v4
	v_pk_add_f32 v[8:9], v[2:3], v[10:11] neg_lo:[0,1] neg_hi:[0,1]
	s_nop 0
	v_sub_f32_e32 v2, v2, v8
	v_pk_add_f32 v[0:1], v[0:1], v[8:9] neg_lo:[0,1] neg_hi:[0,1]
	v_sub_f32_e32 v2, v10, v2
	v_add_f32_e32 v0, v0, v2
	v_add_f32_e32 v0, v0, v1
	;; [unrolled: 1-line block ×3, first 2 shown]
	v_cndmask_b32_e32 v44, v0, v16, vcc
.LBB49_26:                              ;   in Loop: Header=BB49_12 Depth=1
	s_or_b64 exec, exec, s[22:23]
	scratch_load_dwordx4 v[0:3], off, off offset:56 ; 16-byte Folded Reload
	s_waitcnt vmcnt(0)
	v_and_b32_e32 v0, 0xffff0000, v1
	v_add_f32_e32 v45, s33, v0
	v_cmp_ge_f32_e32 vcc, s1, v45
	s_and_b64 s[2:3], s[80:81], vcc
	s_and_saveexec_b64 s[22:23], s[2:3]
	s_cbranch_execz .LBB49_28
; %bb.27:                               ;   in Loop: Header=BB49_12 Depth=1
	v_mul_f32_e32 v0, 0x3fb8aa3b, v45
	v_rndne_f32_e32 v1, v0
	v_sub_f32_e32 v2, v0, v1
	v_fma_f32 v0, v45, s26, -v0
	v_fmac_f32_e32 v0, 0x32a5705f, v45
	v_add_f32_e32 v0, v2, v0
	v_cvt_i32_f32_e32 v1, v1
	v_exp_f32_e32 v0, v0
	v_cmp_ngt_f32_e32 vcc, s27, v45
	v_ldexp_f32 v0, v0, v1
	s_nop 0
	v_cndmask_b32_e32 v0, 0, v0, vcc
	v_cmp_nlt_f32_e32 vcc, s28, v45
	s_nop 1
	v_cndmask_b32_e32 v16, v23, v0, vcc
	v_add_f32_e32 v2, 1.0, v16
	v_add_f32_e32 v0, -1.0, v2
	v_sub_f32_e32 v1, v0, v2
	v_add_f32_e32 v1, 1.0, v1
	v_sub_f32_e32 v0, v16, v0
	v_add_f32_e32 v3, v0, v1
	v_frexp_mant_f32_e32 v4, v2
	v_cvt_f64_f32_e32 v[0:1], v2
	v_frexp_exp_i32_f64_e32 v0, v[0:1]
	v_cmp_gt_f32_e32 vcc, s30, v4
	v_cmp_gt_f32_e64 s[2:3], s34, v16
	s_nop 0
	v_subbrev_co_u32_e32 v8, vcc, 0, v0, vcc
	v_sub_u32_e32 v0, 0, v8
	v_ldexp_f32 v1, v2, v0
	v_add_f32_e32 v2, -1.0, v1
	v_add_f32_e32 v4, 1.0, v1
	v_ldexp_f32 v0, v3, v0
	v_add_f32_e32 v3, 1.0, v2
	v_add_f32_e32 v5, -1.0, v4
	v_sub_f32_e32 v3, v1, v3
	v_sub_f32_e32 v1, v1, v5
	v_add_f32_e32 v3, v0, v3
	v_add_f32_e32 v0, v0, v1
	;; [unrolled: 1-line block ×3, first 2 shown]
	v_rcp_f32_e32 v11, v9
	v_sub_f32_e32 v1, v4, v9
	v_add_f32_e32 v10, v0, v1
	v_add_f32_e32 v1, v2, v3
	v_mul_f32_e32 v13, v1, v11
	v_sub_f32_e32 v0, v2, v1
	v_mul_f32_e32 v2, v9, v13
	v_fma_f32 v4, v13, v9, -v2
	v_fmac_f32_e32 v4, v13, v10
	v_add_f32_e32 v12, v3, v0
	v_add_f32_e32 v0, v2, v4
	v_sub_f32_e32 v3, v1, v0
	v_pk_add_f32 v[6:7], v[0:1], v[2:3] neg_lo:[0,1] neg_hi:[0,1]
	v_mov_b32_e32 v5, v0
	v_pk_add_f32 v[0:1], v[6:7], v[4:5] neg_lo:[0,1] neg_hi:[0,1]
	v_cmp_eq_f32_e32 vcc, s29, v16
	v_add_f32_e32 v1, v12, v1
	v_add_f32_e32 v0, v0, v1
	;; [unrolled: 1-line block ×3, first 2 shown]
	v_mul_f32_e32 v12, v11, v1
	v_mul_f32_e32 v2, v9, v12
	v_fma_f32 v4, v12, v9, -v2
	v_fmac_f32_e32 v4, v12, v10
	v_sub_f32_e32 v3, v3, v1
	v_add_f32_e32 v9, v0, v3
	v_add_f32_e32 v0, v2, v4
	v_sub_f32_e32 v3, v1, v0
	v_pk_add_f32 v[6:7], v[0:1], v[2:3] neg_lo:[0,1] neg_hi:[0,1]
	v_mov_b32_e32 v5, v0
	v_pk_add_f32 v[0:1], v[6:7], v[4:5] neg_lo:[0,1] neg_hi:[0,1]
	s_or_b64 vcc, s[2:3], vcc
	v_add_f32_e32 v1, v9, v1
	v_add_f32_e32 v0, v0, v1
	;; [unrolled: 1-line block ×4, first 2 shown]
	v_sub_f32_e32 v2, v1, v13
	v_mul_f32_e32 v0, v11, v0
	v_sub_f32_e32 v2, v12, v2
	v_add_f32_e32 v2, v2, v0
	v_add_f32_e32 v4, v1, v2
	v_mul_f32_e32 v5, v4, v4
	v_fmamk_f32 v0, v5, 0x3e9b6dac, v22
	v_fmaak_f32 v29, v5, v0, 0x3f2aaada
	v_cvt_f32_i32_e32 v0, v8
	v_sub_f32_e32 v1, v4, v1
	v_sub_f32_e32 v1, v2, v1
	v_ldexp_f32 v6, v1, 1
	v_mul_f32_e32 v1, v4, v5
	v_ldexp_f32 v3, v4, 1
	v_pk_mul_f32 v[4:5], v[0:1], v[28:29]
	s_nop 0
	v_fma_f32 v2, v0, s31, -v4
	v_fmac_f32_e32 v2, 0xb102e308, v0
	v_pk_add_f32 v[0:1], v[4:5], v[2:3]
	s_nop 0
	v_sub_f32_e32 v3, v1, v3
	v_sub_f32_e32 v3, v5, v3
	v_add_f32_e32 v7, v6, v3
	v_mov_b32_e32 v6, v4
	v_pk_add_f32 v[4:5], v[0:1], v[4:5] neg_lo:[0,1] neg_hi:[0,1]
	v_pk_add_f32 v[8:9], v[0:1], v[6:7]
	v_mov_b32_e32 v3, v0
	v_mov_b32_e32 v5, v9
	v_pk_add_f32 v[10:11], v[2:3], v[4:5] neg_lo:[0,1] neg_hi:[0,1]
	v_pk_add_f32 v[2:3], v[2:3], v[4:5]
	v_mov_b32_e32 v6, v7
	v_mov_b32_e32 v4, v3
	v_pk_add_f32 v[12:13], v[4:5], v[0:1] neg_lo:[0,1] neg_hi:[0,1]
	v_mov_b32_e32 v2, v9
	v_mov_b32_e32 v5, v12
	v_pk_add_f32 v[14:15], v[8:9], v[4:5] neg_lo:[0,1] neg_hi:[0,1]
	v_mov_b32_e32 v8, v1
	v_mov_b32_e32 v9, v12
	;; [unrolled: 1-line block ×3, first 2 shown]
	v_pk_add_f32 v[2:3], v[2:3], v[8:9] neg_lo:[0,1] neg_hi:[0,1]
	v_mov_b32_e32 v7, v0
	v_pk_add_f32 v[0:1], v[6:7], v[2:3] neg_lo:[0,1] neg_hi:[0,1]
	v_mov_b32_e32 v14, v10
	v_pk_add_f32 v[2:3], v[14:15], v[0:1]
	s_nop 0
	v_mov_b32_e32 v6, v3
	v_pk_add_f32 v[6:7], v[2:3], v[6:7]
	s_nop 0
	v_pk_add_f32 v[4:5], v[4:5], v[6:7]
	v_mov_b32_e32 v1, v6
	v_mov_b32_e32 v3, v4
	v_pk_add_f32 v[8:9], v[2:3], v[10:11] neg_lo:[0,1] neg_hi:[0,1]
	s_nop 0
	v_sub_f32_e32 v2, v2, v8
	v_pk_add_f32 v[0:1], v[0:1], v[8:9] neg_lo:[0,1] neg_hi:[0,1]
	v_sub_f32_e32 v2, v10, v2
	v_add_f32_e32 v0, v0, v2
	v_add_f32_e32 v0, v0, v1
	;; [unrolled: 1-line block ×3, first 2 shown]
	v_cndmask_b32_e32 v45, v0, v16, vcc
.LBB49_28:                              ;   in Loop: Header=BB49_12 Depth=1
	s_or_b64 exec, exec, s[22:23]
	scratch_load_dwordx4 v[0:3], off, off offset:56 ; 16-byte Folded Reload
	s_waitcnt vmcnt(0)
	v_lshlrev_b32_e32 v0, 16, v2
	v_add_f32_e32 v46, s33, v0
	v_cmp_ge_f32_e32 vcc, s1, v46
	s_and_b64 s[2:3], s[80:81], vcc
	s_and_saveexec_b64 s[22:23], s[2:3]
	s_cbranch_execz .LBB49_30
; %bb.29:                               ;   in Loop: Header=BB49_12 Depth=1
	v_mul_f32_e32 v0, 0x3fb8aa3b, v46
	v_rndne_f32_e32 v1, v0
	v_sub_f32_e32 v2, v0, v1
	v_fma_f32 v0, v46, s26, -v0
	v_fmac_f32_e32 v0, 0x32a5705f, v46
	v_add_f32_e32 v0, v2, v0
	v_cvt_i32_f32_e32 v1, v1
	v_exp_f32_e32 v0, v0
	v_cmp_ngt_f32_e32 vcc, s27, v46
	v_ldexp_f32 v0, v0, v1
	s_nop 0
	v_cndmask_b32_e32 v0, 0, v0, vcc
	v_cmp_nlt_f32_e32 vcc, s28, v46
	s_nop 1
	v_cndmask_b32_e32 v16, v23, v0, vcc
	v_add_f32_e32 v2, 1.0, v16
	v_add_f32_e32 v0, -1.0, v2
	v_sub_f32_e32 v1, v0, v2
	v_add_f32_e32 v1, 1.0, v1
	v_sub_f32_e32 v0, v16, v0
	v_add_f32_e32 v3, v0, v1
	v_frexp_mant_f32_e32 v4, v2
	v_cvt_f64_f32_e32 v[0:1], v2
	v_frexp_exp_i32_f64_e32 v0, v[0:1]
	v_cmp_gt_f32_e32 vcc, s30, v4
	v_cmp_gt_f32_e64 s[2:3], s34, v16
	s_nop 0
	v_subbrev_co_u32_e32 v8, vcc, 0, v0, vcc
	v_sub_u32_e32 v0, 0, v8
	v_ldexp_f32 v1, v2, v0
	v_add_f32_e32 v2, -1.0, v1
	v_add_f32_e32 v4, 1.0, v1
	v_ldexp_f32 v0, v3, v0
	v_add_f32_e32 v3, 1.0, v2
	v_add_f32_e32 v5, -1.0, v4
	v_sub_f32_e32 v3, v1, v3
	v_sub_f32_e32 v1, v1, v5
	v_add_f32_e32 v3, v0, v3
	v_add_f32_e32 v0, v0, v1
	;; [unrolled: 1-line block ×3, first 2 shown]
	v_rcp_f32_e32 v11, v9
	v_sub_f32_e32 v1, v4, v9
	v_add_f32_e32 v10, v0, v1
	v_add_f32_e32 v1, v2, v3
	v_mul_f32_e32 v13, v1, v11
	v_sub_f32_e32 v0, v2, v1
	v_mul_f32_e32 v2, v9, v13
	v_fma_f32 v4, v13, v9, -v2
	v_fmac_f32_e32 v4, v13, v10
	v_add_f32_e32 v12, v3, v0
	v_add_f32_e32 v0, v2, v4
	v_sub_f32_e32 v3, v1, v0
	v_pk_add_f32 v[6:7], v[0:1], v[2:3] neg_lo:[0,1] neg_hi:[0,1]
	v_mov_b32_e32 v5, v0
	v_pk_add_f32 v[0:1], v[6:7], v[4:5] neg_lo:[0,1] neg_hi:[0,1]
	v_cmp_eq_f32_e32 vcc, s29, v16
	v_add_f32_e32 v1, v12, v1
	v_add_f32_e32 v0, v0, v1
	;; [unrolled: 1-line block ×3, first 2 shown]
	v_mul_f32_e32 v12, v11, v1
	v_mul_f32_e32 v2, v9, v12
	v_fma_f32 v4, v12, v9, -v2
	v_fmac_f32_e32 v4, v12, v10
	v_sub_f32_e32 v3, v3, v1
	v_add_f32_e32 v9, v0, v3
	v_add_f32_e32 v0, v2, v4
	v_sub_f32_e32 v3, v1, v0
	v_pk_add_f32 v[6:7], v[0:1], v[2:3] neg_lo:[0,1] neg_hi:[0,1]
	v_mov_b32_e32 v5, v0
	v_pk_add_f32 v[0:1], v[6:7], v[4:5] neg_lo:[0,1] neg_hi:[0,1]
	s_or_b64 vcc, s[2:3], vcc
	v_add_f32_e32 v1, v9, v1
	v_add_f32_e32 v0, v0, v1
	;; [unrolled: 1-line block ×4, first 2 shown]
	v_sub_f32_e32 v2, v1, v13
	v_mul_f32_e32 v0, v11, v0
	v_sub_f32_e32 v2, v12, v2
	v_add_f32_e32 v2, v2, v0
	v_add_f32_e32 v4, v1, v2
	v_mul_f32_e32 v5, v4, v4
	v_fmamk_f32 v0, v5, 0x3e9b6dac, v22
	v_fmaak_f32 v29, v5, v0, 0x3f2aaada
	v_cvt_f32_i32_e32 v0, v8
	v_sub_f32_e32 v1, v4, v1
	v_sub_f32_e32 v1, v2, v1
	v_ldexp_f32 v6, v1, 1
	v_mul_f32_e32 v1, v4, v5
	v_ldexp_f32 v3, v4, 1
	v_pk_mul_f32 v[4:5], v[0:1], v[28:29]
	s_nop 0
	v_fma_f32 v2, v0, s31, -v4
	v_fmac_f32_e32 v2, 0xb102e308, v0
	v_pk_add_f32 v[0:1], v[4:5], v[2:3]
	s_nop 0
	v_sub_f32_e32 v3, v1, v3
	v_sub_f32_e32 v3, v5, v3
	v_add_f32_e32 v7, v6, v3
	v_mov_b32_e32 v6, v4
	v_pk_add_f32 v[4:5], v[0:1], v[4:5] neg_lo:[0,1] neg_hi:[0,1]
	v_pk_add_f32 v[8:9], v[0:1], v[6:7]
	v_mov_b32_e32 v3, v0
	v_mov_b32_e32 v5, v9
	v_pk_add_f32 v[10:11], v[2:3], v[4:5] neg_lo:[0,1] neg_hi:[0,1]
	v_pk_add_f32 v[2:3], v[2:3], v[4:5]
	v_mov_b32_e32 v6, v7
	v_mov_b32_e32 v4, v3
	v_pk_add_f32 v[12:13], v[4:5], v[0:1] neg_lo:[0,1] neg_hi:[0,1]
	v_mov_b32_e32 v2, v9
	v_mov_b32_e32 v5, v12
	v_pk_add_f32 v[14:15], v[8:9], v[4:5] neg_lo:[0,1] neg_hi:[0,1]
	v_mov_b32_e32 v8, v1
	v_mov_b32_e32 v9, v12
	v_mov_b32_e32 v11, v3
	v_pk_add_f32 v[2:3], v[2:3], v[8:9] neg_lo:[0,1] neg_hi:[0,1]
	v_mov_b32_e32 v7, v0
	v_pk_add_f32 v[0:1], v[6:7], v[2:3] neg_lo:[0,1] neg_hi:[0,1]
	v_mov_b32_e32 v14, v10
	v_pk_add_f32 v[2:3], v[14:15], v[0:1]
	s_nop 0
	v_mov_b32_e32 v6, v3
	v_pk_add_f32 v[6:7], v[2:3], v[6:7]
	s_nop 0
	v_pk_add_f32 v[4:5], v[4:5], v[6:7]
	v_mov_b32_e32 v1, v6
	v_mov_b32_e32 v3, v4
	v_pk_add_f32 v[8:9], v[2:3], v[10:11] neg_lo:[0,1] neg_hi:[0,1]
	s_nop 0
	v_sub_f32_e32 v2, v2, v8
	v_pk_add_f32 v[0:1], v[0:1], v[8:9] neg_lo:[0,1] neg_hi:[0,1]
	v_sub_f32_e32 v2, v10, v2
	v_add_f32_e32 v0, v0, v2
	v_add_f32_e32 v0, v0, v1
	;; [unrolled: 1-line block ×3, first 2 shown]
	v_cndmask_b32_e32 v46, v0, v16, vcc
.LBB49_30:                              ;   in Loop: Header=BB49_12 Depth=1
	s_or_b64 exec, exec, s[22:23]
	scratch_load_dwordx4 v[0:3], off, off offset:56 ; 16-byte Folded Reload
	s_waitcnt vmcnt(0)
	v_and_b32_e32 v0, 0xffff0000, v2
	v_add_f32_e32 v47, s33, v0
	v_cmp_ge_f32_e32 vcc, s1, v47
	s_and_b64 s[2:3], s[80:81], vcc
	s_and_saveexec_b64 s[22:23], s[2:3]
	s_cbranch_execz .LBB49_32
; %bb.31:                               ;   in Loop: Header=BB49_12 Depth=1
	v_mul_f32_e32 v0, 0x3fb8aa3b, v47
	v_rndne_f32_e32 v1, v0
	v_sub_f32_e32 v2, v0, v1
	v_fma_f32 v0, v47, s26, -v0
	v_fmac_f32_e32 v0, 0x32a5705f, v47
	v_add_f32_e32 v0, v2, v0
	v_cvt_i32_f32_e32 v1, v1
	v_exp_f32_e32 v0, v0
	v_cmp_ngt_f32_e32 vcc, s27, v47
	v_ldexp_f32 v0, v0, v1
	s_nop 0
	v_cndmask_b32_e32 v0, 0, v0, vcc
	v_cmp_nlt_f32_e32 vcc, s28, v47
	s_nop 1
	v_cndmask_b32_e32 v16, v23, v0, vcc
	v_add_f32_e32 v2, 1.0, v16
	v_add_f32_e32 v0, -1.0, v2
	v_sub_f32_e32 v1, v0, v2
	v_add_f32_e32 v1, 1.0, v1
	v_sub_f32_e32 v0, v16, v0
	v_add_f32_e32 v3, v0, v1
	v_frexp_mant_f32_e32 v4, v2
	v_cvt_f64_f32_e32 v[0:1], v2
	v_frexp_exp_i32_f64_e32 v0, v[0:1]
	v_cmp_gt_f32_e32 vcc, s30, v4
	v_cmp_gt_f32_e64 s[2:3], s34, v16
	s_nop 0
	v_subbrev_co_u32_e32 v8, vcc, 0, v0, vcc
	v_sub_u32_e32 v0, 0, v8
	v_ldexp_f32 v1, v2, v0
	v_add_f32_e32 v2, -1.0, v1
	v_add_f32_e32 v4, 1.0, v1
	v_ldexp_f32 v0, v3, v0
	v_add_f32_e32 v3, 1.0, v2
	v_add_f32_e32 v5, -1.0, v4
	v_sub_f32_e32 v3, v1, v3
	v_sub_f32_e32 v1, v1, v5
	v_add_f32_e32 v3, v0, v3
	v_add_f32_e32 v0, v0, v1
	;; [unrolled: 1-line block ×3, first 2 shown]
	v_rcp_f32_e32 v11, v9
	v_sub_f32_e32 v1, v4, v9
	v_add_f32_e32 v10, v0, v1
	v_add_f32_e32 v1, v2, v3
	v_mul_f32_e32 v13, v1, v11
	v_sub_f32_e32 v0, v2, v1
	v_mul_f32_e32 v2, v9, v13
	v_fma_f32 v4, v13, v9, -v2
	v_fmac_f32_e32 v4, v13, v10
	v_add_f32_e32 v12, v3, v0
	v_add_f32_e32 v0, v2, v4
	v_sub_f32_e32 v3, v1, v0
	v_pk_add_f32 v[6:7], v[0:1], v[2:3] neg_lo:[0,1] neg_hi:[0,1]
	v_mov_b32_e32 v5, v0
	v_pk_add_f32 v[0:1], v[6:7], v[4:5] neg_lo:[0,1] neg_hi:[0,1]
	v_cmp_eq_f32_e32 vcc, s29, v16
	v_add_f32_e32 v1, v12, v1
	v_add_f32_e32 v0, v0, v1
	v_add_f32_e32 v1, v3, v0
	v_mul_f32_e32 v12, v11, v1
	v_mul_f32_e32 v2, v9, v12
	v_fma_f32 v4, v12, v9, -v2
	v_fmac_f32_e32 v4, v12, v10
	v_sub_f32_e32 v3, v3, v1
	v_add_f32_e32 v9, v0, v3
	v_add_f32_e32 v0, v2, v4
	v_sub_f32_e32 v3, v1, v0
	v_pk_add_f32 v[6:7], v[0:1], v[2:3] neg_lo:[0,1] neg_hi:[0,1]
	v_mov_b32_e32 v5, v0
	v_pk_add_f32 v[0:1], v[6:7], v[4:5] neg_lo:[0,1] neg_hi:[0,1]
	s_or_b64 vcc, s[2:3], vcc
	v_add_f32_e32 v1, v9, v1
	v_add_f32_e32 v0, v0, v1
	;; [unrolled: 1-line block ×4, first 2 shown]
	v_sub_f32_e32 v2, v1, v13
	v_mul_f32_e32 v0, v11, v0
	v_sub_f32_e32 v2, v12, v2
	v_add_f32_e32 v2, v2, v0
	v_add_f32_e32 v4, v1, v2
	v_mul_f32_e32 v5, v4, v4
	v_fmamk_f32 v0, v5, 0x3e9b6dac, v22
	v_fmaak_f32 v29, v5, v0, 0x3f2aaada
	v_cvt_f32_i32_e32 v0, v8
	v_sub_f32_e32 v1, v4, v1
	v_sub_f32_e32 v1, v2, v1
	v_ldexp_f32 v6, v1, 1
	v_mul_f32_e32 v1, v4, v5
	v_ldexp_f32 v3, v4, 1
	v_pk_mul_f32 v[4:5], v[0:1], v[28:29]
	s_nop 0
	v_fma_f32 v2, v0, s31, -v4
	v_fmac_f32_e32 v2, 0xb102e308, v0
	v_pk_add_f32 v[0:1], v[4:5], v[2:3]
	s_nop 0
	v_sub_f32_e32 v3, v1, v3
	v_sub_f32_e32 v3, v5, v3
	v_add_f32_e32 v7, v6, v3
	v_mov_b32_e32 v6, v4
	v_pk_add_f32 v[4:5], v[0:1], v[4:5] neg_lo:[0,1] neg_hi:[0,1]
	v_pk_add_f32 v[8:9], v[0:1], v[6:7]
	v_mov_b32_e32 v3, v0
	v_mov_b32_e32 v5, v9
	v_pk_add_f32 v[10:11], v[2:3], v[4:5] neg_lo:[0,1] neg_hi:[0,1]
	v_pk_add_f32 v[2:3], v[2:3], v[4:5]
	v_mov_b32_e32 v6, v7
	v_mov_b32_e32 v4, v3
	v_pk_add_f32 v[12:13], v[4:5], v[0:1] neg_lo:[0,1] neg_hi:[0,1]
	v_mov_b32_e32 v2, v9
	v_mov_b32_e32 v5, v12
	v_pk_add_f32 v[14:15], v[8:9], v[4:5] neg_lo:[0,1] neg_hi:[0,1]
	v_mov_b32_e32 v8, v1
	v_mov_b32_e32 v9, v12
	;; [unrolled: 1-line block ×3, first 2 shown]
	v_pk_add_f32 v[2:3], v[2:3], v[8:9] neg_lo:[0,1] neg_hi:[0,1]
	v_mov_b32_e32 v7, v0
	v_pk_add_f32 v[0:1], v[6:7], v[2:3] neg_lo:[0,1] neg_hi:[0,1]
	v_mov_b32_e32 v14, v10
	v_pk_add_f32 v[2:3], v[14:15], v[0:1]
	s_nop 0
	v_mov_b32_e32 v6, v3
	v_pk_add_f32 v[6:7], v[2:3], v[6:7]
	s_nop 0
	v_pk_add_f32 v[4:5], v[4:5], v[6:7]
	v_mov_b32_e32 v1, v6
	v_mov_b32_e32 v3, v4
	v_pk_add_f32 v[8:9], v[2:3], v[10:11] neg_lo:[0,1] neg_hi:[0,1]
	s_nop 0
	v_sub_f32_e32 v2, v2, v8
	v_pk_add_f32 v[0:1], v[0:1], v[8:9] neg_lo:[0,1] neg_hi:[0,1]
	v_sub_f32_e32 v2, v10, v2
	v_add_f32_e32 v0, v0, v2
	v_add_f32_e32 v0, v0, v1
	;; [unrolled: 1-line block ×3, first 2 shown]
	v_cndmask_b32_e32 v47, v0, v16, vcc
.LBB49_32:                              ;   in Loop: Header=BB49_12 Depth=1
	s_or_b64 exec, exec, s[22:23]
	scratch_load_dwordx4 v[0:3], off, off offset:56 ; 16-byte Folded Reload
	s_waitcnt vmcnt(0)
	v_lshlrev_b32_e32 v0, 16, v3
	v_add_f32_e32 v48, s33, v0
	v_cmp_ge_f32_e32 vcc, s1, v48
	s_and_b64 s[2:3], s[80:81], vcc
	s_and_saveexec_b64 s[22:23], s[2:3]
	s_cbranch_execz .LBB49_34
; %bb.33:                               ;   in Loop: Header=BB49_12 Depth=1
	v_mul_f32_e32 v0, 0x3fb8aa3b, v48
	v_rndne_f32_e32 v1, v0
	v_sub_f32_e32 v2, v0, v1
	v_fma_f32 v0, v48, s26, -v0
	v_fmac_f32_e32 v0, 0x32a5705f, v48
	v_add_f32_e32 v0, v2, v0
	v_cvt_i32_f32_e32 v1, v1
	v_exp_f32_e32 v0, v0
	v_cmp_ngt_f32_e32 vcc, s27, v48
	v_ldexp_f32 v0, v0, v1
	s_nop 0
	v_cndmask_b32_e32 v0, 0, v0, vcc
	v_cmp_nlt_f32_e32 vcc, s28, v48
	s_nop 1
	v_cndmask_b32_e32 v16, v23, v0, vcc
	v_add_f32_e32 v2, 1.0, v16
	v_add_f32_e32 v0, -1.0, v2
	v_sub_f32_e32 v1, v0, v2
	v_add_f32_e32 v1, 1.0, v1
	v_sub_f32_e32 v0, v16, v0
	v_add_f32_e32 v3, v0, v1
	v_frexp_mant_f32_e32 v4, v2
	v_cvt_f64_f32_e32 v[0:1], v2
	v_frexp_exp_i32_f64_e32 v0, v[0:1]
	v_cmp_gt_f32_e32 vcc, s30, v4
	v_cmp_gt_f32_e64 s[2:3], s34, v16
	s_nop 0
	v_subbrev_co_u32_e32 v8, vcc, 0, v0, vcc
	v_sub_u32_e32 v0, 0, v8
	v_ldexp_f32 v1, v2, v0
	v_add_f32_e32 v2, -1.0, v1
	v_add_f32_e32 v4, 1.0, v1
	v_ldexp_f32 v0, v3, v0
	v_add_f32_e32 v3, 1.0, v2
	v_add_f32_e32 v5, -1.0, v4
	v_sub_f32_e32 v3, v1, v3
	v_sub_f32_e32 v1, v1, v5
	v_add_f32_e32 v3, v0, v3
	v_add_f32_e32 v0, v0, v1
	;; [unrolled: 1-line block ×3, first 2 shown]
	v_rcp_f32_e32 v11, v9
	v_sub_f32_e32 v1, v4, v9
	v_add_f32_e32 v10, v0, v1
	v_add_f32_e32 v1, v2, v3
	v_mul_f32_e32 v13, v1, v11
	v_sub_f32_e32 v0, v2, v1
	v_mul_f32_e32 v2, v9, v13
	v_fma_f32 v4, v13, v9, -v2
	v_fmac_f32_e32 v4, v13, v10
	v_add_f32_e32 v12, v3, v0
	v_add_f32_e32 v0, v2, v4
	v_sub_f32_e32 v3, v1, v0
	v_pk_add_f32 v[6:7], v[0:1], v[2:3] neg_lo:[0,1] neg_hi:[0,1]
	v_mov_b32_e32 v5, v0
	v_pk_add_f32 v[0:1], v[6:7], v[4:5] neg_lo:[0,1] neg_hi:[0,1]
	v_cmp_eq_f32_e32 vcc, s29, v16
	v_add_f32_e32 v1, v12, v1
	v_add_f32_e32 v0, v0, v1
	;; [unrolled: 1-line block ×3, first 2 shown]
	v_mul_f32_e32 v12, v11, v1
	v_mul_f32_e32 v2, v9, v12
	v_fma_f32 v4, v12, v9, -v2
	v_fmac_f32_e32 v4, v12, v10
	v_sub_f32_e32 v3, v3, v1
	v_add_f32_e32 v9, v0, v3
	v_add_f32_e32 v0, v2, v4
	v_sub_f32_e32 v3, v1, v0
	v_pk_add_f32 v[6:7], v[0:1], v[2:3] neg_lo:[0,1] neg_hi:[0,1]
	v_mov_b32_e32 v5, v0
	v_pk_add_f32 v[0:1], v[6:7], v[4:5] neg_lo:[0,1] neg_hi:[0,1]
	s_or_b64 vcc, s[2:3], vcc
	v_add_f32_e32 v1, v9, v1
	v_add_f32_e32 v0, v0, v1
	;; [unrolled: 1-line block ×4, first 2 shown]
	v_sub_f32_e32 v2, v1, v13
	v_mul_f32_e32 v0, v11, v0
	v_sub_f32_e32 v2, v12, v2
	v_add_f32_e32 v2, v2, v0
	v_add_f32_e32 v4, v1, v2
	v_mul_f32_e32 v5, v4, v4
	v_fmamk_f32 v0, v5, 0x3e9b6dac, v22
	v_fmaak_f32 v29, v5, v0, 0x3f2aaada
	v_cvt_f32_i32_e32 v0, v8
	v_sub_f32_e32 v1, v4, v1
	v_sub_f32_e32 v1, v2, v1
	v_ldexp_f32 v6, v1, 1
	v_mul_f32_e32 v1, v4, v5
	v_ldexp_f32 v3, v4, 1
	v_pk_mul_f32 v[4:5], v[0:1], v[28:29]
	s_nop 0
	v_fma_f32 v2, v0, s31, -v4
	v_fmac_f32_e32 v2, 0xb102e308, v0
	v_pk_add_f32 v[0:1], v[4:5], v[2:3]
	s_nop 0
	v_sub_f32_e32 v3, v1, v3
	v_sub_f32_e32 v3, v5, v3
	v_add_f32_e32 v7, v6, v3
	v_mov_b32_e32 v6, v4
	v_pk_add_f32 v[4:5], v[0:1], v[4:5] neg_lo:[0,1] neg_hi:[0,1]
	v_pk_add_f32 v[8:9], v[0:1], v[6:7]
	v_mov_b32_e32 v3, v0
	v_mov_b32_e32 v5, v9
	v_pk_add_f32 v[10:11], v[2:3], v[4:5] neg_lo:[0,1] neg_hi:[0,1]
	v_pk_add_f32 v[2:3], v[2:3], v[4:5]
	v_mov_b32_e32 v6, v7
	v_mov_b32_e32 v4, v3
	v_pk_add_f32 v[12:13], v[4:5], v[0:1] neg_lo:[0,1] neg_hi:[0,1]
	v_mov_b32_e32 v2, v9
	v_mov_b32_e32 v5, v12
	v_pk_add_f32 v[14:15], v[8:9], v[4:5] neg_lo:[0,1] neg_hi:[0,1]
	v_mov_b32_e32 v8, v1
	v_mov_b32_e32 v9, v12
	;; [unrolled: 1-line block ×3, first 2 shown]
	v_pk_add_f32 v[2:3], v[2:3], v[8:9] neg_lo:[0,1] neg_hi:[0,1]
	v_mov_b32_e32 v7, v0
	v_pk_add_f32 v[0:1], v[6:7], v[2:3] neg_lo:[0,1] neg_hi:[0,1]
	v_mov_b32_e32 v14, v10
	v_pk_add_f32 v[2:3], v[14:15], v[0:1]
	s_nop 0
	v_mov_b32_e32 v6, v3
	v_pk_add_f32 v[6:7], v[2:3], v[6:7]
	s_nop 0
	v_pk_add_f32 v[4:5], v[4:5], v[6:7]
	v_mov_b32_e32 v1, v6
	v_mov_b32_e32 v3, v4
	v_pk_add_f32 v[8:9], v[2:3], v[10:11] neg_lo:[0,1] neg_hi:[0,1]
	s_nop 0
	v_sub_f32_e32 v2, v2, v8
	v_pk_add_f32 v[0:1], v[0:1], v[8:9] neg_lo:[0,1] neg_hi:[0,1]
	v_sub_f32_e32 v2, v10, v2
	v_add_f32_e32 v0, v0, v2
	v_add_f32_e32 v0, v0, v1
	;; [unrolled: 1-line block ×3, first 2 shown]
	v_cndmask_b32_e32 v48, v0, v16, vcc
.LBB49_34:                              ;   in Loop: Header=BB49_12 Depth=1
	s_or_b64 exec, exec, s[22:23]
	scratch_load_dwordx4 v[0:3], off, off offset:56 ; 16-byte Folded Reload
	s_waitcnt vmcnt(0)
	v_and_b32_e32 v0, 0xffff0000, v3
	v_add_f32_e32 v49, s33, v0
	v_cmp_ge_f32_e32 vcc, s1, v49
	s_and_b64 s[2:3], s[80:81], vcc
	s_and_saveexec_b64 s[22:23], s[2:3]
	s_cbranch_execz .LBB49_36
; %bb.35:                               ;   in Loop: Header=BB49_12 Depth=1
	v_mul_f32_e32 v0, 0x3fb8aa3b, v49
	v_rndne_f32_e32 v1, v0
	v_sub_f32_e32 v2, v0, v1
	v_fma_f32 v0, v49, s26, -v0
	v_fmac_f32_e32 v0, 0x32a5705f, v49
	v_add_f32_e32 v0, v2, v0
	v_cvt_i32_f32_e32 v1, v1
	v_exp_f32_e32 v0, v0
	v_cmp_ngt_f32_e32 vcc, s27, v49
	v_ldexp_f32 v0, v0, v1
	s_nop 0
	v_cndmask_b32_e32 v0, 0, v0, vcc
	v_cmp_nlt_f32_e32 vcc, s28, v49
	s_nop 1
	v_cndmask_b32_e32 v16, v23, v0, vcc
	v_add_f32_e32 v2, 1.0, v16
	v_add_f32_e32 v0, -1.0, v2
	v_sub_f32_e32 v1, v0, v2
	v_add_f32_e32 v1, 1.0, v1
	v_sub_f32_e32 v0, v16, v0
	v_add_f32_e32 v3, v0, v1
	v_frexp_mant_f32_e32 v4, v2
	v_cvt_f64_f32_e32 v[0:1], v2
	v_frexp_exp_i32_f64_e32 v0, v[0:1]
	v_cmp_gt_f32_e32 vcc, s30, v4
	v_cmp_gt_f32_e64 s[2:3], s34, v16
	s_nop 0
	v_subbrev_co_u32_e32 v8, vcc, 0, v0, vcc
	v_sub_u32_e32 v0, 0, v8
	v_ldexp_f32 v1, v2, v0
	v_add_f32_e32 v2, -1.0, v1
	v_add_f32_e32 v4, 1.0, v1
	v_ldexp_f32 v0, v3, v0
	v_add_f32_e32 v3, 1.0, v2
	v_add_f32_e32 v5, -1.0, v4
	v_sub_f32_e32 v3, v1, v3
	v_sub_f32_e32 v1, v1, v5
	v_add_f32_e32 v3, v0, v3
	v_add_f32_e32 v0, v0, v1
	;; [unrolled: 1-line block ×3, first 2 shown]
	v_rcp_f32_e32 v11, v9
	v_sub_f32_e32 v1, v4, v9
	v_add_f32_e32 v10, v0, v1
	v_add_f32_e32 v1, v2, v3
	v_mul_f32_e32 v13, v1, v11
	v_sub_f32_e32 v0, v2, v1
	v_mul_f32_e32 v2, v9, v13
	v_fma_f32 v4, v13, v9, -v2
	v_fmac_f32_e32 v4, v13, v10
	v_add_f32_e32 v12, v3, v0
	v_add_f32_e32 v0, v2, v4
	v_sub_f32_e32 v3, v1, v0
	v_pk_add_f32 v[6:7], v[0:1], v[2:3] neg_lo:[0,1] neg_hi:[0,1]
	v_mov_b32_e32 v5, v0
	v_pk_add_f32 v[0:1], v[6:7], v[4:5] neg_lo:[0,1] neg_hi:[0,1]
	v_cmp_eq_f32_e32 vcc, s29, v16
	v_add_f32_e32 v1, v12, v1
	v_add_f32_e32 v0, v0, v1
	;; [unrolled: 1-line block ×3, first 2 shown]
	v_mul_f32_e32 v12, v11, v1
	v_mul_f32_e32 v2, v9, v12
	v_fma_f32 v4, v12, v9, -v2
	v_fmac_f32_e32 v4, v12, v10
	v_sub_f32_e32 v3, v3, v1
	v_add_f32_e32 v9, v0, v3
	v_add_f32_e32 v0, v2, v4
	v_sub_f32_e32 v3, v1, v0
	v_pk_add_f32 v[6:7], v[0:1], v[2:3] neg_lo:[0,1] neg_hi:[0,1]
	v_mov_b32_e32 v5, v0
	v_pk_add_f32 v[0:1], v[6:7], v[4:5] neg_lo:[0,1] neg_hi:[0,1]
	s_or_b64 vcc, s[2:3], vcc
	v_add_f32_e32 v1, v9, v1
	v_add_f32_e32 v0, v0, v1
	v_add_f32_e32 v1, v13, v12
	v_add_f32_e32 v0, v3, v0
	v_sub_f32_e32 v2, v1, v13
	v_mul_f32_e32 v0, v11, v0
	v_sub_f32_e32 v2, v12, v2
	v_add_f32_e32 v2, v2, v0
	v_add_f32_e32 v4, v1, v2
	v_mul_f32_e32 v5, v4, v4
	v_fmamk_f32 v0, v5, 0x3e9b6dac, v22
	v_fmaak_f32 v29, v5, v0, 0x3f2aaada
	v_cvt_f32_i32_e32 v0, v8
	v_sub_f32_e32 v1, v4, v1
	v_sub_f32_e32 v1, v2, v1
	v_ldexp_f32 v6, v1, 1
	v_mul_f32_e32 v1, v4, v5
	v_ldexp_f32 v3, v4, 1
	v_pk_mul_f32 v[4:5], v[0:1], v[28:29]
	s_nop 0
	v_fma_f32 v2, v0, s31, -v4
	v_fmac_f32_e32 v2, 0xb102e308, v0
	v_pk_add_f32 v[0:1], v[4:5], v[2:3]
	s_nop 0
	v_sub_f32_e32 v3, v1, v3
	v_sub_f32_e32 v3, v5, v3
	v_add_f32_e32 v7, v6, v3
	v_mov_b32_e32 v6, v4
	v_pk_add_f32 v[4:5], v[0:1], v[4:5] neg_lo:[0,1] neg_hi:[0,1]
	v_pk_add_f32 v[8:9], v[0:1], v[6:7]
	v_mov_b32_e32 v3, v0
	v_mov_b32_e32 v5, v9
	v_pk_add_f32 v[10:11], v[2:3], v[4:5] neg_lo:[0,1] neg_hi:[0,1]
	v_pk_add_f32 v[2:3], v[2:3], v[4:5]
	v_mov_b32_e32 v6, v7
	v_mov_b32_e32 v4, v3
	v_pk_add_f32 v[12:13], v[4:5], v[0:1] neg_lo:[0,1] neg_hi:[0,1]
	v_mov_b32_e32 v2, v9
	v_mov_b32_e32 v5, v12
	v_pk_add_f32 v[14:15], v[8:9], v[4:5] neg_lo:[0,1] neg_hi:[0,1]
	v_mov_b32_e32 v8, v1
	v_mov_b32_e32 v9, v12
	v_mov_b32_e32 v11, v3
	v_pk_add_f32 v[2:3], v[2:3], v[8:9] neg_lo:[0,1] neg_hi:[0,1]
	v_mov_b32_e32 v7, v0
	v_pk_add_f32 v[0:1], v[6:7], v[2:3] neg_lo:[0,1] neg_hi:[0,1]
	v_mov_b32_e32 v14, v10
	v_pk_add_f32 v[2:3], v[14:15], v[0:1]
	s_nop 0
	v_mov_b32_e32 v6, v3
	v_pk_add_f32 v[6:7], v[2:3], v[6:7]
	s_nop 0
	v_pk_add_f32 v[4:5], v[4:5], v[6:7]
	v_mov_b32_e32 v1, v6
	v_mov_b32_e32 v3, v4
	v_pk_add_f32 v[8:9], v[2:3], v[10:11] neg_lo:[0,1] neg_hi:[0,1]
	s_nop 0
	v_sub_f32_e32 v2, v2, v8
	v_pk_add_f32 v[0:1], v[0:1], v[8:9] neg_lo:[0,1] neg_hi:[0,1]
	v_sub_f32_e32 v2, v10, v2
	v_add_f32_e32 v0, v0, v2
	v_add_f32_e32 v0, v0, v1
	;; [unrolled: 1-line block ×3, first 2 shown]
	v_cndmask_b32_e32 v49, v0, v16, vcc
.LBB49_36:                              ;   in Loop: Header=BB49_12 Depth=1
	s_or_b64 exec, exec, s[22:23]
	s_waitcnt lgkmcnt(0)
	v_lshlrev_b32_e32 v0, 16, v34
	v_add_f32_e32 v92, s33, v0
	v_cmp_ge_f32_e32 vcc, s1, v92
	s_and_b64 s[2:3], s[80:81], vcc
	s_and_saveexec_b64 s[22:23], s[2:3]
	s_cbranch_execz .LBB49_38
; %bb.37:                               ;   in Loop: Header=BB49_12 Depth=1
	v_mul_f32_e32 v0, 0x3fb8aa3b, v92
	v_rndne_f32_e32 v1, v0
	v_sub_f32_e32 v2, v0, v1
	v_fma_f32 v0, v92, s26, -v0
	v_fmac_f32_e32 v0, 0x32a5705f, v92
	v_add_f32_e32 v0, v2, v0
	v_cvt_i32_f32_e32 v1, v1
	v_exp_f32_e32 v0, v0
	v_cmp_ngt_f32_e32 vcc, s27, v92
	v_ldexp_f32 v0, v0, v1
	s_nop 0
	v_cndmask_b32_e32 v0, 0, v0, vcc
	v_cmp_nlt_f32_e32 vcc, s28, v92
	s_nop 1
	v_cndmask_b32_e32 v16, v23, v0, vcc
	v_add_f32_e32 v2, 1.0, v16
	v_add_f32_e32 v0, -1.0, v2
	v_sub_f32_e32 v1, v0, v2
	v_add_f32_e32 v1, 1.0, v1
	v_sub_f32_e32 v0, v16, v0
	v_add_f32_e32 v3, v0, v1
	v_frexp_mant_f32_e32 v4, v2
	v_cvt_f64_f32_e32 v[0:1], v2
	v_frexp_exp_i32_f64_e32 v0, v[0:1]
	v_cmp_gt_f32_e32 vcc, s30, v4
	v_cmp_gt_f32_e64 s[2:3], s34, v16
	s_nop 0
	v_subbrev_co_u32_e32 v8, vcc, 0, v0, vcc
	v_sub_u32_e32 v0, 0, v8
	v_ldexp_f32 v1, v2, v0
	v_add_f32_e32 v2, -1.0, v1
	v_add_f32_e32 v4, 1.0, v1
	v_ldexp_f32 v0, v3, v0
	v_add_f32_e32 v3, 1.0, v2
	v_add_f32_e32 v5, -1.0, v4
	v_sub_f32_e32 v3, v1, v3
	v_sub_f32_e32 v1, v1, v5
	v_add_f32_e32 v3, v0, v3
	v_add_f32_e32 v0, v0, v1
	;; [unrolled: 1-line block ×3, first 2 shown]
	v_rcp_f32_e32 v11, v9
	v_sub_f32_e32 v1, v4, v9
	v_add_f32_e32 v10, v0, v1
	v_add_f32_e32 v1, v2, v3
	v_mul_f32_e32 v13, v1, v11
	v_sub_f32_e32 v0, v2, v1
	v_mul_f32_e32 v2, v9, v13
	v_fma_f32 v4, v13, v9, -v2
	v_fmac_f32_e32 v4, v13, v10
	v_add_f32_e32 v12, v3, v0
	v_add_f32_e32 v0, v2, v4
	v_sub_f32_e32 v3, v1, v0
	v_pk_add_f32 v[6:7], v[0:1], v[2:3] neg_lo:[0,1] neg_hi:[0,1]
	v_mov_b32_e32 v5, v0
	v_pk_add_f32 v[0:1], v[6:7], v[4:5] neg_lo:[0,1] neg_hi:[0,1]
	v_cmp_eq_f32_e32 vcc, s29, v16
	v_add_f32_e32 v1, v12, v1
	v_add_f32_e32 v0, v0, v1
	;; [unrolled: 1-line block ×3, first 2 shown]
	v_mul_f32_e32 v12, v11, v1
	v_mul_f32_e32 v2, v9, v12
	v_fma_f32 v4, v12, v9, -v2
	v_fmac_f32_e32 v4, v12, v10
	v_sub_f32_e32 v3, v3, v1
	v_add_f32_e32 v9, v0, v3
	v_add_f32_e32 v0, v2, v4
	v_sub_f32_e32 v3, v1, v0
	v_pk_add_f32 v[6:7], v[0:1], v[2:3] neg_lo:[0,1] neg_hi:[0,1]
	v_mov_b32_e32 v5, v0
	v_pk_add_f32 v[0:1], v[6:7], v[4:5] neg_lo:[0,1] neg_hi:[0,1]
	s_or_b64 vcc, s[2:3], vcc
	v_add_f32_e32 v1, v9, v1
	v_add_f32_e32 v0, v0, v1
	;; [unrolled: 1-line block ×4, first 2 shown]
	v_sub_f32_e32 v2, v1, v13
	v_mul_f32_e32 v0, v11, v0
	v_sub_f32_e32 v2, v12, v2
	v_add_f32_e32 v2, v2, v0
	v_add_f32_e32 v4, v1, v2
	v_mul_f32_e32 v5, v4, v4
	v_fmamk_f32 v0, v5, 0x3e9b6dac, v22
	v_fmaak_f32 v29, v5, v0, 0x3f2aaada
	v_cvt_f32_i32_e32 v0, v8
	v_sub_f32_e32 v1, v4, v1
	v_sub_f32_e32 v1, v2, v1
	v_ldexp_f32 v6, v1, 1
	v_mul_f32_e32 v1, v4, v5
	v_ldexp_f32 v3, v4, 1
	v_pk_mul_f32 v[4:5], v[0:1], v[28:29]
	s_nop 0
	v_fma_f32 v2, v0, s31, -v4
	v_fmac_f32_e32 v2, 0xb102e308, v0
	v_pk_add_f32 v[0:1], v[4:5], v[2:3]
	s_nop 0
	v_sub_f32_e32 v3, v1, v3
	v_sub_f32_e32 v3, v5, v3
	v_add_f32_e32 v7, v6, v3
	v_mov_b32_e32 v6, v4
	v_pk_add_f32 v[4:5], v[0:1], v[4:5] neg_lo:[0,1] neg_hi:[0,1]
	v_pk_add_f32 v[8:9], v[0:1], v[6:7]
	v_mov_b32_e32 v3, v0
	v_mov_b32_e32 v5, v9
	v_pk_add_f32 v[10:11], v[2:3], v[4:5] neg_lo:[0,1] neg_hi:[0,1]
	v_pk_add_f32 v[2:3], v[2:3], v[4:5]
	v_mov_b32_e32 v6, v7
	v_mov_b32_e32 v4, v3
	v_pk_add_f32 v[12:13], v[4:5], v[0:1] neg_lo:[0,1] neg_hi:[0,1]
	v_mov_b32_e32 v2, v9
	v_mov_b32_e32 v5, v12
	v_pk_add_f32 v[14:15], v[8:9], v[4:5] neg_lo:[0,1] neg_hi:[0,1]
	v_mov_b32_e32 v8, v1
	v_mov_b32_e32 v9, v12
	;; [unrolled: 1-line block ×3, first 2 shown]
	v_pk_add_f32 v[2:3], v[2:3], v[8:9] neg_lo:[0,1] neg_hi:[0,1]
	v_mov_b32_e32 v7, v0
	v_pk_add_f32 v[0:1], v[6:7], v[2:3] neg_lo:[0,1] neg_hi:[0,1]
	v_mov_b32_e32 v14, v10
	v_pk_add_f32 v[2:3], v[14:15], v[0:1]
	s_nop 0
	v_mov_b32_e32 v6, v3
	v_pk_add_f32 v[6:7], v[2:3], v[6:7]
	s_nop 0
	v_pk_add_f32 v[4:5], v[4:5], v[6:7]
	v_mov_b32_e32 v1, v6
	v_mov_b32_e32 v3, v4
	v_pk_add_f32 v[8:9], v[2:3], v[10:11] neg_lo:[0,1] neg_hi:[0,1]
	s_nop 0
	v_sub_f32_e32 v2, v2, v8
	v_pk_add_f32 v[0:1], v[0:1], v[8:9] neg_lo:[0,1] neg_hi:[0,1]
	v_sub_f32_e32 v2, v10, v2
	v_add_f32_e32 v0, v0, v2
	v_add_f32_e32 v0, v0, v1
	;; [unrolled: 1-line block ×3, first 2 shown]
	v_cndmask_b32_e32 v92, v0, v16, vcc
.LBB49_38:                              ;   in Loop: Header=BB49_12 Depth=1
	s_or_b64 exec, exec, s[22:23]
	v_and_b32_e32 v0, 0xffff0000, v34
	v_add_f32_e32 v85, s33, v0
	v_cmp_ge_f32_e32 vcc, s1, v85
	s_and_b64 s[2:3], s[80:81], vcc
	s_and_saveexec_b64 s[22:23], s[2:3]
	s_cbranch_execz .LBB49_40
; %bb.39:                               ;   in Loop: Header=BB49_12 Depth=1
	v_mul_f32_e32 v0, 0x3fb8aa3b, v85
	v_rndne_f32_e32 v1, v0
	v_sub_f32_e32 v2, v0, v1
	v_fma_f32 v0, v85, s26, -v0
	v_fmac_f32_e32 v0, 0x32a5705f, v85
	v_add_f32_e32 v0, v2, v0
	v_cvt_i32_f32_e32 v1, v1
	v_exp_f32_e32 v0, v0
	v_cmp_ngt_f32_e32 vcc, s27, v85
	v_ldexp_f32 v0, v0, v1
	s_nop 0
	v_cndmask_b32_e32 v0, 0, v0, vcc
	v_cmp_nlt_f32_e32 vcc, s28, v85
	s_nop 1
	v_cndmask_b32_e32 v16, v23, v0, vcc
	v_add_f32_e32 v2, 1.0, v16
	v_add_f32_e32 v0, -1.0, v2
	v_sub_f32_e32 v1, v0, v2
	v_add_f32_e32 v1, 1.0, v1
	v_sub_f32_e32 v0, v16, v0
	v_add_f32_e32 v3, v0, v1
	v_frexp_mant_f32_e32 v4, v2
	v_cvt_f64_f32_e32 v[0:1], v2
	v_frexp_exp_i32_f64_e32 v0, v[0:1]
	v_cmp_gt_f32_e32 vcc, s30, v4
	v_cmp_gt_f32_e64 s[2:3], s34, v16
	s_nop 0
	v_subbrev_co_u32_e32 v8, vcc, 0, v0, vcc
	v_sub_u32_e32 v0, 0, v8
	v_ldexp_f32 v1, v2, v0
	v_add_f32_e32 v2, -1.0, v1
	v_add_f32_e32 v4, 1.0, v1
	v_ldexp_f32 v0, v3, v0
	v_add_f32_e32 v3, 1.0, v2
	v_add_f32_e32 v5, -1.0, v4
	v_sub_f32_e32 v3, v1, v3
	v_sub_f32_e32 v1, v1, v5
	v_add_f32_e32 v3, v0, v3
	v_add_f32_e32 v0, v0, v1
	;; [unrolled: 1-line block ×3, first 2 shown]
	v_rcp_f32_e32 v11, v9
	v_sub_f32_e32 v1, v4, v9
	v_add_f32_e32 v10, v0, v1
	v_add_f32_e32 v1, v2, v3
	v_mul_f32_e32 v13, v1, v11
	v_sub_f32_e32 v0, v2, v1
	v_mul_f32_e32 v2, v9, v13
	v_fma_f32 v4, v13, v9, -v2
	v_fmac_f32_e32 v4, v13, v10
	v_add_f32_e32 v12, v3, v0
	v_add_f32_e32 v0, v2, v4
	v_sub_f32_e32 v3, v1, v0
	v_pk_add_f32 v[6:7], v[0:1], v[2:3] neg_lo:[0,1] neg_hi:[0,1]
	v_mov_b32_e32 v5, v0
	v_pk_add_f32 v[0:1], v[6:7], v[4:5] neg_lo:[0,1] neg_hi:[0,1]
	v_cmp_eq_f32_e32 vcc, s29, v16
	v_add_f32_e32 v1, v12, v1
	v_add_f32_e32 v0, v0, v1
	;; [unrolled: 1-line block ×3, first 2 shown]
	v_mul_f32_e32 v12, v11, v1
	v_mul_f32_e32 v2, v9, v12
	v_fma_f32 v4, v12, v9, -v2
	v_fmac_f32_e32 v4, v12, v10
	v_sub_f32_e32 v3, v3, v1
	v_add_f32_e32 v9, v0, v3
	v_add_f32_e32 v0, v2, v4
	v_sub_f32_e32 v3, v1, v0
	v_pk_add_f32 v[6:7], v[0:1], v[2:3] neg_lo:[0,1] neg_hi:[0,1]
	v_mov_b32_e32 v5, v0
	v_pk_add_f32 v[0:1], v[6:7], v[4:5] neg_lo:[0,1] neg_hi:[0,1]
	s_or_b64 vcc, s[2:3], vcc
	v_add_f32_e32 v1, v9, v1
	v_add_f32_e32 v0, v0, v1
	;; [unrolled: 1-line block ×4, first 2 shown]
	v_sub_f32_e32 v2, v1, v13
	v_mul_f32_e32 v0, v11, v0
	v_sub_f32_e32 v2, v12, v2
	v_add_f32_e32 v2, v2, v0
	v_add_f32_e32 v4, v1, v2
	v_mul_f32_e32 v5, v4, v4
	v_fmamk_f32 v0, v5, 0x3e9b6dac, v22
	v_fmaak_f32 v29, v5, v0, 0x3f2aaada
	v_cvt_f32_i32_e32 v0, v8
	v_sub_f32_e32 v1, v4, v1
	v_sub_f32_e32 v1, v2, v1
	v_ldexp_f32 v6, v1, 1
	v_mul_f32_e32 v1, v4, v5
	v_ldexp_f32 v3, v4, 1
	v_pk_mul_f32 v[4:5], v[0:1], v[28:29]
	s_nop 0
	v_fma_f32 v2, v0, s31, -v4
	v_fmac_f32_e32 v2, 0xb102e308, v0
	v_pk_add_f32 v[0:1], v[4:5], v[2:3]
	s_nop 0
	v_sub_f32_e32 v3, v1, v3
	v_sub_f32_e32 v3, v5, v3
	v_add_f32_e32 v7, v6, v3
	v_mov_b32_e32 v6, v4
	v_pk_add_f32 v[4:5], v[0:1], v[4:5] neg_lo:[0,1] neg_hi:[0,1]
	v_pk_add_f32 v[8:9], v[0:1], v[6:7]
	v_mov_b32_e32 v3, v0
	v_mov_b32_e32 v5, v9
	v_pk_add_f32 v[10:11], v[2:3], v[4:5] neg_lo:[0,1] neg_hi:[0,1]
	v_pk_add_f32 v[2:3], v[2:3], v[4:5]
	v_mov_b32_e32 v6, v7
	v_mov_b32_e32 v4, v3
	v_pk_add_f32 v[12:13], v[4:5], v[0:1] neg_lo:[0,1] neg_hi:[0,1]
	v_mov_b32_e32 v2, v9
	v_mov_b32_e32 v5, v12
	v_pk_add_f32 v[14:15], v[8:9], v[4:5] neg_lo:[0,1] neg_hi:[0,1]
	v_mov_b32_e32 v8, v1
	v_mov_b32_e32 v9, v12
	;; [unrolled: 1-line block ×3, first 2 shown]
	v_pk_add_f32 v[2:3], v[2:3], v[8:9] neg_lo:[0,1] neg_hi:[0,1]
	v_mov_b32_e32 v7, v0
	v_pk_add_f32 v[0:1], v[6:7], v[2:3] neg_lo:[0,1] neg_hi:[0,1]
	v_mov_b32_e32 v14, v10
	v_pk_add_f32 v[2:3], v[14:15], v[0:1]
	s_nop 0
	v_mov_b32_e32 v6, v3
	v_pk_add_f32 v[6:7], v[2:3], v[6:7]
	s_nop 0
	v_pk_add_f32 v[4:5], v[4:5], v[6:7]
	v_mov_b32_e32 v1, v6
	v_mov_b32_e32 v3, v4
	v_pk_add_f32 v[8:9], v[2:3], v[10:11] neg_lo:[0,1] neg_hi:[0,1]
	s_nop 0
	v_sub_f32_e32 v2, v2, v8
	v_pk_add_f32 v[0:1], v[0:1], v[8:9] neg_lo:[0,1] neg_hi:[0,1]
	v_sub_f32_e32 v2, v10, v2
	v_add_f32_e32 v0, v0, v2
	v_add_f32_e32 v0, v0, v1
	;; [unrolled: 1-line block ×3, first 2 shown]
	v_cndmask_b32_e32 v85, v0, v16, vcc
.LBB49_40:                              ;   in Loop: Header=BB49_12 Depth=1
	s_or_b64 exec, exec, s[22:23]
	v_lshlrev_b32_e32 v0, 16, v35
	v_add_f32_e32 v86, s33, v0
	v_cmp_ge_f32_e32 vcc, s1, v86
	s_and_b64 s[2:3], s[80:81], vcc
	s_and_saveexec_b64 s[22:23], s[2:3]
	s_cbranch_execz .LBB49_42
; %bb.41:                               ;   in Loop: Header=BB49_12 Depth=1
	v_mul_f32_e32 v0, 0x3fb8aa3b, v86
	v_rndne_f32_e32 v1, v0
	v_sub_f32_e32 v2, v0, v1
	v_fma_f32 v0, v86, s26, -v0
	v_fmac_f32_e32 v0, 0x32a5705f, v86
	v_add_f32_e32 v0, v2, v0
	v_cvt_i32_f32_e32 v1, v1
	v_exp_f32_e32 v0, v0
	v_cmp_ngt_f32_e32 vcc, s27, v86
	v_ldexp_f32 v0, v0, v1
	s_nop 0
	v_cndmask_b32_e32 v0, 0, v0, vcc
	v_cmp_nlt_f32_e32 vcc, s28, v86
	s_nop 1
	v_cndmask_b32_e32 v16, v23, v0, vcc
	v_add_f32_e32 v2, 1.0, v16
	v_add_f32_e32 v0, -1.0, v2
	v_sub_f32_e32 v1, v0, v2
	v_add_f32_e32 v1, 1.0, v1
	v_sub_f32_e32 v0, v16, v0
	v_add_f32_e32 v3, v0, v1
	v_frexp_mant_f32_e32 v4, v2
	v_cvt_f64_f32_e32 v[0:1], v2
	v_frexp_exp_i32_f64_e32 v0, v[0:1]
	v_cmp_gt_f32_e32 vcc, s30, v4
	v_cmp_gt_f32_e64 s[2:3], s34, v16
	s_nop 0
	v_subbrev_co_u32_e32 v8, vcc, 0, v0, vcc
	v_sub_u32_e32 v0, 0, v8
	v_ldexp_f32 v1, v2, v0
	v_add_f32_e32 v2, -1.0, v1
	v_add_f32_e32 v4, 1.0, v1
	v_ldexp_f32 v0, v3, v0
	v_add_f32_e32 v3, 1.0, v2
	v_add_f32_e32 v5, -1.0, v4
	v_sub_f32_e32 v3, v1, v3
	v_sub_f32_e32 v1, v1, v5
	v_add_f32_e32 v3, v0, v3
	v_add_f32_e32 v0, v0, v1
	;; [unrolled: 1-line block ×3, first 2 shown]
	v_rcp_f32_e32 v11, v9
	v_sub_f32_e32 v1, v4, v9
	v_add_f32_e32 v10, v0, v1
	v_add_f32_e32 v1, v2, v3
	v_mul_f32_e32 v13, v1, v11
	v_sub_f32_e32 v0, v2, v1
	v_mul_f32_e32 v2, v9, v13
	v_fma_f32 v4, v13, v9, -v2
	v_fmac_f32_e32 v4, v13, v10
	v_add_f32_e32 v12, v3, v0
	v_add_f32_e32 v0, v2, v4
	v_sub_f32_e32 v3, v1, v0
	v_pk_add_f32 v[6:7], v[0:1], v[2:3] neg_lo:[0,1] neg_hi:[0,1]
	v_mov_b32_e32 v5, v0
	v_pk_add_f32 v[0:1], v[6:7], v[4:5] neg_lo:[0,1] neg_hi:[0,1]
	v_cmp_eq_f32_e32 vcc, s29, v16
	v_add_f32_e32 v1, v12, v1
	v_add_f32_e32 v0, v0, v1
	;; [unrolled: 1-line block ×3, first 2 shown]
	v_mul_f32_e32 v12, v11, v1
	v_mul_f32_e32 v2, v9, v12
	v_fma_f32 v4, v12, v9, -v2
	v_fmac_f32_e32 v4, v12, v10
	v_sub_f32_e32 v3, v3, v1
	v_add_f32_e32 v9, v0, v3
	v_add_f32_e32 v0, v2, v4
	v_sub_f32_e32 v3, v1, v0
	v_pk_add_f32 v[6:7], v[0:1], v[2:3] neg_lo:[0,1] neg_hi:[0,1]
	v_mov_b32_e32 v5, v0
	v_pk_add_f32 v[0:1], v[6:7], v[4:5] neg_lo:[0,1] neg_hi:[0,1]
	s_or_b64 vcc, s[2:3], vcc
	v_add_f32_e32 v1, v9, v1
	v_add_f32_e32 v0, v0, v1
	;; [unrolled: 1-line block ×4, first 2 shown]
	v_sub_f32_e32 v2, v1, v13
	v_mul_f32_e32 v0, v11, v0
	v_sub_f32_e32 v2, v12, v2
	v_add_f32_e32 v2, v2, v0
	v_add_f32_e32 v4, v1, v2
	v_mul_f32_e32 v5, v4, v4
	v_fmamk_f32 v0, v5, 0x3e9b6dac, v22
	v_fmaak_f32 v29, v5, v0, 0x3f2aaada
	v_cvt_f32_i32_e32 v0, v8
	v_sub_f32_e32 v1, v4, v1
	v_sub_f32_e32 v1, v2, v1
	v_ldexp_f32 v6, v1, 1
	v_mul_f32_e32 v1, v4, v5
	v_ldexp_f32 v3, v4, 1
	v_pk_mul_f32 v[4:5], v[0:1], v[28:29]
	s_nop 0
	v_fma_f32 v2, v0, s31, -v4
	v_fmac_f32_e32 v2, 0xb102e308, v0
	v_pk_add_f32 v[0:1], v[4:5], v[2:3]
	s_nop 0
	v_sub_f32_e32 v3, v1, v3
	v_sub_f32_e32 v3, v5, v3
	v_add_f32_e32 v7, v6, v3
	v_mov_b32_e32 v6, v4
	v_pk_add_f32 v[4:5], v[0:1], v[4:5] neg_lo:[0,1] neg_hi:[0,1]
	v_pk_add_f32 v[8:9], v[0:1], v[6:7]
	v_mov_b32_e32 v3, v0
	v_mov_b32_e32 v5, v9
	v_pk_add_f32 v[10:11], v[2:3], v[4:5] neg_lo:[0,1] neg_hi:[0,1]
	v_pk_add_f32 v[2:3], v[2:3], v[4:5]
	v_mov_b32_e32 v6, v7
	v_mov_b32_e32 v4, v3
	v_pk_add_f32 v[12:13], v[4:5], v[0:1] neg_lo:[0,1] neg_hi:[0,1]
	v_mov_b32_e32 v2, v9
	v_mov_b32_e32 v5, v12
	v_pk_add_f32 v[14:15], v[8:9], v[4:5] neg_lo:[0,1] neg_hi:[0,1]
	v_mov_b32_e32 v8, v1
	v_mov_b32_e32 v9, v12
	;; [unrolled: 1-line block ×3, first 2 shown]
	v_pk_add_f32 v[2:3], v[2:3], v[8:9] neg_lo:[0,1] neg_hi:[0,1]
	v_mov_b32_e32 v7, v0
	v_pk_add_f32 v[0:1], v[6:7], v[2:3] neg_lo:[0,1] neg_hi:[0,1]
	v_mov_b32_e32 v14, v10
	v_pk_add_f32 v[2:3], v[14:15], v[0:1]
	s_nop 0
	v_mov_b32_e32 v6, v3
	v_pk_add_f32 v[6:7], v[2:3], v[6:7]
	s_nop 0
	v_pk_add_f32 v[4:5], v[4:5], v[6:7]
	v_mov_b32_e32 v1, v6
	v_mov_b32_e32 v3, v4
	v_pk_add_f32 v[8:9], v[2:3], v[10:11] neg_lo:[0,1] neg_hi:[0,1]
	s_nop 0
	v_sub_f32_e32 v2, v2, v8
	v_pk_add_f32 v[0:1], v[0:1], v[8:9] neg_lo:[0,1] neg_hi:[0,1]
	v_sub_f32_e32 v2, v10, v2
	v_add_f32_e32 v0, v0, v2
	v_add_f32_e32 v0, v0, v1
	;; [unrolled: 1-line block ×3, first 2 shown]
	v_cndmask_b32_e32 v86, v0, v16, vcc
.LBB49_42:                              ;   in Loop: Header=BB49_12 Depth=1
	s_or_b64 exec, exec, s[22:23]
	v_and_b32_e32 v0, 0xffff0000, v35
	v_add_f32_e32 v6, s33, v0
	v_cmp_ge_f32_e32 vcc, s1, v6
	s_and_b64 s[2:3], s[80:81], vcc
	s_and_saveexec_b64 s[22:23], s[2:3]
	s_cbranch_execz .LBB49_44
; %bb.43:                               ;   in Loop: Header=BB49_12 Depth=1
	v_mul_f32_e32 v0, 0x3fb8aa3b, v6
	v_rndne_f32_e32 v1, v0
	v_sub_f32_e32 v2, v0, v1
	v_fma_f32 v0, v6, s26, -v0
	v_fmac_f32_e32 v0, 0x32a5705f, v6
	v_add_f32_e32 v0, v2, v0
	v_cvt_i32_f32_e32 v1, v1
	v_exp_f32_e32 v0, v0
	v_cmp_ngt_f32_e32 vcc, s27, v6
	v_ldexp_f32 v0, v0, v1
	s_nop 0
	v_cndmask_b32_e32 v0, 0, v0, vcc
	v_cmp_nlt_f32_e32 vcc, s28, v6
	s_nop 1
	v_cndmask_b32_e32 v16, v23, v0, vcc
	v_add_f32_e32 v2, 1.0, v16
	v_add_f32_e32 v0, -1.0, v2
	v_sub_f32_e32 v1, v0, v2
	v_add_f32_e32 v1, 1.0, v1
	v_sub_f32_e32 v0, v16, v0
	v_add_f32_e32 v3, v0, v1
	v_frexp_mant_f32_e32 v4, v2
	v_cvt_f64_f32_e32 v[0:1], v2
	v_frexp_exp_i32_f64_e32 v0, v[0:1]
	v_cmp_gt_f32_e32 vcc, s30, v4
	v_cmp_gt_f32_e64 s[2:3], s34, v16
	s_nop 0
	v_subbrev_co_u32_e32 v8, vcc, 0, v0, vcc
	v_sub_u32_e32 v0, 0, v8
	v_ldexp_f32 v1, v2, v0
	v_add_f32_e32 v2, -1.0, v1
	v_add_f32_e32 v4, 1.0, v1
	v_ldexp_f32 v0, v3, v0
	v_add_f32_e32 v3, 1.0, v2
	v_add_f32_e32 v5, -1.0, v4
	v_sub_f32_e32 v3, v1, v3
	v_sub_f32_e32 v1, v1, v5
	v_add_f32_e32 v3, v0, v3
	v_add_f32_e32 v0, v0, v1
	;; [unrolled: 1-line block ×3, first 2 shown]
	v_rcp_f32_e32 v11, v9
	v_sub_f32_e32 v1, v4, v9
	v_add_f32_e32 v10, v0, v1
	v_add_f32_e32 v1, v2, v3
	v_mul_f32_e32 v13, v1, v11
	v_sub_f32_e32 v0, v2, v1
	v_mul_f32_e32 v2, v9, v13
	v_fma_f32 v4, v13, v9, -v2
	v_fmac_f32_e32 v4, v13, v10
	v_add_f32_e32 v12, v3, v0
	v_add_f32_e32 v0, v2, v4
	v_sub_f32_e32 v3, v1, v0
	v_pk_add_f32 v[6:7], v[0:1], v[2:3] neg_lo:[0,1] neg_hi:[0,1]
	v_mov_b32_e32 v5, v0
	v_pk_add_f32 v[0:1], v[6:7], v[4:5] neg_lo:[0,1] neg_hi:[0,1]
	v_cmp_eq_f32_e32 vcc, s29, v16
	v_add_f32_e32 v1, v12, v1
	v_add_f32_e32 v0, v0, v1
	;; [unrolled: 1-line block ×3, first 2 shown]
	v_mul_f32_e32 v12, v11, v1
	v_mul_f32_e32 v2, v9, v12
	v_fma_f32 v4, v12, v9, -v2
	v_fmac_f32_e32 v4, v12, v10
	v_sub_f32_e32 v3, v3, v1
	v_add_f32_e32 v9, v0, v3
	v_add_f32_e32 v0, v2, v4
	v_sub_f32_e32 v3, v1, v0
	v_pk_add_f32 v[6:7], v[0:1], v[2:3] neg_lo:[0,1] neg_hi:[0,1]
	v_mov_b32_e32 v5, v0
	v_pk_add_f32 v[0:1], v[6:7], v[4:5] neg_lo:[0,1] neg_hi:[0,1]
	s_or_b64 vcc, s[2:3], vcc
	v_add_f32_e32 v1, v9, v1
	v_add_f32_e32 v0, v0, v1
	;; [unrolled: 1-line block ×4, first 2 shown]
	v_sub_f32_e32 v2, v1, v13
	v_mul_f32_e32 v0, v11, v0
	v_sub_f32_e32 v2, v12, v2
	v_add_f32_e32 v2, v2, v0
	v_add_f32_e32 v4, v1, v2
	v_mul_f32_e32 v5, v4, v4
	v_fmamk_f32 v0, v5, 0x3e9b6dac, v22
	v_fmaak_f32 v29, v5, v0, 0x3f2aaada
	v_cvt_f32_i32_e32 v0, v8
	v_sub_f32_e32 v1, v4, v1
	v_sub_f32_e32 v1, v2, v1
	v_ldexp_f32 v6, v1, 1
	v_mul_f32_e32 v1, v4, v5
	v_ldexp_f32 v3, v4, 1
	v_pk_mul_f32 v[4:5], v[0:1], v[28:29]
	s_nop 0
	v_fma_f32 v2, v0, s31, -v4
	v_fmac_f32_e32 v2, 0xb102e308, v0
	v_pk_add_f32 v[0:1], v[4:5], v[2:3]
	s_nop 0
	v_sub_f32_e32 v3, v1, v3
	v_sub_f32_e32 v3, v5, v3
	v_add_f32_e32 v7, v6, v3
	v_mov_b32_e32 v6, v4
	v_pk_add_f32 v[4:5], v[0:1], v[4:5] neg_lo:[0,1] neg_hi:[0,1]
	v_pk_add_f32 v[8:9], v[0:1], v[6:7]
	v_mov_b32_e32 v3, v0
	v_mov_b32_e32 v5, v9
	v_pk_add_f32 v[10:11], v[2:3], v[4:5] neg_lo:[0,1] neg_hi:[0,1]
	v_pk_add_f32 v[2:3], v[2:3], v[4:5]
	v_mov_b32_e32 v6, v7
	v_mov_b32_e32 v4, v3
	v_pk_add_f32 v[12:13], v[4:5], v[0:1] neg_lo:[0,1] neg_hi:[0,1]
	v_mov_b32_e32 v2, v9
	v_mov_b32_e32 v5, v12
	v_pk_add_f32 v[14:15], v[8:9], v[4:5] neg_lo:[0,1] neg_hi:[0,1]
	v_mov_b32_e32 v8, v1
	v_mov_b32_e32 v9, v12
	;; [unrolled: 1-line block ×3, first 2 shown]
	v_pk_add_f32 v[2:3], v[2:3], v[8:9] neg_lo:[0,1] neg_hi:[0,1]
	v_mov_b32_e32 v7, v0
	v_pk_add_f32 v[0:1], v[6:7], v[2:3] neg_lo:[0,1] neg_hi:[0,1]
	v_mov_b32_e32 v14, v10
	v_pk_add_f32 v[2:3], v[14:15], v[0:1]
	s_nop 0
	v_mov_b32_e32 v6, v3
	v_pk_add_f32 v[6:7], v[2:3], v[6:7]
	s_nop 0
	v_pk_add_f32 v[4:5], v[4:5], v[6:7]
	v_mov_b32_e32 v1, v6
	v_mov_b32_e32 v3, v4
	v_pk_add_f32 v[8:9], v[2:3], v[10:11] neg_lo:[0,1] neg_hi:[0,1]
	s_nop 0
	v_sub_f32_e32 v2, v2, v8
	v_pk_add_f32 v[0:1], v[0:1], v[8:9] neg_lo:[0,1] neg_hi:[0,1]
	v_sub_f32_e32 v2, v10, v2
	v_add_f32_e32 v0, v0, v2
	v_add_f32_e32 v0, v0, v1
	;; [unrolled: 1-line block ×3, first 2 shown]
	v_cndmask_b32_e32 v6, v0, v16, vcc
.LBB49_44:                              ;   in Loop: Header=BB49_12 Depth=1
	s_or_b64 exec, exec, s[22:23]
	v_lshlrev_b32_e32 v0, 16, v36
	v_add_f32_e32 v7, s33, v0
	v_cmp_ge_f32_e32 vcc, s1, v7
	s_and_b64 s[2:3], s[80:81], vcc
	s_and_saveexec_b64 s[22:23], s[2:3]
	s_cbranch_execz .LBB49_46
; %bb.45:                               ;   in Loop: Header=BB49_12 Depth=1
	v_mul_f32_e32 v0, 0x3fb8aa3b, v7
	v_rndne_f32_e32 v1, v0
	v_sub_f32_e32 v2, v0, v1
	v_fma_f32 v0, v7, s26, -v0
	v_fmac_f32_e32 v0, 0x32a5705f, v7
	v_add_f32_e32 v0, v2, v0
	v_cvt_i32_f32_e32 v1, v1
	v_exp_f32_e32 v0, v0
	v_cmp_ngt_f32_e32 vcc, s27, v7
	v_ldexp_f32 v0, v0, v1
	s_nop 0
	v_cndmask_b32_e32 v0, 0, v0, vcc
	v_cmp_nlt_f32_e32 vcc, s28, v7
	s_nop 1
	v_cndmask_b32_e32 v7, v23, v0, vcc
	v_add_f32_e32 v2, 1.0, v7
	v_add_f32_e32 v0, -1.0, v2
	v_sub_f32_e32 v1, v0, v2
	v_add_f32_e32 v1, 1.0, v1
	v_sub_f32_e32 v0, v7, v0
	v_add_f32_e32 v3, v0, v1
	v_frexp_mant_f32_e32 v4, v2
	v_cvt_f64_f32_e32 v[0:1], v2
	v_frexp_exp_i32_f64_e32 v0, v[0:1]
	v_cmp_gt_f32_e32 vcc, s30, v4
	v_cmp_gt_f32_e64 s[2:3], s34, v7
	s_nop 0
	v_subbrev_co_u32_e32 v10, vcc, 0, v0, vcc
	v_sub_u32_e32 v0, 0, v10
	v_ldexp_f32 v1, v2, v0
	v_add_f32_e32 v2, -1.0, v1
	v_add_f32_e32 v4, 1.0, v1
	v_ldexp_f32 v0, v3, v0
	v_add_f32_e32 v3, 1.0, v2
	v_add_f32_e32 v5, -1.0, v4
	v_sub_f32_e32 v3, v1, v3
	v_sub_f32_e32 v1, v1, v5
	v_add_f32_e32 v3, v0, v3
	v_add_f32_e32 v0, v0, v1
	;; [unrolled: 1-line block ×3, first 2 shown]
	v_rcp_f32_e32 v13, v11
	v_sub_f32_e32 v1, v4, v11
	v_add_f32_e32 v12, v0, v1
	v_add_f32_e32 v1, v2, v3
	v_mul_f32_e32 v15, v1, v13
	v_sub_f32_e32 v0, v2, v1
	v_mul_f32_e32 v2, v11, v15
	v_fma_f32 v4, v15, v11, -v2
	v_fmac_f32_e32 v4, v15, v12
	v_add_f32_e32 v14, v3, v0
	v_add_f32_e32 v0, v2, v4
	v_sub_f32_e32 v3, v1, v0
	v_pk_add_f32 v[8:9], v[0:1], v[2:3] neg_lo:[0,1] neg_hi:[0,1]
	v_mov_b32_e32 v5, v0
	v_pk_add_f32 v[0:1], v[8:9], v[4:5] neg_lo:[0,1] neg_hi:[0,1]
	v_cmp_eq_f32_e32 vcc, s29, v7
	v_add_f32_e32 v1, v14, v1
	v_add_f32_e32 v0, v0, v1
	v_add_f32_e32 v1, v3, v0
	v_mul_f32_e32 v14, v13, v1
	v_mul_f32_e32 v2, v11, v14
	v_fma_f32 v4, v14, v11, -v2
	v_fmac_f32_e32 v4, v14, v12
	v_sub_f32_e32 v3, v3, v1
	v_add_f32_e32 v11, v0, v3
	v_add_f32_e32 v0, v2, v4
	v_sub_f32_e32 v3, v1, v0
	v_pk_add_f32 v[8:9], v[0:1], v[2:3] neg_lo:[0,1] neg_hi:[0,1]
	v_mov_b32_e32 v5, v0
	v_pk_add_f32 v[0:1], v[8:9], v[4:5] neg_lo:[0,1] neg_hi:[0,1]
	s_or_b64 vcc, s[2:3], vcc
	v_add_f32_e32 v1, v11, v1
	v_add_f32_e32 v0, v0, v1
	v_add_f32_e32 v1, v15, v14
	v_add_f32_e32 v0, v3, v0
	v_sub_f32_e32 v2, v1, v15
	v_mul_f32_e32 v0, v13, v0
	v_sub_f32_e32 v2, v14, v2
	v_add_f32_e32 v2, v2, v0
	v_add_f32_e32 v4, v1, v2
	v_mul_f32_e32 v5, v4, v4
	v_fmamk_f32 v0, v5, 0x3e9b6dac, v22
	v_fmaak_f32 v29, v5, v0, 0x3f2aaada
	v_cvt_f32_i32_e32 v0, v10
	v_sub_f32_e32 v1, v4, v1
	v_sub_f32_e32 v1, v2, v1
	v_ldexp_f32 v8, v1, 1
	v_mul_f32_e32 v1, v4, v5
	v_ldexp_f32 v3, v4, 1
	v_pk_mul_f32 v[4:5], v[0:1], v[28:29]
	s_nop 0
	v_fma_f32 v2, v0, s31, -v4
	v_fmac_f32_e32 v2, 0xb102e308, v0
	v_pk_add_f32 v[0:1], v[4:5], v[2:3]
	s_nop 0
	v_sub_f32_e32 v3, v1, v3
	v_sub_f32_e32 v3, v5, v3
	v_add_f32_e32 v9, v8, v3
	v_mov_b32_e32 v8, v4
	v_pk_add_f32 v[4:5], v[0:1], v[4:5] neg_lo:[0,1] neg_hi:[0,1]
	v_pk_add_f32 v[10:11], v[0:1], v[8:9]
	v_mov_b32_e32 v3, v0
	v_mov_b32_e32 v5, v11
	v_pk_add_f32 v[12:13], v[2:3], v[4:5] neg_lo:[0,1] neg_hi:[0,1]
	v_pk_add_f32 v[2:3], v[2:3], v[4:5]
	v_mov_b32_e32 v8, v9
	v_mov_b32_e32 v4, v3
	v_pk_add_f32 v[14:15], v[4:5], v[0:1] neg_lo:[0,1] neg_hi:[0,1]
	v_mov_b32_e32 v2, v11
	v_mov_b32_e32 v5, v14
	v_pk_add_f32 v[16:17], v[10:11], v[4:5] neg_lo:[0,1] neg_hi:[0,1]
	v_mov_b32_e32 v10, v1
	v_mov_b32_e32 v11, v14
	;; [unrolled: 1-line block ×3, first 2 shown]
	v_pk_add_f32 v[2:3], v[2:3], v[10:11] neg_lo:[0,1] neg_hi:[0,1]
	v_mov_b32_e32 v9, v0
	v_pk_add_f32 v[0:1], v[8:9], v[2:3] neg_lo:[0,1] neg_hi:[0,1]
	v_mov_b32_e32 v16, v12
	v_pk_add_f32 v[2:3], v[16:17], v[0:1]
	s_nop 0
	v_mov_b32_e32 v8, v3
	v_pk_add_f32 v[8:9], v[2:3], v[8:9]
	s_nop 0
	v_pk_add_f32 v[4:5], v[4:5], v[8:9]
	v_mov_b32_e32 v1, v8
	v_mov_b32_e32 v3, v4
	v_pk_add_f32 v[10:11], v[2:3], v[12:13] neg_lo:[0,1] neg_hi:[0,1]
	s_nop 0
	v_sub_f32_e32 v2, v2, v10
	v_pk_add_f32 v[0:1], v[0:1], v[10:11] neg_lo:[0,1] neg_hi:[0,1]
	v_sub_f32_e32 v2, v12, v2
	v_add_f32_e32 v0, v0, v2
	v_add_f32_e32 v0, v0, v1
	;; [unrolled: 1-line block ×3, first 2 shown]
	v_cndmask_b32_e32 v7, v0, v7, vcc
.LBB49_46:                              ;   in Loop: Header=BB49_12 Depth=1
	s_or_b64 exec, exec, s[22:23]
	v_and_b32_e32 v0, 0xffff0000, v36
	v_add_f32_e32 v8, s33, v0
	v_cmp_ge_f32_e32 vcc, s1, v8
	s_and_b64 s[2:3], s[80:81], vcc
	s_and_saveexec_b64 s[22:23], s[2:3]
	s_cbranch_execz .LBB49_48
; %bb.47:                               ;   in Loop: Header=BB49_12 Depth=1
	v_mul_f32_e32 v0, 0x3fb8aa3b, v8
	v_rndne_f32_e32 v1, v0
	v_sub_f32_e32 v2, v0, v1
	v_fma_f32 v0, v8, s26, -v0
	v_fmac_f32_e32 v0, 0x32a5705f, v8
	v_add_f32_e32 v0, v2, v0
	v_cvt_i32_f32_e32 v1, v1
	v_exp_f32_e32 v0, v0
	v_cmp_ngt_f32_e32 vcc, s27, v8
	v_ldexp_f32 v0, v0, v1
	s_nop 0
	v_cndmask_b32_e32 v0, 0, v0, vcc
	v_cmp_nlt_f32_e32 vcc, s28, v8
	s_nop 1
	v_cndmask_b32_e32 v18, v23, v0, vcc
	v_add_f32_e32 v2, 1.0, v18
	v_add_f32_e32 v0, -1.0, v2
	v_sub_f32_e32 v1, v0, v2
	v_add_f32_e32 v1, 1.0, v1
	v_sub_f32_e32 v0, v18, v0
	v_add_f32_e32 v3, v0, v1
	v_frexp_mant_f32_e32 v4, v2
	v_cvt_f64_f32_e32 v[0:1], v2
	v_frexp_exp_i32_f64_e32 v0, v[0:1]
	v_cmp_gt_f32_e32 vcc, s30, v4
	v_cmp_gt_f32_e64 s[2:3], s34, v18
	s_nop 0
	v_subbrev_co_u32_e32 v10, vcc, 0, v0, vcc
	v_sub_u32_e32 v0, 0, v10
	v_ldexp_f32 v1, v2, v0
	v_add_f32_e32 v2, -1.0, v1
	v_add_f32_e32 v4, 1.0, v1
	v_ldexp_f32 v0, v3, v0
	v_add_f32_e32 v3, 1.0, v2
	v_add_f32_e32 v5, -1.0, v4
	v_sub_f32_e32 v3, v1, v3
	v_sub_f32_e32 v1, v1, v5
	v_add_f32_e32 v3, v0, v3
	v_add_f32_e32 v0, v0, v1
	;; [unrolled: 1-line block ×3, first 2 shown]
	v_rcp_f32_e32 v13, v11
	v_sub_f32_e32 v1, v4, v11
	v_add_f32_e32 v12, v0, v1
	v_add_f32_e32 v1, v2, v3
	v_mul_f32_e32 v15, v1, v13
	v_sub_f32_e32 v0, v2, v1
	v_mul_f32_e32 v2, v11, v15
	v_fma_f32 v4, v15, v11, -v2
	v_fmac_f32_e32 v4, v15, v12
	v_add_f32_e32 v14, v3, v0
	v_add_f32_e32 v0, v2, v4
	v_sub_f32_e32 v3, v1, v0
	v_pk_add_f32 v[8:9], v[0:1], v[2:3] neg_lo:[0,1] neg_hi:[0,1]
	v_mov_b32_e32 v5, v0
	v_pk_add_f32 v[0:1], v[8:9], v[4:5] neg_lo:[0,1] neg_hi:[0,1]
	v_cmp_eq_f32_e32 vcc, s29, v18
	v_add_f32_e32 v1, v14, v1
	v_add_f32_e32 v0, v0, v1
	;; [unrolled: 1-line block ×3, first 2 shown]
	v_mul_f32_e32 v14, v13, v1
	v_mul_f32_e32 v2, v11, v14
	v_fma_f32 v4, v14, v11, -v2
	v_fmac_f32_e32 v4, v14, v12
	v_sub_f32_e32 v3, v3, v1
	v_add_f32_e32 v11, v0, v3
	v_add_f32_e32 v0, v2, v4
	v_sub_f32_e32 v3, v1, v0
	v_pk_add_f32 v[8:9], v[0:1], v[2:3] neg_lo:[0,1] neg_hi:[0,1]
	v_mov_b32_e32 v5, v0
	v_pk_add_f32 v[0:1], v[8:9], v[4:5] neg_lo:[0,1] neg_hi:[0,1]
	s_or_b64 vcc, s[2:3], vcc
	v_add_f32_e32 v1, v11, v1
	v_add_f32_e32 v0, v0, v1
	;; [unrolled: 1-line block ×4, first 2 shown]
	v_sub_f32_e32 v2, v1, v15
	v_mul_f32_e32 v0, v13, v0
	v_sub_f32_e32 v2, v14, v2
	v_add_f32_e32 v2, v2, v0
	v_add_f32_e32 v4, v1, v2
	v_mul_f32_e32 v5, v4, v4
	v_fmamk_f32 v0, v5, 0x3e9b6dac, v22
	v_fmaak_f32 v29, v5, v0, 0x3f2aaada
	v_cvt_f32_i32_e32 v0, v10
	v_sub_f32_e32 v1, v4, v1
	v_sub_f32_e32 v1, v2, v1
	v_ldexp_f32 v8, v1, 1
	v_mul_f32_e32 v1, v4, v5
	v_ldexp_f32 v3, v4, 1
	v_pk_mul_f32 v[4:5], v[0:1], v[28:29]
	s_nop 0
	v_fma_f32 v2, v0, s31, -v4
	v_fmac_f32_e32 v2, 0xb102e308, v0
	v_pk_add_f32 v[0:1], v[4:5], v[2:3]
	s_nop 0
	v_sub_f32_e32 v3, v1, v3
	v_sub_f32_e32 v3, v5, v3
	v_add_f32_e32 v9, v8, v3
	v_mov_b32_e32 v8, v4
	v_pk_add_f32 v[4:5], v[0:1], v[4:5] neg_lo:[0,1] neg_hi:[0,1]
	v_pk_add_f32 v[10:11], v[0:1], v[8:9]
	v_mov_b32_e32 v3, v0
	v_mov_b32_e32 v5, v11
	v_pk_add_f32 v[12:13], v[2:3], v[4:5] neg_lo:[0,1] neg_hi:[0,1]
	v_pk_add_f32 v[2:3], v[2:3], v[4:5]
	v_mov_b32_e32 v8, v9
	v_mov_b32_e32 v4, v3
	v_pk_add_f32 v[14:15], v[4:5], v[0:1] neg_lo:[0,1] neg_hi:[0,1]
	v_mov_b32_e32 v2, v11
	v_mov_b32_e32 v5, v14
	v_pk_add_f32 v[16:17], v[10:11], v[4:5] neg_lo:[0,1] neg_hi:[0,1]
	v_mov_b32_e32 v10, v1
	v_mov_b32_e32 v11, v14
	;; [unrolled: 1-line block ×3, first 2 shown]
	v_pk_add_f32 v[2:3], v[2:3], v[10:11] neg_lo:[0,1] neg_hi:[0,1]
	v_mov_b32_e32 v9, v0
	v_pk_add_f32 v[0:1], v[8:9], v[2:3] neg_lo:[0,1] neg_hi:[0,1]
	v_mov_b32_e32 v16, v12
	v_pk_add_f32 v[2:3], v[16:17], v[0:1]
	s_nop 0
	v_mov_b32_e32 v8, v3
	v_pk_add_f32 v[8:9], v[2:3], v[8:9]
	s_nop 0
	v_pk_add_f32 v[4:5], v[4:5], v[8:9]
	v_mov_b32_e32 v1, v8
	v_mov_b32_e32 v3, v4
	v_pk_add_f32 v[10:11], v[2:3], v[12:13] neg_lo:[0,1] neg_hi:[0,1]
	s_nop 0
	v_sub_f32_e32 v2, v2, v10
	v_pk_add_f32 v[0:1], v[0:1], v[10:11] neg_lo:[0,1] neg_hi:[0,1]
	v_sub_f32_e32 v2, v12, v2
	v_add_f32_e32 v0, v0, v2
	v_add_f32_e32 v0, v0, v1
	;; [unrolled: 1-line block ×3, first 2 shown]
	v_cndmask_b32_e32 v8, v0, v18, vcc
.LBB49_48:                              ;   in Loop: Header=BB49_12 Depth=1
	s_or_b64 exec, exec, s[22:23]
	v_lshlrev_b32_e32 v0, 16, v37
	v_add_f32_e32 v9, s33, v0
	v_cmp_ge_f32_e32 vcc, s1, v9
	s_and_b64 s[2:3], s[80:81], vcc
	s_and_saveexec_b64 s[22:23], s[2:3]
	s_cbranch_execz .LBB49_50
; %bb.49:                               ;   in Loop: Header=BB49_12 Depth=1
	v_mul_f32_e32 v0, 0x3fb8aa3b, v9
	v_rndne_f32_e32 v1, v0
	v_sub_f32_e32 v2, v0, v1
	v_fma_f32 v0, v9, s26, -v0
	v_fmac_f32_e32 v0, 0x32a5705f, v9
	v_add_f32_e32 v0, v2, v0
	v_cvt_i32_f32_e32 v1, v1
	v_exp_f32_e32 v0, v0
	v_cmp_ngt_f32_e32 vcc, s27, v9
	v_ldexp_f32 v0, v0, v1
	s_nop 0
	v_cndmask_b32_e32 v0, 0, v0, vcc
	v_cmp_nlt_f32_e32 vcc, s28, v9
	s_nop 1
	v_cndmask_b32_e32 v9, v23, v0, vcc
	v_add_f32_e32 v2, 1.0, v9
	v_add_f32_e32 v0, -1.0, v2
	v_sub_f32_e32 v1, v0, v2
	v_add_f32_e32 v1, 1.0, v1
	v_sub_f32_e32 v0, v9, v0
	v_add_f32_e32 v3, v0, v1
	v_frexp_mant_f32_e32 v4, v2
	v_cvt_f64_f32_e32 v[0:1], v2
	v_frexp_exp_i32_f64_e32 v0, v[0:1]
	v_cmp_gt_f32_e32 vcc, s30, v4
	v_cmp_gt_f32_e64 s[2:3], s34, v9
	s_nop 0
	v_subbrev_co_u32_e32 v12, vcc, 0, v0, vcc
	v_sub_u32_e32 v0, 0, v12
	v_ldexp_f32 v1, v2, v0
	v_add_f32_e32 v2, -1.0, v1
	v_add_f32_e32 v4, 1.0, v1
	v_ldexp_f32 v0, v3, v0
	v_add_f32_e32 v3, 1.0, v2
	v_add_f32_e32 v5, -1.0, v4
	v_sub_f32_e32 v3, v1, v3
	v_sub_f32_e32 v1, v1, v5
	v_add_f32_e32 v3, v0, v3
	v_add_f32_e32 v0, v0, v1
	;; [unrolled: 1-line block ×3, first 2 shown]
	v_rcp_f32_e32 v15, v13
	v_sub_f32_e32 v1, v4, v13
	v_add_f32_e32 v14, v0, v1
	v_add_f32_e32 v1, v2, v3
	v_mul_f32_e32 v17, v1, v15
	v_sub_f32_e32 v0, v2, v1
	v_mul_f32_e32 v2, v13, v17
	v_fma_f32 v4, v17, v13, -v2
	v_fmac_f32_e32 v4, v17, v14
	v_add_f32_e32 v16, v3, v0
	v_add_f32_e32 v0, v2, v4
	v_sub_f32_e32 v3, v1, v0
	v_pk_add_f32 v[10:11], v[0:1], v[2:3] neg_lo:[0,1] neg_hi:[0,1]
	v_mov_b32_e32 v5, v0
	v_pk_add_f32 v[0:1], v[10:11], v[4:5] neg_lo:[0,1] neg_hi:[0,1]
	v_cmp_eq_f32_e32 vcc, s29, v9
	v_add_f32_e32 v1, v16, v1
	v_add_f32_e32 v0, v0, v1
	;; [unrolled: 1-line block ×3, first 2 shown]
	v_mul_f32_e32 v16, v15, v1
	v_mul_f32_e32 v2, v13, v16
	v_fma_f32 v4, v16, v13, -v2
	v_fmac_f32_e32 v4, v16, v14
	v_sub_f32_e32 v3, v3, v1
	v_add_f32_e32 v13, v0, v3
	v_add_f32_e32 v0, v2, v4
	v_sub_f32_e32 v3, v1, v0
	v_pk_add_f32 v[10:11], v[0:1], v[2:3] neg_lo:[0,1] neg_hi:[0,1]
	v_mov_b32_e32 v5, v0
	v_pk_add_f32 v[0:1], v[10:11], v[4:5] neg_lo:[0,1] neg_hi:[0,1]
	s_or_b64 vcc, s[2:3], vcc
	v_add_f32_e32 v1, v13, v1
	v_add_f32_e32 v0, v0, v1
	;; [unrolled: 1-line block ×4, first 2 shown]
	v_sub_f32_e32 v2, v1, v17
	v_mul_f32_e32 v0, v15, v0
	v_sub_f32_e32 v2, v16, v2
	v_add_f32_e32 v2, v2, v0
	v_add_f32_e32 v4, v1, v2
	v_mul_f32_e32 v5, v4, v4
	v_fmamk_f32 v0, v5, 0x3e9b6dac, v22
	v_fmaak_f32 v29, v5, v0, 0x3f2aaada
	v_cvt_f32_i32_e32 v0, v12
	v_sub_f32_e32 v1, v4, v1
	v_sub_f32_e32 v1, v2, v1
	v_ldexp_f32 v10, v1, 1
	v_mul_f32_e32 v1, v4, v5
	v_ldexp_f32 v3, v4, 1
	v_pk_mul_f32 v[4:5], v[0:1], v[28:29]
	s_nop 0
	v_fma_f32 v2, v0, s31, -v4
	v_fmac_f32_e32 v2, 0xb102e308, v0
	v_pk_add_f32 v[0:1], v[4:5], v[2:3]
	s_nop 0
	v_sub_f32_e32 v3, v1, v3
	v_sub_f32_e32 v3, v5, v3
	v_add_f32_e32 v11, v10, v3
	v_mov_b32_e32 v10, v4
	v_pk_add_f32 v[4:5], v[0:1], v[4:5] neg_lo:[0,1] neg_hi:[0,1]
	v_pk_add_f32 v[12:13], v[0:1], v[10:11]
	v_mov_b32_e32 v3, v0
	v_mov_b32_e32 v5, v13
	v_pk_add_f32 v[14:15], v[2:3], v[4:5] neg_lo:[0,1] neg_hi:[0,1]
	v_pk_add_f32 v[2:3], v[2:3], v[4:5]
	v_mov_b32_e32 v10, v11
	v_mov_b32_e32 v4, v3
	v_pk_add_f32 v[16:17], v[4:5], v[0:1] neg_lo:[0,1] neg_hi:[0,1]
	v_mov_b32_e32 v2, v13
	v_mov_b32_e32 v5, v16
	v_pk_add_f32 v[18:19], v[12:13], v[4:5] neg_lo:[0,1] neg_hi:[0,1]
	v_mov_b32_e32 v12, v1
	v_mov_b32_e32 v13, v16
	;; [unrolled: 1-line block ×3, first 2 shown]
	v_pk_add_f32 v[2:3], v[2:3], v[12:13] neg_lo:[0,1] neg_hi:[0,1]
	v_mov_b32_e32 v11, v0
	v_pk_add_f32 v[0:1], v[10:11], v[2:3] neg_lo:[0,1] neg_hi:[0,1]
	v_mov_b32_e32 v18, v14
	v_pk_add_f32 v[2:3], v[18:19], v[0:1]
	s_nop 0
	v_mov_b32_e32 v10, v3
	v_pk_add_f32 v[10:11], v[2:3], v[10:11]
	s_nop 0
	v_pk_add_f32 v[4:5], v[4:5], v[10:11]
	v_mov_b32_e32 v1, v10
	v_mov_b32_e32 v3, v4
	v_pk_add_f32 v[12:13], v[2:3], v[14:15] neg_lo:[0,1] neg_hi:[0,1]
	s_nop 0
	v_sub_f32_e32 v2, v2, v12
	v_pk_add_f32 v[0:1], v[0:1], v[12:13] neg_lo:[0,1] neg_hi:[0,1]
	v_sub_f32_e32 v2, v14, v2
	v_add_f32_e32 v0, v0, v2
	v_add_f32_e32 v0, v0, v1
	;; [unrolled: 1-line block ×3, first 2 shown]
	v_cndmask_b32_e32 v9, v0, v9, vcc
.LBB49_50:                              ;   in Loop: Header=BB49_12 Depth=1
	s_or_b64 exec, exec, s[22:23]
	v_and_b32_e32 v0, 0xffff0000, v37
	v_add_f32_e32 v51, s33, v0
	v_cmp_ge_f32_e32 vcc, s1, v51
	s_and_b64 s[2:3], s[80:81], vcc
	s_and_saveexec_b64 s[22:23], s[2:3]
	s_cbranch_execz .LBB49_52
; %bb.51:                               ;   in Loop: Header=BB49_12 Depth=1
	v_mul_f32_e32 v0, 0x3fb8aa3b, v51
	v_rndne_f32_e32 v1, v0
	v_sub_f32_e32 v2, v0, v1
	v_fma_f32 v0, v51, s26, -v0
	v_fmac_f32_e32 v0, 0x32a5705f, v51
	v_add_f32_e32 v0, v2, v0
	v_cvt_i32_f32_e32 v1, v1
	v_exp_f32_e32 v0, v0
	v_cmp_ngt_f32_e32 vcc, s27, v51
	v_ldexp_f32 v0, v0, v1
	s_nop 0
	v_cndmask_b32_e32 v0, 0, v0, vcc
	v_cmp_nlt_f32_e32 vcc, s28, v51
	s_nop 1
	v_cndmask_b32_e32 v20, v23, v0, vcc
	v_add_f32_e32 v2, 1.0, v20
	v_add_f32_e32 v0, -1.0, v2
	v_sub_f32_e32 v1, v0, v2
	v_add_f32_e32 v1, 1.0, v1
	v_sub_f32_e32 v0, v20, v0
	v_add_f32_e32 v3, v0, v1
	v_frexp_mant_f32_e32 v4, v2
	v_cvt_f64_f32_e32 v[0:1], v2
	v_frexp_exp_i32_f64_e32 v0, v[0:1]
	v_cmp_gt_f32_e32 vcc, s30, v4
	v_cmp_gt_f32_e64 s[2:3], s34, v20
	s_nop 0
	v_subbrev_co_u32_e32 v12, vcc, 0, v0, vcc
	v_sub_u32_e32 v0, 0, v12
	v_ldexp_f32 v1, v2, v0
	v_add_f32_e32 v2, -1.0, v1
	v_add_f32_e32 v4, 1.0, v1
	v_ldexp_f32 v0, v3, v0
	v_add_f32_e32 v3, 1.0, v2
	v_add_f32_e32 v5, -1.0, v4
	v_sub_f32_e32 v3, v1, v3
	v_sub_f32_e32 v1, v1, v5
	v_add_f32_e32 v3, v0, v3
	v_add_f32_e32 v0, v0, v1
	;; [unrolled: 1-line block ×3, first 2 shown]
	v_rcp_f32_e32 v15, v13
	v_sub_f32_e32 v1, v4, v13
	v_add_f32_e32 v14, v0, v1
	v_add_f32_e32 v1, v2, v3
	v_mul_f32_e32 v17, v1, v15
	v_sub_f32_e32 v0, v2, v1
	v_mul_f32_e32 v2, v13, v17
	v_fma_f32 v4, v17, v13, -v2
	v_fmac_f32_e32 v4, v17, v14
	v_add_f32_e32 v16, v3, v0
	v_add_f32_e32 v0, v2, v4
	v_sub_f32_e32 v3, v1, v0
	v_pk_add_f32 v[10:11], v[0:1], v[2:3] neg_lo:[0,1] neg_hi:[0,1]
	v_mov_b32_e32 v5, v0
	v_pk_add_f32 v[0:1], v[10:11], v[4:5] neg_lo:[0,1] neg_hi:[0,1]
	v_cmp_eq_f32_e32 vcc, s29, v20
	v_add_f32_e32 v1, v16, v1
	v_add_f32_e32 v0, v0, v1
	;; [unrolled: 1-line block ×3, first 2 shown]
	v_mul_f32_e32 v16, v15, v1
	v_mul_f32_e32 v2, v13, v16
	v_fma_f32 v4, v16, v13, -v2
	v_fmac_f32_e32 v4, v16, v14
	v_sub_f32_e32 v3, v3, v1
	v_add_f32_e32 v13, v0, v3
	v_add_f32_e32 v0, v2, v4
	v_sub_f32_e32 v3, v1, v0
	v_pk_add_f32 v[10:11], v[0:1], v[2:3] neg_lo:[0,1] neg_hi:[0,1]
	v_mov_b32_e32 v5, v0
	v_pk_add_f32 v[0:1], v[10:11], v[4:5] neg_lo:[0,1] neg_hi:[0,1]
	s_or_b64 vcc, s[2:3], vcc
	v_add_f32_e32 v1, v13, v1
	v_add_f32_e32 v0, v0, v1
	;; [unrolled: 1-line block ×4, first 2 shown]
	v_sub_f32_e32 v2, v1, v17
	v_mul_f32_e32 v0, v15, v0
	v_sub_f32_e32 v2, v16, v2
	v_add_f32_e32 v2, v2, v0
	v_add_f32_e32 v4, v1, v2
	v_mul_f32_e32 v5, v4, v4
	v_fmamk_f32 v0, v5, 0x3e9b6dac, v22
	v_fmaak_f32 v29, v5, v0, 0x3f2aaada
	v_cvt_f32_i32_e32 v0, v12
	v_sub_f32_e32 v1, v4, v1
	v_sub_f32_e32 v1, v2, v1
	v_ldexp_f32 v10, v1, 1
	v_mul_f32_e32 v1, v4, v5
	v_ldexp_f32 v3, v4, 1
	v_pk_mul_f32 v[4:5], v[0:1], v[28:29]
	s_nop 0
	v_fma_f32 v2, v0, s31, -v4
	v_fmac_f32_e32 v2, 0xb102e308, v0
	v_pk_add_f32 v[0:1], v[4:5], v[2:3]
	s_nop 0
	v_sub_f32_e32 v3, v1, v3
	v_sub_f32_e32 v3, v5, v3
	v_add_f32_e32 v11, v10, v3
	v_mov_b32_e32 v10, v4
	v_pk_add_f32 v[4:5], v[0:1], v[4:5] neg_lo:[0,1] neg_hi:[0,1]
	v_pk_add_f32 v[12:13], v[0:1], v[10:11]
	v_mov_b32_e32 v3, v0
	v_mov_b32_e32 v5, v13
	v_pk_add_f32 v[14:15], v[2:3], v[4:5] neg_lo:[0,1] neg_hi:[0,1]
	v_pk_add_f32 v[2:3], v[2:3], v[4:5]
	v_mov_b32_e32 v10, v11
	v_mov_b32_e32 v4, v3
	v_pk_add_f32 v[16:17], v[4:5], v[0:1] neg_lo:[0,1] neg_hi:[0,1]
	v_mov_b32_e32 v2, v13
	v_mov_b32_e32 v5, v16
	v_pk_add_f32 v[18:19], v[12:13], v[4:5] neg_lo:[0,1] neg_hi:[0,1]
	v_mov_b32_e32 v12, v1
	v_mov_b32_e32 v13, v16
	;; [unrolled: 1-line block ×3, first 2 shown]
	v_pk_add_f32 v[2:3], v[2:3], v[12:13] neg_lo:[0,1] neg_hi:[0,1]
	v_mov_b32_e32 v11, v0
	v_pk_add_f32 v[0:1], v[10:11], v[2:3] neg_lo:[0,1] neg_hi:[0,1]
	v_mov_b32_e32 v18, v14
	v_pk_add_f32 v[2:3], v[18:19], v[0:1]
	s_nop 0
	v_mov_b32_e32 v10, v3
	v_pk_add_f32 v[10:11], v[2:3], v[10:11]
	s_nop 0
	v_pk_add_f32 v[4:5], v[4:5], v[10:11]
	v_mov_b32_e32 v1, v10
	v_mov_b32_e32 v3, v4
	v_pk_add_f32 v[12:13], v[2:3], v[14:15] neg_lo:[0,1] neg_hi:[0,1]
	s_nop 0
	v_sub_f32_e32 v2, v2, v12
	v_pk_add_f32 v[0:1], v[0:1], v[12:13] neg_lo:[0,1] neg_hi:[0,1]
	v_sub_f32_e32 v2, v14, v2
	v_add_f32_e32 v0, v0, v2
	v_add_f32_e32 v0, v0, v1
	;; [unrolled: 1-line block ×3, first 2 shown]
	v_cndmask_b32_e32 v51, v0, v20, vcc
.LBB49_52:                              ;   in Loop: Header=BB49_12 Depth=1
	s_or_b64 exec, exec, s[22:23]
	scratch_load_dwordx4 v[14:17], off, off offset:72 ; 16-byte Folded Reload
	scratch_load_dwordx4 v[24:27], off, off offset:88 ; 16-byte Folded Reload
	v_readlane_b32 s22, v95, 0
	v_readlane_b32 s23, v95, 1
	s_lshl_b32 s2, s82, 10
	s_and_b64 vcc, exec, s[22:23]
	s_waitcnt lgkmcnt(0)
	; wave barrier
	s_waitcnt vmcnt(1)
	v_lshlrev_b32_e32 v2, 16, v17
	v_and_b32_e32 v12, 0xffff0000, v17
	v_and_b32_e32 v3, 0xffff0000, v16
	v_lshlrev_b32_e32 v4, 16, v16
	v_and_b32_e32 v5, 0xffff0000, v15
	v_lshlrev_b32_e32 v10, 16, v15
	;; [unrolled: 2-line block ×3, first 2 shown]
	s_waitcnt vmcnt(0)
	v_and_b32_e32 v14, 0xffff0000, v27
	v_lshlrev_b32_e32 v15, 16, v27
	v_and_b32_e32 v16, 0xffff0000, v26
	v_lshlrev_b32_e32 v17, 16, v26
	;; [unrolled: 2-line block ×4, first 2 shown]
	v_mul_f32_e32 v0, s98, v2
	v_mul_f32_e32 v53, s98, v3
	;; [unrolled: 1-line block ×16, first 2 shown]
	s_cbranch_vccz .LBB49_81
; %bb.53:                               ;   in Loop: Header=BB49_12 Depth=1
	v_mul_f32_e32 v2, v9, v2
	scratch_store_dwordx4 off, v[34:37], off offset:144 ; 16-byte Folded Spill
	scratch_store_dwordx2 off, v[28:29], off offset:136 ; 8-byte Folded Spill
	scratch_store_dword off, v2, off offset:16 ; 4-byte Folded Spill
	v_mul_f32_e32 v2, v8, v3
	scratch_store_dword off, v2, off offset:20 ; 4-byte Folded Spill
	v_mul_f32_e32 v2, v7, v4
	scratch_load_dword v4, off, off offset:184 ; 4-byte Folded Reload
	v_readlane_b32 s88, v95, 2
	s_sub_i32 s1, s88, s2
	s_cmp_lg_u32 s82, 0
	v_readlane_b32 s3, v95, 5
	s_cselect_b64 s[74:75], -1, 0
	s_cmp_eq_u32 s82, s3
	s_cselect_b64 s[86:87], -1, 0
	scratch_store_dword off, v2, off offset:24 ; 4-byte Folded Spill
	v_mul_f32_e32 v2, v6, v5
	scratch_store_dword off, v2, off offset:28 ; 4-byte Folded Spill
	v_mul_f32_e32 v2, v86, v10
	;; [unrolled: 2-line block ×4, first 2 shown]
	v_readlane_b32 s89, v95, 3
	s_mov_b32 s78, 0
	v_mul_f32_e32 v12, v51, v12
	v_lshl_add_u64 v[66:67], s[62:63], 0, v[42:43]
	v_lshl_add_u64 v[68:69], s[66:67], 0, v[42:43]
	scratch_store_dword off, v2, off offset:40 ; 4-byte Folded Spill
	v_mul_f32_e32 v22, v49, v14
	v_mul_f32_e32 v23, v48, v15
	;; [unrolled: 1-line block ×8, first 2 shown]
	s_mov_b32 s88, s78
	s_mov_b32 s90, s78
	;; [unrolled: 1-line block ×4, first 2 shown]
	scratch_store_dword off, v12, off offset:12 ; 4-byte Folded Spill
	s_waitcnt vmcnt(6)
	v_cmp_gt_u32_e32 vcc, s1, v4
	scratch_load_dword v4, off, off offset:188 ; 4-byte Folded Reload
	s_or_b64 s[22:23], s[84:85], vcc
	s_waitcnt vmcnt(0)
	v_cmp_gt_u32_e32 vcc, s1, v4
	scratch_load_dword v4, off, off offset:192 ; 4-byte Folded Reload
	s_or_b64 s[24:25], s[84:85], vcc
	s_waitcnt vmcnt(0)
	v_cmp_gt_u32_e32 vcc, s1, v4
	scratch_load_dword v4, off, off offset:196 ; 4-byte Folded Reload
	s_or_b64 s[26:27], s[84:85], vcc
	s_waitcnt vmcnt(0)
	v_cmp_gt_u32_e32 vcc, s1, v4
	scratch_load_dword v4, off, off offset:200 ; 4-byte Folded Reload
	s_or_b64 s[28:29], s[84:85], vcc
	s_waitcnt vmcnt(0)
	v_cmp_gt_u32_e32 vcc, s1, v4
	scratch_load_dword v4, off, off offset:204 ; 4-byte Folded Reload
	s_or_b64 s[30:31], s[84:85], vcc
	s_waitcnt vmcnt(0)
	v_cmp_gt_u32_e32 vcc, s1, v4
	scratch_load_dword v4, off, off offset:208 ; 4-byte Folded Reload
	s_or_b64 s[34:35], s[84:85], vcc
	s_waitcnt vmcnt(0)
	v_cmp_gt_u32_e32 vcc, s1, v4
	scratch_load_dword v4, off, off offset:212 ; 4-byte Folded Reload
	s_or_b64 s[36:37], s[84:85], vcc
	s_waitcnt vmcnt(0)
	v_cmp_gt_u32_e32 vcc, s1, v4
	scratch_load_dword v4, off, off offset:216 ; 4-byte Folded Reload
	s_or_b64 s[38:39], s[84:85], vcc
	s_waitcnt vmcnt(0)
	v_cmp_gt_u32_e32 vcc, s1, v4
	scratch_load_dword v4, off, off offset:220 ; 4-byte Folded Reload
	s_or_b64 s[40:41], s[84:85], vcc
	s_waitcnt vmcnt(0)
	v_cmp_gt_u32_e32 vcc, s1, v4
	scratch_load_dword v4, off, off offset:224 ; 4-byte Folded Reload
	s_or_b64 s[42:43], s[84:85], vcc
	s_waitcnt vmcnt(0)
	v_cmp_gt_u32_e32 vcc, s1, v4
	scratch_load_dword v4, off, off offset:228 ; 4-byte Folded Reload
	s_or_b64 s[44:45], s[84:85], vcc
	s_waitcnt vmcnt(0)
	v_cmp_gt_u32_e32 vcc, s1, v4
	scratch_load_dword v4, off, off offset:232 ; 4-byte Folded Reload
	s_or_b64 s[46:47], s[84:85], vcc
	s_waitcnt vmcnt(0)
	v_cmp_gt_u32_e32 vcc, s1, v4
	scratch_load_dword v4, off, off offset:236 ; 4-byte Folded Reload
	s_or_b64 s[48:49], s[84:85], vcc
	s_waitcnt vmcnt(0)
	v_cmp_gt_u32_e32 vcc, s1, v4
	scratch_load_dword v4, off, off offset:240 ; 4-byte Folded Reload
	s_or_b64 s[50:51], s[84:85], vcc
	s_waitcnt vmcnt(0)
	v_cmp_gt_u32_e32 vcc, s1, v4
	scratch_load_dword v4, off, off offset:244 ; 4-byte Folded Reload
	s_or_b64 s[52:53], s[84:85], vcc
	s_waitcnt vmcnt(0)
	v_cmp_gt_u32_e32 vcc, s1, v4
	s_or_b64 s[54:55], s[84:85], vcc
	v_readlane_b32 s1, v95, 10
	s_branch .LBB49_55
.LBB49_54:                              ;   in Loop: Header=BB49_55 Depth=2
	s_or_b64 exec, exec, s[94:95]
	v_mul_f32_e32 v21, v5, v34
	v_fma_f32 v20, v5, v20, v4
	v_cndmask_b32_e64 v34, v20, v4, s[20:21]
	v_cndmask_b32_e64 v4, v21, v5, s[20:21]
	s_waitcnt lgkmcnt(0)
	v_fmac_f32_e32 v34, v80, v4
	v_fmac_f32_e32 v35, v34, v10
	v_fmac_f32_e32 v36, v35, v11
	v_fmac_f32_e32 v37, v36, v12
	v_fmac_f32_e32 v38, v37, v13
	v_fmac_f32_e32 v39, v38, v90
	v_fmac_f32_e32 v40, v39, v88
	v_fmac_f32_e32 v41, v40, v82
	v_fmac_f32_e32 v72, v41, v50
	v_fmac_f32_e32 v73, v72, v84
	v_fmac_f32_e32 v76, v73, v14
	v_fmac_f32_e32 v77, v76, v15
	v_fmac_f32_e32 v74, v77, v16
	v_fmac_f32_e32 v75, v74, v17
	v_fmac_f32_e32 v78, v75, v18
	v_fmac_f32_e32 v79, v78, v19
	v_and_b32_e32 v5, 0xffff0000, v30
	v_and_b32_e32 v11, 0xffff0000, v31
	v_lshlrev_b32_e32 v4, 16, v30
	v_lshlrev_b32_e32 v10, 16, v31
	v_and_b32_e32 v13, 0xffff0000, v32
	v_and_b32_e32 v15, 0xffff0000, v33
	v_lshlrev_b32_e32 v12, 16, v32
	v_lshlrev_b32_e32 v14, 16, v33
	;; [unrolled: 4-line block ×4, first 2 shown]
	s_add_i32 s1, s1, 8
	s_add_i32 s3, s3, -1
	s_add_i32 s92, s92, s99
	s_add_i32 s90, s90, s68
	;; [unrolled: 1-line block ×4, first 2 shown]
	v_pk_fma_f32 v[62:63], v[36:37], v[10:11], v[62:63]
	v_pk_fma_f32 v[64:65], v[34:35], v[4:5], v[64:65]
	;; [unrolled: 1-line block ×7, first 2 shown]
	s_cmp_eq_u32 s3, 0
	v_pk_fma_f32 v[52:53], v[74:75], v[26:27], v[52:53]
	s_cbranch_scc1 .LBB49_80
.LBB49_55:                              ;   Parent Loop BB49_12 Depth=1
                                        ; =>  This Inner Loop Header: Depth=2
	s_lshl_b64 s[94:95], s[78:79], 2
	s_add_u32 s94, s60, s94
	s_mov_b32 s89, s79
	s_addc_u32 s95, s76, s95
	v_lshl_add_u64 v[14:15], s[88:89], 1, v[66:67]
	global_load_dword v4, v43, s[94:95]
	global_load_dwordx4 v[10:13], v[14:15], off
	scratch_load_dword v5, off, off         ; 4-byte Folded Reload
	s_mov_b32 s91, s79
	s_andn2_b64 vcc, exec, s[74:75]
	s_waitcnt vmcnt(0)
	ds_write_b128 v5, v[10:13]
	global_load_dwordx4 v[10:13], v[14:15], off offset:1024
	s_nop 0
	scratch_load_dword v14, off, off offset:4 ; 4-byte Folded Reload
	s_waitcnt vmcnt(0)
	ds_write_b128 v14, v[10:13] offset:1024
	; wave barrier
	scratch_load_dword v16, off, off offset:8 ; 4-byte Folded Reload
	v_lshl_add_u64 v[14:15], s[90:91], 1, v[68:69]
	s_waitcnt vmcnt(0)
	ds_read_b128 v[38:41], v16
	ds_read_b128 v[34:37], v16 offset:16
	global_load_dwordx4 v[10:13], v[14:15], off
	s_waitcnt vmcnt(0)
	ds_write_b128 v5, v[10:13] offset:2112
	global_load_dwordx4 v[10:13], v[14:15], off offset:1024
	scratch_load_dword v5, off, off offset:44 ; 4-byte Folded Reload
	s_waitcnt vmcnt(0)
	ds_write_b128 v5, v[10:13] offset:1024
	; wave barrier
	scratch_load_dword v5, off, off offset:48 ; 4-byte Folded Reload
	ds_read_b128 v[30:33], v16 offset:2112
	s_waitcnt vmcnt(0)
	ds_read_b128 v[26:29], v5 offset:16
	s_cbranch_vccnz .LBB49_57
; %bb.56:                               ;   in Loop: Header=BB49_55 Depth=2
	v_mov_b32_e32 v5, s1
	ds_read_b64 v[70:71], v5
	s_cbranch_execz .LBB49_58
	s_branch .LBB49_61
.LBB49_57:                              ;   in Loop: Header=BB49_55 Depth=2
                                        ; implicit-def: $vgpr71
.LBB49_58:                              ;   in Loop: Header=BB49_55 Depth=2
	s_andn2_b64 vcc, exec, s[58:59]
	s_waitcnt lgkmcnt(0)
	v_mov_b32_e32 v71, 0
	s_cbranch_vccnz .LBB49_60
; %bb.59:                               ;   in Loop: Header=BB49_55 Depth=2
	s_mov_b32 s93, s79
	s_lshl_b64 s[94:95], s[92:93], 2
	s_add_u32 s94, s65, s94
	s_addc_u32 s95, s69, s95
	global_load_dword v71, v43, s[94:95]
.LBB49_60:                              ;   in Loop: Header=BB49_55 Depth=2
	v_mov_b32_e32 v70, 1.0
.LBB49_61:                              ;   in Loop: Header=BB49_55 Depth=2
	v_mul_f32_e32 v18, 0x3fb8aa3b, v4
	v_mul_f32_e32 v5, v18, v91
	v_cmp_gt_f32_e32 vcc, s77, v5
	s_waitcnt lgkmcnt(4)
	v_lshlrev_b32_e32 v17, 16, v34
	v_and_b32_e32 v20, 0xffff0000, v34
	v_cndmask_b32_e32 v5, 0, v94, vcc
	v_fmac_f32_e32 v5, v18, v91
	v_exp_f32_e32 v5, v5
	v_lshlrev_b32_e32 v34, 16, v35
	v_and_b32_e32 v74, 0xffff0000, v35
	v_cndmask_b32_e32 v35, 1.0, v89, vcc
	v_mul_f32_e32 v5, v5, v35
	v_mul_f32_e32 v35, v18, v87
	v_cmp_gt_f32_e32 vcc, s77, v35
	v_lshlrev_b32_e32 v75, 16, v36
	v_and_b32_e32 v78, 0xffff0000, v36
	v_cndmask_b32_e32 v35, 0, v94, vcc
	v_fmac_f32_e32 v35, v18, v87
	v_exp_f32_e32 v35, v35
	v_cndmask_b32_e32 v36, 1.0, v89, vcc
	v_lshlrev_b32_e32 v79, 16, v37
	v_and_b32_e32 v19, 0xffff0000, v37
	v_mul_f32_e32 v36, v35, v36
	v_mul_f32_e32 v35, v18, v44
	v_cmp_gt_f32_e32 vcc, s77, v35
	v_and_b32_e32 v10, 0xffff0000, v38
	v_mul_f32_e32 v10, v2, v10
	v_cndmask_b32_e32 v35, 0, v94, vcc
	v_fmac_f32_e32 v35, v18, v44
	v_exp_f32_e32 v37, v35
	v_cndmask_b32_e64 v35, 0, v10, s[24:25]
	v_cndmask_b32_e64 v10, 1.0, v36, s[24:25]
	v_cndmask_b32_e32 v36, 1.0, v89, vcc
	v_mul_f32_e32 v37, v37, v36
	v_mul_f32_e32 v36, v18, v45
	v_cmp_gt_f32_e32 vcc, s77, v36
	v_lshlrev_b32_e32 v4, 16, v38
	v_lshlrev_b32_e32 v11, 16, v39
	v_cndmask_b32_e32 v36, 0, v94, vcc
	v_fmac_f32_e32 v36, v18, v45
	v_exp_f32_e32 v38, v36
	v_mul_f32_e32 v11, v83, v11
	v_cndmask_b32_e64 v36, 0, v11, s[26:27]
	v_cndmask_b32_e64 v11, 1.0, v37, s[26:27]
	v_cndmask_b32_e32 v37, 1.0, v89, vcc
	v_mul_f32_e32 v38, v38, v37
	v_mul_f32_e32 v37, v18, v46
	v_cmp_gt_f32_e32 vcc, s77, v37
	v_and_b32_e32 v12, 0xffff0000, v39
	v_mul_f32_e32 v12, v93, v12
	v_cndmask_b32_e32 v37, 0, v94, vcc
	v_fmac_f32_e32 v37, v18, v46
	v_exp_f32_e32 v39, v37
	v_cndmask_b32_e64 v37, 0, v12, s[28:29]
	v_cndmask_b32_e64 v12, 1.0, v38, s[28:29]
	v_cndmask_b32_e32 v38, 1.0, v89, vcc
	v_mul_f32_e32 v39, v39, v38
	v_mul_f32_e32 v38, v18, v47
	v_cmp_gt_f32_e32 vcc, s77, v38
	v_lshlrev_b32_e32 v13, 16, v40
	v_and_b32_e32 v14, 0xffff0000, v40
	v_cndmask_b32_e32 v38, 0, v94, vcc
	v_fmac_f32_e32 v38, v18, v47
	v_exp_f32_e32 v40, v38
	v_mul_f32_e32 v13, v25, v13
	v_cndmask_b32_e64 v38, 0, v13, s[30:31]
	v_cndmask_b32_e64 v13, 1.0, v39, s[30:31]
	v_cndmask_b32_e32 v39, 1.0, v89, vcc
	v_mul_f32_e32 v40, v40, v39
	v_mul_f32_e32 v39, v18, v48
	v_cmp_gt_f32_e32 vcc, s77, v39
	v_lshlrev_b32_e32 v15, 16, v41
	v_and_b32_e32 v16, 0xffff0000, v41
	v_cndmask_b32_e32 v39, 0, v94, vcc
	v_fmac_f32_e32 v39, v18, v48
	v_mul_f32_e32 v14, v24, v14
	v_exp_f32_e32 v41, v39
	v_cndmask_b32_e64 v90, 1.0, v40, s[34:35]
	v_mul_f32_e32 v40, v18, v49
	v_cndmask_b32_e64 v39, 0, v14, s[34:35]
	v_cndmask_b32_e32 v14, 1.0, v89, vcc
	v_cmp_gt_f32_e32 vcc, s77, v40
	v_mul_f32_e32 v14, v41, v14
	v_mul_f32_e32 v15, v23, v15
	v_cndmask_b32_e32 v40, 0, v94, vcc
	v_fmac_f32_e32 v40, v18, v49
	v_exp_f32_e32 v41, v40
	v_cndmask_b32_e64 v40, 0, v15, s[36:37]
	v_cndmask_b32_e64 v88, 1.0, v14, s[36:37]
	v_cndmask_b32_e32 v14, 1.0, v89, vcc
	v_mul_f32_e32 v15, v22, v16
	v_mul_f32_e32 v14, v41, v14
	v_cndmask_b32_e64 v41, 0, v15, s[38:39]
	scratch_load_dword v15, off, off offset:40 ; 4-byte Folded Reload
	v_mul_f32_e32 v16, v18, v92
	v_cmp_gt_f32_e32 vcc, s77, v16
	v_cndmask_b32_e64 v82, 1.0, v14, s[38:39]
	v_mul_f32_e32 v4, v3, v4
	v_cndmask_b32_e32 v16, 0, v94, vcc
	v_fmac_f32_e32 v16, v18, v92
	v_exp_f32_e32 v16, v16
	v_cndmask_b32_e32 v14, 1.0, v89, vcc
	v_cndmask_b32_e64 v4, 0, v4, s[22:23]
	v_cndmask_b32_e64 v5, 1.0, v5, s[22:23]
	v_mul_f32_e32 v14, v16, v14
	v_mul_f32_e32 v16, v18, v85
	v_cmp_gt_f32_e32 vcc, s77, v16
	v_cndmask_b32_e64 v50, 1.0, v14, s[40:41]
	scratch_load_dword v21, off, off offset:16 ; 4-byte Folded Reload
	v_cndmask_b32_e32 v16, 0, v94, vcc
	v_fmac_f32_e32 v16, v18, v85
	v_exp_f32_e32 v16, v16
	v_cndmask_b32_e32 v14, 1.0, v89, vcc
	v_mul_f32_e32 v14, v16, v14
	v_mul_f32_e32 v16, v18, v86
	v_cmp_gt_f32_e32 vcc, s77, v16
	v_cndmask_b32_e64 v84, 1.0, v14, s[42:43]
	s_waitcnt vmcnt(1)
	v_mul_f32_e32 v15, v15, v17
	v_cndmask_b32_e64 v72, 0, v15, s[40:41]
	scratch_load_dword v15, off, off offset:36 ; 4-byte Folded Reload
	v_cndmask_b32_e32 v16, 0, v94, vcc
	v_fmac_f32_e32 v16, v18, v86
	v_exp_f32_e32 v16, v16
	v_cndmask_b32_e32 v14, 1.0, v89, vcc
	v_mul_f32_e32 v17, v18, v7
	v_mul_f32_e32 v14, v16, v14
	;; [unrolled: 1-line block ×3, first 2 shown]
	v_cmp_gt_f32_e32 vcc, s77, v16
	v_cndmask_b32_e64 v14, 1.0, v14, s[44:45]
	s_waitcnt vmcnt(0)
	v_mul_f32_e32 v15, v15, v20
	v_cndmask_b32_e64 v73, 0, v15, s[42:43]
	scratch_load_dword v15, off, off offset:32 ; 4-byte Folded Reload
	v_cndmask_b32_e32 v16, 0, v94, vcc
	v_fmac_f32_e32 v16, v18, v6
	v_exp_f32_e32 v16, v16
	v_mul_f32_e32 v20, v18, v8
	s_waitcnt vmcnt(0)
	v_mul_f32_e32 v15, v15, v34
	v_cndmask_b32_e64 v76, 0, v15, s[44:45]
	v_cndmask_b32_e32 v15, 1.0, v89, vcc
	v_mul_f32_e32 v15, v16, v15
	scratch_load_dword v16, off, off offset:28 ; 4-byte Folded Reload
	v_cmp_gt_f32_e32 vcc, s77, v17
	v_mul_f32_e32 v34, v18, v9
	v_cndmask_b32_e64 v15, 1.0, v15, s[46:47]
	v_cndmask_b32_e32 v17, 0, v94, vcc
	v_fmac_f32_e32 v17, v18, v7
	v_exp_f32_e32 v17, v17
	s_waitcnt vmcnt(0)
	v_mul_f32_e32 v16, v16, v74
	v_cndmask_b32_e64 v77, 0, v16, s[46:47]
	v_cndmask_b32_e32 v16, 1.0, v89, vcc
	v_mul_f32_e32 v16, v17, v16
	scratch_load_dword v17, off, off offset:24 ; 4-byte Folded Reload
	v_cmp_gt_f32_e32 vcc, s77, v20
	v_cndmask_b32_e64 v16, 1.0, v16, s[48:49]
	s_waitcnt vmcnt(0)
	v_mul_f32_e32 v17, v17, v75
	v_cndmask_b32_e32 v20, 0, v94, vcc
	v_fmac_f32_e32 v20, v18, v8
	v_exp_f32_e32 v20, v20
	v_cndmask_b32_e64 v74, 0, v17, s[48:49]
	v_cndmask_b32_e32 v17, 1.0, v89, vcc
	v_cmp_gt_f32_e32 vcc, s77, v34
	v_mul_f32_e32 v17, v20, v17
	scratch_load_dword v20, off, off offset:20 ; 4-byte Folded Reload
	v_cndmask_b32_e32 v34, 0, v94, vcc
	v_fmac_f32_e32 v34, v18, v9
	v_exp_f32_e32 v34, v34
	v_cndmask_b32_e64 v17, 1.0, v17, s[50:51]
	s_waitcnt vmcnt(0)
	v_mul_f32_e32 v20, v20, v78
	v_cndmask_b32_e64 v75, 0, v20, s[50:51]
	v_cndmask_b32_e32 v20, 1.0, v89, vcc
	v_mul_f32_e32 v20, v34, v20
	v_mul_f32_e32 v34, v21, v79
	scratch_load_dword v21, off, off offset:12 ; 4-byte Folded Reload
	v_mul_f32_e32 v78, v18, v51
	v_cmp_gt_f32_e32 vcc, s77, v78
	s_waitcnt vmcnt(0)
	v_mul_f32_e32 v19, v21, v19
	v_cndmask_b32_e32 v78, 0, v94, vcc
	v_fmac_f32_e32 v78, v18, v51
	v_exp_f32_e32 v79, v78
	v_cndmask_b32_e64 v18, 1.0, v20, s[52:53]
	v_cndmask_b32_e32 v20, 1.0, v89, vcc
	v_cndmask_b32_e64 v78, 0, v34, s[52:53]
	v_mul_f32_e32 v20, v79, v20
	v_cndmask_b32_e64 v79, 0, v19, s[54:55]
	v_cndmask_b32_e64 v19, 1.0, v20, s[54:55]
	v_mul_f32_e32 v20, v10, v5
	v_fma_f32 v34, v10, v4, v35
	v_mul_f32_e32 v20, v20, v11
	v_fma_f32 v34, v34, v11, v36
	;; [unrolled: 2-line block ×15, first 2 shown]
	s_nop 0
	v_mov_b32_dpp v81, v80 row_shr:1 row_mask:0xf bank_mask:0xf
	v_mov_b32_dpp v20, v21 row_shr:1 row_mask:0xf bank_mask:0xf
	s_and_saveexec_b64 s[94:95], s[4:5]
; %bb.62:                               ;   in Loop: Header=BB49_55 Depth=2
	v_mul_f32_e32 v81, v80, v81
	v_fmac_f32_e32 v21, v80, v20
	v_mov_b32_e32 v80, v81
; %bb.63:                               ;   in Loop: Header=BB49_55 Depth=2
	s_or_b64 exec, exec, s[94:95]
	s_nop 0
	v_mov_b32_dpp v20, v80 row_shr:2 row_mask:0xf bank_mask:0xf
	v_mov_b32_dpp v81, v21 row_shr:2 row_mask:0xf bank_mask:0xf
	s_and_saveexec_b64 s[94:95], s[6:7]
; %bb.64:                               ;   in Loop: Header=BB49_55 Depth=2
	v_fmac_f32_e32 v21, v80, v81
	v_mul_f32_e32 v80, v80, v20
; %bb.65:                               ;   in Loop: Header=BB49_55 Depth=2
	s_or_b64 exec, exec, s[94:95]
	s_nop 0
	v_mov_b32_dpp v20, v80 row_shr:4 row_mask:0xf bank_mask:0xf
	v_mov_b32_dpp v81, v21 row_shr:4 row_mask:0xf bank_mask:0xf
	s_and_saveexec_b64 s[94:95], s[8:9]
; %bb.66:                               ;   in Loop: Header=BB49_55 Depth=2
	v_fmac_f32_e32 v21, v80, v81
	v_mul_f32_e32 v80, v80, v20
	;; [unrolled: 9-line block ×3, first 2 shown]
; %bb.69:                               ;   in Loop: Header=BB49_55 Depth=2
	s_or_b64 exec, exec, s[94:95]
	s_nop 0
	v_mov_b32_dpp v20, v80 row_bcast:15 row_mask:0xf bank_mask:0xf
	v_mov_b32_dpp v81, v21 row_bcast:15 row_mask:0xf bank_mask:0xf
	s_and_saveexec_b64 s[94:95], s[12:13]
; %bb.70:                               ;   in Loop: Header=BB49_55 Depth=2
	v_fmac_f32_e32 v21, v80, v81
	v_mul_f32_e32 v80, v80, v20
; %bb.71:                               ;   in Loop: Header=BB49_55 Depth=2
	s_or_b64 exec, exec, s[94:95]
	s_nop 0
	v_mov_b32_dpp v20, v80 row_bcast:31 row_mask:0xf bank_mask:0xf
	v_mov_b32_dpp v81, v21 row_bcast:31 row_mask:0xf bank_mask:0xf
	v_mov_b32_e32 v34, v21
	v_mul_f32_e32 v20, v80, v20
	v_fmac_f32_e32 v34, v80, v81
	v_cndmask_b32_e64 v80, v80, v20, s[14:15]
	v_cndmask_b32_e64 v81, v21, v34, s[14:15]
	s_and_saveexec_b64 s[94:95], s[16:17]
	s_cbranch_execz .LBB49_73
; %bb.72:                               ;   in Loop: Header=BB49_55 Depth=2
	ds_write_b64 v43, v[80:81] offset:4224
.LBB49_73:                              ;   in Loop: Header=BB49_55 Depth=2
	s_or_b64 exec, exec, s[94:95]
	scratch_load_dword v20, off, off offset:52 ; 4-byte Folded Reload
	s_waitcnt lgkmcnt(0)
	; wave barrier
	s_waitcnt vmcnt(0) lgkmcnt(0)
	ds_bpermute_b32 v34, v20, v80
	ds_bpermute_b32 v20, v20, v81
	v_mov_b32_e32 v81, v71
	s_and_saveexec_b64 s[94:95], s[18:19]
	s_cbranch_execz .LBB49_77
; %bb.74:                               ;   in Loop: Header=BB49_55 Depth=2
	ds_read_b64 v[80:81], v43 offset:4224
	s_and_saveexec_b64 s[96:97], s[20:21]
	s_cbranch_execz .LBB49_76
; %bb.75:                               ;   in Loop: Header=BB49_55 Depth=2
	ds_write_b64 v43, v[70:71] offset:4224
.LBB49_76:                              ;   in Loop: Header=BB49_55 Depth=2
	s_or_b64 exec, exec, s[96:97]
	s_waitcnt lgkmcnt(0)
	v_fmac_f32_e32 v81, v71, v80
	v_mul_f32_e32 v70, v70, v80
	v_mov_b32_e32 v71, v81
.LBB49_77:                              ;   in Loop: Header=BB49_55 Depth=2
	s_or_b64 exec, exec, s[94:95]
	s_waitcnt lgkmcnt(0)
	; wave barrier
	s_waitcnt lgkmcnt(0)
	ds_read_b32 v80, v43 offset:4228
	s_and_saveexec_b64 s[94:95], s[20:21]
	s_cbranch_execz .LBB49_54
; %bb.78:                               ;   in Loop: Header=BB49_55 Depth=2
	v_mov_b32_e32 v21, s1
	s_andn2_b64 vcc, exec, s[86:87]
	ds_write_b64 v21, v[70:71]
	s_cbranch_vccnz .LBB49_54
; %bb.79:                               ;   in Loop: Header=BB49_55 Depth=2
	s_mov_b32 s93, s79
	s_lshl_b64 s[96:97], s[92:93], 2
	s_add_u32 s96, s65, s96
	s_addc_u32 s97, s69, s97
	global_store_dword v43, v81, s[96:97]
	s_branch .LBB49_54
.LBB49_80:                              ;   in Loop: Header=BB49_12 Depth=1
	scratch_load_dwordx2 v[28:29], off, off offset:136 ; 8-byte Folded Reload
	scratch_load_dwordx4 v[34:37], off, off offset:144 ; 16-byte Folded Reload
	s_mov_b32 s26, 0x3fb8aa3b
	s_mov_b32 s27, 0xc2ce8ed0
	;; [unrolled: 1-line block ×7, first 2 shown]
	v_mov_b32_e32 v22, 0x3ecc95a3
.LBB49_81:                              ;   in Loop: Header=BB49_12 Depth=1
	s_waitcnt lgkmcnt(0)
	; wave barrier
	scratch_load_dword v11, off, off offset:8 ; 4-byte Folded Reload
	v_bfe_u32 v2, v64, 16, 1
	v_bfe_u32 v3, v65, 16, 1
	v_add3_u32 v2, v64, v2, s0
	v_bfe_u32 v4, v62, 16, 1
	v_add3_u32 v3, v65, v3, s0
	v_lshrrev_b32_e32 v2, 16, v2
	v_cmp_o_f32_e32 vcc, v64, v64
	v_mov_b32_e32 v12, 0x7fc0
	v_bfe_u32 v5, v63, 16, 1
	v_add3_u32 v4, v62, v4, s0
	v_lshrrev_b32_e32 v3, 16, v3
	v_cndmask_b32_e32 v2, v12, v2, vcc
	v_cmp_o_f32_e32 vcc, v65, v65
	v_add3_u32 v5, v63, v5, s0
	v_lshrrev_b32_e32 v4, 16, v4
	v_cndmask_b32_e32 v6, v12, v3, vcc
	v_cmp_o_f32_e32 vcc, v62, v62
	v_lshrrev_b32_e32 v5, 16, v5
	v_bfe_u32 v8, v58, 16, 1
	v_cndmask_b32_e32 v3, v12, v4, vcc
	v_cmp_o_f32_e32 vcc, v63, v63
	v_bfe_u32 v4, v60, 16, 1
	v_add3_u32 v4, v60, v4, s0
	v_cndmask_b32_e32 v7, v12, v5, vcc
	v_bfe_u32 v5, v61, 16, 1
	v_add3_u32 v5, v61, v5, s0
	v_lshrrev_b32_e32 v4, 16, v4
	v_cmp_o_f32_e32 vcc, v60, v60
	v_bfe_u32 v9, v59, 16, 1
	v_add3_u32 v8, v58, v8, s0
	v_lshrrev_b32_e32 v5, 16, v5
	v_cndmask_b32_e32 v4, v12, v4, vcc
	v_cmp_o_f32_e32 vcc, v61, v61
	v_add3_u32 v9, v59, v9, s0
	v_lshrrev_b32_e32 v8, 16, v8
	v_cndmask_b32_e32 v10, v12, v5, vcc
	v_cmp_o_f32_e32 vcc, v58, v58
	v_lshrrev_b32_e32 v9, 16, v9
	s_mov_b32 s1, 0x5040100
	v_cndmask_b32_e32 v5, v12, v8, vcc
	v_cmp_o_f32_e32 vcc, v59, v59
	v_perm_b32 v4, v10, v4, s1
	v_perm_b32 v3, v7, v3, s1
	v_cndmask_b32_e32 v8, v12, v9, vcc
	v_perm_b32 v5, v8, v5, s1
	v_perm_b32 v2, v6, v2, s1
	v_cmp_o_f32_e32 vcc, v56, v56
	v_bfe_u32 v8, v0, 16, 1
	v_bfe_u32 v9, v1, 16, 1
	v_add3_u32 v8, v0, v8, s0
	v_add3_u32 v9, v1, v9, s0
	v_lshrrev_b32_e32 v8, 16, v8
	v_lshrrev_b32_e32 v9, 16, v9
	s_mov_b32 s3, s79
	s_lshl_b64 s[22:23], s[2:3], 1
	s_waitcnt vmcnt(0)
	ds_write_b128 v11, v[2:5]
	v_bfe_u32 v2, v56, 16, 1
	v_bfe_u32 v3, v57, 16, 1
	v_add3_u32 v2, v56, v2, s0
	v_bfe_u32 v4, v54, 16, 1
	v_add3_u32 v3, v57, v3, s0
	v_lshrrev_b32_e32 v2, 16, v2
	v_bfe_u32 v5, v55, 16, 1
	v_add3_u32 v4, v54, v4, s0
	v_lshrrev_b32_e32 v3, 16, v3
	v_cndmask_b32_e32 v2, v12, v2, vcc
	v_cmp_o_f32_e32 vcc, v57, v57
	v_add3_u32 v5, v55, v5, s0
	v_lshrrev_b32_e32 v4, 16, v4
	v_cndmask_b32_e32 v6, v12, v3, vcc
	v_cmp_o_f32_e32 vcc, v54, v54
	v_lshrrev_b32_e32 v5, 16, v5
	v_perm_b32 v2, v6, v2, s1
	v_cndmask_b32_e32 v3, v12, v4, vcc
	v_cmp_o_f32_e32 vcc, v55, v55
	v_bfe_u32 v4, v52, 16, 1
	v_add3_u32 v4, v52, v4, s0
	v_cndmask_b32_e32 v7, v12, v5, vcc
	v_bfe_u32 v5, v53, 16, 1
	v_add3_u32 v5, v53, v5, s0
	v_lshrrev_b32_e32 v4, 16, v4
	v_cmp_o_f32_e32 vcc, v52, v52
	v_lshrrev_b32_e32 v5, 16, v5
	v_perm_b32 v3, v7, v3, s1
	v_cndmask_b32_e32 v4, v12, v4, vcc
	v_cmp_o_f32_e32 vcc, v53, v53
	s_nop 1
	v_cndmask_b32_e32 v10, v12, v5, vcc
	v_cmp_o_f32_e32 vcc, v0, v0
	v_perm_b32 v4, v10, v4, s1
	s_nop 0
	v_cndmask_b32_e32 v5, v12, v8, vcc
	v_cmp_o_f32_e32 vcc, v1, v1
	s_nop 1
	v_cndmask_b32_e32 v8, v12, v9, vcc
	v_perm_b32 v5, v8, v5, s1
	ds_write_b128 v11, v[2:5] offset:16
	; wave barrier
	scratch_load_dwordx2 v[6:7], off, off offset:160 ; 8-byte Folded Reload
	scratch_load_dword v2, off, off         ; 4-byte Folded Reload
	s_waitcnt vmcnt(1)
	v_lshl_add_u64 v[10:11], v[6:7], 0, s[22:23]
	scratch_load_dword v6, off, off offset:4 ; 4-byte Folded Reload
	s_waitcnt vmcnt(1)
	ds_read_b128 v[2:5], v2
	s_waitcnt vmcnt(0)
	ds_read_b128 v[6:9], v6 offset:1024
	s_waitcnt lgkmcnt(1)
	global_store_short v[10:11], v2, off
	v_alignbit_b32 v12, v3, v2, 16
	v_alignbit_b32 v2, v5, v4, 16
	;; [unrolled: 1-line block ×3, first 2 shown]
	global_store_short_d16_hi v[10:11], v5, off offset:14
	global_store_dword v[10:11], v2, off offset:10
	global_store_dwordx2 v[10:11], v[12:13], off offset:2
	s_waitcnt lgkmcnt(0)
	global_store_dwordx4 v[10:11], v[6:9], off offset:1024
	s_waitcnt lgkmcnt(0)
	; wave barrier
	scratch_load_dwordx2 v[2:3], off, off offset:168 ; 8-byte Folded Reload
	s_waitcnt vmcnt(0)
	v_lshl_add_u64 v[26:27], v[2:3], 0, s[22:23]
	s_mov_b64 s[22:23], exec
	scratch_load_dwordx4 v[6:9], off, off offset:120 ; 16-byte Folded Reload
	v_readlane_b32 s24, v95, 6
	v_readlane_b32 s25, v95, 7
	s_and_b64 s[24:25], s[22:23], s[24:25]
	s_mov_b64 exec, s[24:25]
	s_cbranch_execz .LBB49_83
; %bb.82:                               ;   in Loop: Header=BB49_12 Depth=1
	global_load_dwordx4 v[6:9], v[26:27], off
.LBB49_83:                              ;   in Loop: Header=BB49_12 Depth=1
	s_or_b64 exec, exec, s[22:23]
	s_mov_b64 s[22:23], exec
	scratch_load_dwordx4 v[2:5], off, off offset:104 ; 16-byte Folded Reload
	v_readlane_b32 s24, v95, 8
	v_readlane_b32 s25, v95, 9
	s_and_b64 s[24:25], s[22:23], s[24:25]
	s_mov_b64 exec, s[24:25]
	s_cbranch_execz .LBB49_11
; %bb.84:                               ;   in Loop: Header=BB49_12 Depth=1
	global_load_dwordx4 v[2:5], v[26:27], off offset:1024
	s_branch .LBB49_11
.LBB49_85:
	s_endpgm
	.section	.rodata,"a",@progbits
	.p2align	6, 0x0
	.amdhsa_kernel _Z25selective_scan_fwd_kernelI32Selective_Scan_fwd_kernel_traitsILi64ELi16ELi1ELb1ELb1ELb1ELb1ELb0EN3c108BFloat16EffEEv13SSMParamsBase
		.amdhsa_group_segment_fixed_size 0
		.amdhsa_private_segment_fixed_size 252
		.amdhsa_kernarg_size 248
		.amdhsa_user_sgpr_count 2
		.amdhsa_user_sgpr_dispatch_ptr 0
		.amdhsa_user_sgpr_queue_ptr 0
		.amdhsa_user_sgpr_kernarg_segment_ptr 1
		.amdhsa_user_sgpr_dispatch_id 0
		.amdhsa_user_sgpr_kernarg_preload_length 0
		.amdhsa_user_sgpr_kernarg_preload_offset 0
		.amdhsa_user_sgpr_private_segment_size 0
		.amdhsa_uses_dynamic_stack 0
		.amdhsa_enable_private_segment 1
		.amdhsa_system_sgpr_workgroup_id_x 1
		.amdhsa_system_sgpr_workgroup_id_y 1
		.amdhsa_system_sgpr_workgroup_id_z 0
		.amdhsa_system_sgpr_workgroup_info 0
		.amdhsa_system_vgpr_workitem_id 0
		.amdhsa_next_free_vgpr 96
		.amdhsa_next_free_sgpr 100
		.amdhsa_accum_offset 96
		.amdhsa_reserve_vcc 1
		.amdhsa_float_round_mode_32 0
		.amdhsa_float_round_mode_16_64 0
		.amdhsa_float_denorm_mode_32 3
		.amdhsa_float_denorm_mode_16_64 3
		.amdhsa_dx10_clamp 1
		.amdhsa_ieee_mode 1
		.amdhsa_fp16_overflow 0
		.amdhsa_tg_split 0
		.amdhsa_exception_fp_ieee_invalid_op 0
		.amdhsa_exception_fp_denorm_src 0
		.amdhsa_exception_fp_ieee_div_zero 0
		.amdhsa_exception_fp_ieee_overflow 0
		.amdhsa_exception_fp_ieee_underflow 0
		.amdhsa_exception_fp_ieee_inexact 0
		.amdhsa_exception_int_div_zero 0
	.end_amdhsa_kernel
	.section	.text._Z25selective_scan_fwd_kernelI32Selective_Scan_fwd_kernel_traitsILi64ELi16ELi1ELb1ELb1ELb1ELb1ELb0EN3c108BFloat16EffEEv13SSMParamsBase,"axG",@progbits,_Z25selective_scan_fwd_kernelI32Selective_Scan_fwd_kernel_traitsILi64ELi16ELi1ELb1ELb1ELb1ELb1ELb0EN3c108BFloat16EffEEv13SSMParamsBase,comdat
.Lfunc_end49:
	.size	_Z25selective_scan_fwd_kernelI32Selective_Scan_fwd_kernel_traitsILi64ELi16ELi1ELb1ELb1ELb1ELb1ELb0EN3c108BFloat16EffEEv13SSMParamsBase, .Lfunc_end49-_Z25selective_scan_fwd_kernelI32Selective_Scan_fwd_kernel_traitsILi64ELi16ELi1ELb1ELb1ELb1ELb1ELb0EN3c108BFloat16EffEEv13SSMParamsBase
                                        ; -- End function
	.section	.AMDGPU.csdata,"",@progbits
; Kernel info:
; codeLenInByte = 20628
; NumSgprs: 106
; NumVgprs: 96
; NumAgprs: 0
; TotalNumVgprs: 96
; ScratchSize: 252
; MemoryBound: 1
; FloatMode: 240
; IeeeMode: 1
; LDSByteSize: 0 bytes/workgroup (compile time only)
; SGPRBlocks: 13
; VGPRBlocks: 11
; NumSGPRsForWavesPerEU: 106
; NumVGPRsForWavesPerEU: 96
; AccumOffset: 96
; Occupancy: 5
; WaveLimiterHint : 1
; COMPUTE_PGM_RSRC2:SCRATCH_EN: 1
; COMPUTE_PGM_RSRC2:USER_SGPR: 2
; COMPUTE_PGM_RSRC2:TRAP_HANDLER: 0
; COMPUTE_PGM_RSRC2:TGID_X_EN: 1
; COMPUTE_PGM_RSRC2:TGID_Y_EN: 1
; COMPUTE_PGM_RSRC2:TGID_Z_EN: 0
; COMPUTE_PGM_RSRC2:TIDIG_COMP_CNT: 0
; COMPUTE_PGM_RSRC3_GFX90A:ACCUM_OFFSET: 23
; COMPUTE_PGM_RSRC3_GFX90A:TG_SPLIT: 0
	.section	.text._Z25selective_scan_fwd_kernelI32Selective_Scan_fwd_kernel_traitsILi64ELi16ELi1ELb1ELb1ELb1ELb0ELb1EN3c108BFloat16EffEEv13SSMParamsBase,"axG",@progbits,_Z25selective_scan_fwd_kernelI32Selective_Scan_fwd_kernel_traitsILi64ELi16ELi1ELb1ELb1ELb1ELb0ELb1EN3c108BFloat16EffEEv13SSMParamsBase,comdat
	.protected	_Z25selective_scan_fwd_kernelI32Selective_Scan_fwd_kernel_traitsILi64ELi16ELi1ELb1ELb1ELb1ELb0ELb1EN3c108BFloat16EffEEv13SSMParamsBase ; -- Begin function _Z25selective_scan_fwd_kernelI32Selective_Scan_fwd_kernel_traitsILi64ELi16ELi1ELb1ELb1ELb1ELb0ELb1EN3c108BFloat16EffEEv13SSMParamsBase
	.globl	_Z25selective_scan_fwd_kernelI32Selective_Scan_fwd_kernel_traitsILi64ELi16ELi1ELb1ELb1ELb1ELb0ELb1EN3c108BFloat16EffEEv13SSMParamsBase
	.p2align	8
	.type	_Z25selective_scan_fwd_kernelI32Selective_Scan_fwd_kernel_traitsILi64ELi16ELi1ELb1ELb1ELb1ELb0ELb1EN3c108BFloat16EffEEv13SSMParamsBase,@function
_Z25selective_scan_fwd_kernelI32Selective_Scan_fwd_kernel_traitsILi64ELi16ELi1ELb1ELb1ELb1ELb0ELb1EN3c108BFloat16EffEEv13SSMParamsBase: ; @_Z25selective_scan_fwd_kernelI32Selective_Scan_fwd_kernel_traitsILi64ELi16ELi1ELb1ELb1ELb1ELb0ELb1EN3c108BFloat16EffEEv13SSMParamsBase
; %bb.0:
	s_load_dword s27, s[0:1], 0x18
	s_load_dwordx4 s[4:7], s[0:1], 0xe0
	s_load_dwordx2 s[10:11], s[0:1], 0xf0
	s_mov_b32 s20, s3
	s_ashr_i32 s3, s2, 31
	s_waitcnt lgkmcnt(0)
	s_abs_i32 s26, s27
	v_cvt_f32_u32_e32 v1, s26
	s_lshl_b64 s[8:9], s[2:3], 2
	s_add_u32 s24, s4, s8
	s_addc_u32 s25, s5, s9
	v_rcp_iflag_f32_e32 v1, v1
	s_cmp_eq_u64 s[10:11], 0
                                        ; implicit-def: $vgpr95 : SGPR spill to VGPR lane
	v_mul_f32_e32 v1, 0x4f7ffffe, v1
	v_cvt_u32_f32_e32 v1, v1
	s_nop 0
	v_readfirstlane_b32 s28, v1
	s_cbranch_scc1 .LBB50_2
; %bb.1:
	s_add_u32 s4, s10, s2
	s_addc_u32 s5, s11, s3
	v_mov_b32_e32 v1, 0
	global_load_ubyte v1, v1, s[4:5]
	s_waitcnt vmcnt(0)
	v_and_b32_e32 v1, 1, v1
	v_cmp_eq_u32_e64 s[4:5], 1, v1
	s_branch .LBB50_3
.LBB50_2:
	s_mov_b64 s[4:5], 0
.LBB50_3:
	s_nop 0
	v_writelane_b32 v95, s4, 0
	s_cmp_eq_u64 s[6:7], 0
	s_nop 0
	v_writelane_b32 v95, s5, 1
	s_load_dwordx2 s[4:5], s[0:1], 0x20
	s_cbranch_scc1 .LBB50_5
; %bb.4:
	s_add_u32 s2, s6, s8
	s_addc_u32 s3, s7, s9
	s_load_dword s2, s[2:3], 0x0
	s_waitcnt lgkmcnt(0)
	s_ashr_i32 s3, s2, 31
.LBB50_5:
	s_waitcnt lgkmcnt(0)
	s_cmp_eq_u64 s[4:5], s[2:3]
	s_cbranch_scc1 .LBB50_234
; %bb.6:
	s_load_dwordx16 s[4:19], s[0:1], 0x88
	s_load_dwordx2 s[22:23], s[24:25], 0x0
	s_mov_b32 s3, 0
	v_writelane_b32 v95, s3, 2
	v_writelane_b32 v95, s3, 3
	s_waitcnt lgkmcnt(0)
	s_cmp_eq_u64 s[10:11], 0
	s_cbranch_scc1 .LBB50_8
; %bb.7:
	s_ashr_i32 s21, s20, 31
	s_lshl_b64 s[24:25], s[20:21], 2
	s_add_u32 s10, s10, s24
	s_addc_u32 s11, s11, s25
	s_load_dword s3, s[10:11], 0x0
	s_waitcnt lgkmcnt(0)
	v_writelane_b32 v95, s3, 3
.LBB50_8:
	s_cmp_eq_u64 s[16:17], 0
	s_cbranch_scc1 .LBB50_10
; %bb.9:
	s_ashr_i32 s21, s20, 31
	s_lshl_b64 s[10:11], s[20:21], 2
	s_add_u32 s10, s16, s10
	s_addc_u32 s11, s17, s11
	s_load_dword s3, s[10:11], 0x0
	s_waitcnt lgkmcnt(0)
	v_writelane_b32 v95, s3, 2
.LBB50_10:
	s_sub_i32 s29, s23, s22
	s_cmp_lt_i32 s29, 1
	s_cbranch_scc1 .LBB50_234
; %bb.11:
	v_mbcnt_lo_u32_b32 v1, -1, 0
	v_mbcnt_hi_u32_b32 v20, -1, v1
	s_sub_i32 s3, 0, s26
	v_lshrrev_b32_e32 v1, 5, v20
	s_mul_i32 s3, s3, s28
	v_and_b32_e32 v1, 2, v1
	s_mul_hi_u32 s3, s28, s3
	v_add_u32_e32 v1, v1, v20
	s_abs_i32 s21, s20
	s_add_i32 s28, s28, s3
	v_add_u32_e32 v2, 64, v20
	v_lshl_add_u32 v1, v1, 1, 0
	s_load_dwordx8 s[36:43], s[0:1], 0x2c
	s_load_dwordx2 s[10:11], s[0:1], 0x5c
	s_load_dwordx4 s[44:47], s[0:1], 0x4c
	s_load_dwordx4 s[48:51], s[0:1], 0x7c
	s_load_dwordx2 s[24:25], s[0:1], 0x6c
	s_load_dwordx2 s[16:17], s[0:1], 0xc8
	s_mul_hi_u32 s3, s21, s28
	s_load_dword s28, s[0:1], 0xc
	s_load_dword s23, s[0:1], 0x28
	scratch_store_dword off, v1, off offset:4 ; 4-byte Folded Spill
	scratch_store_dword off, v2, off offset:180 ; 4-byte Folded Spill
	v_lshrrev_b32_e32 v1, 5, v2
	s_ashr_i32 s0, s20, 31
	s_ashr_i32 s1, s27, 31
	v_and_b32_e32 v1, 6, v1
	s_xor_b32 s0, s0, s1
	s_mul_i32 s1, s3, s26
	v_add_lshl_u32 v1, v1, v20, 1
	s_sub_i32 s1, s21, s1
	v_or_b32_e32 v3, 0x80, v20
	v_add_u32_e32 v2, 0, v1
	s_add_i32 s21, s3, 1
	s_sub_i32 s27, s1, s26
	scratch_store_dword off, v2, off offset:8 ; 4-byte Folded Spill
	scratch_store_dword off, v3, off offset:184 ; 4-byte Folded Spill
	v_lshrrev_b32_e32 v2, 5, v3
	s_cmp_ge_u32 s1, s26
	v_and_b32_e32 v2, 6, v2
	s_cselect_b32 s3, s21, s3
	v_add_lshl_u32 v2, v2, v20, 1
	s_cselect_b32 s1, s27, s1
	s_add_i32 s21, s3, 1
	v_add_u32_e32 v4, 0xc0, v20
	v_add_u32_e32 v3, 0, v2
	s_cmp_ge_u32 s1, s26
	scratch_store_dword off, v3, off offset:12 ; 4-byte Folded Spill
	scratch_store_dword off, v4, off offset:188 ; 4-byte Folded Spill
	v_lshrrev_b32_e32 v3, 5, v4
	s_cselect_b32 s1, s21, s3
	v_and_b32_e32 v3, 14, v3
	s_xor_b32 s1, s1, s0
	s_waitcnt lgkmcnt(0)
	s_mul_i32 s92, s22, s46
	s_mov_b32 s93, 0
	v_add_lshl_u32 v3, v3, v20, 1
	s_sub_i32 s3, s1, s0
	s_lshl_b64 s[0:1], s[92:93], 1
	v_or_b32_e32 v5, 0x100, v20
	v_add_u32_e32 v4, 0, v3
	s_add_u32 s12, s12, s0
	s_mul_i32 s92, s47, s20
	scratch_store_dword off, v4, off offset:16 ; 4-byte Folded Spill
	scratch_store_dword off, v5, off offset:192 ; 4-byte Folded Spill
	v_lshrrev_b32_e32 v4, 5, v5
	s_addc_u32 s13, s13, s1
	s_lshl_b64 s[0:1], s[92:93], 1
	v_and_b32_e32 v4, 10, v4
	s_add_u32 s26, s12, s0
	s_mul_i32 s92, s22, s10
	v_add_lshl_u32 v4, v4, v20, 1
	s_addc_u32 s27, s13, s1
	s_lshl_b64 s[0:1], s[92:93], 1
	v_add_u32_e32 v6, 0x140, v20
	v_add_u32_e32 v5, 0, v4
	s_add_u32 s10, s14, s0
	s_mul_i32 s92, s11, s20
	scratch_store_dword off, v5, off offset:20 ; 4-byte Folded Spill
	scratch_store_dword off, v6, off offset:196 ; 4-byte Folded Spill
	v_lshrrev_b32_e32 v5, 5, v6
	s_addc_u32 s12, s15, s1
	s_lshl_b64 s[0:1], s[92:93], 1
	v_and_b32_e32 v5, 14, v5
	s_add_u32 s0, s10, s0
	v_add_lshl_u32 v5, v5, v20, 1
	s_addc_u32 s1, s12, s1
	v_or_b32_e32 v7, 0x180, v20
	v_add_u32_e32 v6, 0, v5
	v_writelane_b32 v95, s0, 4
	s_mul_i32 s92, s36, s20
	scratch_store_dword off, v6, off offset:24 ; 4-byte Folded Spill
	scratch_store_dword off, v7, off offset:200 ; 4-byte Folded Spill
	v_lshrrev_b32_e32 v6, 5, v7
	v_writelane_b32 v95, s1, 5
	s_lshl_b64 s[0:1], s[92:93], 2
	v_and_b32_e32 v6, 14, v6
	s_add_u32 s99, s4, s0
	v_add_lshl_u32 v6, v6, v20, 1
	s_addc_u32 s0, s5, s1
	s_mul_i32 s92, s22, s38
	v_add_u32_e32 v8, 0x1c0, v20
	v_add_u32_e32 v7, 0, v6
	v_writelane_b32 v95, s0, 6
	s_lshl_b64 s[0:1], s[92:93], 1
	scratch_store_dword off, v7, off offset:28 ; 4-byte Folded Spill
	scratch_store_dword off, v8, off offset:204 ; 4-byte Folded Spill
	v_lshrrev_b32_e32 v7, 5, v8
	s_add_u32 s4, s6, s0
	s_mul_i32 s92, s3, s41
	v_and_b32_e32 v7, 30, v7
	s_addc_u32 s5, s7, s1
	s_lshl_b64 s[0:1], s[92:93], 1
	v_add_lshl_u32 v7, v7, v20, 1
	s_add_u32 s0, s4, s0
	v_or_b32_e32 v9, 0x200, v20
	v_add_u32_e32 v8, 0, v7
	s_addc_u32 s1, s5, s1
	scratch_store_dword off, v8, off offset:32 ; 4-byte Folded Spill
	scratch_store_dword off, v9, off offset:208 ; 4-byte Folded Spill
	v_lshrrev_b32_e32 v8, 5, v9
	v_writelane_b32 v95, s0, 7
	v_and_b32_e32 v8, 18, v8
	v_add_lshl_u32 v8, v8, v20, 1
	v_writelane_b32 v95, s1, 8
	v_writelane_b32 v95, s36, 9
	v_add_u32_e32 v10, 0x240, v20
	v_add_u32_e32 v9, 0, v8
	v_writelane_b32 v95, s37, 10
	scratch_store_dword off, v9, off offset:36 ; 4-byte Folded Spill
	scratch_store_dword off, v10, off offset:212 ; 4-byte Folded Spill
	v_lshrrev_b32_e32 v9, 5, v10
	v_writelane_b32 v95, s38, 11
	v_and_b32_e32 v9, 22, v9
	v_writelane_b32 v95, s39, 12
	v_add_lshl_u32 v9, v9, v20, 1
	v_writelane_b32 v95, s40, 13
	v_or_b32_e32 v11, 0x280, v20
	v_add_u32_e32 v10, 0, v9
	v_writelane_b32 v95, s41, 14
	scratch_store_dword off, v10, off offset:40 ; 4-byte Folded Spill
	scratch_store_dword off, v11, off offset:216 ; 4-byte Folded Spill
	v_lshrrev_b32_e32 v10, 5, v11
	v_writelane_b32 v95, s42, 15
	s_mul_i32 s92, s22, s42
	v_and_b32_e32 v10, 22, v10
	v_writelane_b32 v95, s43, 16
	s_lshl_b64 s[0:1], s[92:93], 1
	v_add_lshl_u32 v10, v10, v20, 1
	s_add_u32 s4, s8, s0
	v_writelane_b32 v95, s44, 17
	s_mul_i32 s92, s3, s45
	v_add_u32_e32 v12, 0x2c0, v20
	v_add_u32_e32 v11, 0, v10
	s_addc_u32 s5, s9, s1
	v_writelane_b32 v95, s45, 18
	s_lshl_b64 s[0:1], s[92:93], 1
	scratch_store_dword off, v11, off offset:44 ; 4-byte Folded Spill
	scratch_store_dword off, v12, off offset:220 ; 4-byte Folded Spill
	v_lshrrev_b32_e32 v11, 5, v12
	v_writelane_b32 v95, s46, 19
	s_add_u32 s0, s4, s0
	v_and_b32_e32 v11, 30, v11
	v_writelane_b32 v95, s47, 20
	s_addc_u32 s1, s5, s1
	v_add_lshl_u32 v11, v11, v20, 1
	v_writelane_b32 v95, s0, 21
	v_or_b32_e32 v13, 0x300, v20
	v_add_u32_e32 v12, 0, v11
	v_writelane_b32 v95, s1, 22
	s_mul_i32 s92, s2, s48
	scratch_store_dword off, v12, off offset:48 ; 4-byte Folded Spill
	scratch_store_dword off, v13, off offset:224 ; 4-byte Folded Spill
	v_lshrrev_b32_e32 v12, 5, v13
	s_lshl_b64 s[0:1], s[92:93], 2
	v_writelane_b32 v95, s48, 23
	v_and_b32_e32 v12, 26, v12
	s_add_u32 s2, s16, s0
	v_writelane_b32 v95, s49, 24
	s_mul_i32 s92, s49, s20
	v_add_lshl_u32 v12, v12, v20, 1
	s_addc_u32 s3, s17, s1
	v_writelane_b32 v95, s50, 25
	s_lshl_b64 s[0:1], s[92:93], 2
	v_add_u32_e32 v14, 0x340, v20
	v_add_u32_e32 v13, 0, v12
	v_writelane_b32 v95, s51, 26
	s_add_u32 s0, s2, s0
	scratch_store_dword off, v13, off offset:52 ; 4-byte Folded Spill
	scratch_store_dword off, v14, off offset:228 ; 4-byte Folded Spill
	v_lshrrev_b32_e32 v13, 5, v14
	v_writelane_b32 v95, s0, 27
	s_addc_u32 s0, s3, s1
	v_and_b32_e32 v13, 30, v13
	v_writelane_b32 v95, s0, 28
	s_add_i32 s0, s29, 0x7ff
	v_add_lshl_u32 v13, v13, v20, 1
	s_lshr_b32 s1, s0, 11
	v_or_b32_e32 v15, 0x380, v20
	v_add_u32_e32 v14, 0, v13
	scratch_store_dword off, v14, off offset:56 ; 4-byte Folded Spill
	scratch_store_dword off, v15, off offset:232 ; 4-byte Folded Spill
	v_lshrrev_b32_e32 v14, 5, v15
	s_bitcmp1_b32 s23, 0
	v_and_b32_e32 v14, 30, v14
	s_cselect_b64 s[4:5], -1, 0
	s_cmp_gt_i32 s28, 0
	v_add_lshl_u32 v14, v14, v20, 1
	s_cselect_b64 s[2:3], -1, 0
	s_add_i32 s0, 0, 0x840
	v_add_u32_e32 v15, 0, v14
	v_add_u32_e32 v1, s0, v1
	v_add_u32_e32 v16, 0x3c0, v20
	scratch_store_dword off, v15, off offset:60 ; 4-byte Folded Spill
	scratch_store_dword off, v16, off offset:236 ; 4-byte Folded Spill
	;; [unrolled: 1-line block ×3, first 2 shown]
	v_add_u32_e32 v1, s0, v2
	scratch_store_dword off, v1, off offset:100 ; 4-byte Folded Spill
	v_add_u32_e32 v1, s0, v3
	scratch_store_dword off, v1, off offset:104 ; 4-byte Folded Spill
	v_add_u32_e32 v1, s0, v4
	scratch_store_dword off, v1, off offset:108 ; 4-byte Folded Spill
	v_add_u32_e32 v1, s0, v5
	scratch_store_dword off, v1, off offset:112 ; 4-byte Folded Spill
	v_add_u32_e32 v1, s0, v6
	scratch_store_dword off, v1, off offset:116 ; 4-byte Folded Spill
	v_add_u32_e32 v1, s0, v7
	scratch_store_dword off, v1, off offset:120 ; 4-byte Folded Spill
	v_add_u32_e32 v1, s0, v8
	scratch_store_dword off, v1, off offset:124 ; 4-byte Folded Spill
	v_add_u32_e32 v1, s0, v9
	v_lshrrev_b32_e32 v15, 5, v16
	scratch_store_dword off, v1, off offset:128 ; 4-byte Folded Spill
	v_add_u32_e32 v1, s0, v10
	v_and_b32_e32 v15, 62, v15
	scratch_store_dword off, v1, off offset:132 ; 4-byte Folded Spill
	v_add_u32_e32 v1, s0, v11
	v_add_lshl_u32 v15, v15, v20, 1
	scratch_store_dword off, v1, off offset:136 ; 4-byte Folded Spill
	v_add_u32_e32 v1, s0, v12
	v_add_u32_e32 v16, 0, v15
	v_lshrrev_b32_e32 v18, 1, v20
	scratch_store_dword off, v1, off offset:140 ; 4-byte Folded Spill
	v_add_u32_e32 v1, s0, v13
	scratch_store_dword off, v16, off offset:64 ; 4-byte Folded Spill
	v_lshlrev_b32_e32 v16, 4, v20
	v_and_b32_e32 v18, 62, v18
	scratch_store_dword off, v1, off offset:144 ; 4-byte Folded Spill
	v_add_u32_e32 v1, s0, v14
	v_add_lshl_u32 v16, v18, v16, 1
	v_writelane_b32 v95, s28, 29
	scratch_store_dword off, v1, off offset:148 ; 4-byte Folded Spill
	v_add_u32_e32 v1, s0, v15
	v_writelane_b32 v95, s2, 30
	scratch_store_dword off, v1, off offset:152 ; 4-byte Folded Spill
	v_add_u32_e32 v1, s0, v16
	s_and_b32 s0, s29, 0x3ff
	v_writelane_b32 v95, s3, 31
	s_cmp_eq_u32 s0, 0
	v_writelane_b32 v95, s29, 32
	s_cselect_b64 s[2:3], -1, 0
	scratch_store_dword off, v1, off offset:156 ; 4-byte Folded Spill
	v_writelane_b32 v95, s2, 33
	v_and_b32_e32 v1, 15, v20
	v_cmp_lt_u32_e64 s[6:7], 7, v1
	v_writelane_b32 v95, s3, 34
	v_cmp_ne_u32_e64 s[2:3], 0, v1
	s_add_i32 s0, s1, -1
	s_mul_i32 s92, s22, s24
	v_writelane_b32 v95, s2, 35
	v_and_b32_e32 v2, 64, v20
	v_lshlrev_b32_e32 v19, 4, v0
	v_writelane_b32 v95, s3, 36
	v_cmp_lt_u32_e64 s[2:3], 1, v1
	v_cmp_gt_u32_e64 s[14:15], 64, v0
	v_cmp_eq_u32_e64 s[16:17], 0, v0
	v_writelane_b32 v95, s2, 37
	v_add_u32_e32 v18, 0, v16
	v_mov_b32_e32 v17, 0
	v_writelane_b32 v95, s3, 38
	v_cmp_lt_u32_e64 s[2:3], 3, v1
	v_writelane_b32 v95, s6, 39
	v_and_b32_e32 v1, 16, v20
	scratch_store_dword off, v18, off       ; 4-byte Folded Spill
	v_writelane_b32 v95, s7, 40
	v_cmp_ne_u32_e64 s[6:7], 0, v1
	v_add_u32_e32 v1, -1, v20
	v_cmp_lt_i32_e32 vcc, v1, v2
	v_writelane_b32 v95, s6, 41
	v_lshlrev_b32_e32 v16, 1, v20
	v_cndmask_b32_e32 v1, v1, v20, vcc
	v_writelane_b32 v95, s7, 42
	v_writelane_b32 v95, s1, 43
	;; [unrolled: 1-line block ×3, first 2 shown]
	s_lshl_b64 s[0:1], s[92:93], 1
	s_add_u32 s18, s18, s0
	s_addc_u32 s19, s19, s1
	v_cmp_eq_u32_e64 s[0:1], 63, v0
	v_lshlrev_b32_e32 v1, 2, v1
	v_mov_b32_e32 v0, v20
	scratch_store_dwordx2 off, v[0:1], off offset:172 ; 8-byte Folded Spill
	v_or_b32_e32 v0, 1, v19
	scratch_store_dword off, v0, off offset:252 ; 4-byte Folded Spill
	v_or_b32_e32 v0, 2, v19
	scratch_store_dword off, v0, off offset:256 ; 4-byte Folded Spill
	;; [unrolled: 2-line block ×6, first 2 shown]
                                        ; implicit-def: $vgpr0
	v_writelane_b32 v95, s0, 45
	v_or_b32_e32 v0, 7, v19
	scratch_store_dword off, v0, off offset:276 ; 4-byte Folded Spill
	v_or_b32_e32 v0, 8, v19
	s_mul_i32 s92, s25, s20
	scratch_store_dword off, v0, off offset:280 ; 4-byte Folded Spill
	v_or_b32_e32 v0, 9, v19
	v_writelane_b32 v95, s1, 46
	s_lshl_b64 s[0:1], s[92:93], 1
	scratch_store_dword off, v0, off offset:284 ; 4-byte Folded Spill
	v_or_b32_e32 v0, 10, v19
	s_add_u32 s0, s18, s0
	scratch_store_dword off, v0, off offset:288 ; 4-byte Folded Spill
	v_or_b32_e32 v0, 11, v19
	s_addc_u32 s1, s19, s1
	s_add_i32 s18, 0, 0x1088
	scratch_store_dword off, v0, off offset:292 ; 4-byte Folded Spill
	v_or_b32_e32 v0, 12, v19
	v_writelane_b32 v95, s18, 47
	scratch_store_dword off, v0, off offset:296 ; 4-byte Folded Spill
	v_or_b32_e32 v0, 13, v19
	scratch_store_dword off, v0, off offset:300 ; 4-byte Folded Spill
	v_or_b32_e32 v0, 14, v19
	v_writelane_b32 v95, s99, 48
	scratch_store_dword off, v1, off offset:160 ; 4-byte Folded Spill
	scratch_store_dword off, v0, off offset:304 ; 4-byte Folded Spill
	;; [unrolled: 1-line block ×3, first 2 shown]
	v_or_b32_e32 v0, 15, v19
	v_writelane_b32 v95, s4, 49
	v_cmp_lt_u32_e64 s[12:13], 31, v20
	s_mov_b32 s6, 0x41a00000
	s_mov_b32 s7, 0x3fb8aa3b
	;; [unrolled: 1-line block ×10, first 2 shown]
	scratch_store_dword off, v0, off offset:308 ; 4-byte Folded Spill
	v_mov_b32_e32 v40, 0x3ecc95a3
	v_mov_b32_e32 v41, 0x7f800000
	;; [unrolled: 1-line block ×4, first 2 shown]
	v_lshl_add_u64 v[0:1], s[0:1], 0, v[16:17]
	v_mov_b32_e32 v42, 0x3f317218
	v_writelane_b32 v95, s5, 50
	scratch_store_dwordx2 off, v[0:1], off offset:240 ; 8-byte Folded Spill
	s_branch .LBB50_13
.LBB50_12:                              ;   in Loop: Header=BB50_13 Depth=1
	s_or_b64 exec, exec, s[18:19]
	v_readlane_b32 s0, v95, 4
	v_readlane_b32 s1, v95, 5
	s_add_u32 s0, s0, 0x800
	s_addc_u32 s1, s1, 0
	v_writelane_b32 v95, s0, 4
	s_nop 1
	v_writelane_b32 v95, s1, 5
	s_nop 0
	v_readlane_b32 s26, v95, 54
	v_readlane_b32 s27, v95, 55
	s_add_u32 s26, s26, 0x800
	s_addc_u32 s27, s27, 0
	v_readlane_b32 s0, v95, 7
	v_readlane_b32 s1, v95, 8
	s_add_u32 s0, s0, 0x800
	s_addc_u32 s1, s1, 0
	v_writelane_b32 v95, s0, 7
	s_nop 1
	v_writelane_b32 v95, s1, 8
	s_nop 0
	v_readlane_b32 s0, v95, 21
	v_readlane_b32 s1, v95, 22
	s_add_u32 s0, s0, 0x800
	s_addc_u32 s1, s1, 0
	v_writelane_b32 v95, s0, 21
	s_nop 1
	v_writelane_b32 v95, s1, 22
	s_nop 0
	v_readlane_b32 s18, v95, 51
	s_add_i32 s18, s18, 1
	v_readlane_b32 s0, v95, 43
	s_cmp_eq_u32 s18, s0
	s_cbranch_scc1 .LBB50_234
.LBB50_13:                              ; =>This Loop Header: Depth=1
                                        ;     Child Loop BB50_110 Depth 2
	s_waitcnt lgkmcnt(0)
	; wave barrier
	s_waitcnt vmcnt(63) expcnt(7) lgkmcnt(15)
	scratch_load_dwordx2 v[0:1], off, off offset:172 ; 8-byte Folded Reload
	s_lshl_b32 s20, s18, 10
	v_writelane_b32 v95, s18, 51
	s_mov_b32 s18, s20
	v_readlane_b32 s0, v95, 32
	v_writelane_b32 v95, s18, 52
	s_sub_i32 s82, s0, s20
	s_waitcnt vmcnt(0) lgkmcnt(0)
	v_mov_b32_e32 v2, v0
	v_writelane_b32 v95, s19, 53
	v_lshlrev_b32_e32 v16, 1, v2
	v_writelane_b32 v95, s26, 54
	v_cmp_gt_u32_e64 s[18:19], s82, v2
	v_mov_b32_e32 v2, 0
	v_writelane_b32 v95, s27, 55
	v_lshl_add_u64 v[0:1], s[26:27], 0, v[16:17]
	s_and_saveexec_b64 s[20:21], s[18:19]
	s_cbranch_execz .LBB50_15
; %bb.14:                               ;   in Loop: Header=BB50_13 Depth=1
	global_load_ushort v2, v[0:1], off
.LBB50_15:                              ;   in Loop: Header=BB50_13 Depth=1
	s_or_b64 exec, exec, s[20:21]
	scratch_load_dword v3, off, off offset:180 ; 4-byte Folded Reload
	v_mov_b32_e32 v4, 0
	s_waitcnt vmcnt(0)
	v_cmp_gt_u32_e64 s[20:21], s82, v3
	v_mov_b32_e32 v3, 0
	s_and_saveexec_b64 s[22:23], s[20:21]
	s_cbranch_execz .LBB50_17
; %bb.16:                               ;   in Loop: Header=BB50_13 Depth=1
	global_load_ushort v4, v[0:1], off offset:128
.LBB50_17:                              ;   in Loop: Header=BB50_13 Depth=1
	s_or_b64 exec, exec, s[22:23]
	scratch_load_dword v5, off, off offset:184 ; 4-byte Folded Reload
	s_waitcnt vmcnt(0)
	v_cmp_gt_u32_e64 s[22:23], s82, v5
	s_and_saveexec_b64 s[24:25], s[22:23]
	s_cbranch_execz .LBB50_19
; %bb.18:                               ;   in Loop: Header=BB50_13 Depth=1
	global_load_ushort v3, v[0:1], off offset:256
.LBB50_19:                              ;   in Loop: Header=BB50_13 Depth=1
	s_or_b64 exec, exec, s[24:25]
	scratch_load_dword v5, off, off offset:188 ; 4-byte Folded Reload
	v_mov_b32_e32 v6, 0
	s_waitcnt vmcnt(0)
	v_cmp_gt_u32_e64 s[24:25], s82, v5
	v_mov_b32_e32 v5, 0
	s_and_saveexec_b64 s[26:27], s[24:25]
	s_cbranch_execz .LBB50_21
; %bb.20:                               ;   in Loop: Header=BB50_13 Depth=1
	global_load_ushort v6, v[0:1], off offset:384
.LBB50_21:                              ;   in Loop: Header=BB50_13 Depth=1
	s_or_b64 exec, exec, s[26:27]
	scratch_load_dword v7, off, off offset:192 ; 4-byte Folded Reload
	s_waitcnt vmcnt(0)
	v_cmp_gt_u32_e64 s[26:27], s82, v7
	s_and_saveexec_b64 s[28:29], s[26:27]
	s_cbranch_execz .LBB50_23
; %bb.22:                               ;   in Loop: Header=BB50_13 Depth=1
	global_load_ushort v5, v[0:1], off offset:512
.LBB50_23:                              ;   in Loop: Header=BB50_13 Depth=1
	;; [unrolled: 20-line block ×4, first 2 shown]
	s_or_b64 exec, exec, s[38:39]
	scratch_load_dword v10, off, off offset:212 ; 4-byte Folded Reload
	v_mov_b32_e32 v12, 0
	v_mov_b32_e32 v13, 0
	s_waitcnt vmcnt(0)
	v_cmp_gt_u32_e64 s[38:39], s82, v10
	s_and_saveexec_b64 s[40:41], s[38:39]
	s_cbranch_execz .LBB50_33
; %bb.32:                               ;   in Loop: Header=BB50_13 Depth=1
	global_load_ushort v13, v[0:1], off offset:1152
.LBB50_33:                              ;   in Loop: Header=BB50_13 Depth=1
	s_or_b64 exec, exec, s[40:41]
	scratch_load_dword v10, off, off offset:216 ; 4-byte Folded Reload
	s_waitcnt vmcnt(0)
	v_cmp_gt_u32_e64 s[40:41], s82, v10
	s_and_saveexec_b64 s[42:43], s[40:41]
	s_cbranch_execz .LBB50_35
; %bb.34:                               ;   in Loop: Header=BB50_13 Depth=1
	global_load_ushort v12, v[0:1], off offset:1280
.LBB50_35:                              ;   in Loop: Header=BB50_13 Depth=1
	s_or_b64 exec, exec, s[42:43]
	scratch_load_dword v10, off, off offset:220 ; 4-byte Folded Reload
	v_mov_b32_e32 v14, 0
	v_mov_b32_e32 v15, 0
	s_waitcnt vmcnt(0)
	v_cmp_gt_u32_e64 s[42:43], s82, v10
	s_and_saveexec_b64 s[44:45], s[42:43]
	s_cbranch_execz .LBB50_37
; %bb.36:                               ;   in Loop: Header=BB50_13 Depth=1
	global_load_ushort v15, v[0:1], off offset:1408
.LBB50_37:                              ;   in Loop: Header=BB50_13 Depth=1
	s_or_b64 exec, exec, s[44:45]
	scratch_load_dword v10, off, off offset:224 ; 4-byte Folded Reload
	s_waitcnt vmcnt(0)
	v_cmp_gt_u32_e64 s[44:45], s82, v10
	s_and_saveexec_b64 s[46:47], s[44:45]
	s_cbranch_execz .LBB50_39
; %bb.38:                               ;   in Loop: Header=BB50_13 Depth=1
	global_load_ushort v14, v[0:1], off offset:1536
.LBB50_39:                              ;   in Loop: Header=BB50_13 Depth=1
	;; [unrolled: 20-line block ×3, first 2 shown]
	s_or_b64 exec, exec, s[50:51]
	scratch_load_dword v10, off, off offset:236 ; 4-byte Folded Reload
	v_mov_b32_e32 v20, 0
	s_waitcnt vmcnt(0)
	v_cmp_gt_u32_e64 s[50:51], s82, v10
	v_mov_b32_e32 v10, 0
	s_and_saveexec_b64 s[52:53], s[50:51]
	s_cbranch_execz .LBB50_45
; %bb.44:                               ;   in Loop: Header=BB50_13 Depth=1
	global_load_ushort v20, v[0:1], off offset:1920
.LBB50_45:                              ;   in Loop: Header=BB50_13 Depth=1
	s_or_b64 exec, exec, s[52:53]
	scratch_load_dword v0, off, off offset:4 ; 4-byte Folded Reload
	v_readlane_b32 s0, v95, 4
	v_readlane_b32 s1, v95, 5
	s_waitcnt vmcnt(0)
	ds_write_b16 v0, v2
	scratch_load_dword v0, off, off offset:8 ; 4-byte Folded Reload
	s_waitcnt vmcnt(0)
	ds_write_b16 v0, v4 offset:128
	scratch_load_dword v0, off, off offset:12 ; 4-byte Folded Reload
	s_waitcnt vmcnt(0)
	ds_write_b16 v0, v3 offset:256
	;; [unrolled: 3-line block ×8, first 2 shown]
	scratch_load_dword v0, off, off offset:40 ; 4-byte Folded Reload
	v_lshl_add_u64 v[8:9], s[0:1], 0, v[16:17]
	s_waitcnt vmcnt(0)
	ds_write_b16 v0, v13 offset:1152
	scratch_load_dword v0, off, off offset:44 ; 4-byte Folded Reload
	s_waitcnt vmcnt(0)
	ds_write_b16 v0, v12 offset:1280
	scratch_load_dword v0, off, off offset:48 ; 4-byte Folded Reload
	;; [unrolled: 3-line block ×6, first 2 shown]
	s_waitcnt vmcnt(0)
	ds_write_b16 v0, v20 offset:1920
	; wave barrier
	scratch_load_dword v4, off, off         ; 4-byte Folded Reload
	s_waitcnt vmcnt(0)
	ds_read_b128 v[0:3], v4
	ds_read_b128 v[4:7], v4 offset:16
	s_waitcnt lgkmcnt(0)
	; wave barrier
	s_waitcnt lgkmcnt(0)
	s_and_saveexec_b64 s[52:53], s[18:19]
	s_cbranch_execz .LBB50_47
; %bb.46:                               ;   in Loop: Header=BB50_13 Depth=1
	global_load_ushort v10, v[8:9], off
.LBB50_47:                              ;   in Loop: Header=BB50_13 Depth=1
	s_or_b64 exec, exec, s[52:53]
	v_mov_b32_e32 v11, 0
	v_mov_b32_e32 v12, 0
	s_and_saveexec_b64 s[52:53], s[20:21]
	s_cbranch_execz .LBB50_49
; %bb.48:                               ;   in Loop: Header=BB50_13 Depth=1
	global_load_ushort v12, v[8:9], off offset:128
.LBB50_49:                              ;   in Loop: Header=BB50_13 Depth=1
	s_or_b64 exec, exec, s[52:53]
	s_and_saveexec_b64 s[52:53], s[22:23]
	s_cbranch_execz .LBB50_51
; %bb.50:                               ;   in Loop: Header=BB50_13 Depth=1
	global_load_ushort v11, v[8:9], off offset:256
.LBB50_51:                              ;   in Loop: Header=BB50_13 Depth=1
	s_or_b64 exec, exec, s[52:53]
	v_mov_b32_e32 v13, 0
	v_mov_b32_e32 v14, 0
	s_and_saveexec_b64 s[52:53], s[24:25]
	s_cbranch_execz .LBB50_53
; %bb.52:                               ;   in Loop: Header=BB50_13 Depth=1
	global_load_ushort v14, v[8:9], off offset:384
.LBB50_53:                              ;   in Loop: Header=BB50_13 Depth=1
	s_or_b64 exec, exec, s[52:53]
	s_and_saveexec_b64 s[52:53], s[26:27]
	s_cbranch_execz .LBB50_55
; %bb.54:                               ;   in Loop: Header=BB50_13 Depth=1
	global_load_ushort v13, v[8:9], off offset:512
.LBB50_55:                              ;   in Loop: Header=BB50_13 Depth=1
	;; [unrolled: 14-line block ×6, first 2 shown]
	s_or_b64 exec, exec, s[52:53]
	v_mov_b32_e32 v25, 0
	v_mov_b32_e32 v26, 0
	s_and_saveexec_b64 s[52:53], s[46:47]
	s_cbranch_execnz .LBB50_216
; %bb.72:                               ;   in Loop: Header=BB50_13 Depth=1
	s_or_b64 exec, exec, s[52:53]
	s_and_saveexec_b64 s[52:53], s[48:49]
	s_cbranch_execnz .LBB50_217
.LBB50_73:                              ;   in Loop: Header=BB50_13 Depth=1
	s_or_b64 exec, exec, s[52:53]
	v_mov_b32_e32 v27, 0
	s_and_saveexec_b64 s[52:53], s[50:51]
	s_cbranch_execz .LBB50_75
.LBB50_74:                              ;   in Loop: Header=BB50_13 Depth=1
	global_load_ushort v27, v[8:9], off offset:1920
.LBB50_75:                              ;   in Loop: Header=BB50_13 Depth=1
	s_or_b64 exec, exec, s[52:53]
	scratch_load_dword v8, off, off offset:4 ; 4-byte Folded Reload
	v_readlane_b32 s0, v95, 2
	s_waitcnt vmcnt(0)
	ds_write_b16 v8, v10
	scratch_load_dword v8, off, off offset:8 ; 4-byte Folded Reload
	s_waitcnt vmcnt(0)
	ds_write_b16 v8, v12 offset:128
	scratch_load_dword v8, off, off offset:12 ; 4-byte Folded Reload
	s_waitcnt vmcnt(0)
	ds_write_b16 v8, v11 offset:256
	;; [unrolled: 3-line block ×15, first 2 shown]
	; wave barrier
	scratch_load_dword v8, off, off         ; 4-byte Folded Reload
	s_waitcnt vmcnt(0)
	ds_read_b128 v[12:15], v8
	ds_read_b128 v[8:11], v8 offset:16
	s_waitcnt lgkmcnt(1)
	v_lshlrev_b32_e32 v18, 16, v12
	v_add_f32_e32 v19, s0, v18
	v_cmp_ge_f32_e32 vcc, s6, v19
	s_and_b64 s[0:1], s[4:5], vcc
	s_and_saveexec_b64 s[54:55], s[0:1]
	s_cbranch_execz .LBB50_77
; %bb.76:                               ;   in Loop: Header=BB50_13 Depth=1
	v_mul_f32_e32 v18, 0x3fb8aa3b, v19
	v_rndne_f32_e32 v20, v18
	v_sub_f32_e32 v21, v18, v20
	v_fma_f32 v18, v19, s7, -v18
	v_fmac_f32_e32 v18, 0x32a5705f, v19
	v_add_f32_e32 v18, v21, v18
	v_cvt_i32_f32_e32 v20, v20
	v_exp_f32_e32 v18, v18
	v_cmp_ngt_f32_e32 vcc, s8, v19
	v_ldexp_f32 v18, v18, v20
	s_nop 0
	v_cndmask_b32_e32 v18, 0, v18, vcc
	v_cmp_nlt_f32_e32 vcc, s9, v19
	s_nop 1
	v_cndmask_b32_e32 v34, v41, v18, vcc
	v_add_f32_e32 v20, 1.0, v34
	v_add_f32_e32 v18, -1.0, v20
	v_sub_f32_e32 v19, v18, v20
	v_add_f32_e32 v19, 1.0, v19
	v_sub_f32_e32 v18, v34, v18
	v_add_f32_e32 v21, v18, v19
	v_frexp_mant_f32_e32 v22, v20
	v_cvt_f64_f32_e32 v[18:19], v20
	v_frexp_exp_i32_f64_e32 v18, v[18:19]
	v_cmp_gt_f32_e32 vcc, s11, v22
	v_cmp_gt_f32_e64 s[52:53], s57, v34
	s_nop 0
	v_subbrev_co_u32_e32 v26, vcc, 0, v18, vcc
	v_sub_u32_e32 v18, 0, v26
	v_ldexp_f32 v19, v20, v18
	v_add_f32_e32 v20, -1.0, v19
	v_add_f32_e32 v22, 1.0, v19
	v_ldexp_f32 v18, v21, v18
	v_add_f32_e32 v21, 1.0, v20
	v_add_f32_e32 v23, -1.0, v22
	v_sub_f32_e32 v21, v19, v21
	v_sub_f32_e32 v19, v19, v23
	v_add_f32_e32 v21, v18, v21
	v_add_f32_e32 v18, v18, v19
	v_add_f32_e32 v27, v22, v18
	v_rcp_f32_e32 v29, v27
	v_sub_f32_e32 v19, v22, v27
	v_add_f32_e32 v28, v18, v19
	v_add_f32_e32 v19, v20, v21
	v_mul_f32_e32 v31, v19, v29
	v_sub_f32_e32 v18, v20, v19
	v_mul_f32_e32 v20, v27, v31
	v_fma_f32 v22, v31, v27, -v20
	v_fmac_f32_e32 v22, v31, v28
	v_add_f32_e32 v30, v21, v18
	v_add_f32_e32 v18, v20, v22
	v_sub_f32_e32 v21, v19, v18
	v_pk_add_f32 v[24:25], v[18:19], v[20:21] neg_lo:[0,1] neg_hi:[0,1]
	v_mov_b32_e32 v23, v18
	v_pk_add_f32 v[18:19], v[24:25], v[22:23] neg_lo:[0,1] neg_hi:[0,1]
	v_cmp_eq_f32_e32 vcc, s10, v34
	v_add_f32_e32 v19, v30, v19
	v_add_f32_e32 v18, v18, v19
	;; [unrolled: 1-line block ×3, first 2 shown]
	v_mul_f32_e32 v30, v29, v19
	v_mul_f32_e32 v20, v27, v30
	v_fma_f32 v22, v30, v27, -v20
	v_fmac_f32_e32 v22, v30, v28
	v_sub_f32_e32 v21, v21, v19
	v_add_f32_e32 v27, v18, v21
	v_add_f32_e32 v18, v20, v22
	v_sub_f32_e32 v21, v19, v18
	v_pk_add_f32 v[24:25], v[18:19], v[20:21] neg_lo:[0,1] neg_hi:[0,1]
	v_mov_b32_e32 v23, v18
	v_pk_add_f32 v[18:19], v[24:25], v[22:23] neg_lo:[0,1] neg_hi:[0,1]
	s_or_b64 vcc, s[52:53], vcc
	v_add_f32_e32 v19, v27, v19
	v_add_f32_e32 v18, v18, v19
	;; [unrolled: 1-line block ×4, first 2 shown]
	v_sub_f32_e32 v20, v19, v31
	v_mul_f32_e32 v18, v29, v18
	v_sub_f32_e32 v20, v30, v20
	v_add_f32_e32 v20, v20, v18
	v_add_f32_e32 v22, v19, v20
	v_mul_f32_e32 v23, v22, v22
	v_fmamk_f32 v18, v23, 0x3e9b6dac, v40
	v_fmaak_f32 v43, v23, v18, 0x3f2aaada
	v_cvt_f32_i32_e32 v18, v26
	v_sub_f32_e32 v19, v22, v19
	v_sub_f32_e32 v19, v20, v19
	v_ldexp_f32 v24, v19, 1
	v_mul_f32_e32 v19, v22, v23
	v_ldexp_f32 v21, v22, 1
	v_pk_mul_f32 v[22:23], v[18:19], v[42:43]
	s_nop 0
	v_fma_f32 v20, v18, s56, -v22
	v_fmac_f32_e32 v20, 0xb102e308, v18
	v_pk_add_f32 v[18:19], v[22:23], v[20:21]
	s_nop 0
	v_sub_f32_e32 v21, v19, v21
	v_sub_f32_e32 v21, v23, v21
	v_add_f32_e32 v25, v24, v21
	v_mov_b32_e32 v24, v22
	v_pk_add_f32 v[22:23], v[18:19], v[22:23] neg_lo:[0,1] neg_hi:[0,1]
	v_pk_add_f32 v[26:27], v[18:19], v[24:25]
	v_mov_b32_e32 v21, v18
	v_mov_b32_e32 v23, v27
	v_pk_add_f32 v[28:29], v[20:21], v[22:23] neg_lo:[0,1] neg_hi:[0,1]
	v_pk_add_f32 v[20:21], v[20:21], v[22:23]
	v_mov_b32_e32 v24, v25
	v_mov_b32_e32 v22, v21
	v_pk_add_f32 v[30:31], v[22:23], v[18:19] neg_lo:[0,1] neg_hi:[0,1]
	v_mov_b32_e32 v20, v27
	v_mov_b32_e32 v23, v30
	v_pk_add_f32 v[32:33], v[26:27], v[22:23] neg_lo:[0,1] neg_hi:[0,1]
	v_mov_b32_e32 v26, v19
	v_mov_b32_e32 v27, v30
	;; [unrolled: 1-line block ×3, first 2 shown]
	v_pk_add_f32 v[20:21], v[20:21], v[26:27] neg_lo:[0,1] neg_hi:[0,1]
	v_mov_b32_e32 v25, v18
	v_pk_add_f32 v[18:19], v[24:25], v[20:21] neg_lo:[0,1] neg_hi:[0,1]
	v_mov_b32_e32 v32, v28
	v_pk_add_f32 v[20:21], v[32:33], v[18:19]
	s_nop 0
	v_mov_b32_e32 v24, v21
	v_pk_add_f32 v[24:25], v[20:21], v[24:25]
	s_nop 0
	v_pk_add_f32 v[22:23], v[22:23], v[24:25]
	v_mov_b32_e32 v19, v24
	v_mov_b32_e32 v21, v22
	v_pk_add_f32 v[26:27], v[20:21], v[28:29] neg_lo:[0,1] neg_hi:[0,1]
	s_nop 0
	v_sub_f32_e32 v20, v20, v26
	v_pk_add_f32 v[18:19], v[18:19], v[26:27] neg_lo:[0,1] neg_hi:[0,1]
	v_sub_f32_e32 v20, v28, v20
	v_add_f32_e32 v18, v18, v20
	v_add_f32_e32 v18, v18, v19
	;; [unrolled: 1-line block ×3, first 2 shown]
	v_cndmask_b32_e32 v19, v18, v34, vcc
.LBB50_77:                              ;   in Loop: Header=BB50_13 Depth=1
	s_or_b64 exec, exec, s[54:55]
	v_and_b32_e32 v12, 0xffff0000, v12
	v_readlane_b32 s0, v95, 2
	s_nop 1
	v_add_f32_e32 v20, s0, v12
	v_cmp_ge_f32_e32 vcc, s6, v20
	s_and_b64 s[0:1], s[4:5], vcc
	s_and_saveexec_b64 s[54:55], s[0:1]
	s_cbranch_execz .LBB50_79
; %bb.78:                               ;   in Loop: Header=BB50_13 Depth=1
	v_mul_f32_e32 v12, 0x3fb8aa3b, v20
	v_rndne_f32_e32 v18, v12
	v_sub_f32_e32 v21, v12, v18
	v_fma_f32 v12, v20, s7, -v12
	v_fmac_f32_e32 v12, 0x32a5705f, v20
	v_add_f32_e32 v12, v21, v12
	v_cvt_i32_f32_e32 v18, v18
	v_exp_f32_e32 v12, v12
	v_cmp_ngt_f32_e32 vcc, s8, v20
	v_ldexp_f32 v12, v12, v18
	s_nop 0
	v_cndmask_b32_e32 v12, 0, v12, vcc
	v_cmp_nlt_f32_e32 vcc, s9, v20
	s_nop 1
	v_cndmask_b32_e32 v34, v41, v12, vcc
	v_add_f32_e32 v12, 1.0, v34
	v_add_f32_e32 v18, -1.0, v12
	v_sub_f32_e32 v20, v18, v12
	v_add_f32_e32 v20, 1.0, v20
	v_sub_f32_e32 v18, v34, v18
	v_add_f32_e32 v18, v18, v20
	v_frexp_mant_f32_e32 v22, v12
	v_cvt_f64_f32_e32 v[20:21], v12
	v_frexp_exp_i32_f64_e32 v20, v[20:21]
	v_cmp_gt_f32_e32 vcc, s11, v22
	v_cmp_gt_f32_e64 s[52:53], s57, v34
	s_nop 0
	v_subbrev_co_u32_e32 v28, vcc, 0, v20, vcc
	v_sub_u32_e32 v20, 0, v28
	v_ldexp_f32 v12, v12, v20
	v_ldexp_f32 v18, v18, v20
	v_add_f32_e32 v20, -1.0, v12
	v_add_f32_e32 v21, 1.0, v20
	v_sub_f32_e32 v21, v12, v21
	v_add_f32_e32 v22, v18, v21
	v_add_f32_e32 v21, 1.0, v12
	v_add_f32_e32 v23, -1.0, v21
	v_sub_f32_e32 v12, v12, v23
	v_add_f32_e32 v12, v18, v12
	v_add_f32_e32 v18, v21, v12
	v_rcp_f32_e32 v29, v18
	v_sub_f32_e32 v21, v21, v18
	v_add_f32_e32 v12, v12, v21
	v_add_f32_e32 v21, v20, v22
	v_sub_f32_e32 v20, v20, v21
	v_mul_f32_e32 v31, v21, v29
	v_add_f32_e32 v30, v22, v20
	v_mul_f32_e32 v22, v18, v31
	v_fma_f32 v24, v31, v18, -v22
	v_fmac_f32_e32 v24, v31, v12
	v_add_f32_e32 v20, v22, v24
	v_sub_f32_e32 v23, v21, v20
	v_pk_add_f32 v[26:27], v[20:21], v[22:23] neg_lo:[0,1] neg_hi:[0,1]
	v_mov_b32_e32 v25, v20
	v_pk_add_f32 v[20:21], v[26:27], v[24:25] neg_lo:[0,1] neg_hi:[0,1]
	v_cmp_eq_f32_e32 vcc, s10, v34
	v_add_f32_e32 v21, v30, v21
	v_add_f32_e32 v20, v20, v21
	;; [unrolled: 1-line block ×3, first 2 shown]
	v_mul_f32_e32 v30, v29, v21
	v_mul_f32_e32 v22, v18, v30
	v_fma_f32 v24, v30, v18, -v22
	v_fmac_f32_e32 v24, v30, v12
	v_sub_f32_e32 v12, v23, v21
	v_add_f32_e32 v12, v20, v12
	v_add_f32_e32 v20, v22, v24
	v_sub_f32_e32 v23, v21, v20
	v_pk_add_f32 v[26:27], v[20:21], v[22:23] neg_lo:[0,1] neg_hi:[0,1]
	v_mov_b32_e32 v25, v20
	v_pk_add_f32 v[20:21], v[26:27], v[24:25] neg_lo:[0,1] neg_hi:[0,1]
	v_add_f32_e32 v18, v31, v30
	v_add_f32_e32 v12, v12, v21
	;; [unrolled: 1-line block ×4, first 2 shown]
	v_sub_f32_e32 v20, v18, v31
	v_mul_f32_e32 v12, v29, v12
	v_sub_f32_e32 v20, v30, v20
	v_add_f32_e32 v12, v20, v12
	v_add_f32_e32 v21, v18, v12
	v_mul_f32_e32 v22, v21, v21
	v_fmamk_f32 v20, v22, 0x3e9b6dac, v40
	v_fmaak_f32 v43, v22, v20, 0x3f2aaada
	v_cvt_f32_i32_e32 v20, v28
	v_sub_f32_e32 v18, v21, v18
	v_ldexp_f32 v23, v21, 1
	v_mul_f32_e32 v21, v21, v22
	v_pk_mul_f32 v[24:25], v[20:21], v[42:43]
	v_sub_f32_e32 v12, v12, v18
	v_fma_f32 v22, v20, s56, -v24
	v_fmac_f32_e32 v22, 0xb102e308, v20
	v_pk_add_f32 v[20:21], v[24:25], v[22:23]
	v_ldexp_f32 v12, v12, 1
	v_sub_f32_e32 v18, v21, v23
	v_sub_f32_e32 v18, v25, v18
	v_add_f32_e32 v27, v12, v18
	v_mov_b32_e32 v26, v24
	v_pk_add_f32 v[24:25], v[20:21], v[24:25] neg_lo:[0,1] neg_hi:[0,1]
	v_pk_add_f32 v[28:29], v[20:21], v[26:27]
	v_mov_b32_e32 v23, v20
	v_mov_b32_e32 v25, v29
	v_pk_add_f32 v[30:31], v[22:23], v[24:25] neg_lo:[0,1] neg_hi:[0,1]
	v_pk_add_f32 v[22:23], v[22:23], v[24:25]
	s_or_b64 vcc, s[52:53], vcc
	v_mov_b32_e32 v12, v23
	v_pk_add_f32 v[24:25], v[12:13], v[20:21] neg_lo:[0,1] neg_hi:[0,1]
	v_mov_b32_e32 v22, v29
	v_mov_b32_e32 v25, v24
	v_pk_add_f32 v[32:33], v[28:29], v[24:25] neg_lo:[0,1] neg_hi:[0,1]
	v_mov_b32_e32 v28, v21
	v_mov_b32_e32 v29, v24
	;; [unrolled: 1-line block ×3, first 2 shown]
	v_pk_add_f32 v[22:23], v[22:23], v[28:29] neg_lo:[0,1] neg_hi:[0,1]
	v_mov_b32_e32 v24, v27
	v_mov_b32_e32 v25, v20
	v_pk_add_f32 v[20:21], v[24:25], v[22:23] neg_lo:[0,1] neg_hi:[0,1]
	v_mov_b32_e32 v32, v30
	v_pk_add_f32 v[22:23], v[32:33], v[20:21]
	s_nop 0
	v_mov_b32_e32 v18, v23
	v_pk_add_f32 v[24:25], v[22:23], v[18:19]
	s_nop 0
	v_pk_add_f32 v[26:27], v[12:13], v[24:25]
	v_mov_b32_e32 v21, v24
	v_mov_b32_e32 v23, v26
	v_pk_add_f32 v[28:29], v[22:23], v[30:31] neg_lo:[0,1] neg_hi:[0,1]
	s_nop 0
	v_sub_f32_e32 v12, v22, v28
	v_pk_add_f32 v[20:21], v[20:21], v[28:29] neg_lo:[0,1] neg_hi:[0,1]
	v_sub_f32_e32 v12, v30, v12
	v_add_f32_e32 v12, v20, v12
	v_add_f32_e32 v12, v12, v21
	;; [unrolled: 1-line block ×3, first 2 shown]
	v_cndmask_b32_e32 v20, v12, v34, vcc
.LBB50_79:                              ;   in Loop: Header=BB50_13 Depth=1
	s_or_b64 exec, exec, s[54:55]
	v_lshlrev_b32_e32 v12, 16, v13
	v_readlane_b32 s0, v95, 2
	s_nop 1
	v_add_f32_e32 v21, s0, v12
	v_cmp_ge_f32_e32 vcc, s6, v21
	s_and_b64 s[0:1], s[4:5], vcc
	s_and_saveexec_b64 s[54:55], s[0:1]
	s_cbranch_execz .LBB50_81
; %bb.80:                               ;   in Loop: Header=BB50_13 Depth=1
	v_mul_f32_e32 v12, 0x3fb8aa3b, v21
	v_rndne_f32_e32 v18, v12
	v_sub_f32_e32 v22, v12, v18
	v_fma_f32 v12, v21, s7, -v12
	v_fmac_f32_e32 v12, 0x32a5705f, v21
	v_add_f32_e32 v12, v22, v12
	v_cvt_i32_f32_e32 v18, v18
	v_exp_f32_e32 v12, v12
	v_cmp_ngt_f32_e32 vcc, s8, v21
	v_ldexp_f32 v12, v12, v18
	s_nop 0
	v_cndmask_b32_e32 v12, 0, v12, vcc
	v_cmp_nlt_f32_e32 vcc, s9, v21
	s_nop 1
	v_cndmask_b32_e32 v36, v41, v12, vcc
	v_add_f32_e32 v12, 1.0, v36
	v_add_f32_e32 v18, -1.0, v12
	v_sub_f32_e32 v21, v18, v12
	v_add_f32_e32 v21, 1.0, v21
	v_sub_f32_e32 v18, v36, v18
	v_add_f32_e32 v18, v18, v21
	v_frexp_mant_f32_e32 v21, v12
	v_cvt_f64_f32_e32 v[22:23], v12
	v_frexp_exp_i32_f64_e32 v22, v[22:23]
	v_cmp_gt_f32_e32 vcc, s11, v21
	v_cmp_gt_f32_e64 s[52:53], s57, v36
	s_nop 0
	v_subbrev_co_u32_e32 v21, vcc, 0, v22, vcc
	v_sub_u32_e32 v22, 0, v21
	v_ldexp_f32 v12, v12, v22
	v_ldexp_f32 v18, v18, v22
	v_add_f32_e32 v22, -1.0, v12
	v_add_f32_e32 v23, 1.0, v22
	v_sub_f32_e32 v23, v12, v23
	v_add_f32_e32 v24, v18, v23
	v_add_f32_e32 v23, 1.0, v12
	v_add_f32_e32 v25, -1.0, v23
	v_sub_f32_e32 v12, v12, v25
	v_add_f32_e32 v12, v18, v12
	v_add_f32_e32 v18, v23, v12
	v_rcp_f32_e32 v30, v18
	v_sub_f32_e32 v23, v23, v18
	v_add_f32_e32 v12, v12, v23
	v_add_f32_e32 v23, v22, v24
	v_sub_f32_e32 v22, v22, v23
	v_mul_f32_e32 v32, v23, v30
	v_add_f32_e32 v31, v24, v22
	v_mul_f32_e32 v24, v18, v32
	v_fma_f32 v26, v32, v18, -v24
	v_fmac_f32_e32 v26, v32, v12
	v_add_f32_e32 v22, v24, v26
	v_sub_f32_e32 v25, v23, v22
	v_pk_add_f32 v[28:29], v[22:23], v[24:25] neg_lo:[0,1] neg_hi:[0,1]
	v_mov_b32_e32 v27, v22
	v_pk_add_f32 v[22:23], v[28:29], v[26:27] neg_lo:[0,1] neg_hi:[0,1]
	v_cmp_eq_f32_e32 vcc, s10, v36
	v_add_f32_e32 v23, v31, v23
	v_add_f32_e32 v22, v22, v23
	;; [unrolled: 1-line block ×3, first 2 shown]
	v_mul_f32_e32 v31, v30, v23
	v_mul_f32_e32 v24, v18, v31
	v_fma_f32 v26, v31, v18, -v24
	v_fmac_f32_e32 v26, v31, v12
	v_sub_f32_e32 v12, v25, v23
	v_add_f32_e32 v12, v22, v12
	v_add_f32_e32 v22, v24, v26
	v_sub_f32_e32 v25, v23, v22
	v_pk_add_f32 v[28:29], v[22:23], v[24:25] neg_lo:[0,1] neg_hi:[0,1]
	v_mov_b32_e32 v27, v22
	v_pk_add_f32 v[22:23], v[28:29], v[26:27] neg_lo:[0,1] neg_hi:[0,1]
	v_add_f32_e32 v18, v32, v31
	v_add_f32_e32 v12, v12, v23
	;; [unrolled: 1-line block ×4, first 2 shown]
	v_sub_f32_e32 v22, v18, v32
	v_mul_f32_e32 v12, v30, v12
	v_sub_f32_e32 v22, v31, v22
	v_add_f32_e32 v12, v22, v12
	v_add_f32_e32 v23, v18, v12
	v_mul_f32_e32 v24, v23, v23
	v_fmamk_f32 v22, v24, 0x3e9b6dac, v40
	v_fmaak_f32 v43, v24, v22, 0x3f2aaada
	v_cvt_f32_i32_e32 v22, v21
	v_sub_f32_e32 v18, v23, v18
	v_ldexp_f32 v25, v23, 1
	v_mul_f32_e32 v23, v23, v24
	v_pk_mul_f32 v[26:27], v[22:23], v[42:43]
	v_sub_f32_e32 v12, v12, v18
	v_fma_f32 v24, v22, s56, -v26
	v_fmac_f32_e32 v24, 0xb102e308, v22
	v_pk_add_f32 v[22:23], v[26:27], v[24:25]
	v_ldexp_f32 v12, v12, 1
	v_sub_f32_e32 v18, v23, v25
	v_sub_f32_e32 v18, v27, v18
	v_add_f32_e32 v29, v12, v18
	v_mov_b32_e32 v28, v26
	v_pk_add_f32 v[26:27], v[22:23], v[26:27] neg_lo:[0,1] neg_hi:[0,1]
	v_pk_add_f32 v[30:31], v[22:23], v[28:29]
	v_mov_b32_e32 v25, v22
	v_mov_b32_e32 v27, v31
	v_pk_add_f32 v[32:33], v[24:25], v[26:27] neg_lo:[0,1] neg_hi:[0,1]
	v_pk_add_f32 v[24:25], v[24:25], v[26:27]
	s_or_b64 vcc, s[52:53], vcc
	v_mov_b32_e32 v12, v25
	v_pk_add_f32 v[26:27], v[12:13], v[22:23] neg_lo:[0,1] neg_hi:[0,1]
	v_mov_b32_e32 v24, v31
	v_mov_b32_e32 v21, v26
	v_pk_add_f32 v[34:35], v[30:31], v[20:21] neg_lo:[0,1] neg_hi:[0,1]
	v_mov_b32_e32 v30, v23
	v_mov_b32_e32 v31, v26
	;; [unrolled: 1-line block ×3, first 2 shown]
	v_pk_add_f32 v[24:25], v[24:25], v[30:31] neg_lo:[0,1] neg_hi:[0,1]
	v_mov_b32_e32 v26, v29
	v_mov_b32_e32 v27, v22
	v_pk_add_f32 v[22:23], v[26:27], v[24:25] neg_lo:[0,1] neg_hi:[0,1]
	v_mov_b32_e32 v34, v32
	v_pk_add_f32 v[24:25], v[34:35], v[22:23]
	s_nop 0
	v_mov_b32_e32 v18, v25
	v_pk_add_f32 v[26:27], v[24:25], v[18:19]
	s_nop 0
	v_pk_add_f32 v[28:29], v[12:13], v[26:27]
	v_mov_b32_e32 v23, v26
	v_mov_b32_e32 v25, v28
	v_pk_add_f32 v[30:31], v[24:25], v[32:33] neg_lo:[0,1] neg_hi:[0,1]
	s_nop 0
	v_sub_f32_e32 v12, v24, v30
	v_pk_add_f32 v[22:23], v[22:23], v[30:31] neg_lo:[0,1] neg_hi:[0,1]
	v_sub_f32_e32 v12, v32, v12
	v_add_f32_e32 v12, v22, v12
	v_add_f32_e32 v12, v12, v23
	;; [unrolled: 1-line block ×3, first 2 shown]
	v_cndmask_b32_e32 v21, v12, v36, vcc
.LBB50_81:                              ;   in Loop: Header=BB50_13 Depth=1
	s_or_b64 exec, exec, s[54:55]
	v_and_b32_e32 v12, 0xffff0000, v13
	v_readlane_b32 s0, v95, 2
	s_nop 1
	v_add_f32_e32 v18, s0, v12
	v_cmp_ge_f32_e32 vcc, s6, v18
	s_and_b64 s[0:1], s[4:5], vcc
	s_and_saveexec_b64 s[54:55], s[0:1]
	s_cbranch_execz .LBB50_83
; %bb.82:                               ;   in Loop: Header=BB50_13 Depth=1
	v_mul_f32_e32 v12, 0x3fb8aa3b, v18
	v_rndne_f32_e32 v13, v12
	v_sub_f32_e32 v22, v12, v13
	v_fma_f32 v12, v18, s7, -v12
	v_fmac_f32_e32 v12, 0x32a5705f, v18
	v_add_f32_e32 v12, v22, v12
	v_cvt_i32_f32_e32 v13, v13
	v_exp_f32_e32 v12, v12
	v_cmp_ngt_f32_e32 vcc, s8, v18
	v_ldexp_f32 v12, v12, v13
	s_nop 0
	v_cndmask_b32_e32 v12, 0, v12, vcc
	v_cmp_nlt_f32_e32 vcc, s9, v18
	s_nop 1
	v_cndmask_b32_e32 v34, v41, v12, vcc
	v_add_f32_e32 v18, 1.0, v34
	v_add_f32_e32 v12, -1.0, v18
	v_sub_f32_e32 v13, v12, v18
	v_add_f32_e32 v13, 1.0, v13
	v_sub_f32_e32 v12, v34, v12
	v_add_f32_e32 v22, v12, v13
	v_frexp_mant_f32_e32 v23, v18
	v_cvt_f64_f32_e32 v[12:13], v18
	v_frexp_exp_i32_f64_e32 v12, v[12:13]
	v_cmp_gt_f32_e32 vcc, s11, v23
	v_cmp_gt_f32_e64 s[52:53], s57, v34
	s_nop 0
	v_subbrev_co_u32_e32 v28, vcc, 0, v12, vcc
	v_sub_u32_e32 v12, 0, v28
	v_ldexp_f32 v13, v18, v12
	v_add_f32_e32 v18, -1.0, v13
	v_add_f32_e32 v23, 1.0, v13
	v_ldexp_f32 v12, v22, v12
	v_add_f32_e32 v22, 1.0, v18
	v_add_f32_e32 v24, -1.0, v23
	v_sub_f32_e32 v22, v13, v22
	v_sub_f32_e32 v13, v13, v24
	v_add_f32_e32 v22, v12, v22
	v_add_f32_e32 v12, v12, v13
	;; [unrolled: 1-line block ×3, first 2 shown]
	v_rcp_f32_e32 v31, v29
	v_sub_f32_e32 v13, v23, v29
	v_add_f32_e32 v30, v12, v13
	v_add_f32_e32 v13, v18, v22
	v_sub_f32_e32 v12, v18, v13
	v_mul_f32_e32 v32, v13, v31
	v_add_f32_e32 v18, v22, v12
	v_mul_f32_e32 v22, v29, v32
	v_fma_f32 v24, v32, v29, -v22
	v_fmac_f32_e32 v24, v32, v30
	v_add_f32_e32 v12, v22, v24
	v_sub_f32_e32 v23, v13, v12
	v_pk_add_f32 v[26:27], v[12:13], v[22:23] neg_lo:[0,1] neg_hi:[0,1]
	v_mov_b32_e32 v25, v12
	v_pk_add_f32 v[12:13], v[26:27], v[24:25] neg_lo:[0,1] neg_hi:[0,1]
	v_cmp_eq_f32_e32 vcc, s10, v34
	v_add_f32_e32 v13, v18, v13
	v_add_f32_e32 v12, v12, v13
	;; [unrolled: 1-line block ×3, first 2 shown]
	v_mul_f32_e32 v18, v31, v13
	v_mul_f32_e32 v22, v29, v18
	v_fma_f32 v24, v18, v29, -v22
	v_fmac_f32_e32 v24, v18, v30
	v_sub_f32_e32 v23, v23, v13
	v_add_f32_e32 v29, v12, v23
	v_add_f32_e32 v12, v22, v24
	v_sub_f32_e32 v23, v13, v12
	v_pk_add_f32 v[26:27], v[12:13], v[22:23] neg_lo:[0,1] neg_hi:[0,1]
	v_mov_b32_e32 v25, v12
	v_pk_add_f32 v[12:13], v[26:27], v[24:25] neg_lo:[0,1] neg_hi:[0,1]
	s_or_b64 vcc, s[52:53], vcc
	v_add_f32_e32 v13, v29, v13
	v_add_f32_e32 v12, v12, v13
	;; [unrolled: 1-line block ×4, first 2 shown]
	v_sub_f32_e32 v22, v13, v32
	v_mul_f32_e32 v12, v31, v12
	v_sub_f32_e32 v18, v18, v22
	v_add_f32_e32 v18, v18, v12
	v_add_f32_e32 v22, v13, v18
	v_mul_f32_e32 v24, v22, v22
	v_fmamk_f32 v12, v24, 0x3e9b6dac, v40
	v_fmaak_f32 v43, v24, v12, 0x3f2aaada
	v_cvt_f32_i32_e32 v12, v28
	v_sub_f32_e32 v13, v22, v13
	v_sub_f32_e32 v13, v18, v13
	v_ldexp_f32 v18, v13, 1
	v_mul_f32_e32 v13, v22, v24
	v_pk_mul_f32 v[24:25], v[12:13], v[42:43]
	v_ldexp_f32 v23, v22, 1
	v_fma_f32 v22, v12, s56, -v24
	v_fmac_f32_e32 v22, 0xb102e308, v12
	v_pk_add_f32 v[12:13], v[24:25], v[22:23]
	v_mov_b32_e32 v26, v24
	v_sub_f32_e32 v23, v13, v23
	v_sub_f32_e32 v23, v25, v23
	v_add_f32_e32 v27, v18, v23
	v_pk_add_f32 v[24:25], v[12:13], v[24:25] neg_lo:[0,1] neg_hi:[0,1]
	v_pk_add_f32 v[28:29], v[12:13], v[26:27]
	v_mov_b32_e32 v23, v12
	v_mov_b32_e32 v25, v29
	v_pk_add_f32 v[30:31], v[22:23], v[24:25] neg_lo:[0,1] neg_hi:[0,1]
	v_pk_add_f32 v[22:23], v[22:23], v[24:25]
	s_nop 0
	v_mov_b32_e32 v18, v23
	v_pk_add_f32 v[24:25], v[18:19], v[12:13] neg_lo:[0,1] neg_hi:[0,1]
	v_mov_b32_e32 v22, v29
	v_mov_b32_e32 v25, v24
	v_pk_add_f32 v[32:33], v[28:29], v[24:25] neg_lo:[0,1] neg_hi:[0,1]
	v_mov_b32_e32 v28, v13
	v_mov_b32_e32 v29, v24
	;; [unrolled: 1-line block ×3, first 2 shown]
	v_pk_add_f32 v[22:23], v[22:23], v[28:29] neg_lo:[0,1] neg_hi:[0,1]
	v_mov_b32_e32 v24, v27
	v_mov_b32_e32 v25, v12
	v_pk_add_f32 v[12:13], v[24:25], v[22:23] neg_lo:[0,1] neg_hi:[0,1]
	v_mov_b32_e32 v32, v30
	v_pk_add_f32 v[22:23], v[32:33], v[12:13]
	s_nop 0
	v_mov_b32_e32 v24, v23
	v_pk_add_f32 v[24:25], v[22:23], v[24:25]
	s_nop 0
	v_pk_add_f32 v[26:27], v[18:19], v[24:25]
	v_mov_b32_e32 v13, v24
	v_mov_b32_e32 v23, v26
	v_pk_add_f32 v[28:29], v[22:23], v[30:31] neg_lo:[0,1] neg_hi:[0,1]
	s_nop 0
	v_sub_f32_e32 v18, v22, v28
	v_pk_add_f32 v[12:13], v[12:13], v[28:29] neg_lo:[0,1] neg_hi:[0,1]
	v_sub_f32_e32 v18, v30, v18
	v_add_f32_e32 v12, v12, v18
	v_add_f32_e32 v12, v12, v13
	;; [unrolled: 1-line block ×3, first 2 shown]
	v_cndmask_b32_e32 v18, v12, v34, vcc
.LBB50_83:                              ;   in Loop: Header=BB50_13 Depth=1
	s_or_b64 exec, exec, s[54:55]
	v_lshlrev_b32_e32 v12, 16, v14
	v_readlane_b32 s0, v95, 2
	s_nop 1
	v_add_f32_e32 v66, s0, v12
	v_cmp_ge_f32_e32 vcc, s6, v66
	s_and_b64 s[0:1], s[4:5], vcc
	s_and_saveexec_b64 s[54:55], s[0:1]
	s_cbranch_execz .LBB50_85
; %bb.84:                               ;   in Loop: Header=BB50_13 Depth=1
	v_mul_f32_e32 v12, 0x3fb8aa3b, v66
	v_rndne_f32_e32 v13, v12
	v_sub_f32_e32 v22, v12, v13
	v_fma_f32 v12, v66, s7, -v12
	v_fmac_f32_e32 v12, 0x32a5705f, v66
	v_add_f32_e32 v12, v22, v12
	v_cvt_i32_f32_e32 v13, v13
	v_exp_f32_e32 v12, v12
	v_cmp_ngt_f32_e32 vcc, s8, v66
	v_ldexp_f32 v12, v12, v13
	s_nop 0
	v_cndmask_b32_e32 v12, 0, v12, vcc
	v_cmp_nlt_f32_e32 vcc, s9, v66
	s_nop 1
	v_cndmask_b32_e32 v36, v41, v12, vcc
	v_add_f32_e32 v22, 1.0, v36
	v_add_f32_e32 v12, -1.0, v22
	v_sub_f32_e32 v13, v12, v22
	v_add_f32_e32 v13, 1.0, v13
	v_sub_f32_e32 v12, v36, v12
	v_add_f32_e32 v23, v12, v13
	v_frexp_mant_f32_e32 v24, v22
	v_cvt_f64_f32_e32 v[12:13], v22
	v_frexp_exp_i32_f64_e32 v12, v[12:13]
	v_cmp_gt_f32_e32 vcc, s11, v24
	v_cmp_gt_f32_e64 s[52:53], s57, v36
	s_nop 0
	v_subbrev_co_u32_e32 v28, vcc, 0, v12, vcc
	v_sub_u32_e32 v12, 0, v28
	v_ldexp_f32 v13, v22, v12
	v_add_f32_e32 v22, -1.0, v13
	v_add_f32_e32 v24, 1.0, v13
	v_ldexp_f32 v12, v23, v12
	v_add_f32_e32 v23, 1.0, v22
	v_add_f32_e32 v25, -1.0, v24
	v_sub_f32_e32 v23, v13, v23
	v_sub_f32_e32 v13, v13, v25
	v_add_f32_e32 v23, v12, v23
	v_add_f32_e32 v12, v12, v13
	;; [unrolled: 1-line block ×3, first 2 shown]
	v_rcp_f32_e32 v31, v29
	v_sub_f32_e32 v13, v24, v29
	v_add_f32_e32 v30, v12, v13
	v_add_f32_e32 v13, v22, v23
	v_mul_f32_e32 v33, v13, v31
	v_sub_f32_e32 v12, v22, v13
	v_mul_f32_e32 v22, v29, v33
	v_fma_f32 v24, v33, v29, -v22
	v_fmac_f32_e32 v24, v33, v30
	v_add_f32_e32 v32, v23, v12
	v_add_f32_e32 v12, v22, v24
	v_sub_f32_e32 v23, v13, v12
	v_pk_add_f32 v[26:27], v[12:13], v[22:23] neg_lo:[0,1] neg_hi:[0,1]
	v_mov_b32_e32 v25, v12
	v_pk_add_f32 v[12:13], v[26:27], v[24:25] neg_lo:[0,1] neg_hi:[0,1]
	v_cmp_eq_f32_e32 vcc, s10, v36
	v_add_f32_e32 v13, v32, v13
	v_add_f32_e32 v12, v12, v13
	;; [unrolled: 1-line block ×3, first 2 shown]
	v_mul_f32_e32 v32, v31, v13
	v_mul_f32_e32 v22, v29, v32
	v_fma_f32 v24, v32, v29, -v22
	v_fmac_f32_e32 v24, v32, v30
	v_sub_f32_e32 v23, v23, v13
	v_add_f32_e32 v29, v12, v23
	v_add_f32_e32 v12, v22, v24
	v_sub_f32_e32 v23, v13, v12
	v_pk_add_f32 v[26:27], v[12:13], v[22:23] neg_lo:[0,1] neg_hi:[0,1]
	v_mov_b32_e32 v25, v12
	v_pk_add_f32 v[12:13], v[26:27], v[24:25] neg_lo:[0,1] neg_hi:[0,1]
	s_or_b64 vcc, s[52:53], vcc
	v_add_f32_e32 v13, v29, v13
	v_add_f32_e32 v12, v12, v13
	;; [unrolled: 1-line block ×4, first 2 shown]
	v_sub_f32_e32 v22, v13, v33
	v_mul_f32_e32 v12, v31, v12
	v_sub_f32_e32 v22, v32, v22
	v_add_f32_e32 v22, v22, v12
	v_add_f32_e32 v24, v13, v22
	v_mul_f32_e32 v25, v24, v24
	v_fmamk_f32 v12, v25, 0x3e9b6dac, v40
	v_fmaak_f32 v43, v25, v12, 0x3f2aaada
	v_cvt_f32_i32_e32 v12, v28
	v_sub_f32_e32 v13, v24, v13
	v_sub_f32_e32 v13, v22, v13
	v_ldexp_f32 v26, v13, 1
	v_mul_f32_e32 v13, v24, v25
	v_ldexp_f32 v23, v24, 1
	v_pk_mul_f32 v[24:25], v[12:13], v[42:43]
	s_nop 0
	v_fma_f32 v22, v12, s56, -v24
	v_fmac_f32_e32 v22, 0xb102e308, v12
	v_pk_add_f32 v[12:13], v[24:25], v[22:23]
	s_nop 0
	v_sub_f32_e32 v23, v13, v23
	v_sub_f32_e32 v23, v25, v23
	v_add_f32_e32 v27, v26, v23
	v_mov_b32_e32 v26, v24
	v_pk_add_f32 v[24:25], v[12:13], v[24:25] neg_lo:[0,1] neg_hi:[0,1]
	v_pk_add_f32 v[28:29], v[12:13], v[26:27]
	v_mov_b32_e32 v23, v12
	v_mov_b32_e32 v25, v29
	v_pk_add_f32 v[30:31], v[22:23], v[24:25] neg_lo:[0,1] neg_hi:[0,1]
	v_pk_add_f32 v[22:23], v[22:23], v[24:25]
	v_mov_b32_e32 v26, v27
	v_mov_b32_e32 v24, v23
	v_pk_add_f32 v[32:33], v[24:25], v[12:13] neg_lo:[0,1] neg_hi:[0,1]
	v_mov_b32_e32 v22, v29
	v_mov_b32_e32 v25, v32
	v_pk_add_f32 v[34:35], v[28:29], v[24:25] neg_lo:[0,1] neg_hi:[0,1]
	v_mov_b32_e32 v28, v13
	v_mov_b32_e32 v29, v32
	;; [unrolled: 1-line block ×3, first 2 shown]
	v_pk_add_f32 v[22:23], v[22:23], v[28:29] neg_lo:[0,1] neg_hi:[0,1]
	v_mov_b32_e32 v27, v12
	v_pk_add_f32 v[12:13], v[26:27], v[22:23] neg_lo:[0,1] neg_hi:[0,1]
	v_mov_b32_e32 v34, v30
	v_pk_add_f32 v[22:23], v[34:35], v[12:13]
	s_nop 0
	v_mov_b32_e32 v26, v23
	v_pk_add_f32 v[26:27], v[22:23], v[26:27]
	s_nop 0
	v_pk_add_f32 v[24:25], v[24:25], v[26:27]
	v_mov_b32_e32 v13, v26
	v_mov_b32_e32 v23, v24
	v_pk_add_f32 v[28:29], v[22:23], v[30:31] neg_lo:[0,1] neg_hi:[0,1]
	s_nop 0
	v_sub_f32_e32 v22, v22, v28
	v_pk_add_f32 v[12:13], v[12:13], v[28:29] neg_lo:[0,1] neg_hi:[0,1]
	v_sub_f32_e32 v22, v30, v22
	v_add_f32_e32 v12, v12, v22
	v_add_f32_e32 v12, v12, v13
	;; [unrolled: 1-line block ×3, first 2 shown]
	v_cndmask_b32_e32 v66, v12, v36, vcc
.LBB50_85:                              ;   in Loop: Header=BB50_13 Depth=1
	s_or_b64 exec, exec, s[54:55]
	v_and_b32_e32 v12, 0xffff0000, v14
	v_readlane_b32 s0, v95, 2
	s_nop 1
	v_add_f32_e32 v67, s0, v12
	v_cmp_ge_f32_e32 vcc, s6, v67
	s_and_b64 s[0:1], s[4:5], vcc
	s_and_saveexec_b64 s[54:55], s[0:1]
	s_cbranch_execz .LBB50_87
; %bb.86:                               ;   in Loop: Header=BB50_13 Depth=1
	v_mul_f32_e32 v12, 0x3fb8aa3b, v67
	v_rndne_f32_e32 v13, v12
	v_sub_f32_e32 v14, v12, v13
	v_fma_f32 v12, v67, s7, -v12
	v_fmac_f32_e32 v12, 0x32a5705f, v67
	v_add_f32_e32 v12, v14, v12
	v_cvt_i32_f32_e32 v13, v13
	v_exp_f32_e32 v12, v12
	v_cmp_ngt_f32_e32 vcc, s8, v67
	v_ldexp_f32 v12, v12, v13
	s_nop 0
	v_cndmask_b32_e32 v12, 0, v12, vcc
	v_cmp_nlt_f32_e32 vcc, s9, v67
	s_nop 1
	v_cndmask_b32_e32 v34, v41, v12, vcc
	v_add_f32_e32 v14, 1.0, v34
	v_add_f32_e32 v12, -1.0, v14
	v_sub_f32_e32 v13, v12, v14
	v_add_f32_e32 v13, 1.0, v13
	v_sub_f32_e32 v12, v34, v12
	v_add_f32_e32 v22, v12, v13
	v_frexp_mant_f32_e32 v23, v14
	v_cvt_f64_f32_e32 v[12:13], v14
	v_frexp_exp_i32_f64_e32 v12, v[12:13]
	v_cmp_gt_f32_e32 vcc, s11, v23
	v_cmp_gt_f32_e64 s[52:53], s57, v34
	s_nop 0
	v_subbrev_co_u32_e32 v28, vcc, 0, v12, vcc
	v_sub_u32_e32 v12, 0, v28
	v_ldexp_f32 v13, v14, v12
	v_add_f32_e32 v14, -1.0, v13
	v_add_f32_e32 v23, 1.0, v13
	v_ldexp_f32 v12, v22, v12
	v_add_f32_e32 v22, 1.0, v14
	v_add_f32_e32 v24, -1.0, v23
	v_sub_f32_e32 v22, v13, v22
	v_sub_f32_e32 v13, v13, v24
	v_add_f32_e32 v22, v12, v22
	v_add_f32_e32 v12, v12, v13
	;; [unrolled: 1-line block ×3, first 2 shown]
	v_rcp_f32_e32 v31, v29
	v_sub_f32_e32 v13, v23, v29
	v_add_f32_e32 v30, v12, v13
	v_add_f32_e32 v13, v14, v22
	v_sub_f32_e32 v12, v14, v13
	v_mul_f32_e32 v32, v13, v31
	v_add_f32_e32 v14, v22, v12
	v_mul_f32_e32 v22, v29, v32
	v_fma_f32 v24, v32, v29, -v22
	v_fmac_f32_e32 v24, v32, v30
	v_add_f32_e32 v12, v22, v24
	v_sub_f32_e32 v23, v13, v12
	v_pk_add_f32 v[26:27], v[12:13], v[22:23] neg_lo:[0,1] neg_hi:[0,1]
	v_mov_b32_e32 v25, v12
	v_pk_add_f32 v[12:13], v[26:27], v[24:25] neg_lo:[0,1] neg_hi:[0,1]
	v_cmp_eq_f32_e32 vcc, s10, v34
	v_add_f32_e32 v13, v14, v13
	v_add_f32_e32 v12, v12, v13
	v_add_f32_e32 v13, v23, v12
	v_mul_f32_e32 v14, v31, v13
	v_mul_f32_e32 v22, v29, v14
	v_fma_f32 v24, v14, v29, -v22
	v_fmac_f32_e32 v24, v14, v30
	v_sub_f32_e32 v23, v23, v13
	v_add_f32_e32 v29, v12, v23
	v_add_f32_e32 v12, v22, v24
	v_sub_f32_e32 v23, v13, v12
	v_pk_add_f32 v[26:27], v[12:13], v[22:23] neg_lo:[0,1] neg_hi:[0,1]
	v_mov_b32_e32 v25, v12
	v_pk_add_f32 v[12:13], v[26:27], v[24:25] neg_lo:[0,1] neg_hi:[0,1]
	s_or_b64 vcc, s[52:53], vcc
	v_add_f32_e32 v13, v29, v13
	v_add_f32_e32 v12, v12, v13
	;; [unrolled: 1-line block ×4, first 2 shown]
	v_sub_f32_e32 v22, v13, v32
	v_mul_f32_e32 v12, v31, v12
	v_sub_f32_e32 v14, v14, v22
	v_add_f32_e32 v14, v14, v12
	v_add_f32_e32 v22, v13, v14
	v_mul_f32_e32 v24, v22, v22
	v_fmamk_f32 v12, v24, 0x3e9b6dac, v40
	v_fmaak_f32 v43, v24, v12, 0x3f2aaada
	v_cvt_f32_i32_e32 v12, v28
	v_sub_f32_e32 v13, v22, v13
	v_sub_f32_e32 v13, v14, v13
	v_ldexp_f32 v14, v13, 1
	v_mul_f32_e32 v13, v22, v24
	v_pk_mul_f32 v[24:25], v[12:13], v[42:43]
	v_ldexp_f32 v23, v22, 1
	v_fma_f32 v22, v12, s56, -v24
	v_fmac_f32_e32 v22, 0xb102e308, v12
	v_pk_add_f32 v[12:13], v[24:25], v[22:23]
	v_mov_b32_e32 v26, v24
	v_sub_f32_e32 v23, v13, v23
	v_sub_f32_e32 v23, v25, v23
	v_add_f32_e32 v27, v14, v23
	v_pk_add_f32 v[24:25], v[12:13], v[24:25] neg_lo:[0,1] neg_hi:[0,1]
	v_pk_add_f32 v[28:29], v[12:13], v[26:27]
	v_mov_b32_e32 v23, v12
	v_mov_b32_e32 v25, v29
	v_pk_add_f32 v[30:31], v[22:23], v[24:25] neg_lo:[0,1] neg_hi:[0,1]
	v_pk_add_f32 v[22:23], v[22:23], v[24:25]
	s_nop 0
	v_mov_b32_e32 v14, v23
	v_pk_add_f32 v[24:25], v[14:15], v[12:13] neg_lo:[0,1] neg_hi:[0,1]
	v_mov_b32_e32 v22, v29
	v_mov_b32_e32 v25, v24
	v_pk_add_f32 v[32:33], v[28:29], v[24:25] neg_lo:[0,1] neg_hi:[0,1]
	v_mov_b32_e32 v28, v13
	v_mov_b32_e32 v29, v24
	;; [unrolled: 1-line block ×3, first 2 shown]
	v_pk_add_f32 v[22:23], v[22:23], v[28:29] neg_lo:[0,1] neg_hi:[0,1]
	v_mov_b32_e32 v24, v27
	v_mov_b32_e32 v25, v12
	v_pk_add_f32 v[12:13], v[24:25], v[22:23] neg_lo:[0,1] neg_hi:[0,1]
	v_mov_b32_e32 v32, v30
	v_pk_add_f32 v[22:23], v[32:33], v[12:13]
	s_nop 0
	v_mov_b32_e32 v24, v23
	v_pk_add_f32 v[24:25], v[22:23], v[24:25]
	s_nop 0
	v_pk_add_f32 v[26:27], v[14:15], v[24:25]
	v_mov_b32_e32 v13, v24
	v_mov_b32_e32 v23, v26
	v_pk_add_f32 v[28:29], v[22:23], v[30:31] neg_lo:[0,1] neg_hi:[0,1]
	s_nop 0
	v_sub_f32_e32 v14, v22, v28
	v_pk_add_f32 v[12:13], v[12:13], v[28:29] neg_lo:[0,1] neg_hi:[0,1]
	v_sub_f32_e32 v14, v30, v14
	v_add_f32_e32 v12, v12, v14
	v_add_f32_e32 v12, v12, v13
	;; [unrolled: 1-line block ×3, first 2 shown]
	v_cndmask_b32_e32 v67, v12, v34, vcc
.LBB50_87:                              ;   in Loop: Header=BB50_13 Depth=1
	s_or_b64 exec, exec, s[54:55]
	v_lshlrev_b32_e32 v12, 16, v15
	v_readlane_b32 s0, v95, 2
	s_nop 1
	v_add_f32_e32 v70, s0, v12
	v_cmp_ge_f32_e32 vcc, s6, v70
	s_and_b64 s[0:1], s[4:5], vcc
	s_and_saveexec_b64 s[54:55], s[0:1]
	s_cbranch_execz .LBB50_89
; %bb.88:                               ;   in Loop: Header=BB50_13 Depth=1
	v_mul_f32_e32 v12, 0x3fb8aa3b, v70
	v_rndne_f32_e32 v13, v12
	v_sub_f32_e32 v14, v12, v13
	v_fma_f32 v12, v70, s7, -v12
	v_fmac_f32_e32 v12, 0x32a5705f, v70
	v_add_f32_e32 v12, v14, v12
	v_cvt_i32_f32_e32 v13, v13
	v_exp_f32_e32 v12, v12
	v_cmp_ngt_f32_e32 vcc, s8, v70
	v_ldexp_f32 v12, v12, v13
	s_nop 0
	v_cndmask_b32_e32 v12, 0, v12, vcc
	v_cmp_nlt_f32_e32 vcc, s9, v70
	s_nop 1
	v_cndmask_b32_e32 v34, v41, v12, vcc
	v_add_f32_e32 v14, 1.0, v34
	v_add_f32_e32 v12, -1.0, v14
	v_sub_f32_e32 v13, v12, v14
	v_add_f32_e32 v13, 1.0, v13
	v_sub_f32_e32 v12, v34, v12
	v_add_f32_e32 v22, v12, v13
	v_frexp_mant_f32_e32 v23, v14
	v_cvt_f64_f32_e32 v[12:13], v14
	v_frexp_exp_i32_f64_e32 v12, v[12:13]
	v_cmp_gt_f32_e32 vcc, s11, v23
	v_cmp_gt_f32_e64 s[52:53], s57, v34
	s_nop 0
	v_subbrev_co_u32_e32 v28, vcc, 0, v12, vcc
	v_sub_u32_e32 v12, 0, v28
	v_ldexp_f32 v13, v14, v12
	v_add_f32_e32 v14, -1.0, v13
	v_add_f32_e32 v23, 1.0, v13
	v_ldexp_f32 v12, v22, v12
	v_add_f32_e32 v22, 1.0, v14
	v_add_f32_e32 v24, -1.0, v23
	v_sub_f32_e32 v22, v13, v22
	v_sub_f32_e32 v13, v13, v24
	v_add_f32_e32 v22, v12, v22
	v_add_f32_e32 v12, v12, v13
	;; [unrolled: 1-line block ×3, first 2 shown]
	v_rcp_f32_e32 v31, v29
	v_sub_f32_e32 v13, v23, v29
	v_add_f32_e32 v30, v12, v13
	v_add_f32_e32 v13, v14, v22
	v_sub_f32_e32 v12, v14, v13
	v_mul_f32_e32 v32, v13, v31
	v_add_f32_e32 v14, v22, v12
	v_mul_f32_e32 v22, v29, v32
	v_fma_f32 v24, v32, v29, -v22
	v_fmac_f32_e32 v24, v32, v30
	v_add_f32_e32 v12, v22, v24
	v_sub_f32_e32 v23, v13, v12
	v_pk_add_f32 v[26:27], v[12:13], v[22:23] neg_lo:[0,1] neg_hi:[0,1]
	v_mov_b32_e32 v25, v12
	v_pk_add_f32 v[12:13], v[26:27], v[24:25] neg_lo:[0,1] neg_hi:[0,1]
	v_cmp_eq_f32_e32 vcc, s10, v34
	v_add_f32_e32 v13, v14, v13
	v_add_f32_e32 v12, v12, v13
	;; [unrolled: 1-line block ×3, first 2 shown]
	v_mul_f32_e32 v14, v31, v13
	v_mul_f32_e32 v22, v29, v14
	v_fma_f32 v24, v14, v29, -v22
	v_fmac_f32_e32 v24, v14, v30
	v_sub_f32_e32 v23, v23, v13
	v_add_f32_e32 v29, v12, v23
	v_add_f32_e32 v12, v22, v24
	v_sub_f32_e32 v23, v13, v12
	v_pk_add_f32 v[26:27], v[12:13], v[22:23] neg_lo:[0,1] neg_hi:[0,1]
	v_mov_b32_e32 v25, v12
	v_pk_add_f32 v[12:13], v[26:27], v[24:25] neg_lo:[0,1] neg_hi:[0,1]
	s_or_b64 vcc, s[52:53], vcc
	v_add_f32_e32 v13, v29, v13
	v_add_f32_e32 v12, v12, v13
	;; [unrolled: 1-line block ×4, first 2 shown]
	v_sub_f32_e32 v22, v13, v32
	v_mul_f32_e32 v12, v31, v12
	v_sub_f32_e32 v14, v14, v22
	v_add_f32_e32 v14, v14, v12
	v_add_f32_e32 v22, v13, v14
	v_mul_f32_e32 v24, v22, v22
	v_fmamk_f32 v12, v24, 0x3e9b6dac, v40
	v_fmaak_f32 v43, v24, v12, 0x3f2aaada
	v_cvt_f32_i32_e32 v12, v28
	v_sub_f32_e32 v13, v22, v13
	v_sub_f32_e32 v13, v14, v13
	v_ldexp_f32 v14, v13, 1
	v_mul_f32_e32 v13, v22, v24
	v_pk_mul_f32 v[24:25], v[12:13], v[42:43]
	v_ldexp_f32 v23, v22, 1
	v_fma_f32 v22, v12, s56, -v24
	v_fmac_f32_e32 v22, 0xb102e308, v12
	v_pk_add_f32 v[12:13], v[24:25], v[22:23]
	v_mov_b32_e32 v26, v24
	v_sub_f32_e32 v23, v13, v23
	v_sub_f32_e32 v23, v25, v23
	v_add_f32_e32 v27, v14, v23
	v_pk_add_f32 v[24:25], v[12:13], v[24:25] neg_lo:[0,1] neg_hi:[0,1]
	v_pk_add_f32 v[28:29], v[12:13], v[26:27]
	v_mov_b32_e32 v23, v12
	v_mov_b32_e32 v25, v29
	v_pk_add_f32 v[30:31], v[22:23], v[24:25] neg_lo:[0,1] neg_hi:[0,1]
	v_pk_add_f32 v[22:23], v[22:23], v[24:25]
	s_nop 0
	v_mov_b32_e32 v14, v23
	v_pk_add_f32 v[24:25], v[14:15], v[12:13] neg_lo:[0,1] neg_hi:[0,1]
	v_mov_b32_e32 v22, v29
	v_mov_b32_e32 v25, v24
	v_pk_add_f32 v[32:33], v[28:29], v[24:25] neg_lo:[0,1] neg_hi:[0,1]
	v_mov_b32_e32 v28, v13
	v_mov_b32_e32 v29, v24
	;; [unrolled: 1-line block ×3, first 2 shown]
	v_pk_add_f32 v[22:23], v[22:23], v[28:29] neg_lo:[0,1] neg_hi:[0,1]
	v_mov_b32_e32 v24, v27
	v_mov_b32_e32 v25, v12
	v_pk_add_f32 v[12:13], v[24:25], v[22:23] neg_lo:[0,1] neg_hi:[0,1]
	v_mov_b32_e32 v32, v30
	v_pk_add_f32 v[22:23], v[32:33], v[12:13]
	s_nop 0
	v_mov_b32_e32 v24, v23
	v_pk_add_f32 v[24:25], v[22:23], v[24:25]
	s_nop 0
	v_pk_add_f32 v[26:27], v[14:15], v[24:25]
	v_mov_b32_e32 v13, v24
	v_mov_b32_e32 v23, v26
	v_pk_add_f32 v[28:29], v[22:23], v[30:31] neg_lo:[0,1] neg_hi:[0,1]
	s_nop 0
	v_sub_f32_e32 v14, v22, v28
	v_pk_add_f32 v[12:13], v[12:13], v[28:29] neg_lo:[0,1] neg_hi:[0,1]
	v_sub_f32_e32 v14, v30, v14
	v_add_f32_e32 v12, v12, v14
	v_add_f32_e32 v12, v12, v13
	;; [unrolled: 1-line block ×3, first 2 shown]
	v_cndmask_b32_e32 v70, v12, v34, vcc
.LBB50_89:                              ;   in Loop: Header=BB50_13 Depth=1
	s_or_b64 exec, exec, s[54:55]
	v_and_b32_e32 v12, 0xffff0000, v15
	v_readlane_b32 s0, v95, 2
	s_nop 1
	v_add_f32_e32 v88, s0, v12
	v_cmp_ge_f32_e32 vcc, s6, v88
	s_and_b64 s[0:1], s[4:5], vcc
	s_and_saveexec_b64 s[54:55], s[0:1]
	s_cbranch_execz .LBB50_91
; %bb.90:                               ;   in Loop: Header=BB50_13 Depth=1
	v_mul_f32_e32 v12, 0x3fb8aa3b, v88
	v_rndne_f32_e32 v13, v12
	v_sub_f32_e32 v14, v12, v13
	v_fma_f32 v12, v88, s7, -v12
	v_fmac_f32_e32 v12, 0x32a5705f, v88
	v_add_f32_e32 v12, v14, v12
	v_cvt_i32_f32_e32 v13, v13
	v_exp_f32_e32 v12, v12
	v_cmp_ngt_f32_e32 vcc, s8, v88
	v_ldexp_f32 v12, v12, v13
	s_nop 0
	v_cndmask_b32_e32 v12, 0, v12, vcc
	v_cmp_nlt_f32_e32 vcc, s9, v88
	s_nop 1
	v_cndmask_b32_e32 v34, v41, v12, vcc
	v_add_f32_e32 v14, 1.0, v34
	v_add_f32_e32 v12, -1.0, v14
	v_sub_f32_e32 v13, v12, v14
	v_add_f32_e32 v13, 1.0, v13
	v_sub_f32_e32 v12, v34, v12
	v_add_f32_e32 v15, v12, v13
	v_frexp_mant_f32_e32 v22, v14
	v_cvt_f64_f32_e32 v[12:13], v14
	v_frexp_exp_i32_f64_e32 v12, v[12:13]
	v_cmp_gt_f32_e32 vcc, s11, v22
	v_cmp_gt_f32_e64 s[52:53], s57, v34
	s_nop 0
	v_subbrev_co_u32_e32 v26, vcc, 0, v12, vcc
	v_sub_u32_e32 v12, 0, v26
	v_ldexp_f32 v13, v14, v12
	v_add_f32_e32 v14, -1.0, v13
	v_add_f32_e32 v22, 1.0, v13
	v_ldexp_f32 v12, v15, v12
	v_add_f32_e32 v15, 1.0, v14
	v_add_f32_e32 v23, -1.0, v22
	v_sub_f32_e32 v15, v13, v15
	v_sub_f32_e32 v13, v13, v23
	v_add_f32_e32 v15, v12, v15
	v_add_f32_e32 v12, v12, v13
	;; [unrolled: 1-line block ×3, first 2 shown]
	v_rcp_f32_e32 v29, v27
	v_sub_f32_e32 v13, v22, v27
	v_add_f32_e32 v28, v12, v13
	v_add_f32_e32 v13, v14, v15
	v_mul_f32_e32 v31, v13, v29
	v_sub_f32_e32 v12, v14, v13
	v_mul_f32_e32 v14, v27, v31
	v_fma_f32 v22, v31, v27, -v14
	v_fmac_f32_e32 v22, v31, v28
	v_add_f32_e32 v30, v15, v12
	v_add_f32_e32 v12, v14, v22
	v_sub_f32_e32 v15, v13, v12
	v_pk_add_f32 v[24:25], v[12:13], v[14:15] neg_lo:[0,1] neg_hi:[0,1]
	v_mov_b32_e32 v23, v12
	v_pk_add_f32 v[12:13], v[24:25], v[22:23] neg_lo:[0,1] neg_hi:[0,1]
	v_cmp_eq_f32_e32 vcc, s10, v34
	v_add_f32_e32 v13, v30, v13
	v_add_f32_e32 v12, v12, v13
	v_add_f32_e32 v13, v15, v12
	v_mul_f32_e32 v30, v29, v13
	v_mul_f32_e32 v14, v27, v30
	v_fma_f32 v22, v30, v27, -v14
	v_fmac_f32_e32 v22, v30, v28
	v_sub_f32_e32 v15, v15, v13
	v_add_f32_e32 v27, v12, v15
	v_add_f32_e32 v12, v14, v22
	v_sub_f32_e32 v15, v13, v12
	v_pk_add_f32 v[24:25], v[12:13], v[14:15] neg_lo:[0,1] neg_hi:[0,1]
	v_mov_b32_e32 v23, v12
	v_pk_add_f32 v[12:13], v[24:25], v[22:23] neg_lo:[0,1] neg_hi:[0,1]
	s_or_b64 vcc, s[52:53], vcc
	v_add_f32_e32 v13, v27, v13
	v_add_f32_e32 v12, v12, v13
	;; [unrolled: 1-line block ×4, first 2 shown]
	v_sub_f32_e32 v14, v13, v31
	v_mul_f32_e32 v12, v29, v12
	v_sub_f32_e32 v14, v30, v14
	v_add_f32_e32 v14, v14, v12
	v_add_f32_e32 v22, v13, v14
	v_mul_f32_e32 v23, v22, v22
	v_fmamk_f32 v12, v23, 0x3e9b6dac, v40
	v_fmaak_f32 v43, v23, v12, 0x3f2aaada
	v_cvt_f32_i32_e32 v12, v26
	v_sub_f32_e32 v13, v22, v13
	v_sub_f32_e32 v13, v14, v13
	v_ldexp_f32 v24, v13, 1
	v_mul_f32_e32 v13, v22, v23
	v_ldexp_f32 v15, v22, 1
	v_pk_mul_f32 v[22:23], v[12:13], v[42:43]
	s_nop 0
	v_fma_f32 v14, v12, s56, -v22
	v_fmac_f32_e32 v14, 0xb102e308, v12
	v_pk_add_f32 v[12:13], v[22:23], v[14:15]
	s_nop 0
	v_sub_f32_e32 v15, v13, v15
	v_sub_f32_e32 v15, v23, v15
	v_add_f32_e32 v25, v24, v15
	v_mov_b32_e32 v24, v22
	v_pk_add_f32 v[22:23], v[12:13], v[22:23] neg_lo:[0,1] neg_hi:[0,1]
	v_pk_add_f32 v[26:27], v[12:13], v[24:25]
	v_mov_b32_e32 v15, v12
	v_mov_b32_e32 v23, v27
	v_pk_add_f32 v[28:29], v[14:15], v[22:23] neg_lo:[0,1] neg_hi:[0,1]
	v_pk_add_f32 v[14:15], v[14:15], v[22:23]
	v_mov_b32_e32 v24, v25
	v_mov_b32_e32 v22, v15
	v_pk_add_f32 v[30:31], v[22:23], v[12:13] neg_lo:[0,1] neg_hi:[0,1]
	v_mov_b32_e32 v14, v27
	v_mov_b32_e32 v23, v30
	v_pk_add_f32 v[32:33], v[26:27], v[22:23] neg_lo:[0,1] neg_hi:[0,1]
	v_mov_b32_e32 v26, v13
	v_mov_b32_e32 v27, v30
	;; [unrolled: 1-line block ×3, first 2 shown]
	v_pk_add_f32 v[14:15], v[14:15], v[26:27] neg_lo:[0,1] neg_hi:[0,1]
	v_mov_b32_e32 v25, v12
	v_pk_add_f32 v[12:13], v[24:25], v[14:15] neg_lo:[0,1] neg_hi:[0,1]
	v_mov_b32_e32 v32, v28
	v_pk_add_f32 v[14:15], v[32:33], v[12:13]
	s_nop 0
	v_mov_b32_e32 v24, v15
	v_pk_add_f32 v[24:25], v[14:15], v[24:25]
	s_nop 0
	v_pk_add_f32 v[22:23], v[22:23], v[24:25]
	v_mov_b32_e32 v13, v24
	v_mov_b32_e32 v15, v22
	v_pk_add_f32 v[26:27], v[14:15], v[28:29] neg_lo:[0,1] neg_hi:[0,1]
	s_nop 0
	v_sub_f32_e32 v14, v14, v26
	v_pk_add_f32 v[12:13], v[12:13], v[26:27] neg_lo:[0,1] neg_hi:[0,1]
	v_sub_f32_e32 v14, v28, v14
	v_add_f32_e32 v12, v12, v14
	v_add_f32_e32 v12, v12, v13
	v_add_f32_e32 v12, v22, v12
	v_cndmask_b32_e32 v88, v12, v34, vcc
.LBB50_91:                              ;   in Loop: Header=BB50_13 Depth=1
	s_or_b64 exec, exec, s[54:55]
	s_waitcnt lgkmcnt(0)
	v_lshlrev_b32_e32 v12, 16, v8
	v_readlane_b32 s0, v95, 2
	s_nop 1
	v_add_f32_e32 v89, s0, v12
	v_cmp_ge_f32_e32 vcc, s6, v89
	s_and_b64 s[0:1], s[4:5], vcc
	s_and_saveexec_b64 s[54:55], s[0:1]
	s_cbranch_execz .LBB50_93
; %bb.92:                               ;   in Loop: Header=BB50_13 Depth=1
	v_mul_f32_e32 v12, 0x3fb8aa3b, v89
	v_rndne_f32_e32 v13, v12
	v_sub_f32_e32 v14, v12, v13
	v_fma_f32 v12, v89, s7, -v12
	v_fmac_f32_e32 v12, 0x32a5705f, v89
	v_add_f32_e32 v12, v14, v12
	v_cvt_i32_f32_e32 v13, v13
	v_exp_f32_e32 v12, v12
	v_cmp_ngt_f32_e32 vcc, s8, v89
	v_ldexp_f32 v12, v12, v13
	s_nop 0
	v_cndmask_b32_e32 v12, 0, v12, vcc
	v_cmp_nlt_f32_e32 vcc, s9, v89
	s_nop 1
	v_cndmask_b32_e32 v34, v41, v12, vcc
	v_add_f32_e32 v14, 1.0, v34
	v_add_f32_e32 v12, -1.0, v14
	v_sub_f32_e32 v13, v12, v14
	v_add_f32_e32 v13, 1.0, v13
	v_sub_f32_e32 v12, v34, v12
	v_add_f32_e32 v15, v12, v13
	v_frexp_mant_f32_e32 v22, v14
	v_cvt_f64_f32_e32 v[12:13], v14
	v_frexp_exp_i32_f64_e32 v12, v[12:13]
	v_cmp_gt_f32_e32 vcc, s11, v22
	v_cmp_gt_f32_e64 s[52:53], s57, v34
	s_nop 0
	v_subbrev_co_u32_e32 v26, vcc, 0, v12, vcc
	v_sub_u32_e32 v12, 0, v26
	v_ldexp_f32 v13, v14, v12
	v_add_f32_e32 v14, -1.0, v13
	v_add_f32_e32 v22, 1.0, v13
	v_ldexp_f32 v12, v15, v12
	v_add_f32_e32 v15, 1.0, v14
	v_add_f32_e32 v23, -1.0, v22
	v_sub_f32_e32 v15, v13, v15
	v_sub_f32_e32 v13, v13, v23
	v_add_f32_e32 v15, v12, v15
	v_add_f32_e32 v12, v12, v13
	;; [unrolled: 1-line block ×3, first 2 shown]
	v_rcp_f32_e32 v29, v27
	v_sub_f32_e32 v13, v22, v27
	v_add_f32_e32 v28, v12, v13
	v_add_f32_e32 v13, v14, v15
	v_mul_f32_e32 v31, v13, v29
	v_sub_f32_e32 v12, v14, v13
	v_mul_f32_e32 v14, v27, v31
	v_fma_f32 v22, v31, v27, -v14
	v_fmac_f32_e32 v22, v31, v28
	v_add_f32_e32 v30, v15, v12
	v_add_f32_e32 v12, v14, v22
	v_sub_f32_e32 v15, v13, v12
	v_pk_add_f32 v[24:25], v[12:13], v[14:15] neg_lo:[0,1] neg_hi:[0,1]
	v_mov_b32_e32 v23, v12
	v_pk_add_f32 v[12:13], v[24:25], v[22:23] neg_lo:[0,1] neg_hi:[0,1]
	v_cmp_eq_f32_e32 vcc, s10, v34
	v_add_f32_e32 v13, v30, v13
	v_add_f32_e32 v12, v12, v13
	;; [unrolled: 1-line block ×3, first 2 shown]
	v_mul_f32_e32 v30, v29, v13
	v_mul_f32_e32 v14, v27, v30
	v_fma_f32 v22, v30, v27, -v14
	v_fmac_f32_e32 v22, v30, v28
	v_sub_f32_e32 v15, v15, v13
	v_add_f32_e32 v27, v12, v15
	v_add_f32_e32 v12, v14, v22
	v_sub_f32_e32 v15, v13, v12
	v_pk_add_f32 v[24:25], v[12:13], v[14:15] neg_lo:[0,1] neg_hi:[0,1]
	v_mov_b32_e32 v23, v12
	v_pk_add_f32 v[12:13], v[24:25], v[22:23] neg_lo:[0,1] neg_hi:[0,1]
	s_or_b64 vcc, s[52:53], vcc
	v_add_f32_e32 v13, v27, v13
	v_add_f32_e32 v12, v12, v13
	;; [unrolled: 1-line block ×4, first 2 shown]
	v_sub_f32_e32 v14, v13, v31
	v_mul_f32_e32 v12, v29, v12
	v_sub_f32_e32 v14, v30, v14
	v_add_f32_e32 v14, v14, v12
	v_add_f32_e32 v22, v13, v14
	v_mul_f32_e32 v23, v22, v22
	v_fmamk_f32 v12, v23, 0x3e9b6dac, v40
	v_fmaak_f32 v43, v23, v12, 0x3f2aaada
	v_cvt_f32_i32_e32 v12, v26
	v_sub_f32_e32 v13, v22, v13
	v_sub_f32_e32 v13, v14, v13
	v_ldexp_f32 v24, v13, 1
	v_mul_f32_e32 v13, v22, v23
	v_ldexp_f32 v15, v22, 1
	v_pk_mul_f32 v[22:23], v[12:13], v[42:43]
	s_nop 0
	v_fma_f32 v14, v12, s56, -v22
	v_fmac_f32_e32 v14, 0xb102e308, v12
	v_pk_add_f32 v[12:13], v[22:23], v[14:15]
	s_nop 0
	v_sub_f32_e32 v15, v13, v15
	v_sub_f32_e32 v15, v23, v15
	v_add_f32_e32 v25, v24, v15
	v_mov_b32_e32 v24, v22
	v_pk_add_f32 v[22:23], v[12:13], v[22:23] neg_lo:[0,1] neg_hi:[0,1]
	v_pk_add_f32 v[26:27], v[12:13], v[24:25]
	v_mov_b32_e32 v15, v12
	v_mov_b32_e32 v23, v27
	v_pk_add_f32 v[28:29], v[14:15], v[22:23] neg_lo:[0,1] neg_hi:[0,1]
	v_pk_add_f32 v[14:15], v[14:15], v[22:23]
	v_mov_b32_e32 v24, v25
	v_mov_b32_e32 v22, v15
	v_pk_add_f32 v[30:31], v[22:23], v[12:13] neg_lo:[0,1] neg_hi:[0,1]
	v_mov_b32_e32 v14, v27
	v_mov_b32_e32 v23, v30
	v_pk_add_f32 v[32:33], v[26:27], v[22:23] neg_lo:[0,1] neg_hi:[0,1]
	v_mov_b32_e32 v26, v13
	v_mov_b32_e32 v27, v30
	;; [unrolled: 1-line block ×3, first 2 shown]
	v_pk_add_f32 v[14:15], v[14:15], v[26:27] neg_lo:[0,1] neg_hi:[0,1]
	v_mov_b32_e32 v25, v12
	v_pk_add_f32 v[12:13], v[24:25], v[14:15] neg_lo:[0,1] neg_hi:[0,1]
	v_mov_b32_e32 v32, v28
	v_pk_add_f32 v[14:15], v[32:33], v[12:13]
	s_nop 0
	v_mov_b32_e32 v24, v15
	v_pk_add_f32 v[24:25], v[14:15], v[24:25]
	s_nop 0
	v_pk_add_f32 v[22:23], v[22:23], v[24:25]
	v_mov_b32_e32 v13, v24
	v_mov_b32_e32 v15, v22
	v_pk_add_f32 v[26:27], v[14:15], v[28:29] neg_lo:[0,1] neg_hi:[0,1]
	s_nop 0
	v_sub_f32_e32 v14, v14, v26
	v_pk_add_f32 v[12:13], v[12:13], v[26:27] neg_lo:[0,1] neg_hi:[0,1]
	v_sub_f32_e32 v14, v28, v14
	v_add_f32_e32 v12, v12, v14
	v_add_f32_e32 v12, v12, v13
	;; [unrolled: 1-line block ×3, first 2 shown]
	v_cndmask_b32_e32 v89, v12, v34, vcc
.LBB50_93:                              ;   in Loop: Header=BB50_13 Depth=1
	s_or_b64 exec, exec, s[54:55]
	v_and_b32_e32 v8, 0xffff0000, v8
	v_readlane_b32 s0, v95, 2
	s_nop 1
	v_add_f32_e32 v90, s0, v8
	v_cmp_ge_f32_e32 vcc, s6, v90
	s_and_b64 s[0:1], s[4:5], vcc
	s_and_saveexec_b64 s[54:55], s[0:1]
	s_cbranch_execz .LBB50_95
; %bb.94:                               ;   in Loop: Header=BB50_13 Depth=1
	v_mul_f32_e32 v8, 0x3fb8aa3b, v90
	v_rndne_f32_e32 v12, v8
	v_sub_f32_e32 v13, v8, v12
	v_fma_f32 v8, v90, s7, -v8
	v_fmac_f32_e32 v8, 0x32a5705f, v90
	v_add_f32_e32 v8, v13, v8
	v_cvt_i32_f32_e32 v12, v12
	v_exp_f32_e32 v8, v8
	v_cmp_ngt_f32_e32 vcc, s8, v90
	v_ldexp_f32 v8, v8, v12
	s_nop 0
	v_cndmask_b32_e32 v8, 0, v8, vcc
	v_cmp_nlt_f32_e32 vcc, s9, v90
	s_nop 1
	v_cndmask_b32_e32 v32, v41, v8, vcc
	v_add_f32_e32 v8, 1.0, v32
	v_add_f32_e32 v12, -1.0, v8
	v_sub_f32_e32 v13, v12, v8
	v_add_f32_e32 v13, 1.0, v13
	v_sub_f32_e32 v12, v32, v12
	v_add_f32_e32 v14, v12, v13
	v_frexp_mant_f32_e32 v15, v8
	v_cvt_f64_f32_e32 v[12:13], v8
	v_frexp_exp_i32_f64_e32 v12, v[12:13]
	v_cmp_gt_f32_e32 vcc, s11, v15
	v_cmp_gt_f32_e64 s[52:53], s57, v32
	s_nop 0
	v_subbrev_co_u32_e32 v26, vcc, 0, v12, vcc
	v_sub_u32_e32 v12, 0, v26
	v_ldexp_f32 v8, v8, v12
	v_ldexp_f32 v12, v14, v12
	v_add_f32_e32 v14, -1.0, v8
	v_add_f32_e32 v13, 1.0, v14
	v_sub_f32_e32 v13, v8, v13
	v_add_f32_e32 v15, v12, v13
	v_add_f32_e32 v13, 1.0, v8
	v_add_f32_e32 v22, -1.0, v13
	v_sub_f32_e32 v8, v8, v22
	v_add_f32_e32 v8, v12, v8
	v_add_f32_e32 v27, v13, v8
	v_rcp_f32_e32 v28, v27
	v_sub_f32_e32 v12, v13, v27
	v_add_f32_e32 v13, v14, v15
	v_add_f32_e32 v8, v8, v12
	v_mul_f32_e32 v30, v13, v28
	v_sub_f32_e32 v12, v14, v13
	v_mul_f32_e32 v14, v27, v30
	v_fma_f32 v22, v30, v27, -v14
	v_fmac_f32_e32 v22, v30, v8
	v_add_f32_e32 v29, v15, v12
	v_add_f32_e32 v12, v14, v22
	v_sub_f32_e32 v15, v13, v12
	v_pk_add_f32 v[24:25], v[12:13], v[14:15] neg_lo:[0,1] neg_hi:[0,1]
	v_mov_b32_e32 v23, v12
	v_pk_add_f32 v[12:13], v[24:25], v[22:23] neg_lo:[0,1] neg_hi:[0,1]
	v_cmp_eq_f32_e32 vcc, s10, v32
	v_add_f32_e32 v13, v29, v13
	v_add_f32_e32 v12, v12, v13
	;; [unrolled: 1-line block ×3, first 2 shown]
	v_mul_f32_e32 v29, v28, v13
	v_mul_f32_e32 v14, v27, v29
	v_fma_f32 v22, v29, v27, -v14
	v_fmac_f32_e32 v22, v29, v8
	v_sub_f32_e32 v8, v15, v13
	v_add_f32_e32 v8, v12, v8
	v_add_f32_e32 v12, v14, v22
	v_sub_f32_e32 v15, v13, v12
	v_pk_add_f32 v[24:25], v[12:13], v[14:15] neg_lo:[0,1] neg_hi:[0,1]
	v_mov_b32_e32 v23, v12
	v_pk_add_f32 v[12:13], v[24:25], v[22:23] neg_lo:[0,1] neg_hi:[0,1]
	s_or_b64 vcc, s[52:53], vcc
	v_add_f32_e32 v8, v8, v13
	v_add_f32_e32 v8, v12, v8
	;; [unrolled: 1-line block ×4, first 2 shown]
	v_sub_f32_e32 v12, v13, v30
	v_mul_f32_e32 v8, v28, v8
	v_sub_f32_e32 v12, v29, v12
	v_add_f32_e32 v8, v12, v8
	v_add_f32_e32 v14, v13, v8
	v_mul_f32_e32 v22, v14, v14
	v_fmamk_f32 v12, v22, 0x3e9b6dac, v40
	v_fmaak_f32 v43, v22, v12, 0x3f2aaada
	v_cvt_f32_i32_e32 v12, v26
	v_sub_f32_e32 v13, v14, v13
	v_sub_f32_e32 v8, v8, v13
	v_mul_f32_e32 v13, v14, v22
	v_pk_mul_f32 v[22:23], v[12:13], v[42:43]
	v_ldexp_f32 v15, v14, 1
	v_fma_f32 v14, v12, s56, -v22
	v_fmac_f32_e32 v14, 0xb102e308, v12
	v_pk_add_f32 v[12:13], v[22:23], v[14:15]
	v_ldexp_f32 v8, v8, 1
	v_sub_f32_e32 v15, v13, v15
	v_sub_f32_e32 v15, v23, v15
	v_add_f32_e32 v25, v8, v15
	v_mov_b32_e32 v24, v22
	v_pk_add_f32 v[22:23], v[12:13], v[22:23] neg_lo:[0,1] neg_hi:[0,1]
	v_pk_add_f32 v[26:27], v[12:13], v[24:25]
	v_mov_b32_e32 v15, v12
	v_mov_b32_e32 v23, v27
	v_pk_add_f32 v[28:29], v[14:15], v[22:23] neg_lo:[0,1] neg_hi:[0,1]
	v_pk_add_f32 v[14:15], v[14:15], v[22:23]
	s_nop 0
	v_mov_b32_e32 v8, v15
	v_pk_add_f32 v[22:23], v[8:9], v[12:13] neg_lo:[0,1] neg_hi:[0,1]
	v_mov_b32_e32 v14, v27
	v_mov_b32_e32 v23, v22
	v_pk_add_f32 v[30:31], v[26:27], v[22:23] neg_lo:[0,1] neg_hi:[0,1]
	v_mov_b32_e32 v26, v13
	v_mov_b32_e32 v27, v22
	;; [unrolled: 1-line block ×3, first 2 shown]
	v_pk_add_f32 v[14:15], v[14:15], v[26:27] neg_lo:[0,1] neg_hi:[0,1]
	v_mov_b32_e32 v22, v25
	v_mov_b32_e32 v23, v12
	v_pk_add_f32 v[12:13], v[22:23], v[14:15] neg_lo:[0,1] neg_hi:[0,1]
	v_mov_b32_e32 v30, v28
	v_pk_add_f32 v[14:15], v[30:31], v[12:13]
	s_nop 0
	v_mov_b32_e32 v22, v15
	v_pk_add_f32 v[22:23], v[14:15], v[22:23]
	s_nop 0
	v_pk_add_f32 v[24:25], v[8:9], v[22:23]
	v_mov_b32_e32 v13, v22
	v_mov_b32_e32 v15, v24
	v_pk_add_f32 v[26:27], v[14:15], v[28:29] neg_lo:[0,1] neg_hi:[0,1]
	s_nop 0
	v_sub_f32_e32 v8, v14, v26
	v_pk_add_f32 v[12:13], v[12:13], v[26:27] neg_lo:[0,1] neg_hi:[0,1]
	v_sub_f32_e32 v8, v28, v8
	v_add_f32_e32 v8, v12, v8
	v_add_f32_e32 v8, v8, v13
	;; [unrolled: 1-line block ×3, first 2 shown]
	v_cndmask_b32_e32 v90, v8, v32, vcc
.LBB50_95:                              ;   in Loop: Header=BB50_13 Depth=1
	s_or_b64 exec, exec, s[54:55]
	v_lshlrev_b32_e32 v8, 16, v9
	v_readlane_b32 s0, v95, 2
	s_nop 1
	v_add_f32_e32 v91, s0, v8
	v_cmp_ge_f32_e32 vcc, s6, v91
	s_and_b64 s[0:1], s[4:5], vcc
	s_and_saveexec_b64 s[54:55], s[0:1]
	s_cbranch_execz .LBB50_97
; %bb.96:                               ;   in Loop: Header=BB50_13 Depth=1
	v_mul_f32_e32 v8, 0x3fb8aa3b, v91
	v_rndne_f32_e32 v12, v8
	v_sub_f32_e32 v13, v8, v12
	v_fma_f32 v8, v91, s7, -v8
	v_fmac_f32_e32 v8, 0x32a5705f, v91
	v_add_f32_e32 v8, v13, v8
	v_cvt_i32_f32_e32 v12, v12
	v_exp_f32_e32 v8, v8
	v_cmp_ngt_f32_e32 vcc, s8, v91
	v_ldexp_f32 v8, v8, v12
	s_nop 0
	v_cndmask_b32_e32 v8, 0, v8, vcc
	v_cmp_nlt_f32_e32 vcc, s9, v91
	s_nop 1
	v_cndmask_b32_e32 v32, v41, v8, vcc
	v_add_f32_e32 v8, 1.0, v32
	v_add_f32_e32 v12, -1.0, v8
	v_sub_f32_e32 v13, v12, v8
	v_add_f32_e32 v13, 1.0, v13
	v_sub_f32_e32 v12, v32, v12
	v_add_f32_e32 v14, v12, v13
	v_frexp_mant_f32_e32 v15, v8
	v_cvt_f64_f32_e32 v[12:13], v8
	v_frexp_exp_i32_f64_e32 v12, v[12:13]
	v_cmp_gt_f32_e32 vcc, s11, v15
	v_cmp_gt_f32_e64 s[52:53], s57, v32
	s_nop 0
	v_subbrev_co_u32_e32 v26, vcc, 0, v12, vcc
	v_sub_u32_e32 v12, 0, v26
	v_ldexp_f32 v8, v8, v12
	v_ldexp_f32 v12, v14, v12
	v_add_f32_e32 v14, -1.0, v8
	v_add_f32_e32 v13, 1.0, v14
	v_sub_f32_e32 v13, v8, v13
	v_add_f32_e32 v15, v12, v13
	v_add_f32_e32 v13, 1.0, v8
	v_add_f32_e32 v22, -1.0, v13
	v_sub_f32_e32 v8, v8, v22
	v_add_f32_e32 v8, v12, v8
	v_add_f32_e32 v27, v13, v8
	v_rcp_f32_e32 v28, v27
	v_sub_f32_e32 v12, v13, v27
	v_add_f32_e32 v13, v14, v15
	v_add_f32_e32 v8, v8, v12
	v_mul_f32_e32 v30, v13, v28
	v_sub_f32_e32 v12, v14, v13
	v_mul_f32_e32 v14, v27, v30
	v_fma_f32 v22, v30, v27, -v14
	v_fmac_f32_e32 v22, v30, v8
	v_add_f32_e32 v29, v15, v12
	v_add_f32_e32 v12, v14, v22
	v_sub_f32_e32 v15, v13, v12
	v_pk_add_f32 v[24:25], v[12:13], v[14:15] neg_lo:[0,1] neg_hi:[0,1]
	v_mov_b32_e32 v23, v12
	v_pk_add_f32 v[12:13], v[24:25], v[22:23] neg_lo:[0,1] neg_hi:[0,1]
	v_cmp_eq_f32_e32 vcc, s10, v32
	v_add_f32_e32 v13, v29, v13
	v_add_f32_e32 v12, v12, v13
	;; [unrolled: 1-line block ×3, first 2 shown]
	v_mul_f32_e32 v29, v28, v13
	v_mul_f32_e32 v14, v27, v29
	v_fma_f32 v22, v29, v27, -v14
	v_fmac_f32_e32 v22, v29, v8
	v_sub_f32_e32 v8, v15, v13
	v_add_f32_e32 v8, v12, v8
	v_add_f32_e32 v12, v14, v22
	v_sub_f32_e32 v15, v13, v12
	v_pk_add_f32 v[24:25], v[12:13], v[14:15] neg_lo:[0,1] neg_hi:[0,1]
	v_mov_b32_e32 v23, v12
	v_pk_add_f32 v[12:13], v[24:25], v[22:23] neg_lo:[0,1] neg_hi:[0,1]
	s_or_b64 vcc, s[52:53], vcc
	v_add_f32_e32 v8, v8, v13
	v_add_f32_e32 v8, v12, v8
	;; [unrolled: 1-line block ×4, first 2 shown]
	v_sub_f32_e32 v12, v13, v30
	v_mul_f32_e32 v8, v28, v8
	v_sub_f32_e32 v12, v29, v12
	v_add_f32_e32 v8, v12, v8
	v_add_f32_e32 v14, v13, v8
	v_mul_f32_e32 v22, v14, v14
	v_fmamk_f32 v12, v22, 0x3e9b6dac, v40
	v_fmaak_f32 v43, v22, v12, 0x3f2aaada
	v_cvt_f32_i32_e32 v12, v26
	v_sub_f32_e32 v13, v14, v13
	v_sub_f32_e32 v8, v8, v13
	v_mul_f32_e32 v13, v14, v22
	v_pk_mul_f32 v[22:23], v[12:13], v[42:43]
	v_ldexp_f32 v15, v14, 1
	v_fma_f32 v14, v12, s56, -v22
	v_fmac_f32_e32 v14, 0xb102e308, v12
	v_pk_add_f32 v[12:13], v[22:23], v[14:15]
	v_ldexp_f32 v8, v8, 1
	v_sub_f32_e32 v15, v13, v15
	v_sub_f32_e32 v15, v23, v15
	v_add_f32_e32 v25, v8, v15
	v_mov_b32_e32 v24, v22
	v_pk_add_f32 v[22:23], v[12:13], v[22:23] neg_lo:[0,1] neg_hi:[0,1]
	v_pk_add_f32 v[26:27], v[12:13], v[24:25]
	v_mov_b32_e32 v15, v12
	v_mov_b32_e32 v23, v27
	v_pk_add_f32 v[28:29], v[14:15], v[22:23] neg_lo:[0,1] neg_hi:[0,1]
	v_pk_add_f32 v[14:15], v[14:15], v[22:23]
	s_nop 0
	v_mov_b32_e32 v8, v15
	v_pk_add_f32 v[22:23], v[8:9], v[12:13] neg_lo:[0,1] neg_hi:[0,1]
	v_mov_b32_e32 v14, v27
	v_mov_b32_e32 v23, v22
	v_pk_add_f32 v[30:31], v[26:27], v[22:23] neg_lo:[0,1] neg_hi:[0,1]
	v_mov_b32_e32 v26, v13
	v_mov_b32_e32 v27, v22
	;; [unrolled: 1-line block ×3, first 2 shown]
	v_pk_add_f32 v[14:15], v[14:15], v[26:27] neg_lo:[0,1] neg_hi:[0,1]
	v_mov_b32_e32 v22, v25
	v_mov_b32_e32 v23, v12
	v_pk_add_f32 v[12:13], v[22:23], v[14:15] neg_lo:[0,1] neg_hi:[0,1]
	v_mov_b32_e32 v30, v28
	v_pk_add_f32 v[14:15], v[30:31], v[12:13]
	s_nop 0
	v_mov_b32_e32 v22, v15
	v_pk_add_f32 v[22:23], v[14:15], v[22:23]
	s_nop 0
	v_pk_add_f32 v[24:25], v[8:9], v[22:23]
	v_mov_b32_e32 v13, v22
	v_mov_b32_e32 v15, v24
	v_pk_add_f32 v[26:27], v[14:15], v[28:29] neg_lo:[0,1] neg_hi:[0,1]
	s_nop 0
	v_sub_f32_e32 v8, v14, v26
	v_pk_add_f32 v[12:13], v[12:13], v[26:27] neg_lo:[0,1] neg_hi:[0,1]
	v_sub_f32_e32 v8, v28, v8
	v_add_f32_e32 v8, v12, v8
	v_add_f32_e32 v8, v8, v13
	;; [unrolled: 1-line block ×3, first 2 shown]
	v_cndmask_b32_e32 v91, v8, v32, vcc
.LBB50_97:                              ;   in Loop: Header=BB50_13 Depth=1
	s_or_b64 exec, exec, s[54:55]
	v_and_b32_e32 v8, 0xffff0000, v9
	v_readlane_b32 s0, v95, 2
	s_nop 1
	v_add_f32_e32 v92, s0, v8
	v_cmp_ge_f32_e32 vcc, s6, v92
	s_and_b64 s[0:1], s[4:5], vcc
	s_and_saveexec_b64 s[54:55], s[0:1]
	s_cbranch_execz .LBB50_99
; %bb.98:                               ;   in Loop: Header=BB50_13 Depth=1
	v_mul_f32_e32 v8, 0x3fb8aa3b, v92
	v_rndne_f32_e32 v9, v8
	v_sub_f32_e32 v12, v8, v9
	v_fma_f32 v8, v92, s7, -v8
	v_fmac_f32_e32 v8, 0x32a5705f, v92
	v_add_f32_e32 v8, v12, v8
	v_cvt_i32_f32_e32 v9, v9
	v_exp_f32_e32 v8, v8
	v_cmp_ngt_f32_e32 vcc, s8, v92
	v_ldexp_f32 v8, v8, v9
	s_nop 0
	v_cndmask_b32_e32 v8, 0, v8, vcc
	v_cmp_nlt_f32_e32 vcc, s9, v92
	s_nop 1
	v_cndmask_b32_e32 v32, v41, v8, vcc
	v_add_f32_e32 v12, 1.0, v32
	v_add_f32_e32 v8, -1.0, v12
	v_sub_f32_e32 v9, v8, v12
	v_add_f32_e32 v9, 1.0, v9
	v_sub_f32_e32 v8, v32, v8
	v_add_f32_e32 v13, v8, v9
	v_frexp_mant_f32_e32 v14, v12
	v_cvt_f64_f32_e32 v[8:9], v12
	v_frexp_exp_i32_f64_e32 v8, v[8:9]
	v_cmp_gt_f32_e32 vcc, s11, v14
	v_cmp_gt_f32_e64 s[52:53], s57, v32
	s_nop 0
	v_subbrev_co_u32_e32 v24, vcc, 0, v8, vcc
	v_sub_u32_e32 v8, 0, v24
	v_ldexp_f32 v9, v12, v8
	v_add_f32_e32 v12, -1.0, v9
	v_add_f32_e32 v14, 1.0, v9
	v_ldexp_f32 v8, v13, v8
	v_add_f32_e32 v13, 1.0, v12
	v_add_f32_e32 v15, -1.0, v14
	v_sub_f32_e32 v13, v9, v13
	v_sub_f32_e32 v9, v9, v15
	v_add_f32_e32 v13, v8, v13
	v_add_f32_e32 v8, v8, v9
	;; [unrolled: 1-line block ×3, first 2 shown]
	v_rcp_f32_e32 v27, v25
	v_sub_f32_e32 v9, v14, v25
	v_add_f32_e32 v26, v8, v9
	v_add_f32_e32 v9, v12, v13
	v_mul_f32_e32 v29, v9, v27
	v_sub_f32_e32 v8, v12, v9
	v_mul_f32_e32 v12, v25, v29
	v_fma_f32 v14, v29, v25, -v12
	v_fmac_f32_e32 v14, v29, v26
	v_add_f32_e32 v28, v13, v8
	v_add_f32_e32 v8, v12, v14
	v_sub_f32_e32 v13, v9, v8
	v_pk_add_f32 v[22:23], v[8:9], v[12:13] neg_lo:[0,1] neg_hi:[0,1]
	v_mov_b32_e32 v15, v8
	v_pk_add_f32 v[8:9], v[22:23], v[14:15] neg_lo:[0,1] neg_hi:[0,1]
	v_cmp_eq_f32_e32 vcc, s10, v32
	v_add_f32_e32 v9, v28, v9
	v_add_f32_e32 v8, v8, v9
	;; [unrolled: 1-line block ×3, first 2 shown]
	v_mul_f32_e32 v28, v27, v9
	v_mul_f32_e32 v12, v25, v28
	v_fma_f32 v14, v28, v25, -v12
	v_fmac_f32_e32 v14, v28, v26
	v_sub_f32_e32 v13, v13, v9
	v_add_f32_e32 v25, v8, v13
	v_add_f32_e32 v8, v12, v14
	v_sub_f32_e32 v13, v9, v8
	v_pk_add_f32 v[22:23], v[8:9], v[12:13] neg_lo:[0,1] neg_hi:[0,1]
	v_mov_b32_e32 v15, v8
	v_pk_add_f32 v[8:9], v[22:23], v[14:15] neg_lo:[0,1] neg_hi:[0,1]
	s_or_b64 vcc, s[52:53], vcc
	v_add_f32_e32 v9, v25, v9
	v_add_f32_e32 v8, v8, v9
	;; [unrolled: 1-line block ×4, first 2 shown]
	v_sub_f32_e32 v12, v9, v29
	v_mul_f32_e32 v8, v27, v8
	v_sub_f32_e32 v12, v28, v12
	v_add_f32_e32 v12, v12, v8
	v_add_f32_e32 v14, v9, v12
	v_mul_f32_e32 v15, v14, v14
	v_fmamk_f32 v8, v15, 0x3e9b6dac, v40
	v_fmaak_f32 v43, v15, v8, 0x3f2aaada
	v_cvt_f32_i32_e32 v8, v24
	v_sub_f32_e32 v9, v14, v9
	v_sub_f32_e32 v9, v12, v9
	v_ldexp_f32 v22, v9, 1
	v_mul_f32_e32 v9, v14, v15
	v_ldexp_f32 v13, v14, 1
	v_pk_mul_f32 v[14:15], v[8:9], v[42:43]
	s_nop 0
	v_fma_f32 v12, v8, s56, -v14
	v_fmac_f32_e32 v12, 0xb102e308, v8
	v_pk_add_f32 v[8:9], v[14:15], v[12:13]
	s_nop 0
	v_sub_f32_e32 v13, v9, v13
	v_sub_f32_e32 v13, v15, v13
	v_add_f32_e32 v23, v22, v13
	v_mov_b32_e32 v22, v14
	v_pk_add_f32 v[14:15], v[8:9], v[14:15] neg_lo:[0,1] neg_hi:[0,1]
	v_pk_add_f32 v[24:25], v[8:9], v[22:23]
	v_mov_b32_e32 v13, v8
	v_mov_b32_e32 v15, v25
	v_pk_add_f32 v[26:27], v[12:13], v[14:15] neg_lo:[0,1] neg_hi:[0,1]
	v_pk_add_f32 v[12:13], v[12:13], v[14:15]
	v_mov_b32_e32 v22, v23
	v_mov_b32_e32 v14, v13
	v_pk_add_f32 v[28:29], v[14:15], v[8:9] neg_lo:[0,1] neg_hi:[0,1]
	v_mov_b32_e32 v12, v25
	v_mov_b32_e32 v15, v28
	v_pk_add_f32 v[30:31], v[24:25], v[14:15] neg_lo:[0,1] neg_hi:[0,1]
	v_mov_b32_e32 v24, v9
	v_mov_b32_e32 v25, v28
	;; [unrolled: 1-line block ×3, first 2 shown]
	v_pk_add_f32 v[12:13], v[12:13], v[24:25] neg_lo:[0,1] neg_hi:[0,1]
	v_mov_b32_e32 v23, v8
	v_pk_add_f32 v[8:9], v[22:23], v[12:13] neg_lo:[0,1] neg_hi:[0,1]
	v_mov_b32_e32 v30, v26
	v_pk_add_f32 v[12:13], v[30:31], v[8:9]
	s_nop 0
	v_mov_b32_e32 v22, v13
	v_pk_add_f32 v[22:23], v[12:13], v[22:23]
	s_nop 0
	v_pk_add_f32 v[14:15], v[14:15], v[22:23]
	v_mov_b32_e32 v9, v22
	v_mov_b32_e32 v13, v14
	v_pk_add_f32 v[24:25], v[12:13], v[26:27] neg_lo:[0,1] neg_hi:[0,1]
	s_nop 0
	v_sub_f32_e32 v12, v12, v24
	v_pk_add_f32 v[8:9], v[8:9], v[24:25] neg_lo:[0,1] neg_hi:[0,1]
	v_sub_f32_e32 v12, v26, v12
	v_add_f32_e32 v8, v8, v12
	v_add_f32_e32 v8, v8, v9
	;; [unrolled: 1-line block ×3, first 2 shown]
	v_cndmask_b32_e32 v92, v8, v32, vcc
.LBB50_99:                              ;   in Loop: Header=BB50_13 Depth=1
	s_or_b64 exec, exec, s[54:55]
	v_lshlrev_b32_e32 v8, 16, v10
	v_readlane_b32 s0, v95, 2
	s_nop 1
	v_add_f32_e32 v93, s0, v8
	v_cmp_ge_f32_e32 vcc, s6, v93
	s_and_b64 s[0:1], s[4:5], vcc
	s_and_saveexec_b64 s[54:55], s[0:1]
	s_cbranch_execz .LBB50_101
; %bb.100:                              ;   in Loop: Header=BB50_13 Depth=1
	v_mul_f32_e32 v8, 0x3fb8aa3b, v93
	v_rndne_f32_e32 v9, v8
	v_sub_f32_e32 v12, v8, v9
	v_fma_f32 v8, v93, s7, -v8
	v_fmac_f32_e32 v8, 0x32a5705f, v93
	v_add_f32_e32 v8, v12, v8
	v_cvt_i32_f32_e32 v9, v9
	v_exp_f32_e32 v8, v8
	v_cmp_ngt_f32_e32 vcc, s8, v93
	v_ldexp_f32 v8, v8, v9
	s_nop 0
	v_cndmask_b32_e32 v8, 0, v8, vcc
	v_cmp_nlt_f32_e32 vcc, s9, v93
	s_nop 1
	v_cndmask_b32_e32 v32, v41, v8, vcc
	v_add_f32_e32 v12, 1.0, v32
	v_add_f32_e32 v8, -1.0, v12
	v_sub_f32_e32 v9, v8, v12
	v_add_f32_e32 v9, 1.0, v9
	v_sub_f32_e32 v8, v32, v8
	v_add_f32_e32 v13, v8, v9
	v_frexp_mant_f32_e32 v14, v12
	v_cvt_f64_f32_e32 v[8:9], v12
	v_frexp_exp_i32_f64_e32 v8, v[8:9]
	v_cmp_gt_f32_e32 vcc, s11, v14
	v_cmp_gt_f32_e64 s[52:53], s57, v32
	s_nop 0
	v_subbrev_co_u32_e32 v24, vcc, 0, v8, vcc
	v_sub_u32_e32 v8, 0, v24
	v_ldexp_f32 v9, v12, v8
	v_add_f32_e32 v12, -1.0, v9
	v_add_f32_e32 v14, 1.0, v9
	v_ldexp_f32 v8, v13, v8
	v_add_f32_e32 v13, 1.0, v12
	v_add_f32_e32 v15, -1.0, v14
	v_sub_f32_e32 v13, v9, v13
	v_sub_f32_e32 v9, v9, v15
	v_add_f32_e32 v13, v8, v13
	v_add_f32_e32 v8, v8, v9
	;; [unrolled: 1-line block ×3, first 2 shown]
	v_rcp_f32_e32 v27, v25
	v_sub_f32_e32 v9, v14, v25
	v_add_f32_e32 v26, v8, v9
	v_add_f32_e32 v9, v12, v13
	v_mul_f32_e32 v29, v9, v27
	v_sub_f32_e32 v8, v12, v9
	v_mul_f32_e32 v12, v25, v29
	v_fma_f32 v14, v29, v25, -v12
	v_fmac_f32_e32 v14, v29, v26
	v_add_f32_e32 v28, v13, v8
	v_add_f32_e32 v8, v12, v14
	v_sub_f32_e32 v13, v9, v8
	v_pk_add_f32 v[22:23], v[8:9], v[12:13] neg_lo:[0,1] neg_hi:[0,1]
	v_mov_b32_e32 v15, v8
	v_pk_add_f32 v[8:9], v[22:23], v[14:15] neg_lo:[0,1] neg_hi:[0,1]
	v_cmp_eq_f32_e32 vcc, s10, v32
	v_add_f32_e32 v9, v28, v9
	v_add_f32_e32 v8, v8, v9
	;; [unrolled: 1-line block ×3, first 2 shown]
	v_mul_f32_e32 v28, v27, v9
	v_mul_f32_e32 v12, v25, v28
	v_fma_f32 v14, v28, v25, -v12
	v_fmac_f32_e32 v14, v28, v26
	v_sub_f32_e32 v13, v13, v9
	v_add_f32_e32 v25, v8, v13
	v_add_f32_e32 v8, v12, v14
	v_sub_f32_e32 v13, v9, v8
	v_pk_add_f32 v[22:23], v[8:9], v[12:13] neg_lo:[0,1] neg_hi:[0,1]
	v_mov_b32_e32 v15, v8
	v_pk_add_f32 v[8:9], v[22:23], v[14:15] neg_lo:[0,1] neg_hi:[0,1]
	s_or_b64 vcc, s[52:53], vcc
	v_add_f32_e32 v9, v25, v9
	v_add_f32_e32 v8, v8, v9
	v_add_f32_e32 v9, v29, v28
	v_add_f32_e32 v8, v13, v8
	v_sub_f32_e32 v12, v9, v29
	v_mul_f32_e32 v8, v27, v8
	v_sub_f32_e32 v12, v28, v12
	v_add_f32_e32 v12, v12, v8
	v_add_f32_e32 v14, v9, v12
	v_mul_f32_e32 v15, v14, v14
	v_fmamk_f32 v8, v15, 0x3e9b6dac, v40
	v_fmaak_f32 v43, v15, v8, 0x3f2aaada
	v_cvt_f32_i32_e32 v8, v24
	v_sub_f32_e32 v9, v14, v9
	v_sub_f32_e32 v9, v12, v9
	v_ldexp_f32 v22, v9, 1
	v_mul_f32_e32 v9, v14, v15
	v_ldexp_f32 v13, v14, 1
	v_pk_mul_f32 v[14:15], v[8:9], v[42:43]
	s_nop 0
	v_fma_f32 v12, v8, s56, -v14
	v_fmac_f32_e32 v12, 0xb102e308, v8
	v_pk_add_f32 v[8:9], v[14:15], v[12:13]
	s_nop 0
	v_sub_f32_e32 v13, v9, v13
	v_sub_f32_e32 v13, v15, v13
	v_add_f32_e32 v23, v22, v13
	v_mov_b32_e32 v22, v14
	v_pk_add_f32 v[14:15], v[8:9], v[14:15] neg_lo:[0,1] neg_hi:[0,1]
	v_pk_add_f32 v[24:25], v[8:9], v[22:23]
	v_mov_b32_e32 v13, v8
	v_mov_b32_e32 v15, v25
	v_pk_add_f32 v[26:27], v[12:13], v[14:15] neg_lo:[0,1] neg_hi:[0,1]
	v_pk_add_f32 v[12:13], v[12:13], v[14:15]
	v_mov_b32_e32 v22, v23
	v_mov_b32_e32 v14, v13
	v_pk_add_f32 v[28:29], v[14:15], v[8:9] neg_lo:[0,1] neg_hi:[0,1]
	v_mov_b32_e32 v12, v25
	v_mov_b32_e32 v15, v28
	v_pk_add_f32 v[30:31], v[24:25], v[14:15] neg_lo:[0,1] neg_hi:[0,1]
	v_mov_b32_e32 v24, v9
	v_mov_b32_e32 v25, v28
	;; [unrolled: 1-line block ×3, first 2 shown]
	v_pk_add_f32 v[12:13], v[12:13], v[24:25] neg_lo:[0,1] neg_hi:[0,1]
	v_mov_b32_e32 v23, v8
	v_pk_add_f32 v[8:9], v[22:23], v[12:13] neg_lo:[0,1] neg_hi:[0,1]
	v_mov_b32_e32 v30, v26
	v_pk_add_f32 v[12:13], v[30:31], v[8:9]
	s_nop 0
	v_mov_b32_e32 v22, v13
	v_pk_add_f32 v[22:23], v[12:13], v[22:23]
	s_nop 0
	v_pk_add_f32 v[14:15], v[14:15], v[22:23]
	v_mov_b32_e32 v9, v22
	v_mov_b32_e32 v13, v14
	v_pk_add_f32 v[24:25], v[12:13], v[26:27] neg_lo:[0,1] neg_hi:[0,1]
	s_nop 0
	v_sub_f32_e32 v12, v12, v24
	v_pk_add_f32 v[8:9], v[8:9], v[24:25] neg_lo:[0,1] neg_hi:[0,1]
	v_sub_f32_e32 v12, v26, v12
	v_add_f32_e32 v8, v8, v12
	v_add_f32_e32 v8, v8, v9
	;; [unrolled: 1-line block ×3, first 2 shown]
	v_cndmask_b32_e32 v93, v8, v32, vcc
.LBB50_101:                             ;   in Loop: Header=BB50_13 Depth=1
	s_or_b64 exec, exec, s[54:55]
	v_and_b32_e32 v8, 0xffff0000, v10
	v_readlane_b32 s0, v95, 2
	s_nop 1
	v_add_f32_e32 v94, s0, v8
	v_cmp_ge_f32_e32 vcc, s6, v94
	s_and_b64 s[0:1], s[4:5], vcc
	s_and_saveexec_b64 s[54:55], s[0:1]
	s_cbranch_execz .LBB50_103
; %bb.102:                              ;   in Loop: Header=BB50_13 Depth=1
	v_mul_f32_e32 v8, 0x3fb8aa3b, v94
	v_rndne_f32_e32 v9, v8
	v_sub_f32_e32 v10, v8, v9
	v_fma_f32 v8, v94, s7, -v8
	v_fmac_f32_e32 v8, 0x32a5705f, v94
	v_add_f32_e32 v8, v10, v8
	v_cvt_i32_f32_e32 v9, v9
	v_exp_f32_e32 v8, v8
	v_cmp_ngt_f32_e32 vcc, s8, v94
	v_ldexp_f32 v8, v8, v9
	s_nop 0
	v_cndmask_b32_e32 v8, 0, v8, vcc
	v_cmp_nlt_f32_e32 vcc, s9, v94
	s_nop 1
	v_cndmask_b32_e32 v30, v41, v8, vcc
	v_add_f32_e32 v10, 1.0, v30
	v_add_f32_e32 v8, -1.0, v10
	v_sub_f32_e32 v9, v8, v10
	v_add_f32_e32 v9, 1.0, v9
	v_sub_f32_e32 v8, v30, v8
	v_add_f32_e32 v12, v8, v9
	v_frexp_mant_f32_e32 v13, v10
	v_cvt_f64_f32_e32 v[8:9], v10
	v_frexp_exp_i32_f64_e32 v8, v[8:9]
	v_cmp_gt_f32_e32 vcc, s11, v13
	v_cmp_gt_f32_e64 s[52:53], s57, v30
	s_nop 0
	v_subbrev_co_u32_e32 v24, vcc, 0, v8, vcc
	v_sub_u32_e32 v8, 0, v24
	v_ldexp_f32 v9, v10, v8
	v_add_f32_e32 v10, -1.0, v9
	v_add_f32_e32 v13, 1.0, v9
	v_ldexp_f32 v8, v12, v8
	v_add_f32_e32 v12, 1.0, v10
	v_add_f32_e32 v14, -1.0, v13
	v_sub_f32_e32 v12, v9, v12
	v_sub_f32_e32 v9, v9, v14
	v_add_f32_e32 v12, v8, v12
	v_add_f32_e32 v8, v8, v9
	;; [unrolled: 1-line block ×3, first 2 shown]
	v_rcp_f32_e32 v27, v25
	v_sub_f32_e32 v9, v13, v25
	v_add_f32_e32 v26, v8, v9
	v_add_f32_e32 v9, v10, v12
	v_sub_f32_e32 v8, v10, v9
	v_mul_f32_e32 v28, v9, v27
	v_add_f32_e32 v10, v12, v8
	v_mul_f32_e32 v12, v25, v28
	v_fma_f32 v14, v28, v25, -v12
	v_fmac_f32_e32 v14, v28, v26
	v_add_f32_e32 v8, v12, v14
	v_sub_f32_e32 v13, v9, v8
	v_pk_add_f32 v[22:23], v[8:9], v[12:13] neg_lo:[0,1] neg_hi:[0,1]
	v_mov_b32_e32 v15, v8
	v_pk_add_f32 v[8:9], v[22:23], v[14:15] neg_lo:[0,1] neg_hi:[0,1]
	v_cmp_eq_f32_e32 vcc, s10, v30
	v_add_f32_e32 v9, v10, v9
	v_add_f32_e32 v8, v8, v9
	;; [unrolled: 1-line block ×3, first 2 shown]
	v_mul_f32_e32 v10, v27, v9
	v_mul_f32_e32 v12, v25, v10
	v_fma_f32 v14, v10, v25, -v12
	v_fmac_f32_e32 v14, v10, v26
	v_sub_f32_e32 v13, v13, v9
	v_add_f32_e32 v25, v8, v13
	v_add_f32_e32 v8, v12, v14
	v_sub_f32_e32 v13, v9, v8
	v_pk_add_f32 v[22:23], v[8:9], v[12:13] neg_lo:[0,1] neg_hi:[0,1]
	v_mov_b32_e32 v15, v8
	v_pk_add_f32 v[8:9], v[22:23], v[14:15] neg_lo:[0,1] neg_hi:[0,1]
	s_or_b64 vcc, s[52:53], vcc
	v_add_f32_e32 v9, v25, v9
	v_add_f32_e32 v8, v8, v9
	;; [unrolled: 1-line block ×4, first 2 shown]
	v_sub_f32_e32 v12, v9, v28
	v_mul_f32_e32 v8, v27, v8
	v_sub_f32_e32 v10, v10, v12
	v_add_f32_e32 v10, v10, v8
	v_add_f32_e32 v12, v9, v10
	v_mul_f32_e32 v14, v12, v12
	v_fmamk_f32 v8, v14, 0x3e9b6dac, v40
	v_fmaak_f32 v43, v14, v8, 0x3f2aaada
	v_cvt_f32_i32_e32 v8, v24
	v_sub_f32_e32 v9, v12, v9
	v_sub_f32_e32 v9, v10, v9
	v_ldexp_f32 v10, v9, 1
	v_mul_f32_e32 v9, v12, v14
	v_pk_mul_f32 v[14:15], v[8:9], v[42:43]
	v_ldexp_f32 v13, v12, 1
	v_fma_f32 v12, v8, s56, -v14
	v_fmac_f32_e32 v12, 0xb102e308, v8
	v_pk_add_f32 v[8:9], v[14:15], v[12:13]
	v_mov_b32_e32 v22, v14
	v_sub_f32_e32 v13, v9, v13
	v_sub_f32_e32 v13, v15, v13
	v_add_f32_e32 v23, v10, v13
	v_pk_add_f32 v[14:15], v[8:9], v[14:15] neg_lo:[0,1] neg_hi:[0,1]
	v_pk_add_f32 v[24:25], v[8:9], v[22:23]
	v_mov_b32_e32 v13, v8
	v_mov_b32_e32 v15, v25
	v_pk_add_f32 v[26:27], v[12:13], v[14:15] neg_lo:[0,1] neg_hi:[0,1]
	v_pk_add_f32 v[12:13], v[12:13], v[14:15]
	s_nop 0
	v_mov_b32_e32 v10, v13
	v_pk_add_f32 v[14:15], v[10:11], v[8:9] neg_lo:[0,1] neg_hi:[0,1]
	v_mov_b32_e32 v12, v25
	v_mov_b32_e32 v15, v14
	v_pk_add_f32 v[28:29], v[24:25], v[14:15] neg_lo:[0,1] neg_hi:[0,1]
	v_mov_b32_e32 v24, v9
	v_mov_b32_e32 v25, v14
	v_mov_b32_e32 v27, v13
	v_pk_add_f32 v[12:13], v[12:13], v[24:25] neg_lo:[0,1] neg_hi:[0,1]
	v_mov_b32_e32 v14, v23
	v_mov_b32_e32 v15, v8
	v_pk_add_f32 v[8:9], v[14:15], v[12:13] neg_lo:[0,1] neg_hi:[0,1]
	v_mov_b32_e32 v28, v26
	v_pk_add_f32 v[12:13], v[28:29], v[8:9]
	s_nop 0
	v_mov_b32_e32 v14, v13
	v_pk_add_f32 v[14:15], v[12:13], v[14:15]
	s_nop 0
	v_pk_add_f32 v[22:23], v[10:11], v[14:15]
	v_mov_b32_e32 v9, v14
	v_mov_b32_e32 v13, v22
	v_pk_add_f32 v[24:25], v[12:13], v[26:27] neg_lo:[0,1] neg_hi:[0,1]
	s_nop 0
	v_sub_f32_e32 v10, v12, v24
	v_pk_add_f32 v[8:9], v[8:9], v[24:25] neg_lo:[0,1] neg_hi:[0,1]
	v_sub_f32_e32 v10, v26, v10
	v_add_f32_e32 v8, v8, v10
	v_add_f32_e32 v8, v8, v9
	v_add_f32_e32 v8, v22, v8
	v_cndmask_b32_e32 v94, v8, v30, vcc
.LBB50_103:                             ;   in Loop: Header=BB50_13 Depth=1
	s_or_b64 exec, exec, s[54:55]
	v_lshlrev_b32_e32 v8, 16, v11
	v_readlane_b32 s0, v95, 2
	s_nop 1
	v_add_f32_e32 v56, s0, v8
	v_cmp_ge_f32_e32 vcc, s6, v56
	s_and_b64 s[0:1], s[4:5], vcc
	s_and_saveexec_b64 s[54:55], s[0:1]
	s_cbranch_execz .LBB50_105
; %bb.104:                              ;   in Loop: Header=BB50_13 Depth=1
	v_mul_f32_e32 v8, 0x3fb8aa3b, v56
	v_rndne_f32_e32 v9, v8
	v_sub_f32_e32 v10, v8, v9
	v_fma_f32 v8, v56, s7, -v8
	v_fmac_f32_e32 v8, 0x32a5705f, v56
	v_add_f32_e32 v8, v10, v8
	v_cvt_i32_f32_e32 v9, v9
	v_exp_f32_e32 v8, v8
	v_cmp_ngt_f32_e32 vcc, s8, v56
	v_ldexp_f32 v8, v8, v9
	s_nop 0
	v_cndmask_b32_e32 v8, 0, v8, vcc
	v_cmp_nlt_f32_e32 vcc, s9, v56
	s_nop 1
	v_cndmask_b32_e32 v30, v41, v8, vcc
	v_add_f32_e32 v10, 1.0, v30
	v_add_f32_e32 v8, -1.0, v10
	v_sub_f32_e32 v9, v8, v10
	v_add_f32_e32 v9, 1.0, v9
	v_sub_f32_e32 v8, v30, v8
	v_add_f32_e32 v12, v8, v9
	v_frexp_mant_f32_e32 v13, v10
	v_cvt_f64_f32_e32 v[8:9], v10
	v_frexp_exp_i32_f64_e32 v8, v[8:9]
	v_cmp_gt_f32_e32 vcc, s11, v13
	v_cmp_gt_f32_e64 s[52:53], s57, v30
	s_nop 0
	v_subbrev_co_u32_e32 v24, vcc, 0, v8, vcc
	v_sub_u32_e32 v8, 0, v24
	v_ldexp_f32 v9, v10, v8
	v_add_f32_e32 v10, -1.0, v9
	v_add_f32_e32 v13, 1.0, v9
	v_ldexp_f32 v8, v12, v8
	v_add_f32_e32 v12, 1.0, v10
	v_add_f32_e32 v14, -1.0, v13
	v_sub_f32_e32 v12, v9, v12
	v_sub_f32_e32 v9, v9, v14
	v_add_f32_e32 v12, v8, v12
	v_add_f32_e32 v8, v8, v9
	v_add_f32_e32 v25, v13, v8
	v_rcp_f32_e32 v27, v25
	v_sub_f32_e32 v9, v13, v25
	v_add_f32_e32 v26, v8, v9
	v_add_f32_e32 v9, v10, v12
	v_sub_f32_e32 v8, v10, v9
	v_mul_f32_e32 v28, v9, v27
	v_add_f32_e32 v10, v12, v8
	v_mul_f32_e32 v12, v25, v28
	v_fma_f32 v14, v28, v25, -v12
	v_fmac_f32_e32 v14, v28, v26
	v_add_f32_e32 v8, v12, v14
	v_sub_f32_e32 v13, v9, v8
	v_pk_add_f32 v[22:23], v[8:9], v[12:13] neg_lo:[0,1] neg_hi:[0,1]
	v_mov_b32_e32 v15, v8
	v_pk_add_f32 v[8:9], v[22:23], v[14:15] neg_lo:[0,1] neg_hi:[0,1]
	v_cmp_eq_f32_e32 vcc, s10, v30
	v_add_f32_e32 v9, v10, v9
	v_add_f32_e32 v8, v8, v9
	;; [unrolled: 1-line block ×3, first 2 shown]
	v_mul_f32_e32 v10, v27, v9
	v_mul_f32_e32 v12, v25, v10
	v_fma_f32 v14, v10, v25, -v12
	v_fmac_f32_e32 v14, v10, v26
	v_sub_f32_e32 v13, v13, v9
	v_add_f32_e32 v25, v8, v13
	v_add_f32_e32 v8, v12, v14
	v_sub_f32_e32 v13, v9, v8
	v_pk_add_f32 v[22:23], v[8:9], v[12:13] neg_lo:[0,1] neg_hi:[0,1]
	v_mov_b32_e32 v15, v8
	v_pk_add_f32 v[8:9], v[22:23], v[14:15] neg_lo:[0,1] neg_hi:[0,1]
	s_or_b64 vcc, s[52:53], vcc
	v_add_f32_e32 v9, v25, v9
	v_add_f32_e32 v8, v8, v9
	;; [unrolled: 1-line block ×4, first 2 shown]
	v_sub_f32_e32 v12, v9, v28
	v_mul_f32_e32 v8, v27, v8
	v_sub_f32_e32 v10, v10, v12
	v_add_f32_e32 v10, v10, v8
	v_add_f32_e32 v12, v9, v10
	v_mul_f32_e32 v14, v12, v12
	v_fmamk_f32 v8, v14, 0x3e9b6dac, v40
	v_fmaak_f32 v43, v14, v8, 0x3f2aaada
	v_cvt_f32_i32_e32 v8, v24
	v_sub_f32_e32 v9, v12, v9
	v_sub_f32_e32 v9, v10, v9
	v_ldexp_f32 v10, v9, 1
	v_mul_f32_e32 v9, v12, v14
	v_pk_mul_f32 v[14:15], v[8:9], v[42:43]
	v_ldexp_f32 v13, v12, 1
	v_fma_f32 v12, v8, s56, -v14
	v_fmac_f32_e32 v12, 0xb102e308, v8
	v_pk_add_f32 v[8:9], v[14:15], v[12:13]
	v_mov_b32_e32 v22, v14
	v_sub_f32_e32 v13, v9, v13
	v_sub_f32_e32 v13, v15, v13
	v_add_f32_e32 v23, v10, v13
	v_pk_add_f32 v[14:15], v[8:9], v[14:15] neg_lo:[0,1] neg_hi:[0,1]
	v_pk_add_f32 v[24:25], v[8:9], v[22:23]
	v_mov_b32_e32 v13, v8
	v_mov_b32_e32 v15, v25
	v_pk_add_f32 v[26:27], v[12:13], v[14:15] neg_lo:[0,1] neg_hi:[0,1]
	v_pk_add_f32 v[12:13], v[12:13], v[14:15]
	s_nop 0
	v_mov_b32_e32 v10, v13
	v_pk_add_f32 v[14:15], v[10:11], v[8:9] neg_lo:[0,1] neg_hi:[0,1]
	v_mov_b32_e32 v12, v25
	v_mov_b32_e32 v15, v14
	v_pk_add_f32 v[28:29], v[24:25], v[14:15] neg_lo:[0,1] neg_hi:[0,1]
	v_mov_b32_e32 v24, v9
	v_mov_b32_e32 v25, v14
	;; [unrolled: 1-line block ×3, first 2 shown]
	v_pk_add_f32 v[12:13], v[12:13], v[24:25] neg_lo:[0,1] neg_hi:[0,1]
	v_mov_b32_e32 v14, v23
	v_mov_b32_e32 v15, v8
	v_pk_add_f32 v[8:9], v[14:15], v[12:13] neg_lo:[0,1] neg_hi:[0,1]
	v_mov_b32_e32 v28, v26
	v_pk_add_f32 v[12:13], v[28:29], v[8:9]
	s_nop 0
	v_mov_b32_e32 v14, v13
	v_pk_add_f32 v[14:15], v[12:13], v[14:15]
	s_nop 0
	v_pk_add_f32 v[22:23], v[10:11], v[14:15]
	v_mov_b32_e32 v9, v14
	v_mov_b32_e32 v13, v22
	v_pk_add_f32 v[24:25], v[12:13], v[26:27] neg_lo:[0,1] neg_hi:[0,1]
	s_nop 0
	v_sub_f32_e32 v10, v12, v24
	v_pk_add_f32 v[8:9], v[8:9], v[24:25] neg_lo:[0,1] neg_hi:[0,1]
	v_sub_f32_e32 v10, v26, v10
	v_add_f32_e32 v8, v8, v10
	v_add_f32_e32 v8, v8, v9
	;; [unrolled: 1-line block ×3, first 2 shown]
	v_cndmask_b32_e32 v56, v8, v30, vcc
.LBB50_105:                             ;   in Loop: Header=BB50_13 Depth=1
	s_or_b64 exec, exec, s[54:55]
	v_and_b32_e32 v8, 0xffff0000, v11
	v_readlane_b32 s0, v95, 2
	s_nop 1
	v_add_f32_e32 v23, s0, v8
	v_cmp_ge_f32_e32 vcc, s6, v23
	s_and_b64 s[0:1], s[4:5], vcc
	s_and_saveexec_b64 s[54:55], s[0:1]
	s_cbranch_execz .LBB50_107
; %bb.106:                              ;   in Loop: Header=BB50_13 Depth=1
	v_mul_f32_e32 v8, 0x3fb8aa3b, v23
	v_rndne_f32_e32 v9, v8
	v_sub_f32_e32 v10, v8, v9
	v_fma_f32 v8, v23, s7, -v8
	v_fmac_f32_e32 v8, 0x32a5705f, v23
	v_add_f32_e32 v8, v10, v8
	v_cvt_i32_f32_e32 v9, v9
	v_exp_f32_e32 v8, v8
	v_cmp_ngt_f32_e32 vcc, s8, v23
	v_ldexp_f32 v8, v8, v9
	s_nop 0
	v_cndmask_b32_e32 v8, 0, v8, vcc
	v_cmp_nlt_f32_e32 vcc, s9, v23
	s_nop 1
	v_cndmask_b32_e32 v30, v41, v8, vcc
	v_add_f32_e32 v10, 1.0, v30
	v_add_f32_e32 v8, -1.0, v10
	v_sub_f32_e32 v9, v8, v10
	v_add_f32_e32 v9, 1.0, v9
	v_sub_f32_e32 v8, v30, v8
	v_add_f32_e32 v11, v8, v9
	v_frexp_mant_f32_e32 v12, v10
	v_cvt_f64_f32_e32 v[8:9], v10
	v_frexp_exp_i32_f64_e32 v8, v[8:9]
	v_cmp_gt_f32_e32 vcc, s11, v12
	v_cmp_gt_f32_e64 s[52:53], s57, v30
	s_nop 0
	v_subbrev_co_u32_e32 v22, vcc, 0, v8, vcc
	v_sub_u32_e32 v8, 0, v22
	v_ldexp_f32 v9, v10, v8
	v_add_f32_e32 v10, -1.0, v9
	v_add_f32_e32 v12, 1.0, v9
	v_ldexp_f32 v8, v11, v8
	v_add_f32_e32 v11, 1.0, v10
	v_add_f32_e32 v13, -1.0, v12
	v_sub_f32_e32 v11, v9, v11
	v_sub_f32_e32 v9, v9, v13
	v_add_f32_e32 v11, v8, v11
	v_add_f32_e32 v8, v8, v9
	;; [unrolled: 1-line block ×3, first 2 shown]
	v_rcp_f32_e32 v25, v23
	v_sub_f32_e32 v9, v12, v23
	v_add_f32_e32 v24, v8, v9
	v_add_f32_e32 v9, v10, v11
	v_mul_f32_e32 v27, v9, v25
	v_sub_f32_e32 v8, v10, v9
	v_mul_f32_e32 v10, v23, v27
	v_fma_f32 v12, v27, v23, -v10
	v_fmac_f32_e32 v12, v27, v24
	v_add_f32_e32 v26, v11, v8
	v_add_f32_e32 v8, v10, v12
	v_sub_f32_e32 v11, v9, v8
	v_pk_add_f32 v[14:15], v[8:9], v[10:11] neg_lo:[0,1] neg_hi:[0,1]
	v_mov_b32_e32 v13, v8
	v_pk_add_f32 v[8:9], v[14:15], v[12:13] neg_lo:[0,1] neg_hi:[0,1]
	v_cmp_eq_f32_e32 vcc, s10, v30
	v_add_f32_e32 v9, v26, v9
	v_add_f32_e32 v8, v8, v9
	;; [unrolled: 1-line block ×3, first 2 shown]
	v_mul_f32_e32 v26, v25, v9
	v_mul_f32_e32 v10, v23, v26
	v_fma_f32 v12, v26, v23, -v10
	v_fmac_f32_e32 v12, v26, v24
	v_sub_f32_e32 v11, v11, v9
	v_add_f32_e32 v23, v8, v11
	v_add_f32_e32 v8, v10, v12
	v_sub_f32_e32 v11, v9, v8
	v_pk_add_f32 v[14:15], v[8:9], v[10:11] neg_lo:[0,1] neg_hi:[0,1]
	v_mov_b32_e32 v13, v8
	v_pk_add_f32 v[8:9], v[14:15], v[12:13] neg_lo:[0,1] neg_hi:[0,1]
	s_or_b64 vcc, s[52:53], vcc
	v_add_f32_e32 v9, v23, v9
	v_add_f32_e32 v8, v8, v9
	;; [unrolled: 1-line block ×4, first 2 shown]
	v_sub_f32_e32 v10, v9, v27
	v_mul_f32_e32 v8, v25, v8
	v_sub_f32_e32 v10, v26, v10
	v_add_f32_e32 v10, v10, v8
	v_add_f32_e32 v12, v9, v10
	v_mul_f32_e32 v13, v12, v12
	v_fmamk_f32 v8, v13, 0x3e9b6dac, v40
	v_fmaak_f32 v43, v13, v8, 0x3f2aaada
	v_cvt_f32_i32_e32 v8, v22
	v_sub_f32_e32 v9, v12, v9
	v_sub_f32_e32 v9, v10, v9
	v_ldexp_f32 v14, v9, 1
	v_mul_f32_e32 v9, v12, v13
	v_ldexp_f32 v11, v12, 1
	v_pk_mul_f32 v[12:13], v[8:9], v[42:43]
	s_nop 0
	v_fma_f32 v10, v8, s56, -v12
	v_fmac_f32_e32 v10, 0xb102e308, v8
	v_pk_add_f32 v[8:9], v[12:13], v[10:11]
	s_nop 0
	v_sub_f32_e32 v11, v9, v11
	v_sub_f32_e32 v11, v13, v11
	v_add_f32_e32 v15, v14, v11
	v_mov_b32_e32 v14, v12
	v_pk_add_f32 v[12:13], v[8:9], v[12:13] neg_lo:[0,1] neg_hi:[0,1]
	v_pk_add_f32 v[22:23], v[8:9], v[14:15]
	v_mov_b32_e32 v11, v8
	v_mov_b32_e32 v13, v23
	v_pk_add_f32 v[24:25], v[10:11], v[12:13] neg_lo:[0,1] neg_hi:[0,1]
	v_pk_add_f32 v[10:11], v[10:11], v[12:13]
	v_mov_b32_e32 v14, v15
	v_mov_b32_e32 v12, v11
	v_pk_add_f32 v[26:27], v[12:13], v[8:9] neg_lo:[0,1] neg_hi:[0,1]
	v_mov_b32_e32 v10, v23
	v_mov_b32_e32 v13, v26
	v_pk_add_f32 v[28:29], v[22:23], v[12:13] neg_lo:[0,1] neg_hi:[0,1]
	v_mov_b32_e32 v22, v9
	v_mov_b32_e32 v23, v26
	;; [unrolled: 1-line block ×3, first 2 shown]
	v_pk_add_f32 v[10:11], v[10:11], v[22:23] neg_lo:[0,1] neg_hi:[0,1]
	v_mov_b32_e32 v15, v8
	v_pk_add_f32 v[8:9], v[14:15], v[10:11] neg_lo:[0,1] neg_hi:[0,1]
	v_mov_b32_e32 v28, v24
	v_pk_add_f32 v[10:11], v[28:29], v[8:9]
	s_nop 0
	v_mov_b32_e32 v14, v11
	v_pk_add_f32 v[14:15], v[10:11], v[14:15]
	s_nop 0
	v_pk_add_f32 v[12:13], v[12:13], v[14:15]
	v_mov_b32_e32 v9, v14
	v_mov_b32_e32 v11, v12
	v_pk_add_f32 v[22:23], v[10:11], v[24:25] neg_lo:[0,1] neg_hi:[0,1]
	s_nop 0
	v_sub_f32_e32 v10, v10, v22
	v_pk_add_f32 v[8:9], v[8:9], v[22:23] neg_lo:[0,1] neg_hi:[0,1]
	v_sub_f32_e32 v10, v24, v10
	v_add_f32_e32 v8, v8, v10
	v_add_f32_e32 v8, v8, v9
	;; [unrolled: 1-line block ×3, first 2 shown]
	v_cndmask_b32_e32 v23, v8, v30, vcc
.LBB50_107:                             ;   in Loop: Header=BB50_13 Depth=1
	s_or_b64 exec, exec, s[54:55]
	v_lshlrev_b32_e32 v8, 16, v7
	v_readlane_b32 s0, v95, 3
	v_and_b32_e32 v13, 0xffff0000, v7
	v_and_b32_e32 v7, 0xffff0000, v6
	v_lshlrev_b32_e32 v6, 16, v6
	v_and_b32_e32 v9, 0xffff0000, v5
	v_lshlrev_b32_e32 v5, 16, v5
	v_and_b32_e32 v10, 0xffff0000, v4
	v_lshlrev_b32_e32 v4, 16, v4
	v_and_b32_e32 v11, 0xffff0000, v3
	v_lshlrev_b32_e32 v3, 16, v3
	v_and_b32_e32 v12, 0xffff0000, v2
	v_lshlrev_b32_e32 v2, 16, v2
	v_and_b32_e32 v14, 0xffff0000, v1
	v_lshlrev_b32_e32 v1, 16, v1
	v_and_b32_e32 v15, 0xffff0000, v0
	v_lshlrev_b32_e32 v0, 16, v0
	v_mul_f32_e32 v24, s0, v8
	v_mul_f32_e32 v27, s0, v7
	;; [unrolled: 1-line block ×16, first 2 shown]
	v_readlane_b32 s0, v95, 30
	v_readlane_b32 s1, v95, 31
	s_and_b64 vcc, exec, s[0:1]
	s_waitcnt lgkmcnt(0)
	; wave barrier
	s_cbranch_vccz .LBB50_200
; %bb.108:                              ;   in Loop: Header=BB50_13 Depth=1
	v_mul_f32_e32 v78, v19, v0
	scratch_load_dword v0, off, off offset:248 ; 4-byte Folded Reload
	v_readlane_b32 s0, v95, 7
	v_readlane_b32 s1, v95, 8
	scratch_store_dwordx2 off, v[42:43], off offset:164 ; 8-byte Folded Spill
	v_mul_f32_e32 v6, v93, v6
	v_lshl_add_u64 v[40:41], s[0:1], 0, v[16:17]
	v_readlane_b32 s0, v95, 21
	v_readlane_b32 s1, v95, 22
	v_mul_f32_e32 v5, v91, v5
	s_mov_b32 s92, 0
	v_lshl_add_u64 v[42:43], s[0:1], 0, v[16:17]
	v_readlane_b32 s1, v95, 51
	s_cmp_lg_u32 s1, 0
	v_readlane_b32 s0, v95, 44
	s_cselect_b64 s[86:87], -1, 0
	s_cmp_eq_u32 s1, s0
	v_readlane_b32 s0, v95, 33
	v_readlane_b32 s1, v95, 34
	s_cselect_b64 s[90:91], -1, 0
	v_mul_f32_e32 v13, v23, v13
	v_mul_f32_e32 v8, v56, v8
	;; [unrolled: 1-line block ×3, first 2 shown]
	scratch_store_dword off, v6, off offset:80 ; 4-byte Folded Spill
	v_mul_f32_e32 v6, v92, v9
	scratch_store_dword off, v5, off offset:88 ; 4-byte Folded Spill
	v_mul_f32_e32 v5, v90, v10
	v_mul_f32_e32 v63, v89, v4
	;; [unrolled: 1-line block ×9, first 2 shown]
	s_mov_b32 s96, s92
	s_mov_b32 s94, s92
	;; [unrolled: 1-line block ×3, first 2 shown]
	scratch_store_dword off, v13, off offset:68 ; 4-byte Folded Spill
	scratch_store_dword off, v8, off offset:72 ; 4-byte Folded Spill
	;; [unrolled: 1-line block ×5, first 2 shown]
	s_waitcnt vmcnt(8)
	v_cmp_gt_u32_e32 vcc, s82, v0
	scratch_load_dword v0, off, off offset:252 ; 4-byte Folded Reload
	s_or_b64 s[52:53], s[0:1], vcc
	s_waitcnt vmcnt(0)
	v_cmp_gt_u32_e32 vcc, s82, v0
	scratch_load_dword v0, off, off offset:256 ; 4-byte Folded Reload
	s_or_b64 s[54:55], s[0:1], vcc
	;; [unrolled: 4-line block ×15, first 2 shown]
	s_waitcnt vmcnt(0)
	v_cmp_gt_u32_e32 vcc, s82, v0
	s_or_b64 s[82:83], s[0:1], vcc
	v_readlane_b32 s0, v95, 29
	v_readlane_b32 s1, v95, 47
	s_branch .LBB50_110
.LBB50_109:                             ;   in Loop: Header=BB50_110 Depth=2
	s_or_b64 exec, exec, s[84:85]
	v_mul_f32_e32 v44, v79, v60
	v_fma_f32 v45, v79, v61, v8
	v_cndmask_b32_e64 v8, v45, v8, s[16:17]
	v_cndmask_b32_e64 v44, v44, v79, s[16:17]
	s_waitcnt lgkmcnt(0)
	v_fmac_f32_e32 v8, v54, v44
	v_fmac_f32_e32 v9, v8, v80
	;; [unrolled: 1-line block ×10, first 2 shown]
	v_readlane_b32 s4, v95, 23
	v_fmac_f32_e32 v50, v49, v22
	v_readlane_b32 s5, v95, 24
	v_readlane_b32 s6, v95, 25
	;; [unrolled: 1-line block ×3, first 2 shown]
	v_fmac_f32_e32 v51, v50, v87
	s_add_i32 s98, s98, s6
	v_readlane_b32 s4, v95, 17
	v_fmac_f32_e32 v46, v51, v57
	v_readlane_b32 s5, v95, 18
	v_readlane_b32 s6, v95, 19
	;; [unrolled: 1-line block ×3, first 2 shown]
	v_fmac_f32_e32 v47, v46, v16
	s_add_i32 s94, s94, s4
	v_readlane_b32 s4, v95, 9
	v_fmac_f32_e32 v52, v47, v58
	v_readlane_b32 s5, v95, 10
	v_readlane_b32 s8, v95, 13
	v_fmac_f32_e32 v53, v52, v59
	v_and_b32_e32 v45, 0xffff0000, v4
	v_and_b32_e32 v55, 0xffff0000, v5
	v_lshlrev_b32_e32 v44, 16, v4
	v_lshlrev_b32_e32 v54, 16, v5
	v_and_b32_e32 v5, 0xffff0000, v6
	v_and_b32_e32 v59, 0xffff0000, v7
	v_lshlrev_b32_e32 v4, 16, v6
	v_lshlrev_b32_e32 v58, 16, v7
	;; [unrolled: 4-line block ×4, first 2 shown]
	s_add_i32 s1, s1, 8
	s_add_i32 s0, s0, -1
	s_add_i32 s96, s96, s8
	s_add_i32 s92, s92, s5
	v_pk_fma_f32 v[36:37], v[10:11], v[54:55], v[36:37]
	v_pk_fma_f32 v[38:39], v[8:9], v[44:45], v[38:39]
	;; [unrolled: 1-line block ×7, first 2 shown]
	s_cmp_eq_u32 s0, 0
	v_pk_fma_f32 v[26:27], v[46:47], v[0:1], v[26:27]
	v_readlane_b32 s6, v95, 11
	v_readlane_b32 s7, v95, 12
	;; [unrolled: 1-line block ×5, first 2 shown]
	s_cbranch_scc1 .LBB50_199
.LBB50_110:                             ;   Parent Loop BB50_13 Depth=1
                                        ; =>  This Inner Loop Header: Depth=2
	s_lshl_b64 s[84:85], s[92:93], 2
	s_add_u32 s84, s99, s84
	v_readlane_b32 s4, v95, 6
	s_addc_u32 s85, s4, s85
	global_load_dword v46, v17, s[84:85]
	s_mov_b32 s97, s93
	v_lshl_add_u64 v[0:1], s[96:97], 1, v[40:41]
	v_mov_b32_e32 v2, 0
	v_mov_b32_e32 v3, 0
	s_and_saveexec_b64 s[84:85], s[18:19]
	s_cbranch_execz .LBB50_112
; %bb.111:                              ;   in Loop: Header=BB50_110 Depth=2
	global_load_ushort v3, v[0:1], off
.LBB50_112:                             ;   in Loop: Header=BB50_110 Depth=2
	s_or_b64 exec, exec, s[84:85]
	s_and_saveexec_b64 s[84:85], s[20:21]
	s_cbranch_execz .LBB50_114
; %bb.113:                              ;   in Loop: Header=BB50_110 Depth=2
	global_load_ushort v2, v[0:1], off offset:128
.LBB50_114:                             ;   in Loop: Header=BB50_110 Depth=2
	s_or_b64 exec, exec, s[84:85]
	v_mov_b32_e32 v4, 0
	v_mov_b32_e32 v5, 0
	s_and_saveexec_b64 s[84:85], s[22:23]
	s_cbranch_execz .LBB50_116
; %bb.115:                              ;   in Loop: Header=BB50_110 Depth=2
	global_load_ushort v5, v[0:1], off offset:256
.LBB50_116:                             ;   in Loop: Header=BB50_110 Depth=2
	s_or_b64 exec, exec, s[84:85]
	s_and_saveexec_b64 s[84:85], s[24:25]
	s_cbranch_execz .LBB50_118
; %bb.117:                              ;   in Loop: Header=BB50_110 Depth=2
	global_load_ushort v4, v[0:1], off offset:384
.LBB50_118:                             ;   in Loop: Header=BB50_110 Depth=2
	s_or_b64 exec, exec, s[84:85]
	v_mov_b32_e32 v6, 0
	v_mov_b32_e32 v7, 0
	s_and_saveexec_b64 s[84:85], s[26:27]
	s_cbranch_execz .LBB50_120
; %bb.119:                              ;   in Loop: Header=BB50_110 Depth=2
	global_load_ushort v7, v[0:1], off offset:512
.LBB50_120:                             ;   in Loop: Header=BB50_110 Depth=2
	;; [unrolled: 14-line block ×7, first 2 shown]
	s_or_b64 exec, exec, s[84:85]
	s_and_saveexec_b64 s[84:85], s[50:51]
	s_cbranch_execz .LBB50_142
; %bb.141:                              ;   in Loop: Header=BB50_110 Depth=2
	global_load_ushort v16, v[0:1], off offset:1920
.LBB50_142:                             ;   in Loop: Header=BB50_110 Depth=2
	s_or_b64 exec, exec, s[84:85]
	scratch_load_dword v0, off, off offset:4 ; 4-byte Folded Reload
	s_mov_b32 s95, s93
	s_waitcnt vmcnt(0)
	ds_write_b16 v0, v3
	scratch_load_dword v0, off, off offset:8 ; 4-byte Folded Reload
	v_mov_b32_e32 v3, 0
	s_waitcnt vmcnt(0)
	ds_write_b16 v0, v2 offset:128
	scratch_load_dword v0, off, off offset:12 ; 4-byte Folded Reload
	v_mov_b32_e32 v2, 0
	s_waitcnt vmcnt(0)
	ds_write_b16 v0, v5 offset:256
	scratch_load_dword v0, off, off offset:16 ; 4-byte Folded Reload
	s_waitcnt vmcnt(0)
	ds_write_b16 v0, v4 offset:384
	scratch_load_dword v0, off, off offset:20 ; 4-byte Folded Reload
	;; [unrolled: 3-line block ×13, first 2 shown]
	s_waitcnt vmcnt(0)
	ds_write_b16 v0, v16 offset:1920
	; wave barrier
	scratch_load_dword v0, off, off         ; 4-byte Folded Reload
	s_waitcnt vmcnt(0)
	ds_read_b128 v[12:15], v0
	ds_read_b128 v[8:11], v0 offset:16
	v_lshl_add_u64 v[0:1], s[94:95], 1, v[42:43]
	s_and_saveexec_b64 s[84:85], s[18:19]
	s_cbranch_execz .LBB50_144
; %bb.143:                              ;   in Loop: Header=BB50_110 Depth=2
	global_load_ushort v3, v[0:1], off
.LBB50_144:                             ;   in Loop: Header=BB50_110 Depth=2
	s_or_b64 exec, exec, s[84:85]
	s_and_saveexec_b64 s[84:85], s[20:21]
	s_cbranch_execz .LBB50_146
; %bb.145:                              ;   in Loop: Header=BB50_110 Depth=2
	global_load_ushort v2, v[0:1], off offset:128
.LBB50_146:                             ;   in Loop: Header=BB50_110 Depth=2
	s_or_b64 exec, exec, s[84:85]
	v_mov_b32_e32 v4, 0
	v_mov_b32_e32 v5, 0
	s_and_saveexec_b64 s[84:85], s[22:23]
	s_cbranch_execz .LBB50_148
; %bb.147:                              ;   in Loop: Header=BB50_110 Depth=2
	global_load_ushort v5, v[0:1], off offset:256
.LBB50_148:                             ;   in Loop: Header=BB50_110 Depth=2
	s_or_b64 exec, exec, s[84:85]
	s_and_saveexec_b64 s[84:85], s[24:25]
	s_cbranch_execz .LBB50_150
; %bb.149:                              ;   in Loop: Header=BB50_110 Depth=2
	global_load_ushort v4, v[0:1], off offset:384
.LBB50_150:                             ;   in Loop: Header=BB50_110 Depth=2
	s_or_b64 exec, exec, s[84:85]
	v_mov_b32_e32 v6, 0
	v_mov_b32_e32 v7, 0
	s_and_saveexec_b64 s[84:85], s[26:27]
	s_cbranch_execz .LBB50_152
; %bb.151:                              ;   in Loop: Header=BB50_110 Depth=2
	global_load_ushort v7, v[0:1], off offset:512
.LBB50_152:                             ;   in Loop: Header=BB50_110 Depth=2
	;; [unrolled: 14-line block ×7, first 2 shown]
	s_or_b64 exec, exec, s[84:85]
	s_and_saveexec_b64 s[84:85], s[50:51]
	s_cbranch_execz .LBB50_174
; %bb.173:                              ;   in Loop: Header=BB50_110 Depth=2
	global_load_ushort v51, v[0:1], off offset:1920
.LBB50_174:                             ;   in Loop: Header=BB50_110 Depth=2
	s_or_b64 exec, exec, s[84:85]
	scratch_load_dword v0, off, off offset:4 ; 4-byte Folded Reload
	s_andn2_b64 vcc, exec, s[86:87]
	s_waitcnt vmcnt(0)
	ds_write_b16 v0, v3 offset:2112
	scratch_load_dword v0, off, off offset:96 ; 4-byte Folded Reload
	s_waitcnt vmcnt(0)
	ds_write_b16 v0, v2 offset:128
	scratch_load_dword v0, off, off offset:100 ; 4-byte Folded Reload
	;; [unrolled: 3-line block ×15, first 2 shown]
	s_waitcnt vmcnt(0)
	ds_write_b16 v0, v51 offset:1920
	; wave barrier
	scratch_load_dword v0, off, off         ; 4-byte Folded Reload
	s_waitcnt vmcnt(0)
	ds_read_b128 v[4:7], v0 offset:2112
	scratch_load_dword v0, off, off offset:156 ; 4-byte Folded Reload
	s_waitcnt vmcnt(0)
	ds_read_b128 v[0:3], v0 offset:16
	s_cbranch_vccnz .LBB50_176
; %bb.175:                              ;   in Loop: Header=BB50_110 Depth=2
	v_mov_b32_e32 v16, s1
	ds_read_b64 v[44:45], v16
	s_cbranch_execz .LBB50_177
	s_branch .LBB50_180
.LBB50_176:                             ;   in Loop: Header=BB50_110 Depth=2
                                        ; implicit-def: $vgpr45
.LBB50_177:                             ;   in Loop: Header=BB50_110 Depth=2
	v_readlane_b32 s84, v95, 0
	v_readlane_b32 s85, v95, 1
	s_andn2_b64 vcc, exec, s[84:85]
	s_waitcnt lgkmcnt(0)
	v_mov_b32_e32 v45, 0
	s_cbranch_vccnz .LBB50_179
; %bb.178:                              ;   in Loop: Header=BB50_110 Depth=2
	s_mov_b32 s99, s93
	s_lshl_b64 s[84:85], s[98:99], 2
	v_readlane_b32 s4, v95, 27
	s_add_u32 s84, s4, s84
	v_readlane_b32 s4, v95, 28
	s_addc_u32 s85, s4, s85
	global_load_dword v45, v17, s[84:85]
	v_readlane_b32 s99, v95, 48
.LBB50_179:                             ;   in Loop: Header=BB50_110 Depth=2
	v_mov_b32_e32 v44, 1.0
.LBB50_180:                             ;   in Loop: Header=BB50_110 Depth=2
	v_mul_f32_e32 v52, 0x3fb8aa3b, v46
	s_waitcnt lgkmcnt(14)
	v_lshlrev_b32_e32 v49, 16, v8
	v_and_b32_e32 v50, 0xffff0000, v8
	v_mul_f32_e32 v8, v52, v19
	v_cmp_gt_f32_e32 vcc, s33, v8
	v_lshlrev_b32_e32 v55, 16, v10
	v_and_b32_e32 v58, 0xffff0000, v10
	v_cndmask_b32_e32 v8, 0, v68, vcc
	v_mul_f32_e32 v10, v52, v20
	v_lshlrev_b32_e32 v51, 16, v9
	v_and_b32_e32 v54, 0xffff0000, v9
	v_fmac_f32_e32 v8, v52, v19
	v_cndmask_b32_e32 v9, 1.0, v69, vcc
	v_cmp_gt_f32_e32 vcc, s33, v10
	v_exp_f32_e32 v8, v8
	v_lshlrev_b32_e32 v59, 16, v11
	v_cndmask_b32_e32 v10, 0, v68, vcc
	v_fmac_f32_e32 v10, v52, v20
	v_exp_f32_e32 v10, v10
	v_and_b32_e32 v53, 0xffff0000, v11
	v_mul_f32_e32 v9, v8, v9
	v_mul_f32_e32 v11, v52, v21
	v_lshlrev_b32_e32 v16, 16, v12
	v_and_b32_e32 v12, 0xffff0000, v12
	v_cndmask_b32_e64 v79, 1.0, v9, s[52:53]
	v_cndmask_b32_e32 v9, 1.0, v69, vcc
	v_cmp_gt_f32_e32 vcc, s33, v11
	v_mul_f32_e32 v10, v10, v9
	v_mul_f32_e32 v9, v77, v12
	v_cndmask_b32_e32 v11, 0, v68, vcc
	v_mul_f32_e32 v12, v52, v18
	v_fmac_f32_e32 v11, v52, v21
	v_cndmask_b32_e64 v80, 1.0, v10, s[54:55]
	v_cndmask_b32_e32 v10, 1.0, v69, vcc
	v_cmp_gt_f32_e32 vcc, s33, v12
	v_exp_f32_e32 v11, v11
	v_lshlrev_b32_e32 v22, 16, v13
	v_cndmask_b32_e32 v12, 0, v68, vcc
	v_fmac_f32_e32 v12, v52, v18
	v_exp_f32_e32 v12, v12
	v_mul_f32_e32 v11, v11, v10
	v_and_b32_e32 v13, 0xffff0000, v13
	v_cndmask_b32_e64 v81, 1.0, v11, s[56:57]
	v_cndmask_b32_e32 v11, 1.0, v69, vcc
	v_mul_f32_e32 v12, v12, v11
	v_mul_f32_e32 v11, v75, v13
	;; [unrolled: 1-line block ×3, first 2 shown]
	v_cmp_gt_f32_e32 vcc, s33, v13
	v_mul_f32_e32 v8, v78, v16
	v_mul_f32_e32 v16, v52, v67
	v_cndmask_b32_e32 v13, 0, v68, vcc
	v_fmac_f32_e32 v13, v52, v66
	v_cndmask_b32_e64 v82, 1.0, v12, s[58:59]
	v_cndmask_b32_e32 v12, 1.0, v69, vcc
	v_cmp_gt_f32_e32 vcc, s33, v16
	v_exp_f32_e32 v13, v13
	v_lshlrev_b32_e32 v47, 16, v14
	v_cndmask_b32_e32 v16, 0, v68, vcc
	v_fmac_f32_e32 v16, v52, v67
	v_exp_f32_e32 v16, v16
	v_mul_f32_e32 v13, v13, v12
	v_and_b32_e32 v14, 0xffff0000, v14
	v_cndmask_b32_e64 v83, 1.0, v13, s[60:61]
	v_cndmask_b32_e32 v13, 1.0, v69, vcc
	v_mul_f32_e32 v16, v16, v13
	v_mul_f32_e32 v13, v73, v14
	;; [unrolled: 1-line block ×3, first 2 shown]
	v_cmp_gt_f32_e32 vcc, s33, v14
	v_mul_f32_e32 v10, v76, v22
	v_mul_f32_e32 v22, v52, v88
	v_cndmask_b32_e32 v14, 0, v68, vcc
	v_fmac_f32_e32 v14, v52, v70
	v_cndmask_b32_e64 v84, 1.0, v16, s[62:63]
	v_cndmask_b32_e32 v16, 1.0, v69, vcc
	v_cmp_gt_f32_e32 vcc, s33, v22
	v_exp_f32_e32 v14, v14
	v_lshlrev_b32_e32 v48, 16, v15
	v_cndmask_b32_e32 v22, 0, v68, vcc
	v_fmac_f32_e32 v22, v52, v88
	v_exp_f32_e32 v22, v22
	v_mul_f32_e32 v16, v14, v16
	v_cndmask_b32_e64 v85, 1.0, v16, s[64:65]
	v_cndmask_b32_e32 v16, 1.0, v69, vcc
	v_mul_f32_e32 v16, v22, v16
	v_mul_f32_e32 v22, v52, v89
	v_cmp_gt_f32_e32 vcc, s33, v22
	v_cndmask_b32_e64 v86, 1.0, v16, s[66:67]
	v_mul_f32_e32 v14, v72, v48
	v_cndmask_b32_e32 v22, 0, v68, vcc
	v_fmac_f32_e32 v22, v52, v89
	v_exp_f32_e32 v22, v22
	v_cndmask_b32_e32 v16, 1.0, v69, vcc
	v_mul_f32_e32 v46, v52, v90
	v_cmp_gt_f32_e32 vcc, s33, v46
	v_mul_f32_e32 v16, v22, v16
	v_mul_f32_e32 v22, v63, v49
	v_cndmask_b32_e64 v48, 0, v22, s[68:69]
	scratch_load_dword v22, off, off offset:92 ; 4-byte Folded Reload
	v_cndmask_b32_e32 v46, 0, v68, vcc
	v_fmac_f32_e32 v46, v52, v90
	v_exp_f32_e32 v46, v46
	v_cndmask_b32_e64 v65, 1.0, v16, s[68:69]
	v_cndmask_b32_e32 v16, 1.0, v69, vcc
	v_mul_f32_e32 v12, v74, v47
	v_mul_f32_e32 v16, v46, v16
	;; [unrolled: 1-line block ×3, first 2 shown]
	v_cmp_gt_f32_e32 vcc, s33, v46
	v_cndmask_b32_e64 v71, 1.0, v16, s[70:71]
	v_mul_f32_e32 v47, v52, v93
	v_cndmask_b32_e32 v46, 0, v68, vcc
	v_fmac_f32_e32 v46, v52, v91
	v_exp_f32_e32 v46, v46
	v_cndmask_b32_e32 v16, 1.0, v69, vcc
	v_cndmask_b32_e64 v8, 0, v8, s[52:53]
	v_cndmask_b32_e64 v9, 0, v9, s[54:55]
	v_mul_f32_e32 v16, v46, v16
	v_mul_f32_e32 v46, v52, v92
	v_cmp_gt_f32_e32 vcc, s33, v46
	v_cndmask_b32_e64 v10, 0, v10, s[56:57]
	v_cndmask_b32_e64 v11, 0, v11, s[58:59]
	v_cndmask_b32_e32 v46, 0, v68, vcc
	v_fmac_f32_e32 v46, v52, v92
	v_exp_f32_e32 v46, v46
	v_cndmask_b32_e64 v12, 0, v12, s[60:61]
	v_and_b32_e32 v15, 0xffff0000, v15
	v_cndmask_b32_e64 v13, 0, v13, s[62:63]
	v_cndmask_b32_e64 v14, 0, v14, s[64:65]
	v_mul_f32_e32 v15, v64, v15
	v_cndmask_b32_e64 v15, 0, v15, s[66:67]
	v_readlane_b32 s4, v95, 35
	v_readlane_b32 s5, v95, 36
	s_waitcnt vmcnt(0)
	v_mul_f32_e32 v22, v22, v50
	v_cndmask_b32_e64 v49, 0, v22, s[70:71]
	scratch_load_dword v22, off, off offset:88 ; 4-byte Folded Reload
	s_waitcnt vmcnt(0)
	v_mul_f32_e32 v22, v22, v51
	v_cndmask_b32_e64 v50, 0, v22, s[72:73]
	v_cndmask_b32_e64 v22, 1.0, v16, s[72:73]
	v_cndmask_b32_e32 v16, 1.0, v69, vcc
	v_mul_f32_e32 v16, v46, v16
	scratch_load_dword v46, off, off offset:84 ; 4-byte Folded Reload
	v_cmp_gt_f32_e32 vcc, s33, v47
	v_cndmask_b32_e64 v87, 1.0, v16, s[74:75]
	s_waitcnt vmcnt(0)
	v_mul_f32_e32 v46, v46, v54
	v_cndmask_b32_e64 v51, 0, v46, s[74:75]
	scratch_load_dword v46, off, off offset:80 ; 4-byte Folded Reload
	v_cndmask_b32_e32 v47, 0, v68, vcc
	v_fmac_f32_e32 v47, v52, v93
	v_exp_f32_e32 v47, v47
	v_cndmask_b32_e32 v16, 1.0, v69, vcc
	v_mul_f32_e32 v54, v52, v56
	v_mul_f32_e32 v16, v47, v16
	;; [unrolled: 1-line block ×3, first 2 shown]
	v_cmp_gt_f32_e32 vcc, s33, v47
	v_cndmask_b32_e64 v57, 1.0, v16, s[76:77]
	s_nop 0
	v_cndmask_b32_e32 v47, 0, v68, vcc
	v_fmac_f32_e32 v47, v52, v94
	v_cndmask_b32_e32 v16, 1.0, v69, vcc
	v_cmp_gt_f32_e32 vcc, s33, v54
	v_exp_f32_e32 v47, v47
	s_nop 0
	v_cndmask_b32_e32 v54, 0, v68, vcc
	v_fmac_f32_e32 v54, v52, v56
	v_exp_f32_e32 v54, v54
	v_mul_f32_e32 v16, v47, v16
	scratch_load_dword v47, off, off offset:76 ; 4-byte Folded Reload
	v_cndmask_b32_e64 v16, 1.0, v16, s[78:79]
	s_waitcnt vmcnt(1)
	v_mul_f32_e32 v46, v46, v55
	v_cndmask_b32_e32 v55, 1.0, v69, vcc
	v_mul_f32_e32 v54, v54, v55
	scratch_load_dword v55, off, off offset:72 ; 4-byte Folded Reload
	v_cndmask_b32_e64 v46, 0, v46, s[76:77]
	s_waitcnt vmcnt(1)
	v_mul_f32_e32 v47, v47, v58
	v_mul_f32_e32 v58, v52, v23
	v_cmp_gt_f32_e32 vcc, s33, v58
	v_cndmask_b32_e64 v47, 0, v47, s[78:79]
	s_waitcnt vmcnt(0)
	v_mul_f32_e32 v55, v55, v59
	v_cndmask_b32_e32 v58, 0, v68, vcc
	v_fmac_f32_e32 v58, v52, v23
	v_cndmask_b32_e64 v52, 0, v55, s[80:81]
	scratch_load_dword v55, off, off offset:68 ; 4-byte Folded Reload
	v_exp_f32_e32 v59, v58
	v_cndmask_b32_e64 v58, 1.0, v54, s[80:81]
	v_cndmask_b32_e32 v54, 1.0, v69, vcc
	v_mul_f32_e32 v54, v59, v54
	v_cndmask_b32_e64 v59, 1.0, v54, s[82:83]
	v_mul_f32_e32 v54, v80, v79
	v_mul_f32_e32 v54, v54, v81
	;; [unrolled: 1-line block ×15, first 2 shown]
	s_waitcnt vmcnt(0)
	v_mul_f32_e32 v53, v55, v53
	v_fma_f32 v55, v80, v8, v9
	v_fma_f32 v55, v55, v81, v10
	;; [unrolled: 1-line block ×13, first 2 shown]
	v_cndmask_b32_e64 v53, 0, v53, s[82:83]
	v_fma_f32 v55, v55, v58, v52
	v_fma_f32 v62, v55, v59, v53
	v_mov_b32_dpp v61, v54 row_shr:1 row_mask:0xf bank_mask:0xf
	s_nop 0
	v_mov_b32_dpp v60, v62 row_shr:1 row_mask:0xf bank_mask:0xf
	s_and_saveexec_b64 s[84:85], s[4:5]
; %bb.181:                              ;   in Loop: Header=BB50_110 Depth=2
	v_mul_f32_e32 v61, v54, v61
	v_fmac_f32_e32 v62, v54, v60
	v_mov_b32_e32 v54, v61
; %bb.182:                              ;   in Loop: Header=BB50_110 Depth=2
	s_or_b64 exec, exec, s[84:85]
	v_readlane_b32 s4, v95, 37
	v_mov_b32_dpp v60, v54 row_shr:2 row_mask:0xf bank_mask:0xf
	v_mov_b32_dpp v61, v62 row_shr:2 row_mask:0xf bank_mask:0xf
	v_readlane_b32 s5, v95, 38
	s_and_saveexec_b64 s[84:85], s[4:5]
; %bb.183:                              ;   in Loop: Header=BB50_110 Depth=2
	v_fmac_f32_e32 v62, v54, v61
	v_mul_f32_e32 v54, v54, v60
; %bb.184:                              ;   in Loop: Header=BB50_110 Depth=2
	s_or_b64 exec, exec, s[84:85]
	s_nop 0
	v_mov_b32_dpp v60, v54 row_shr:4 row_mask:0xf bank_mask:0xf
	v_mov_b32_dpp v61, v62 row_shr:4 row_mask:0xf bank_mask:0xf
	s_and_saveexec_b64 s[84:85], s[2:3]
; %bb.185:                              ;   in Loop: Header=BB50_110 Depth=2
	v_fmac_f32_e32 v62, v54, v61
	v_mul_f32_e32 v54, v54, v60
; %bb.186:                              ;   in Loop: Header=BB50_110 Depth=2
	s_or_b64 exec, exec, s[84:85]
	v_readlane_b32 s4, v95, 39
	v_mov_b32_dpp v60, v54 row_shr:8 row_mask:0xf bank_mask:0xf
	v_mov_b32_dpp v61, v62 row_shr:8 row_mask:0xf bank_mask:0xf
	v_readlane_b32 s5, v95, 40
	s_and_saveexec_b64 s[84:85], s[4:5]
; %bb.187:                              ;   in Loop: Header=BB50_110 Depth=2
	v_fmac_f32_e32 v62, v54, v61
	v_mul_f32_e32 v54, v54, v60
; %bb.188:                              ;   in Loop: Header=BB50_110 Depth=2
	s_or_b64 exec, exec, s[84:85]
	v_readlane_b32 s4, v95, 41
	v_mov_b32_dpp v60, v54 row_bcast:15 row_mask:0xf bank_mask:0xf
	v_mov_b32_dpp v61, v62 row_bcast:15 row_mask:0xf bank_mask:0xf
	v_readlane_b32 s5, v95, 42
	s_and_saveexec_b64 s[84:85], s[4:5]
; %bb.189:                              ;   in Loop: Header=BB50_110 Depth=2
	v_fmac_f32_e32 v62, v54, v61
	v_mul_f32_e32 v54, v54, v60
; %bb.190:                              ;   in Loop: Header=BB50_110 Depth=2
	s_or_b64 exec, exec, s[84:85]
	s_nop 0
	v_mov_b32_dpp v60, v54 row_bcast:31 row_mask:0xf bank_mask:0xf
	v_mov_b32_dpp v61, v62 row_bcast:31 row_mask:0xf bank_mask:0xf
	v_mov_b32_e32 v55, v62
	v_mul_f32_e32 v60, v54, v60
	v_fmac_f32_e32 v55, v54, v61
	v_readlane_b32 s4, v95, 45
	v_cndmask_b32_e64 v54, v54, v60, s[12:13]
	v_cndmask_b32_e64 v55, v62, v55, s[12:13]
	v_readlane_b32 s5, v95, 46
	s_and_saveexec_b64 s[84:85], s[4:5]
	s_cbranch_execz .LBB50_192
; %bb.191:                              ;   in Loop: Header=BB50_110 Depth=2
	ds_write_b64 v17, v[54:55] offset:4224
.LBB50_192:                             ;   in Loop: Header=BB50_110 Depth=2
	s_or_b64 exec, exec, s[84:85]
	scratch_load_dword v61, off, off offset:160 ; 4-byte Folded Reload
	s_waitcnt lgkmcnt(0)
	; wave barrier
	s_waitcnt vmcnt(0) lgkmcnt(0)
	ds_bpermute_b32 v60, v61, v54
	ds_bpermute_b32 v61, v61, v55
	v_mov_b32_e32 v55, v45
	s_and_saveexec_b64 s[84:85], s[14:15]
	s_cbranch_execz .LBB50_196
; %bb.193:                              ;   in Loop: Header=BB50_110 Depth=2
	ds_read_b64 v[54:55], v17 offset:4224
	s_and_saveexec_b64 s[88:89], s[16:17]
	s_cbranch_execz .LBB50_195
; %bb.194:                              ;   in Loop: Header=BB50_110 Depth=2
	ds_write_b64 v17, v[44:45] offset:4224
.LBB50_195:                             ;   in Loop: Header=BB50_110 Depth=2
	s_or_b64 exec, exec, s[88:89]
	s_waitcnt lgkmcnt(0)
	v_fmac_f32_e32 v55, v45, v54
	v_mul_f32_e32 v44, v44, v54
	v_mov_b32_e32 v45, v55
.LBB50_196:                             ;   in Loop: Header=BB50_110 Depth=2
	s_or_b64 exec, exec, s[84:85]
	s_waitcnt lgkmcnt(0)
	; wave barrier
	s_waitcnt lgkmcnt(0)
	ds_read_b32 v54, v17 offset:4228
	s_and_saveexec_b64 s[84:85], s[16:17]
	s_cbranch_execz .LBB50_109
; %bb.197:                              ;   in Loop: Header=BB50_110 Depth=2
	v_mov_b32_e32 v62, s1
	s_andn2_b64 vcc, exec, s[90:91]
	ds_write_b64 v62, v[44:45]
	s_cbranch_vccnz .LBB50_109
; %bb.198:                              ;   in Loop: Header=BB50_110 Depth=2
	s_mov_b32 s99, s93
	s_lshl_b64 s[88:89], s[98:99], 2
	v_readlane_b32 s4, v95, 27
	s_add_u32 s88, s4, s88
	v_readlane_b32 s4, v95, 28
	v_readlane_b32 s99, v95, 48
	s_addc_u32 s89, s4, s89
	global_store_dword v17, v55, s[88:89]
	s_branch .LBB50_109
.LBB50_199:                             ;   in Loop: Header=BB50_13 Depth=1
	scratch_load_dwordx2 v[42:43], off, off offset:164 ; 8-byte Folded Reload
	v_readlane_b32 s4, v95, 49
	v_readlane_b32 s5, v95, 50
	s_mov_b32 s6, 0x41a00000
	s_mov_b32 s7, 0x3fb8aa3b
	;; [unrolled: 1-line block ×8, first 2 shown]
	v_mov_b32_e32 v40, 0x3ecc95a3
	v_mov_b32_e32 v41, 0x7f800000
.LBB50_200:                             ;   in Loop: Header=BB50_13 Depth=1
	s_waitcnt lgkmcnt(0)
	; wave barrier
	scratch_load_dword v9, off, off         ; 4-byte Folded Reload
	v_bfe_u32 v0, v38, 16, 1
	s_movk_i32 s0, 0x7fff
	v_bfe_u32 v1, v39, 16, 1
	v_add3_u32 v0, v38, v0, s0
	v_bfe_u32 v2, v36, 16, 1
	v_add3_u32 v1, v39, v1, s0
	v_lshrrev_b32_e32 v0, 16, v0
	v_cmp_o_f32_e32 vcc, v38, v38
	v_mov_b32_e32 v10, 0x7fc0
	v_bfe_u32 v3, v37, 16, 1
	v_add3_u32 v2, v36, v2, s0
	v_lshrrev_b32_e32 v1, 16, v1
	v_cndmask_b32_e32 v0, v10, v0, vcc
	v_cmp_o_f32_e32 vcc, v39, v39
	v_add3_u32 v3, v37, v3, s0
	v_lshrrev_b32_e32 v2, 16, v2
	v_cndmask_b32_e32 v4, v10, v1, vcc
	v_cmp_o_f32_e32 vcc, v36, v36
	v_lshrrev_b32_e32 v3, 16, v3
	v_bfe_u32 v6, v32, 16, 1
	v_cndmask_b32_e32 v1, v10, v2, vcc
	v_cmp_o_f32_e32 vcc, v37, v37
	v_bfe_u32 v2, v34, 16, 1
	v_add3_u32 v2, v34, v2, s0
	v_cndmask_b32_e32 v5, v10, v3, vcc
	v_bfe_u32 v3, v35, 16, 1
	v_add3_u32 v3, v35, v3, s0
	v_lshrrev_b32_e32 v2, 16, v2
	v_cmp_o_f32_e32 vcc, v34, v34
	v_bfe_u32 v7, v33, 16, 1
	v_add3_u32 v6, v32, v6, s0
	v_lshrrev_b32_e32 v3, 16, v3
	v_cndmask_b32_e32 v2, v10, v2, vcc
	v_cmp_o_f32_e32 vcc, v35, v35
	v_add3_u32 v7, v33, v7, s0
	v_lshrrev_b32_e32 v6, 16, v6
	v_cndmask_b32_e32 v8, v10, v3, vcc
	v_cmp_o_f32_e32 vcc, v32, v32
	v_lshrrev_b32_e32 v7, 16, v7
	s_mov_b32 s1, 0x5040100
	v_cndmask_b32_e32 v3, v10, v6, vcc
	v_cmp_o_f32_e32 vcc, v33, v33
	v_perm_b32 v2, v8, v2, s1
	v_perm_b32 v1, v5, v1, s1
	v_cndmask_b32_e32 v6, v10, v7, vcc
	v_perm_b32 v3, v6, v3, s1
	v_perm_b32 v0, v4, v0, s1
	v_cmp_o_f32_e32 vcc, v30, v30
	v_bfe_u32 v6, v24, 16, 1
	v_bfe_u32 v7, v25, 16, 1
	v_add3_u32 v6, v24, v6, s0
	v_add3_u32 v7, v25, v7, s0
	v_lshrrev_b32_e32 v6, 16, v6
	v_lshrrev_b32_e32 v7, 16, v7
	s_waitcnt vmcnt(0)
	ds_write_b128 v9, v[0:3]
	v_bfe_u32 v0, v30, 16, 1
	v_bfe_u32 v1, v31, 16, 1
	v_add3_u32 v0, v30, v0, s0
	v_bfe_u32 v2, v28, 16, 1
	v_add3_u32 v1, v31, v1, s0
	v_lshrrev_b32_e32 v0, 16, v0
	v_bfe_u32 v3, v29, 16, 1
	v_add3_u32 v2, v28, v2, s0
	v_lshrrev_b32_e32 v1, 16, v1
	v_cndmask_b32_e32 v0, v10, v0, vcc
	v_cmp_o_f32_e32 vcc, v31, v31
	v_add3_u32 v3, v29, v3, s0
	v_lshrrev_b32_e32 v2, 16, v2
	v_cndmask_b32_e32 v4, v10, v1, vcc
	v_cmp_o_f32_e32 vcc, v28, v28
	v_lshrrev_b32_e32 v3, 16, v3
	v_perm_b32 v0, v4, v0, s1
	v_cndmask_b32_e32 v1, v10, v2, vcc
	v_cmp_o_f32_e32 vcc, v29, v29
	v_bfe_u32 v2, v26, 16, 1
	v_add3_u32 v2, v26, v2, s0
	v_cndmask_b32_e32 v5, v10, v3, vcc
	v_bfe_u32 v3, v27, 16, 1
	v_add3_u32 v3, v27, v3, s0
	v_lshrrev_b32_e32 v2, 16, v2
	v_cmp_o_f32_e32 vcc, v26, v26
	v_lshrrev_b32_e32 v3, 16, v3
	v_perm_b32 v1, v5, v1, s1
	v_cndmask_b32_e32 v2, v10, v2, vcc
	v_cmp_o_f32_e32 vcc, v27, v27
	s_nop 1
	v_cndmask_b32_e32 v8, v10, v3, vcc
	v_cmp_o_f32_e32 vcc, v24, v24
	v_perm_b32 v2, v8, v2, s1
	s_nop 0
	v_cndmask_b32_e32 v3, v10, v6, vcc
	v_cmp_o_f32_e32 vcc, v25, v25
	s_nop 1
	v_cndmask_b32_e32 v6, v10, v7, vcc
	v_perm_b32 v3, v6, v3, s1
	ds_write_b128 v9, v[0:3] offset:16
	; wave barrier
	scratch_load_dword v0, off, off offset:8 ; 4-byte Folded Reload
	v_readlane_b32 s0, v95, 52
	v_readlane_b32 s1, v95, 53
	s_mov_b32 s1, s93
	s_waitcnt vmcnt(0)
	ds_read_u16 v16, v0 offset:128
	scratch_load_dword v0, off, off offset:12 ; 4-byte Folded Reload
	s_waitcnt vmcnt(0)
	ds_read_u16 v15, v0 offset:256
	scratch_load_dword v0, off, off offset:16 ; 4-byte Folded Reload
	;; [unrolled: 3-line block ×14, first 2 shown]
	s_waitcnt vmcnt(0)
	ds_read_u16 v2, v0 offset:1920
	scratch_load_dwordx2 v[0:1], off, off offset:240 ; 8-byte Folded Reload
	s_waitcnt vmcnt(0)
	v_lshl_add_u64 v[0:1], s[0:1], 1, v[0:1]
	s_and_saveexec_b64 s[52:53], s[18:19]
	s_cbranch_execnz .LBB50_218
; %bb.201:                              ;   in Loop: Header=BB50_13 Depth=1
	s_or_b64 exec, exec, s[52:53]
	s_and_saveexec_b64 s[18:19], s[20:21]
	s_cbranch_execnz .LBB50_219
.LBB50_202:                             ;   in Loop: Header=BB50_13 Depth=1
	s_or_b64 exec, exec, s[18:19]
	s_and_saveexec_b64 s[18:19], s[22:23]
	s_cbranch_execnz .LBB50_220
.LBB50_203:                             ;   in Loop: Header=BB50_13 Depth=1
	s_or_b64 exec, exec, s[18:19]
	s_and_saveexec_b64 s[18:19], s[24:25]
	s_cbranch_execnz .LBB50_221
.LBB50_204:                             ;   in Loop: Header=BB50_13 Depth=1
	s_or_b64 exec, exec, s[18:19]
	s_and_saveexec_b64 s[18:19], s[26:27]
	s_cbranch_execnz .LBB50_222
.LBB50_205:                             ;   in Loop: Header=BB50_13 Depth=1
	s_or_b64 exec, exec, s[18:19]
	s_and_saveexec_b64 s[18:19], s[28:29]
	s_cbranch_execnz .LBB50_223
.LBB50_206:                             ;   in Loop: Header=BB50_13 Depth=1
	s_or_b64 exec, exec, s[18:19]
	s_and_saveexec_b64 s[18:19], s[30:31]
	s_cbranch_execnz .LBB50_224
.LBB50_207:                             ;   in Loop: Header=BB50_13 Depth=1
	s_or_b64 exec, exec, s[18:19]
	s_and_saveexec_b64 s[18:19], s[34:35]
	s_cbranch_execnz .LBB50_225
.LBB50_208:                             ;   in Loop: Header=BB50_13 Depth=1
	s_or_b64 exec, exec, s[18:19]
	s_and_saveexec_b64 s[18:19], s[36:37]
	s_cbranch_execnz .LBB50_226
.LBB50_209:                             ;   in Loop: Header=BB50_13 Depth=1
	s_or_b64 exec, exec, s[18:19]
	s_and_saveexec_b64 s[18:19], s[38:39]
	s_cbranch_execnz .LBB50_227
.LBB50_210:                             ;   in Loop: Header=BB50_13 Depth=1
	s_or_b64 exec, exec, s[18:19]
	s_and_saveexec_b64 s[18:19], s[40:41]
	s_cbranch_execnz .LBB50_228
.LBB50_211:                             ;   in Loop: Header=BB50_13 Depth=1
	s_or_b64 exec, exec, s[18:19]
	s_and_saveexec_b64 s[18:19], s[42:43]
	s_cbranch_execnz .LBB50_229
.LBB50_212:                             ;   in Loop: Header=BB50_13 Depth=1
	s_or_b64 exec, exec, s[18:19]
	s_and_saveexec_b64 s[18:19], s[44:45]
	s_cbranch_execnz .LBB50_230
.LBB50_213:                             ;   in Loop: Header=BB50_13 Depth=1
	s_or_b64 exec, exec, s[18:19]
	s_and_saveexec_b64 s[18:19], s[46:47]
	s_cbranch_execnz .LBB50_231
.LBB50_214:                             ;   in Loop: Header=BB50_13 Depth=1
	s_or_b64 exec, exec, s[18:19]
	s_and_saveexec_b64 s[18:19], s[48:49]
	s_cbranch_execnz .LBB50_232
.LBB50_215:                             ;   in Loop: Header=BB50_13 Depth=1
	s_or_b64 exec, exec, s[18:19]
	s_and_saveexec_b64 s[18:19], s[50:51]
	s_cbranch_execz .LBB50_12
	s_branch .LBB50_233
.LBB50_216:                             ;   in Loop: Header=BB50_13 Depth=1
	global_load_ushort v26, v[8:9], off offset:1664
	s_or_b64 exec, exec, s[52:53]
	s_and_saveexec_b64 s[52:53], s[48:49]
	s_cbranch_execz .LBB50_73
.LBB50_217:                             ;   in Loop: Header=BB50_13 Depth=1
	global_load_ushort v25, v[8:9], off offset:1792
	s_or_b64 exec, exec, s[52:53]
	v_mov_b32_e32 v27, 0
	s_and_saveexec_b64 s[52:53], s[50:51]
	s_cbranch_execnz .LBB50_74
	s_branch .LBB50_75
.LBB50_218:                             ;   in Loop: Header=BB50_13 Depth=1
	scratch_load_dword v18, off, off offset:4 ; 4-byte Folded Reload
	s_waitcnt vmcnt(0)
	ds_read_u16 v18, v18
	s_waitcnt lgkmcnt(0)
	global_store_short v[0:1], v18, off
	s_or_b64 exec, exec, s[52:53]
	s_and_saveexec_b64 s[18:19], s[20:21]
	s_cbranch_execz .LBB50_202
.LBB50_219:                             ;   in Loop: Header=BB50_13 Depth=1
	s_waitcnt lgkmcnt(14)
	global_store_short v[0:1], v16, off offset:128
	s_or_b64 exec, exec, s[18:19]
	s_and_saveexec_b64 s[18:19], s[22:23]
	s_cbranch_execz .LBB50_203
.LBB50_220:                             ;   in Loop: Header=BB50_13 Depth=1
	s_waitcnt lgkmcnt(13)
	global_store_short v[0:1], v15, off offset:256
	s_or_b64 exec, exec, s[18:19]
	s_and_saveexec_b64 s[18:19], s[24:25]
	s_cbranch_execz .LBB50_204
.LBB50_221:                             ;   in Loop: Header=BB50_13 Depth=1
	s_waitcnt lgkmcnt(12)
	global_store_short v[0:1], v14, off offset:384
	s_or_b64 exec, exec, s[18:19]
	s_and_saveexec_b64 s[18:19], s[26:27]
	s_cbranch_execz .LBB50_205
.LBB50_222:                             ;   in Loop: Header=BB50_13 Depth=1
	s_waitcnt lgkmcnt(11)
	global_store_short v[0:1], v13, off offset:512
	s_or_b64 exec, exec, s[18:19]
	s_and_saveexec_b64 s[18:19], s[28:29]
	s_cbranch_execz .LBB50_206
.LBB50_223:                             ;   in Loop: Header=BB50_13 Depth=1
	s_waitcnt lgkmcnt(10)
	global_store_short v[0:1], v12, off offset:640
	s_or_b64 exec, exec, s[18:19]
	s_and_saveexec_b64 s[18:19], s[30:31]
	s_cbranch_execz .LBB50_207
.LBB50_224:                             ;   in Loop: Header=BB50_13 Depth=1
	s_waitcnt lgkmcnt(9)
	global_store_short v[0:1], v11, off offset:768
	s_or_b64 exec, exec, s[18:19]
	s_and_saveexec_b64 s[18:19], s[34:35]
	s_cbranch_execz .LBB50_208
.LBB50_225:                             ;   in Loop: Header=BB50_13 Depth=1
	s_waitcnt lgkmcnt(8)
	global_store_short v[0:1], v10, off offset:896
	s_or_b64 exec, exec, s[18:19]
	s_and_saveexec_b64 s[18:19], s[36:37]
	s_cbranch_execz .LBB50_209
.LBB50_226:                             ;   in Loop: Header=BB50_13 Depth=1
	s_waitcnt lgkmcnt(7)
	global_store_short v[0:1], v9, off offset:1024
	s_or_b64 exec, exec, s[18:19]
	s_and_saveexec_b64 s[18:19], s[38:39]
	s_cbranch_execz .LBB50_210
.LBB50_227:                             ;   in Loop: Header=BB50_13 Depth=1
	s_waitcnt lgkmcnt(6)
	global_store_short v[0:1], v8, off offset:1152
	s_or_b64 exec, exec, s[18:19]
	s_and_saveexec_b64 s[18:19], s[40:41]
	s_cbranch_execz .LBB50_211
.LBB50_228:                             ;   in Loop: Header=BB50_13 Depth=1
	s_waitcnt lgkmcnt(5)
	global_store_short v[0:1], v7, off offset:1280
	s_or_b64 exec, exec, s[18:19]
	s_and_saveexec_b64 s[18:19], s[42:43]
	s_cbranch_execz .LBB50_212
.LBB50_229:                             ;   in Loop: Header=BB50_13 Depth=1
	s_waitcnt lgkmcnt(4)
	global_store_short v[0:1], v6, off offset:1408
	s_or_b64 exec, exec, s[18:19]
	s_and_saveexec_b64 s[18:19], s[44:45]
	s_cbranch_execz .LBB50_213
.LBB50_230:                             ;   in Loop: Header=BB50_13 Depth=1
	s_waitcnt lgkmcnt(3)
	global_store_short v[0:1], v5, off offset:1536
	s_or_b64 exec, exec, s[18:19]
	s_and_saveexec_b64 s[18:19], s[46:47]
	s_cbranch_execz .LBB50_214
.LBB50_231:                             ;   in Loop: Header=BB50_13 Depth=1
	s_waitcnt lgkmcnt(2)
	global_store_short v[0:1], v4, off offset:1664
	s_or_b64 exec, exec, s[18:19]
	s_and_saveexec_b64 s[18:19], s[48:49]
	s_cbranch_execz .LBB50_215
.LBB50_232:                             ;   in Loop: Header=BB50_13 Depth=1
	s_waitcnt lgkmcnt(1)
	global_store_short v[0:1], v3, off offset:1792
	s_or_b64 exec, exec, s[18:19]
	s_and_saveexec_b64 s[18:19], s[50:51]
	s_cbranch_execz .LBB50_12
.LBB50_233:                             ;   in Loop: Header=BB50_13 Depth=1
	s_waitcnt lgkmcnt(0)
	global_store_short v[0:1], v2, off offset:1920
	s_branch .LBB50_12
.LBB50_234:
	s_endpgm
	.section	.rodata,"a",@progbits
	.p2align	6, 0x0
	.amdhsa_kernel _Z25selective_scan_fwd_kernelI32Selective_Scan_fwd_kernel_traitsILi64ELi16ELi1ELb1ELb1ELb1ELb0ELb1EN3c108BFloat16EffEEv13SSMParamsBase
		.amdhsa_group_segment_fixed_size 0
		.amdhsa_private_segment_fixed_size 316
		.amdhsa_kernarg_size 248
		.amdhsa_user_sgpr_count 2
		.amdhsa_user_sgpr_dispatch_ptr 0
		.amdhsa_user_sgpr_queue_ptr 0
		.amdhsa_user_sgpr_kernarg_segment_ptr 1
		.amdhsa_user_sgpr_dispatch_id 0
		.amdhsa_user_sgpr_kernarg_preload_length 0
		.amdhsa_user_sgpr_kernarg_preload_offset 0
		.amdhsa_user_sgpr_private_segment_size 0
		.amdhsa_uses_dynamic_stack 0
		.amdhsa_enable_private_segment 1
		.amdhsa_system_sgpr_workgroup_id_x 1
		.amdhsa_system_sgpr_workgroup_id_y 1
		.amdhsa_system_sgpr_workgroup_id_z 0
		.amdhsa_system_sgpr_workgroup_info 0
		.amdhsa_system_vgpr_workitem_id 0
		.amdhsa_next_free_vgpr 96
		.amdhsa_next_free_sgpr 100
		.amdhsa_accum_offset 96
		.amdhsa_reserve_vcc 1
		.amdhsa_float_round_mode_32 0
		.amdhsa_float_round_mode_16_64 0
		.amdhsa_float_denorm_mode_32 3
		.amdhsa_float_denorm_mode_16_64 3
		.amdhsa_dx10_clamp 1
		.amdhsa_ieee_mode 1
		.amdhsa_fp16_overflow 0
		.amdhsa_tg_split 0
		.amdhsa_exception_fp_ieee_invalid_op 0
		.amdhsa_exception_fp_denorm_src 0
		.amdhsa_exception_fp_ieee_div_zero 0
		.amdhsa_exception_fp_ieee_overflow 0
		.amdhsa_exception_fp_ieee_underflow 0
		.amdhsa_exception_fp_ieee_inexact 0
		.amdhsa_exception_int_div_zero 0
	.end_amdhsa_kernel
	.section	.text._Z25selective_scan_fwd_kernelI32Selective_Scan_fwd_kernel_traitsILi64ELi16ELi1ELb1ELb1ELb1ELb0ELb1EN3c108BFloat16EffEEv13SSMParamsBase,"axG",@progbits,_Z25selective_scan_fwd_kernelI32Selective_Scan_fwd_kernel_traitsILi64ELi16ELi1ELb1ELb1ELb1ELb0ELb1EN3c108BFloat16EffEEv13SSMParamsBase,comdat
.Lfunc_end50:
	.size	_Z25selective_scan_fwd_kernelI32Selective_Scan_fwd_kernel_traitsILi64ELi16ELi1ELb1ELb1ELb1ELb0ELb1EN3c108BFloat16EffEEv13SSMParamsBase, .Lfunc_end50-_Z25selective_scan_fwd_kernelI32Selective_Scan_fwd_kernel_traitsILi64ELi16ELi1ELb1ELb1ELb1ELb0ELb1EN3c108BFloat16EffEEv13SSMParamsBase
                                        ; -- End function
	.section	.AMDGPU.csdata,"",@progbits
; Kernel info:
; codeLenInByte = 22232
; NumSgprs: 106
; NumVgprs: 96
; NumAgprs: 0
; TotalNumVgprs: 96
; ScratchSize: 316
; MemoryBound: 0
; FloatMode: 240
; IeeeMode: 1
; LDSByteSize: 0 bytes/workgroup (compile time only)
; SGPRBlocks: 13
; VGPRBlocks: 11
; NumSGPRsForWavesPerEU: 106
; NumVGPRsForWavesPerEU: 96
; AccumOffset: 96
; Occupancy: 5
; WaveLimiterHint : 1
; COMPUTE_PGM_RSRC2:SCRATCH_EN: 1
; COMPUTE_PGM_RSRC2:USER_SGPR: 2
; COMPUTE_PGM_RSRC2:TRAP_HANDLER: 0
; COMPUTE_PGM_RSRC2:TGID_X_EN: 1
; COMPUTE_PGM_RSRC2:TGID_Y_EN: 1
; COMPUTE_PGM_RSRC2:TGID_Z_EN: 0
; COMPUTE_PGM_RSRC2:TIDIG_COMP_CNT: 0
; COMPUTE_PGM_RSRC3_GFX90A:ACCUM_OFFSET: 23
; COMPUTE_PGM_RSRC3_GFX90A:TG_SPLIT: 0
	.section	.text._Z25selective_scan_fwd_kernelI32Selective_Scan_fwd_kernel_traitsILi64ELi16ELi1ELb1ELb1ELb1ELb0ELb0EN3c108BFloat16EffEEv13SSMParamsBase,"axG",@progbits,_Z25selective_scan_fwd_kernelI32Selective_Scan_fwd_kernel_traitsILi64ELi16ELi1ELb1ELb1ELb1ELb0ELb0EN3c108BFloat16EffEEv13SSMParamsBase,comdat
	.protected	_Z25selective_scan_fwd_kernelI32Selective_Scan_fwd_kernel_traitsILi64ELi16ELi1ELb1ELb1ELb1ELb0ELb0EN3c108BFloat16EffEEv13SSMParamsBase ; -- Begin function _Z25selective_scan_fwd_kernelI32Selective_Scan_fwd_kernel_traitsILi64ELi16ELi1ELb1ELb1ELb1ELb0ELb0EN3c108BFloat16EffEEv13SSMParamsBase
	.globl	_Z25selective_scan_fwd_kernelI32Selective_Scan_fwd_kernel_traitsILi64ELi16ELi1ELb1ELb1ELb1ELb0ELb0EN3c108BFloat16EffEEv13SSMParamsBase
	.p2align	8
	.type	_Z25selective_scan_fwd_kernelI32Selective_Scan_fwd_kernel_traitsILi64ELi16ELi1ELb1ELb1ELb1ELb0ELb0EN3c108BFloat16EffEEv13SSMParamsBase,@function
_Z25selective_scan_fwd_kernelI32Selective_Scan_fwd_kernel_traitsILi64ELi16ELi1ELb1ELb1ELb1ELb0ELb0EN3c108BFloat16EffEEv13SSMParamsBase: ; @_Z25selective_scan_fwd_kernelI32Selective_Scan_fwd_kernel_traitsILi64ELi16ELi1ELb1ELb1ELb1ELb0ELb0EN3c108BFloat16EffEEv13SSMParamsBase
; %bb.0:
	s_load_dword s27, s[0:1], 0x18
	s_load_dwordx4 s[4:7], s[0:1], 0xe8
	s_mov_b32 s22, s3
	s_waitcnt lgkmcnt(0)
	s_abs_i32 s26, s27
	v_cvt_f32_u32_e32 v1, s26
	s_cmp_eq_u64 s[6:7], 0
	v_rcp_iflag_f32_e32 v1, v1
	s_nop 0
	v_mul_f32_e32 v1, 0x4f7ffffe, v1
	v_cvt_u32_f32_e32 v1, v1
	s_nop 0
	v_readfirstlane_b32 s24, v1
	s_cbranch_scc1 .LBB51_3
; %bb.1:
	s_ashr_i32 s3, s2, 31
	s_add_u32 s6, s6, s2
	s_addc_u32 s7, s7, s3
	v_mov_b32_e32 v1, 0
	global_load_ubyte v1, v1, s[6:7]
	s_waitcnt vmcnt(0)
	v_and_b32_e32 v1, 1, v1
	v_cmp_eq_u32_e64 s[72:73], 1, v1
	s_load_dwordx2 s[6:7], s[0:1], 0x20
	s_cmp_eq_u64 s[4:5], 0
	s_cbranch_scc1 .LBB51_4
.LBB51_2:
	s_ashr_i32 s3, s2, 31
	s_lshl_b64 s[8:9], s[2:3], 2
	s_add_u32 s4, s4, s8
	s_addc_u32 s5, s5, s9
	s_load_dword s20, s[4:5], 0x0
	s_waitcnt lgkmcnt(0)
	s_ashr_i32 s21, s20, 31
	s_cmp_eq_u64 s[6:7], s[20:21]
	s_cbranch_scc0 .LBB51_5
	s_branch .LBB51_81
.LBB51_3:
	s_mov_b64 s[72:73], 0
	s_load_dwordx2 s[6:7], s[0:1], 0x20
	s_cmp_eq_u64 s[4:5], 0
	s_cbranch_scc0 .LBB51_2
.LBB51_4:
	s_mov_b32 s20, s2
	s_ashr_i32 s21, s20, 31
	s_waitcnt lgkmcnt(0)
	s_cmp_eq_u64 s[6:7], s[20:21]
	s_cbranch_scc1 .LBB51_81
.LBB51_5:
	s_load_dwordx16 s[4:19], s[0:1], 0x88
	s_load_dwordx2 s[30:31], s[0:1], 0x8
	s_mov_b32 s33, 0
	s_mov_b32 s74, 0
	s_waitcnt lgkmcnt(0)
	s_cmp_eq_u64 s[10:11], 0
	s_cbranch_scc1 .LBB51_7
; %bb.6:
	s_ashr_i32 s23, s22, 31
	s_lshl_b64 s[28:29], s[22:23], 2
	s_add_u32 s10, s10, s28
	s_addc_u32 s11, s11, s29
	s_load_dword s74, s[10:11], 0x0
.LBB51_7:
	s_cmp_eq_u64 s[16:17], 0
	s_cbranch_scc1 .LBB51_9
; %bb.8:
	s_ashr_i32 s23, s22, 31
	s_lshl_b64 s[10:11], s[22:23], 2
	s_add_u32 s10, s16, s10
	s_addc_u32 s11, s17, s11
	s_load_dword s33, s[10:11], 0x0
.LBB51_9:
	s_cmp_lt_i32 s30, 1
	s_cbranch_scc1 .LBB51_81
; %bb.10:
	s_sub_i32 s3, 0, s26
	s_mul_i32 s3, s3, s24
	s_mul_hi_u32 s3, s24, s3
	s_abs_i32 s21, s22
	s_add_i32 s3, s24, s3
	s_load_dwordx8 s[60:67], s[0:1], 0x2c
	s_load_dwordx2 s[10:11], s[0:1], 0x5c
	s_load_dwordx4 s[68:71], s[0:1], 0x4c
	s_load_dwordx4 s[56:59], s[0:1], 0x7c
	s_load_dwordx2 s[24:25], s[0:1], 0x6c
	s_load_dwordx2 s[16:17], s[0:1], 0xc8
	s_mul_hi_u32 s3, s21, s3
	s_load_dword s23, s[0:1], 0x28
	s_ashr_i32 s0, s22, 31
	s_ashr_i32 s1, s27, 31
	s_xor_b32 s0, s0, s1
	s_mul_i32 s1, s3, s26
	s_sub_i32 s1, s21, s1
	s_add_i32 s21, s3, 1
	s_sub_i32 s27, s1, s26
	s_cmp_ge_u32 s1, s26
	s_cselect_b32 s3, s21, s3
	s_cselect_b32 s1, s27, s1
	s_add_i32 s21, s3, 1
	s_cmp_ge_u32 s1, s26
	s_cselect_b32 s1, s21, s3
	s_xor_b32 s1, s1, s0
	s_waitcnt lgkmcnt(0)
	s_mul_i32 s76, s70, s2
	s_mov_b32 s77, 0
	s_sub_i32 s3, s1, s0
	s_lshl_b64 s[0:1], s[76:77], 1
	s_add_u32 s12, s12, s0
	s_mul_i32 s76, s71, s22
	s_addc_u32 s13, s13, s1
	s_lshl_b64 s[0:1], s[76:77], 1
	s_add_u32 s70, s12, s0
	s_mul_i32 s76, s10, s2
	s_addc_u32 s71, s13, s1
	;; [unrolled: 4-line block ×10, first 2 shown]
	s_lshl_b64 s[0:1], s[76:77], 2
	s_add_u32 s65, s3, s0
	s_addc_u32 s69, s4, s1
	s_add_i32 s0, s30, 0x7ff
	v_mbcnt_lo_u32_b32 v1, -1, 0
	s_lshr_b32 s1, s0, 11
	v_mbcnt_hi_u32_b32 v2, -1, v1
	s_movk_i32 s0, 0x80
	v_cmp_gt_u32_e64 s[4:5], s0, v2
                                        ; implicit-def: $vgpr95 : SGPR spill to VGPR lane
	v_add_u32_e32 v1, 64, v2
	v_lshrrev_b32_e32 v3, 5, v2
	v_writelane_b32 v95, s4, 0
	v_add_u32_e32 v3, v3, v2
	s_bitcmp1_b32 s23, 0
	v_writelane_b32 v95, s5, 1
	v_cmp_gt_u32_e64 s[4:5], s0, v1
	v_lshrrev_b32_e32 v1, 5, v1
	v_lshl_add_u32 v3, v3, 4, 0
	v_writelane_b32 v95, s4, 2
	v_add_lshl_u32 v1, v1, v2, 4
	s_cselect_b64 s[80:81], -1, 0
	s_cmp_gt_i32 s31, 0
	v_writelane_b32 v95, s5, 3
	scratch_store_dword off, v3, off        ; 4-byte Folded Spill
	v_add_u32_e32 v3, 0, v1
	s_cselect_b64 s[4:5], -1, 0
	scratch_store_dword off, v3, off offset:4 ; 4-byte Folded Spill
	v_lshlrev_b32_e32 v3, 1, v2
	v_bfe_u32 v4, v2, 4, 27
	v_writelane_b32 v95, s4, 4
	s_add_i32 s0, 0, 0x840
	v_add_lshl_u32 v3, v4, v3, 4
	v_writelane_b32 v95, s5, 5
	v_add_u32_e32 v1, s0, v1
	scratch_store_dword off, v1, off offset:44 ; 4-byte Folded Spill
	v_add_u32_e32 v1, s0, v3
	v_writelane_b32 v95, s30, 6
	s_and_b32 s0, s30, 0x3ff
	s_cmp_eq_u32 s0, 0
	v_writelane_b32 v95, s31, 7
	scratch_store_dword off, v1, off offset:48 ; 4-byte Folded Spill
	s_cselect_b64 s[84:85], -1, 0
	v_and_b32_e32 v1, 15, v2
	v_writelane_b32 v95, s1, 8
	s_add_i32 s0, s1, -1
	s_mul_i32 s76, s24, s2
	v_cmp_ne_u32_e64 s[4:5], 0, v1
	v_cmp_lt_u32_e64 s[6:7], 1, v1
	v_cmp_lt_u32_e64 s[8:9], 3, v1
	;; [unrolled: 1-line block ×3, first 2 shown]
	v_and_b32_e32 v1, 16, v2
	v_writelane_b32 v95, s0, 9
	s_lshl_b64 s[0:1], s[76:77], 1
	v_add_u32_e32 v4, 0, v3
	s_add_u32 s2, s18, s0
	v_cmp_ne_u32_e64 s[12:13], 0, v1
	v_add_u32_e32 v1, -1, v2
	v_and_b32_e32 v3, 64, v2
	s_mul_i32 s76, s25, s22
	s_addc_u32 s3, s19, s1
	v_cmp_lt_i32_e32 vcc, v1, v3
	s_lshl_b64 s[0:1], s[76:77], 1
	s_add_u32 s0, s2, s0
	v_cndmask_b32_e32 v1, v1, v2, vcc
	v_mov_b32_e32 v33, 0
	v_lshlrev_b32_e32 v1, 2, v1
	s_addc_u32 s1, s3, s1
	v_lshlrev_b32_e32 v32, 4, v2
	scratch_store_dword off, v4, off offset:8 ; 4-byte Folded Spill
	v_lshlrev_b32_e32 v4, 4, v0
	v_cmp_eq_u32_e64 s[16:17], 63, v0
	scratch_store_dword off, v1, off offset:52 ; 4-byte Folded Spill
	v_cmp_gt_u32_e64 s[18:19], 64, v0
	v_cmp_eq_u32_e64 s[20:21], 0, v0
	v_lshl_add_u64 v[0:1], s[0:1], 0, v[32:33]
	scratch_store_dwordx2 off, v[0:1], off offset:128 ; 8-byte Folded Spill
	v_or_b32_e32 v0, 1, v4
	scratch_store_dword off, v0, off offset:140 ; 4-byte Folded Spill
	v_or_b32_e32 v0, 2, v4
	scratch_store_dword off, v0, off offset:144 ; 4-byte Folded Spill
	;; [unrolled: 2-line block ×14, first 2 shown]
	scratch_store_dword off, v4, off offset:136 ; 4-byte Folded Spill
	v_or_b32_e32 v0, 15, v4
	scratch_store_dword off, v0, off offset:196 ; 4-byte Folded Spill
                                        ; implicit-def: $vgpr0
	s_add_i32 s0, 0, 0x1088
	v_cmp_lt_u32_e64 s[14:15], 31, v2
	v_lshlrev_b32_e32 v32, 4, v2
	s_mov_b32 s82, 0x41a00000
	s_mov_b32 s83, 0x33800000
	v_writelane_b32 v95, s0, 10
	s_mov_b32 s75, 0xc2fc0000
	s_movk_i32 s0, 0x7fff
	s_mov_b32 s1, 0x5040100
	v_mov_b32_e32 v0, 0x3f317218
	v_mov_b32_e32 v94, 0x42800000
	;; [unrolled: 1-line block ×3, first 2 shown]
	s_mov_b32 s56, 0
	scratch_store_dwordx2 off, v[0:1], off offset:56 ; 8-byte Folded Spill
                                        ; implicit-def: $vgpr0_vgpr1
	scratch_store_dwordx4 off, v[0:3], off offset:64 ; 16-byte Folded Spill
                                        ; implicit-def: $vgpr18_vgpr19
                                        ; implicit-def: $vgpr26_vgpr27
                                        ; implicit-def: $vgpr22_vgpr23
	s_branch .LBB51_13
.LBB51_11:                              ;   in Loop: Header=BB51_13 Depth=1
	scratch_load_dwordx4 v[18:21], off, off offset:80 ; 16-byte Folded Reload
	scratch_load_dwordx4 v[22:25], off, off offset:96 ; 16-byte Folded Reload
	;; [unrolled: 1-line block ×3, first 2 shown]
.LBB51_12:                              ;   in Loop: Header=BB51_13 Depth=1
	s_waitcnt lgkmcnt(0)
	; wave barrier
	scratch_load_dword v9, off, off offset:8 ; 4-byte Folded Reload
	v_bfe_u32 v0, v52, 16, 1
	v_bfe_u32 v1, v53, 16, 1
	v_add3_u32 v0, v52, v0, s0
	v_bfe_u32 v2, v50, 16, 1
	v_add3_u32 v1, v53, v1, s0
	v_lshrrev_b32_e32 v0, 16, v0
	v_cmp_o_f32_e32 vcc, v52, v52
	v_mov_b32_e32 v10, 0x7fc0
	v_bfe_u32 v3, v51, 16, 1
	v_add3_u32 v2, v50, v2, s0
	v_lshrrev_b32_e32 v1, 16, v1
	v_cndmask_b32_e32 v0, v10, v0, vcc
	v_cmp_o_f32_e32 vcc, v53, v53
	v_add3_u32 v3, v51, v3, s0
	v_lshrrev_b32_e32 v2, 16, v2
	v_cndmask_b32_e32 v4, v10, v1, vcc
	v_cmp_o_f32_e32 vcc, v50, v50
	v_lshrrev_b32_e32 v3, 16, v3
	v_bfe_u32 v6, v46, 16, 1
	v_cndmask_b32_e32 v1, v10, v2, vcc
	v_cmp_o_f32_e32 vcc, v51, v51
	v_bfe_u32 v2, v48, 16, 1
	v_add3_u32 v2, v48, v2, s0
	v_cndmask_b32_e32 v5, v10, v3, vcc
	v_bfe_u32 v3, v49, 16, 1
	v_add3_u32 v3, v49, v3, s0
	v_lshrrev_b32_e32 v2, 16, v2
	v_cmp_o_f32_e32 vcc, v48, v48
	v_bfe_u32 v7, v47, 16, 1
	v_add3_u32 v6, v46, v6, s0
	v_lshrrev_b32_e32 v3, 16, v3
	v_cndmask_b32_e32 v2, v10, v2, vcc
	v_cmp_o_f32_e32 vcc, v49, v49
	v_add3_u32 v7, v47, v7, s0
	v_lshrrev_b32_e32 v6, 16, v6
	v_cndmask_b32_e32 v8, v10, v3, vcc
	v_cmp_o_f32_e32 vcc, v46, v46
	v_lshrrev_b32_e32 v7, 16, v7
	v_perm_b32 v2, v8, v2, s1
	v_cndmask_b32_e32 v3, v10, v6, vcc
	v_cmp_o_f32_e32 vcc, v47, v47
	v_perm_b32 v1, v5, v1, s1
	v_perm_b32 v0, v4, v0, s1
	v_cndmask_b32_e32 v6, v10, v7, vcc
	v_perm_b32 v3, v6, v3, s1
	v_cmp_o_f32_e32 vcc, v44, v44
	v_bfe_u32 v6, v38, 16, 1
	v_bfe_u32 v7, v39, 16, 1
	v_add3_u32 v6, v38, v6, s0
	v_add3_u32 v7, v39, v7, s0
	v_lshrrev_b32_e32 v6, 16, v6
	v_lshrrev_b32_e32 v7, 16, v7
	s_mov_b32 s3, s77
	s_add_u32 s78, s78, 0x800
	s_addc_u32 s79, s79, 0
	s_add_u32 s70, s70, 0x800
	s_addc_u32 s71, s71, 0
	s_add_u32 s62, s62, 0x800
	s_addc_u32 s63, s63, 0
	s_add_u32 s66, s66, 0x800
	s_addc_u32 s67, s67, 0
	s_add_i32 s56, s56, 1
	s_waitcnt vmcnt(0)
	ds_write_b128 v9, v[0:3]
	v_bfe_u32 v0, v44, 16, 1
	v_bfe_u32 v1, v45, 16, 1
	v_add3_u32 v0, v44, v0, s0
	v_bfe_u32 v2, v42, 16, 1
	v_add3_u32 v1, v45, v1, s0
	v_lshrrev_b32_e32 v0, 16, v0
	v_bfe_u32 v3, v43, 16, 1
	v_add3_u32 v2, v42, v2, s0
	v_lshrrev_b32_e32 v1, 16, v1
	v_cndmask_b32_e32 v0, v10, v0, vcc
	v_cmp_o_f32_e32 vcc, v45, v45
	v_add3_u32 v3, v43, v3, s0
	v_lshrrev_b32_e32 v2, 16, v2
	v_cndmask_b32_e32 v4, v10, v1, vcc
	v_cmp_o_f32_e32 vcc, v42, v42
	v_lshrrev_b32_e32 v3, 16, v3
	v_perm_b32 v0, v4, v0, s1
	v_cndmask_b32_e32 v1, v10, v2, vcc
	v_cmp_o_f32_e32 vcc, v43, v43
	v_bfe_u32 v2, v40, 16, 1
	v_add3_u32 v2, v40, v2, s0
	v_cndmask_b32_e32 v5, v10, v3, vcc
	v_bfe_u32 v3, v41, 16, 1
	v_add3_u32 v3, v41, v3, s0
	v_lshrrev_b32_e32 v2, 16, v2
	v_cmp_o_f32_e32 vcc, v40, v40
	v_lshrrev_b32_e32 v3, 16, v3
	v_perm_b32 v1, v5, v1, s1
	v_cndmask_b32_e32 v2, v10, v2, vcc
	v_cmp_o_f32_e32 vcc, v41, v41
	s_nop 1
	v_cndmask_b32_e32 v8, v10, v3, vcc
	v_cmp_o_f32_e32 vcc, v38, v38
	v_perm_b32 v2, v8, v2, s1
	s_nop 0
	v_cndmask_b32_e32 v3, v10, v6, vcc
	v_cmp_o_f32_e32 vcc, v39, v39
	s_nop 1
	v_cndmask_b32_e32 v6, v10, v7, vcc
	v_perm_b32 v3, v6, v3, s1
	ds_write_b128 v9, v[0:3] offset:16
	; wave barrier
	scratch_load_dwordx2 v[4:5], off, off offset:128 ; 8-byte Folded Reload
	scratch_load_dword v0, off, off         ; 4-byte Folded Reload
	s_waitcnt vmcnt(1)
	v_lshl_add_u64 v[8:9], s[2:3], 1, v[4:5]
	scratch_load_dword v4, off, off offset:4 ; 4-byte Folded Reload
	s_waitcnt vmcnt(1)
	ds_read_b128 v[0:3], v0
	v_readlane_b32 s2, v95, 8
	s_cmp_eq_u32 s56, s2
	s_waitcnt vmcnt(0)
	ds_read_b128 v[4:7], v4 offset:1024
	s_waitcnt lgkmcnt(1)
	global_store_short v[8:9], v0, off
	v_alignbit_b32 v11, v2, v1, 16
	v_alignbit_b32 v10, v1, v0, 16
	;; [unrolled: 1-line block ×3, first 2 shown]
	global_store_short_d16_hi v[8:9], v3, off offset:14
	global_store_dword v[8:9], v0, off offset:10
	global_store_dwordx2 v[8:9], v[10:11], off offset:2
	s_waitcnt lgkmcnt(0)
	global_store_dwordx4 v[8:9], v[4:7], off offset:1024
	s_cbranch_scc1 .LBB51_81
.LBB51_13:                              ; =>This Loop Header: Depth=1
                                        ;     Child Loop BB51_56 Depth 2
	v_lshl_add_u64 v[16:17], s[70:71], 0, v[32:33]
	s_waitcnt lgkmcnt(0)
	; wave barrier
	s_mov_b64 s[2:3], exec
	v_readlane_b32 s22, v95, 0
	v_readlane_b32 s23, v95, 1
	s_and_b64 s[22:23], s[2:3], s[22:23]
	s_mov_b64 exec, s[22:23]
	s_cbranch_execz .LBB51_15
; %bb.14:                               ;   in Loop: Header=BB51_13 Depth=1
	global_load_dwordx4 v[26:29], v[16:17], off
.LBB51_15:                              ;   in Loop: Header=BB51_13 Depth=1
	s_or_b64 exec, exec, s[2:3]
	s_mov_b64 s[2:3], exec
	v_readlane_b32 s22, v95, 2
	v_readlane_b32 s23, v95, 3
	s_and_b64 s[22:23], s[2:3], s[22:23]
	s_mov_b64 exec, s[22:23]
	s_cbranch_execz .LBB51_17
; %bb.16:                               ;   in Loop: Header=BB51_13 Depth=1
	global_load_dwordx4 v[22:25], v[16:17], off offset:1024
.LBB51_17:                              ;   in Loop: Header=BB51_13 Depth=1
	s_or_b64 exec, exec, s[2:3]
	scratch_load_dword v0, off, off         ; 4-byte Folded Reload
	v_lshl_add_u64 v[16:17], s[78:79], 0, v[32:33]
	s_waitcnt vmcnt(0)
	ds_write_b128 v0, v[26:29]
	scratch_load_dword v0, off, off offset:4 ; 4-byte Folded Reload
	s_waitcnt vmcnt(0)
	ds_write_b128 v0, v[22:25] offset:1024
	; wave barrier
	scratch_load_dword v0, off, off offset:8 ; 4-byte Folded Reload
	s_waitcnt vmcnt(0)
	ds_read_b128 v[26:29], v0
	ds_read_b128 v[22:25], v0 offset:16
	s_waitcnt lgkmcnt(0)
	; wave barrier
	s_waitcnt lgkmcnt(0)
	s_mov_b64 s[2:3], exec
	v_readlane_b32 s22, v95, 0
	v_readlane_b32 s23, v95, 1
	s_and_b64 s[22:23], s[2:3], s[22:23]
	s_mov_b64 exec, s[22:23]
	s_cbranch_execz .LBB51_19
; %bb.18:                               ;   in Loop: Header=BB51_13 Depth=1
	global_load_dwordx4 v[0:3], v[16:17], off
	s_waitcnt vmcnt(0)
	scratch_store_dwordx4 off, v[0:3], off offset:64 ; 16-byte Folded Spill
.LBB51_19:                              ;   in Loop: Header=BB51_13 Depth=1
	s_or_b64 exec, exec, s[2:3]
	s_mov_b64 s[2:3], exec
	v_readlane_b32 s22, v95, 2
	v_readlane_b32 s23, v95, 3
	s_and_b64 s[22:23], s[2:3], s[22:23]
	s_mov_b64 exec, s[22:23]
	s_cbranch_execz .LBB51_21
; %bb.20:                               ;   in Loop: Header=BB51_13 Depth=1
	global_load_dwordx4 v[18:21], v[16:17], off offset:1024
.LBB51_21:                              ;   in Loop: Header=BB51_13 Depth=1
	s_or_b64 exec, exec, s[2:3]
	scratch_load_dword v0, off, off         ; 4-byte Folded Reload
	scratch_load_dwordx4 v[2:5], off, off offset:64 ; 16-byte Folded Reload
	s_waitcnt vmcnt(0)
	ds_write_b128 v0, v[2:5]
	scratch_load_dword v0, off, off offset:4 ; 4-byte Folded Reload
	s_waitcnt vmcnt(0)
	ds_write_b128 v0, v[18:21] offset:1024
	; wave barrier
	scratch_load_dword v0, off, off offset:8 ; 4-byte Folded Reload
	s_waitcnt vmcnt(0)
	ds_read_b128 v[2:5], v0
	ds_read_b128 v[18:21], v0 offset:16
	s_waitcnt lgkmcnt(1)
	v_lshlrev_b32_e32 v0, 16, v2
	v_add_f32_e32 v79, s33, v0
	v_cmp_ge_f32_e32 vcc, s82, v79
	s_and_b64 s[2:3], s[80:81], vcc
	scratch_store_dwordx4 off, v[2:5], off offset:64 ; 16-byte Folded Spill
	s_and_saveexec_b64 s[22:23], s[2:3]
	s_cbranch_execz .LBB51_23
; %bb.22:                               ;   in Loop: Header=BB51_13 Depth=1
	v_mul_f32_e32 v0, 0x3fb8aa3b, v79
	v_rndne_f32_e32 v1, v0
	s_mov_b32 s2, 0x3fb8aa3b
	v_sub_f32_e32 v2, v0, v1
	v_fma_f32 v0, v79, s2, -v0
	v_fmac_f32_e32 v0, 0x32a5705f, v79
	v_add_f32_e32 v0, v2, v0
	v_cvt_i32_f32_e32 v1, v1
	v_exp_f32_e32 v0, v0
	s_mov_b32 s2, 0xc2ce8ed0
	v_cmp_ngt_f32_e32 vcc, s2, v79
	s_mov_b32 s2, 0x42b17218
	v_ldexp_f32 v0, v0, v1
	v_cndmask_b32_e32 v0, 0, v0, vcc
	v_cmp_nlt_f32_e32 vcc, s2, v79
	v_mov_b32_e32 v1, 0x7f800000
	s_mov_b32 s2, 0x3f2aaaab
	v_cndmask_b32_e32 v16, v1, v0, vcc
	v_add_f32_e32 v2, 1.0, v16
	v_add_f32_e32 v0, -1.0, v2
	v_sub_f32_e32 v1, v0, v2
	v_add_f32_e32 v1, 1.0, v1
	v_sub_f32_e32 v0, v16, v0
	v_add_f32_e32 v3, v0, v1
	v_frexp_mant_f32_e32 v4, v2
	v_cvt_f64_f32_e32 v[0:1], v2
	v_frexp_exp_i32_f64_e32 v0, v[0:1]
	v_cmp_gt_f32_e32 vcc, s2, v4
	s_mov_b32 s2, 0x3f317218
	s_nop 0
	v_subbrev_co_u32_e32 v8, vcc, 0, v0, vcc
	v_sub_u32_e32 v0, 0, v8
	v_ldexp_f32 v1, v2, v0
	v_add_f32_e32 v2, -1.0, v1
	v_add_f32_e32 v4, 1.0, v1
	v_ldexp_f32 v0, v3, v0
	v_add_f32_e32 v3, 1.0, v2
	v_add_f32_e32 v5, -1.0, v4
	v_sub_f32_e32 v3, v1, v3
	v_sub_f32_e32 v1, v1, v5
	v_add_f32_e32 v3, v0, v3
	v_add_f32_e32 v0, v0, v1
	;; [unrolled: 1-line block ×3, first 2 shown]
	v_rcp_f32_e32 v11, v9
	v_sub_f32_e32 v1, v4, v9
	v_add_f32_e32 v10, v0, v1
	v_add_f32_e32 v1, v2, v3
	v_mul_f32_e32 v13, v1, v11
	v_sub_f32_e32 v0, v2, v1
	v_mul_f32_e32 v2, v9, v13
	v_fma_f32 v4, v13, v9, -v2
	v_fmac_f32_e32 v4, v13, v10
	v_add_f32_e32 v12, v3, v0
	v_add_f32_e32 v0, v2, v4
	v_sub_f32_e32 v3, v1, v0
	v_pk_add_f32 v[6:7], v[0:1], v[2:3] neg_lo:[0,1] neg_hi:[0,1]
	v_mov_b32_e32 v5, v0
	v_pk_add_f32 v[0:1], v[6:7], v[4:5] neg_lo:[0,1] neg_hi:[0,1]
	s_nop 0
	v_add_f32_e32 v1, v12, v1
	v_add_f32_e32 v0, v0, v1
	;; [unrolled: 1-line block ×3, first 2 shown]
	v_mul_f32_e32 v12, v11, v1
	v_mul_f32_e32 v2, v9, v12
	v_fma_f32 v4, v12, v9, -v2
	v_fmac_f32_e32 v4, v12, v10
	v_sub_f32_e32 v3, v3, v1
	v_add_f32_e32 v9, v0, v3
	v_add_f32_e32 v0, v2, v4
	v_sub_f32_e32 v3, v1, v0
	v_pk_add_f32 v[6:7], v[0:1], v[2:3] neg_lo:[0,1] neg_hi:[0,1]
	v_mov_b32_e32 v5, v0
	v_pk_add_f32 v[0:1], v[6:7], v[4:5] neg_lo:[0,1] neg_hi:[0,1]
	scratch_load_dwordx2 v[6:7], off, off offset:56 ; 8-byte Folded Reload
	v_add_f32_e32 v1, v9, v1
	v_add_f32_e32 v0, v0, v1
	v_add_f32_e32 v1, v13, v12
	v_add_f32_e32 v0, v3, v0
	v_sub_f32_e32 v2, v1, v13
	v_mul_f32_e32 v0, v11, v0
	v_sub_f32_e32 v2, v12, v2
	v_add_f32_e32 v2, v2, v0
	v_add_f32_e32 v4, v1, v2
	v_mul_f32_e32 v5, v4, v4
	v_mov_b32_e32 v0, 0x3ecc95a3
	v_fmamk_f32 v0, v5, 0x3e9b6dac, v0
	v_fmaak_f32 v11, v5, v0, 0x3f2aaada
	v_cvt_f32_i32_e32 v0, v8
	v_sub_f32_e32 v1, v4, v1
	v_sub_f32_e32 v1, v2, v1
	v_ldexp_f32 v3, v4, 1
	s_waitcnt vmcnt(0)
	v_mov_b32_e32 v10, v6
	v_ldexp_f32 v6, v1, 1
	v_mul_f32_e32 v1, v4, v5
	v_mov_b32_e32 v2, v10
	v_pk_mul_f32 v[4:5], v[0:1], v[10:11]
	scratch_store_dwordx2 off, v[2:3], off offset:56 ; 8-byte Folded Spill
	v_fma_f32 v2, v0, s2, -v4
	v_fmac_f32_e32 v2, 0xb102e308, v0
	v_pk_add_f32 v[0:1], v[4:5], v[2:3]
	s_mov_b32 s2, 0x7f800000
	v_sub_f32_e32 v3, v1, v3
	v_sub_f32_e32 v3, v5, v3
	v_add_f32_e32 v7, v6, v3
	v_mov_b32_e32 v6, v4
	v_pk_add_f32 v[4:5], v[0:1], v[4:5] neg_lo:[0,1] neg_hi:[0,1]
	v_pk_add_f32 v[8:9], v[0:1], v[6:7]
	v_mov_b32_e32 v3, v0
	v_mov_b32_e32 v5, v9
	v_pk_add_f32 v[10:11], v[2:3], v[4:5] neg_lo:[0,1] neg_hi:[0,1]
	v_pk_add_f32 v[2:3], v[2:3], v[4:5]
	v_mov_b32_e32 v6, v7
	v_mov_b32_e32 v4, v3
	v_pk_add_f32 v[12:13], v[4:5], v[0:1] neg_lo:[0,1] neg_hi:[0,1]
	v_mov_b32_e32 v2, v9
	v_mov_b32_e32 v5, v12
	v_pk_add_f32 v[14:15], v[8:9], v[4:5] neg_lo:[0,1] neg_hi:[0,1]
	v_mov_b32_e32 v8, v1
	v_mov_b32_e32 v9, v12
	;; [unrolled: 1-line block ×3, first 2 shown]
	v_pk_add_f32 v[2:3], v[2:3], v[8:9] neg_lo:[0,1] neg_hi:[0,1]
	v_mov_b32_e32 v7, v0
	v_pk_add_f32 v[0:1], v[6:7], v[2:3] neg_lo:[0,1] neg_hi:[0,1]
	v_mov_b32_e32 v14, v10
	v_pk_add_f32 v[2:3], v[14:15], v[0:1]
	v_cmp_eq_f32_e32 vcc, s2, v16
	v_mov_b32_e32 v6, v3
	v_pk_add_f32 v[6:7], v[2:3], v[6:7]
	v_cmp_gt_f32_e64 s[2:3], s83, v16
	v_pk_add_f32 v[4:5], v[4:5], v[6:7]
	v_mov_b32_e32 v1, v6
	v_mov_b32_e32 v3, v4
	v_pk_add_f32 v[8:9], v[2:3], v[10:11] neg_lo:[0,1] neg_hi:[0,1]
	s_or_b64 vcc, s[2:3], vcc
	v_sub_f32_e32 v2, v2, v8
	v_pk_add_f32 v[0:1], v[0:1], v[8:9] neg_lo:[0,1] neg_hi:[0,1]
	v_sub_f32_e32 v2, v10, v2
	v_add_f32_e32 v0, v0, v2
	v_add_f32_e32 v0, v0, v1
	;; [unrolled: 1-line block ×3, first 2 shown]
	v_cndmask_b32_e32 v79, v0, v16, vcc
.LBB51_23:                              ;   in Loop: Header=BB51_13 Depth=1
	s_or_b64 exec, exec, s[22:23]
	scratch_load_dwordx4 v[0:3], off, off offset:64 ; 16-byte Folded Reload
	s_waitcnt vmcnt(0)
	v_and_b32_e32 v0, 0xffff0000, v0
	v_add_f32_e32 v80, s33, v0
	v_cmp_ge_f32_e32 vcc, s82, v80
	s_and_b64 s[2:3], s[80:81], vcc
	s_and_saveexec_b64 s[22:23], s[2:3]
	s_cbranch_execz .LBB51_25
; %bb.24:                               ;   in Loop: Header=BB51_13 Depth=1
	v_mul_f32_e32 v0, 0x3fb8aa3b, v80
	v_rndne_f32_e32 v1, v0
	s_mov_b32 s2, 0x3fb8aa3b
	v_sub_f32_e32 v2, v0, v1
	v_fma_f32 v0, v80, s2, -v0
	v_fmac_f32_e32 v0, 0x32a5705f, v80
	v_add_f32_e32 v0, v2, v0
	v_cvt_i32_f32_e32 v1, v1
	v_exp_f32_e32 v0, v0
	s_mov_b32 s2, 0xc2ce8ed0
	v_cmp_ngt_f32_e32 vcc, s2, v80
	s_mov_b32 s2, 0x42b17218
	v_ldexp_f32 v0, v0, v1
	v_cndmask_b32_e32 v0, 0, v0, vcc
	v_cmp_nlt_f32_e32 vcc, s2, v80
	v_mov_b32_e32 v1, 0x7f800000
	s_mov_b32 s2, 0x3f2aaaab
	v_cndmask_b32_e32 v16, v1, v0, vcc
	v_add_f32_e32 v2, 1.0, v16
	v_add_f32_e32 v0, -1.0, v2
	v_sub_f32_e32 v1, v0, v2
	v_add_f32_e32 v1, 1.0, v1
	v_sub_f32_e32 v0, v16, v0
	v_add_f32_e32 v3, v0, v1
	v_frexp_mant_f32_e32 v4, v2
	v_cvt_f64_f32_e32 v[0:1], v2
	v_frexp_exp_i32_f64_e32 v0, v[0:1]
	v_cmp_gt_f32_e32 vcc, s2, v4
	s_mov_b32 s2, 0x3f317218
	s_nop 0
	v_subbrev_co_u32_e32 v8, vcc, 0, v0, vcc
	v_sub_u32_e32 v0, 0, v8
	v_ldexp_f32 v1, v2, v0
	v_add_f32_e32 v2, -1.0, v1
	v_add_f32_e32 v4, 1.0, v1
	v_ldexp_f32 v0, v3, v0
	v_add_f32_e32 v3, 1.0, v2
	v_add_f32_e32 v5, -1.0, v4
	v_sub_f32_e32 v3, v1, v3
	v_sub_f32_e32 v1, v1, v5
	v_add_f32_e32 v3, v0, v3
	v_add_f32_e32 v0, v0, v1
	;; [unrolled: 1-line block ×3, first 2 shown]
	v_rcp_f32_e32 v11, v9
	v_sub_f32_e32 v1, v4, v9
	v_add_f32_e32 v10, v0, v1
	v_add_f32_e32 v1, v2, v3
	v_mul_f32_e32 v13, v1, v11
	v_sub_f32_e32 v0, v2, v1
	v_mul_f32_e32 v2, v9, v13
	v_fma_f32 v4, v13, v9, -v2
	v_fmac_f32_e32 v4, v13, v10
	v_add_f32_e32 v12, v3, v0
	v_add_f32_e32 v0, v2, v4
	v_sub_f32_e32 v3, v1, v0
	v_pk_add_f32 v[6:7], v[0:1], v[2:3] neg_lo:[0,1] neg_hi:[0,1]
	v_mov_b32_e32 v5, v0
	v_pk_add_f32 v[0:1], v[6:7], v[4:5] neg_lo:[0,1] neg_hi:[0,1]
	s_nop 0
	v_add_f32_e32 v1, v12, v1
	v_add_f32_e32 v0, v0, v1
	v_add_f32_e32 v1, v3, v0
	v_mul_f32_e32 v12, v11, v1
	v_mul_f32_e32 v2, v9, v12
	v_fma_f32 v4, v12, v9, -v2
	v_fmac_f32_e32 v4, v12, v10
	v_sub_f32_e32 v3, v3, v1
	v_add_f32_e32 v9, v0, v3
	v_add_f32_e32 v0, v2, v4
	v_sub_f32_e32 v3, v1, v0
	v_pk_add_f32 v[6:7], v[0:1], v[2:3] neg_lo:[0,1] neg_hi:[0,1]
	v_mov_b32_e32 v5, v0
	v_pk_add_f32 v[0:1], v[6:7], v[4:5] neg_lo:[0,1] neg_hi:[0,1]
	scratch_load_dwordx2 v[6:7], off, off offset:56 ; 8-byte Folded Reload
	v_add_f32_e32 v1, v9, v1
	v_add_f32_e32 v0, v0, v1
	;; [unrolled: 1-line block ×4, first 2 shown]
	v_sub_f32_e32 v2, v1, v13
	v_mul_f32_e32 v0, v11, v0
	v_sub_f32_e32 v2, v12, v2
	v_add_f32_e32 v2, v2, v0
	v_add_f32_e32 v4, v1, v2
	v_mul_f32_e32 v5, v4, v4
	v_mov_b32_e32 v0, 0x3ecc95a3
	v_fmamk_f32 v0, v5, 0x3e9b6dac, v0
	v_fmaak_f32 v11, v5, v0, 0x3f2aaada
	v_cvt_f32_i32_e32 v0, v8
	v_sub_f32_e32 v1, v4, v1
	v_sub_f32_e32 v1, v2, v1
	v_ldexp_f32 v3, v4, 1
	s_waitcnt vmcnt(0)
	v_mov_b32_e32 v10, v6
	v_ldexp_f32 v6, v1, 1
	v_mul_f32_e32 v1, v4, v5
	v_mov_b32_e32 v2, v10
	v_pk_mul_f32 v[4:5], v[0:1], v[10:11]
	scratch_store_dwordx2 off, v[2:3], off offset:56 ; 8-byte Folded Spill
	v_fma_f32 v2, v0, s2, -v4
	v_fmac_f32_e32 v2, 0xb102e308, v0
	v_pk_add_f32 v[0:1], v[4:5], v[2:3]
	s_mov_b32 s2, 0x7f800000
	v_sub_f32_e32 v3, v1, v3
	v_sub_f32_e32 v3, v5, v3
	v_add_f32_e32 v7, v6, v3
	v_mov_b32_e32 v6, v4
	v_pk_add_f32 v[4:5], v[0:1], v[4:5] neg_lo:[0,1] neg_hi:[0,1]
	v_pk_add_f32 v[8:9], v[0:1], v[6:7]
	v_mov_b32_e32 v3, v0
	v_mov_b32_e32 v5, v9
	v_pk_add_f32 v[10:11], v[2:3], v[4:5] neg_lo:[0,1] neg_hi:[0,1]
	v_pk_add_f32 v[2:3], v[2:3], v[4:5]
	v_mov_b32_e32 v6, v7
	v_mov_b32_e32 v4, v3
	v_pk_add_f32 v[12:13], v[4:5], v[0:1] neg_lo:[0,1] neg_hi:[0,1]
	v_mov_b32_e32 v2, v9
	v_mov_b32_e32 v5, v12
	v_pk_add_f32 v[14:15], v[8:9], v[4:5] neg_lo:[0,1] neg_hi:[0,1]
	v_mov_b32_e32 v8, v1
	v_mov_b32_e32 v9, v12
	;; [unrolled: 1-line block ×3, first 2 shown]
	v_pk_add_f32 v[2:3], v[2:3], v[8:9] neg_lo:[0,1] neg_hi:[0,1]
	v_mov_b32_e32 v7, v0
	v_pk_add_f32 v[0:1], v[6:7], v[2:3] neg_lo:[0,1] neg_hi:[0,1]
	v_mov_b32_e32 v14, v10
	v_pk_add_f32 v[2:3], v[14:15], v[0:1]
	v_cmp_eq_f32_e32 vcc, s2, v16
	v_mov_b32_e32 v6, v3
	v_pk_add_f32 v[6:7], v[2:3], v[6:7]
	v_cmp_gt_f32_e64 s[2:3], s83, v16
	v_pk_add_f32 v[4:5], v[4:5], v[6:7]
	v_mov_b32_e32 v1, v6
	v_mov_b32_e32 v3, v4
	v_pk_add_f32 v[8:9], v[2:3], v[10:11] neg_lo:[0,1] neg_hi:[0,1]
	s_or_b64 vcc, s[2:3], vcc
	v_sub_f32_e32 v2, v2, v8
	v_pk_add_f32 v[0:1], v[0:1], v[8:9] neg_lo:[0,1] neg_hi:[0,1]
	v_sub_f32_e32 v2, v10, v2
	v_add_f32_e32 v0, v0, v2
	v_add_f32_e32 v0, v0, v1
	;; [unrolled: 1-line block ×3, first 2 shown]
	v_cndmask_b32_e32 v80, v0, v16, vcc
.LBB51_25:                              ;   in Loop: Header=BB51_13 Depth=1
	s_or_b64 exec, exec, s[22:23]
	scratch_load_dwordx4 v[0:3], off, off offset:64 ; 16-byte Folded Reload
	s_waitcnt vmcnt(0)
	v_lshlrev_b32_e32 v0, 16, v1
	v_add_f32_e32 v81, s33, v0
	v_cmp_ge_f32_e32 vcc, s82, v81
	s_and_b64 s[2:3], s[80:81], vcc
	s_and_saveexec_b64 s[22:23], s[2:3]
	s_cbranch_execz .LBB51_27
; %bb.26:                               ;   in Loop: Header=BB51_13 Depth=1
	v_mul_f32_e32 v0, 0x3fb8aa3b, v81
	v_rndne_f32_e32 v1, v0
	s_mov_b32 s2, 0x3fb8aa3b
	v_sub_f32_e32 v2, v0, v1
	v_fma_f32 v0, v81, s2, -v0
	v_fmac_f32_e32 v0, 0x32a5705f, v81
	v_add_f32_e32 v0, v2, v0
	v_cvt_i32_f32_e32 v1, v1
	v_exp_f32_e32 v0, v0
	s_mov_b32 s2, 0xc2ce8ed0
	v_cmp_ngt_f32_e32 vcc, s2, v81
	s_mov_b32 s2, 0x42b17218
	v_ldexp_f32 v0, v0, v1
	v_cndmask_b32_e32 v0, 0, v0, vcc
	v_cmp_nlt_f32_e32 vcc, s2, v81
	v_mov_b32_e32 v1, 0x7f800000
	s_mov_b32 s2, 0x3f2aaaab
	v_cndmask_b32_e32 v16, v1, v0, vcc
	v_add_f32_e32 v2, 1.0, v16
	v_add_f32_e32 v0, -1.0, v2
	v_sub_f32_e32 v1, v0, v2
	v_add_f32_e32 v1, 1.0, v1
	v_sub_f32_e32 v0, v16, v0
	v_add_f32_e32 v3, v0, v1
	v_frexp_mant_f32_e32 v4, v2
	v_cvt_f64_f32_e32 v[0:1], v2
	v_frexp_exp_i32_f64_e32 v0, v[0:1]
	v_cmp_gt_f32_e32 vcc, s2, v4
	s_mov_b32 s2, 0x3f317218
	s_nop 0
	v_subbrev_co_u32_e32 v8, vcc, 0, v0, vcc
	v_sub_u32_e32 v0, 0, v8
	v_ldexp_f32 v1, v2, v0
	v_add_f32_e32 v2, -1.0, v1
	v_add_f32_e32 v4, 1.0, v1
	v_ldexp_f32 v0, v3, v0
	v_add_f32_e32 v3, 1.0, v2
	v_add_f32_e32 v5, -1.0, v4
	v_sub_f32_e32 v3, v1, v3
	v_sub_f32_e32 v1, v1, v5
	v_add_f32_e32 v3, v0, v3
	v_add_f32_e32 v0, v0, v1
	v_add_f32_e32 v9, v4, v0
	v_rcp_f32_e32 v11, v9
	v_sub_f32_e32 v1, v4, v9
	v_add_f32_e32 v10, v0, v1
	v_add_f32_e32 v1, v2, v3
	v_mul_f32_e32 v13, v1, v11
	v_sub_f32_e32 v0, v2, v1
	v_mul_f32_e32 v2, v9, v13
	v_fma_f32 v4, v13, v9, -v2
	v_fmac_f32_e32 v4, v13, v10
	v_add_f32_e32 v12, v3, v0
	v_add_f32_e32 v0, v2, v4
	v_sub_f32_e32 v3, v1, v0
	v_pk_add_f32 v[6:7], v[0:1], v[2:3] neg_lo:[0,1] neg_hi:[0,1]
	v_mov_b32_e32 v5, v0
	v_pk_add_f32 v[0:1], v[6:7], v[4:5] neg_lo:[0,1] neg_hi:[0,1]
	s_nop 0
	v_add_f32_e32 v1, v12, v1
	v_add_f32_e32 v0, v0, v1
	;; [unrolled: 1-line block ×3, first 2 shown]
	v_mul_f32_e32 v12, v11, v1
	v_mul_f32_e32 v2, v9, v12
	v_fma_f32 v4, v12, v9, -v2
	v_fmac_f32_e32 v4, v12, v10
	v_sub_f32_e32 v3, v3, v1
	v_add_f32_e32 v9, v0, v3
	v_add_f32_e32 v0, v2, v4
	v_sub_f32_e32 v3, v1, v0
	v_pk_add_f32 v[6:7], v[0:1], v[2:3] neg_lo:[0,1] neg_hi:[0,1]
	v_mov_b32_e32 v5, v0
	v_pk_add_f32 v[0:1], v[6:7], v[4:5] neg_lo:[0,1] neg_hi:[0,1]
	scratch_load_dwordx2 v[6:7], off, off offset:56 ; 8-byte Folded Reload
	v_add_f32_e32 v1, v9, v1
	v_add_f32_e32 v0, v0, v1
	;; [unrolled: 1-line block ×4, first 2 shown]
	v_sub_f32_e32 v2, v1, v13
	v_mul_f32_e32 v0, v11, v0
	v_sub_f32_e32 v2, v12, v2
	v_add_f32_e32 v2, v2, v0
	v_add_f32_e32 v4, v1, v2
	v_mul_f32_e32 v5, v4, v4
	v_mov_b32_e32 v0, 0x3ecc95a3
	v_fmamk_f32 v0, v5, 0x3e9b6dac, v0
	v_fmaak_f32 v11, v5, v0, 0x3f2aaada
	v_cvt_f32_i32_e32 v0, v8
	v_sub_f32_e32 v1, v4, v1
	v_sub_f32_e32 v1, v2, v1
	v_ldexp_f32 v3, v4, 1
	s_waitcnt vmcnt(0)
	v_mov_b32_e32 v10, v6
	v_ldexp_f32 v6, v1, 1
	v_mul_f32_e32 v1, v4, v5
	v_mov_b32_e32 v2, v10
	v_pk_mul_f32 v[4:5], v[0:1], v[10:11]
	scratch_store_dwordx2 off, v[2:3], off offset:56 ; 8-byte Folded Spill
	v_fma_f32 v2, v0, s2, -v4
	v_fmac_f32_e32 v2, 0xb102e308, v0
	v_pk_add_f32 v[0:1], v[4:5], v[2:3]
	s_mov_b32 s2, 0x7f800000
	v_sub_f32_e32 v3, v1, v3
	v_sub_f32_e32 v3, v5, v3
	v_add_f32_e32 v7, v6, v3
	v_mov_b32_e32 v6, v4
	v_pk_add_f32 v[4:5], v[0:1], v[4:5] neg_lo:[0,1] neg_hi:[0,1]
	v_pk_add_f32 v[8:9], v[0:1], v[6:7]
	v_mov_b32_e32 v3, v0
	v_mov_b32_e32 v5, v9
	v_pk_add_f32 v[10:11], v[2:3], v[4:5] neg_lo:[0,1] neg_hi:[0,1]
	v_pk_add_f32 v[2:3], v[2:3], v[4:5]
	v_mov_b32_e32 v6, v7
	v_mov_b32_e32 v4, v3
	v_pk_add_f32 v[12:13], v[4:5], v[0:1] neg_lo:[0,1] neg_hi:[0,1]
	v_mov_b32_e32 v2, v9
	v_mov_b32_e32 v5, v12
	v_pk_add_f32 v[14:15], v[8:9], v[4:5] neg_lo:[0,1] neg_hi:[0,1]
	v_mov_b32_e32 v8, v1
	v_mov_b32_e32 v9, v12
	v_mov_b32_e32 v11, v3
	v_pk_add_f32 v[2:3], v[2:3], v[8:9] neg_lo:[0,1] neg_hi:[0,1]
	v_mov_b32_e32 v7, v0
	v_pk_add_f32 v[0:1], v[6:7], v[2:3] neg_lo:[0,1] neg_hi:[0,1]
	v_mov_b32_e32 v14, v10
	v_pk_add_f32 v[2:3], v[14:15], v[0:1]
	v_cmp_eq_f32_e32 vcc, s2, v16
	v_mov_b32_e32 v6, v3
	v_pk_add_f32 v[6:7], v[2:3], v[6:7]
	v_cmp_gt_f32_e64 s[2:3], s83, v16
	v_pk_add_f32 v[4:5], v[4:5], v[6:7]
	v_mov_b32_e32 v1, v6
	v_mov_b32_e32 v3, v4
	v_pk_add_f32 v[8:9], v[2:3], v[10:11] neg_lo:[0,1] neg_hi:[0,1]
	s_or_b64 vcc, s[2:3], vcc
	v_sub_f32_e32 v2, v2, v8
	v_pk_add_f32 v[0:1], v[0:1], v[8:9] neg_lo:[0,1] neg_hi:[0,1]
	v_sub_f32_e32 v2, v10, v2
	v_add_f32_e32 v0, v0, v2
	v_add_f32_e32 v0, v0, v1
	;; [unrolled: 1-line block ×3, first 2 shown]
	v_cndmask_b32_e32 v81, v0, v16, vcc
.LBB51_27:                              ;   in Loop: Header=BB51_13 Depth=1
	s_or_b64 exec, exec, s[22:23]
	scratch_load_dwordx4 v[0:3], off, off offset:64 ; 16-byte Folded Reload
	s_waitcnt vmcnt(0)
	v_and_b32_e32 v0, 0xffff0000, v1
	v_add_f32_e32 v82, s33, v0
	v_cmp_ge_f32_e32 vcc, s82, v82
	s_and_b64 s[2:3], s[80:81], vcc
	s_and_saveexec_b64 s[22:23], s[2:3]
	s_cbranch_execz .LBB51_29
; %bb.28:                               ;   in Loop: Header=BB51_13 Depth=1
	v_mul_f32_e32 v0, 0x3fb8aa3b, v82
	v_rndne_f32_e32 v1, v0
	s_mov_b32 s2, 0x3fb8aa3b
	v_sub_f32_e32 v2, v0, v1
	v_fma_f32 v0, v82, s2, -v0
	v_fmac_f32_e32 v0, 0x32a5705f, v82
	v_add_f32_e32 v0, v2, v0
	v_cvt_i32_f32_e32 v1, v1
	v_exp_f32_e32 v0, v0
	s_mov_b32 s2, 0xc2ce8ed0
	v_cmp_ngt_f32_e32 vcc, s2, v82
	s_mov_b32 s2, 0x42b17218
	v_ldexp_f32 v0, v0, v1
	v_cndmask_b32_e32 v0, 0, v0, vcc
	v_cmp_nlt_f32_e32 vcc, s2, v82
	v_mov_b32_e32 v1, 0x7f800000
	s_mov_b32 s2, 0x3f2aaaab
	v_cndmask_b32_e32 v16, v1, v0, vcc
	v_add_f32_e32 v2, 1.0, v16
	v_add_f32_e32 v0, -1.0, v2
	v_sub_f32_e32 v1, v0, v2
	v_add_f32_e32 v1, 1.0, v1
	v_sub_f32_e32 v0, v16, v0
	v_add_f32_e32 v3, v0, v1
	v_frexp_mant_f32_e32 v4, v2
	v_cvt_f64_f32_e32 v[0:1], v2
	v_frexp_exp_i32_f64_e32 v0, v[0:1]
	v_cmp_gt_f32_e32 vcc, s2, v4
	s_mov_b32 s2, 0x3f317218
	s_nop 0
	v_subbrev_co_u32_e32 v8, vcc, 0, v0, vcc
	v_sub_u32_e32 v0, 0, v8
	v_ldexp_f32 v1, v2, v0
	v_add_f32_e32 v2, -1.0, v1
	v_add_f32_e32 v4, 1.0, v1
	v_ldexp_f32 v0, v3, v0
	v_add_f32_e32 v3, 1.0, v2
	v_add_f32_e32 v5, -1.0, v4
	v_sub_f32_e32 v3, v1, v3
	v_sub_f32_e32 v1, v1, v5
	v_add_f32_e32 v3, v0, v3
	v_add_f32_e32 v0, v0, v1
	;; [unrolled: 1-line block ×3, first 2 shown]
	v_rcp_f32_e32 v11, v9
	v_sub_f32_e32 v1, v4, v9
	v_add_f32_e32 v10, v0, v1
	v_add_f32_e32 v1, v2, v3
	v_mul_f32_e32 v13, v1, v11
	v_sub_f32_e32 v0, v2, v1
	v_mul_f32_e32 v2, v9, v13
	v_fma_f32 v4, v13, v9, -v2
	v_fmac_f32_e32 v4, v13, v10
	v_add_f32_e32 v12, v3, v0
	v_add_f32_e32 v0, v2, v4
	v_sub_f32_e32 v3, v1, v0
	v_pk_add_f32 v[6:7], v[0:1], v[2:3] neg_lo:[0,1] neg_hi:[0,1]
	v_mov_b32_e32 v5, v0
	v_pk_add_f32 v[0:1], v[6:7], v[4:5] neg_lo:[0,1] neg_hi:[0,1]
	s_nop 0
	v_add_f32_e32 v1, v12, v1
	v_add_f32_e32 v0, v0, v1
	;; [unrolled: 1-line block ×3, first 2 shown]
	v_mul_f32_e32 v12, v11, v1
	v_mul_f32_e32 v2, v9, v12
	v_fma_f32 v4, v12, v9, -v2
	v_fmac_f32_e32 v4, v12, v10
	v_sub_f32_e32 v3, v3, v1
	v_add_f32_e32 v9, v0, v3
	v_add_f32_e32 v0, v2, v4
	v_sub_f32_e32 v3, v1, v0
	v_pk_add_f32 v[6:7], v[0:1], v[2:3] neg_lo:[0,1] neg_hi:[0,1]
	v_mov_b32_e32 v5, v0
	v_pk_add_f32 v[0:1], v[6:7], v[4:5] neg_lo:[0,1] neg_hi:[0,1]
	scratch_load_dwordx2 v[6:7], off, off offset:56 ; 8-byte Folded Reload
	v_add_f32_e32 v1, v9, v1
	v_add_f32_e32 v0, v0, v1
	;; [unrolled: 1-line block ×4, first 2 shown]
	v_sub_f32_e32 v2, v1, v13
	v_mul_f32_e32 v0, v11, v0
	v_sub_f32_e32 v2, v12, v2
	v_add_f32_e32 v2, v2, v0
	v_add_f32_e32 v4, v1, v2
	v_mul_f32_e32 v5, v4, v4
	v_mov_b32_e32 v0, 0x3ecc95a3
	v_fmamk_f32 v0, v5, 0x3e9b6dac, v0
	v_fmaak_f32 v11, v5, v0, 0x3f2aaada
	v_cvt_f32_i32_e32 v0, v8
	v_sub_f32_e32 v1, v4, v1
	v_sub_f32_e32 v1, v2, v1
	v_ldexp_f32 v3, v4, 1
	s_waitcnt vmcnt(0)
	v_mov_b32_e32 v10, v6
	v_ldexp_f32 v6, v1, 1
	v_mul_f32_e32 v1, v4, v5
	v_mov_b32_e32 v2, v10
	v_pk_mul_f32 v[4:5], v[0:1], v[10:11]
	scratch_store_dwordx2 off, v[2:3], off offset:56 ; 8-byte Folded Spill
	v_fma_f32 v2, v0, s2, -v4
	v_fmac_f32_e32 v2, 0xb102e308, v0
	v_pk_add_f32 v[0:1], v[4:5], v[2:3]
	s_mov_b32 s2, 0x7f800000
	v_sub_f32_e32 v3, v1, v3
	v_sub_f32_e32 v3, v5, v3
	v_add_f32_e32 v7, v6, v3
	v_mov_b32_e32 v6, v4
	v_pk_add_f32 v[4:5], v[0:1], v[4:5] neg_lo:[0,1] neg_hi:[0,1]
	v_pk_add_f32 v[8:9], v[0:1], v[6:7]
	v_mov_b32_e32 v3, v0
	v_mov_b32_e32 v5, v9
	v_pk_add_f32 v[10:11], v[2:3], v[4:5] neg_lo:[0,1] neg_hi:[0,1]
	v_pk_add_f32 v[2:3], v[2:3], v[4:5]
	v_mov_b32_e32 v6, v7
	v_mov_b32_e32 v4, v3
	v_pk_add_f32 v[12:13], v[4:5], v[0:1] neg_lo:[0,1] neg_hi:[0,1]
	v_mov_b32_e32 v2, v9
	v_mov_b32_e32 v5, v12
	v_pk_add_f32 v[14:15], v[8:9], v[4:5] neg_lo:[0,1] neg_hi:[0,1]
	v_mov_b32_e32 v8, v1
	v_mov_b32_e32 v9, v12
	;; [unrolled: 1-line block ×3, first 2 shown]
	v_pk_add_f32 v[2:3], v[2:3], v[8:9] neg_lo:[0,1] neg_hi:[0,1]
	v_mov_b32_e32 v7, v0
	v_pk_add_f32 v[0:1], v[6:7], v[2:3] neg_lo:[0,1] neg_hi:[0,1]
	v_mov_b32_e32 v14, v10
	v_pk_add_f32 v[2:3], v[14:15], v[0:1]
	v_cmp_eq_f32_e32 vcc, s2, v16
	v_mov_b32_e32 v6, v3
	v_pk_add_f32 v[6:7], v[2:3], v[6:7]
	v_cmp_gt_f32_e64 s[2:3], s83, v16
	v_pk_add_f32 v[4:5], v[4:5], v[6:7]
	v_mov_b32_e32 v1, v6
	v_mov_b32_e32 v3, v4
	v_pk_add_f32 v[8:9], v[2:3], v[10:11] neg_lo:[0,1] neg_hi:[0,1]
	s_or_b64 vcc, s[2:3], vcc
	v_sub_f32_e32 v2, v2, v8
	v_pk_add_f32 v[0:1], v[0:1], v[8:9] neg_lo:[0,1] neg_hi:[0,1]
	v_sub_f32_e32 v2, v10, v2
	v_add_f32_e32 v0, v0, v2
	v_add_f32_e32 v0, v0, v1
	;; [unrolled: 1-line block ×3, first 2 shown]
	v_cndmask_b32_e32 v82, v0, v16, vcc
.LBB51_29:                              ;   in Loop: Header=BB51_13 Depth=1
	s_or_b64 exec, exec, s[22:23]
	scratch_load_dwordx4 v[0:3], off, off offset:64 ; 16-byte Folded Reload
	s_waitcnt vmcnt(0)
	v_lshlrev_b32_e32 v0, 16, v2
	v_add_f32_e32 v83, s33, v0
	v_cmp_ge_f32_e32 vcc, s82, v83
	s_and_b64 s[2:3], s[80:81], vcc
	s_and_saveexec_b64 s[22:23], s[2:3]
	s_cbranch_execz .LBB51_31
; %bb.30:                               ;   in Loop: Header=BB51_13 Depth=1
	v_mul_f32_e32 v0, 0x3fb8aa3b, v83
	v_rndne_f32_e32 v1, v0
	s_mov_b32 s2, 0x3fb8aa3b
	v_sub_f32_e32 v2, v0, v1
	v_fma_f32 v0, v83, s2, -v0
	v_fmac_f32_e32 v0, 0x32a5705f, v83
	v_add_f32_e32 v0, v2, v0
	v_cvt_i32_f32_e32 v1, v1
	v_exp_f32_e32 v0, v0
	s_mov_b32 s2, 0xc2ce8ed0
	v_cmp_ngt_f32_e32 vcc, s2, v83
	s_mov_b32 s2, 0x42b17218
	v_ldexp_f32 v0, v0, v1
	v_cndmask_b32_e32 v0, 0, v0, vcc
	v_cmp_nlt_f32_e32 vcc, s2, v83
	v_mov_b32_e32 v1, 0x7f800000
	s_mov_b32 s2, 0x3f2aaaab
	v_cndmask_b32_e32 v16, v1, v0, vcc
	v_add_f32_e32 v2, 1.0, v16
	v_add_f32_e32 v0, -1.0, v2
	v_sub_f32_e32 v1, v0, v2
	v_add_f32_e32 v1, 1.0, v1
	v_sub_f32_e32 v0, v16, v0
	v_add_f32_e32 v3, v0, v1
	v_frexp_mant_f32_e32 v4, v2
	v_cvt_f64_f32_e32 v[0:1], v2
	v_frexp_exp_i32_f64_e32 v0, v[0:1]
	v_cmp_gt_f32_e32 vcc, s2, v4
	s_mov_b32 s2, 0x3f317218
	s_nop 0
	v_subbrev_co_u32_e32 v8, vcc, 0, v0, vcc
	v_sub_u32_e32 v0, 0, v8
	v_ldexp_f32 v1, v2, v0
	v_add_f32_e32 v2, -1.0, v1
	v_add_f32_e32 v4, 1.0, v1
	v_ldexp_f32 v0, v3, v0
	v_add_f32_e32 v3, 1.0, v2
	v_add_f32_e32 v5, -1.0, v4
	v_sub_f32_e32 v3, v1, v3
	v_sub_f32_e32 v1, v1, v5
	v_add_f32_e32 v3, v0, v3
	v_add_f32_e32 v0, v0, v1
	v_add_f32_e32 v9, v4, v0
	v_rcp_f32_e32 v11, v9
	v_sub_f32_e32 v1, v4, v9
	v_add_f32_e32 v10, v0, v1
	v_add_f32_e32 v1, v2, v3
	v_mul_f32_e32 v13, v1, v11
	v_sub_f32_e32 v0, v2, v1
	v_mul_f32_e32 v2, v9, v13
	v_fma_f32 v4, v13, v9, -v2
	v_fmac_f32_e32 v4, v13, v10
	v_add_f32_e32 v12, v3, v0
	v_add_f32_e32 v0, v2, v4
	v_sub_f32_e32 v3, v1, v0
	v_pk_add_f32 v[6:7], v[0:1], v[2:3] neg_lo:[0,1] neg_hi:[0,1]
	v_mov_b32_e32 v5, v0
	v_pk_add_f32 v[0:1], v[6:7], v[4:5] neg_lo:[0,1] neg_hi:[0,1]
	s_nop 0
	v_add_f32_e32 v1, v12, v1
	v_add_f32_e32 v0, v0, v1
	;; [unrolled: 1-line block ×3, first 2 shown]
	v_mul_f32_e32 v12, v11, v1
	v_mul_f32_e32 v2, v9, v12
	v_fma_f32 v4, v12, v9, -v2
	v_fmac_f32_e32 v4, v12, v10
	v_sub_f32_e32 v3, v3, v1
	v_add_f32_e32 v9, v0, v3
	v_add_f32_e32 v0, v2, v4
	v_sub_f32_e32 v3, v1, v0
	v_pk_add_f32 v[6:7], v[0:1], v[2:3] neg_lo:[0,1] neg_hi:[0,1]
	v_mov_b32_e32 v5, v0
	v_pk_add_f32 v[0:1], v[6:7], v[4:5] neg_lo:[0,1] neg_hi:[0,1]
	scratch_load_dwordx2 v[6:7], off, off offset:56 ; 8-byte Folded Reload
	v_add_f32_e32 v1, v9, v1
	v_add_f32_e32 v0, v0, v1
	v_add_f32_e32 v1, v13, v12
	v_add_f32_e32 v0, v3, v0
	v_sub_f32_e32 v2, v1, v13
	v_mul_f32_e32 v0, v11, v0
	v_sub_f32_e32 v2, v12, v2
	v_add_f32_e32 v2, v2, v0
	v_add_f32_e32 v4, v1, v2
	v_mul_f32_e32 v5, v4, v4
	v_mov_b32_e32 v0, 0x3ecc95a3
	v_fmamk_f32 v0, v5, 0x3e9b6dac, v0
	v_fmaak_f32 v11, v5, v0, 0x3f2aaada
	v_cvt_f32_i32_e32 v0, v8
	v_sub_f32_e32 v1, v4, v1
	v_sub_f32_e32 v1, v2, v1
	v_ldexp_f32 v3, v4, 1
	s_waitcnt vmcnt(0)
	v_mov_b32_e32 v10, v6
	v_ldexp_f32 v6, v1, 1
	v_mul_f32_e32 v1, v4, v5
	v_mov_b32_e32 v2, v10
	v_pk_mul_f32 v[4:5], v[0:1], v[10:11]
	scratch_store_dwordx2 off, v[2:3], off offset:56 ; 8-byte Folded Spill
	v_fma_f32 v2, v0, s2, -v4
	v_fmac_f32_e32 v2, 0xb102e308, v0
	v_pk_add_f32 v[0:1], v[4:5], v[2:3]
	s_mov_b32 s2, 0x7f800000
	v_sub_f32_e32 v3, v1, v3
	v_sub_f32_e32 v3, v5, v3
	v_add_f32_e32 v7, v6, v3
	v_mov_b32_e32 v6, v4
	v_pk_add_f32 v[4:5], v[0:1], v[4:5] neg_lo:[0,1] neg_hi:[0,1]
	v_pk_add_f32 v[8:9], v[0:1], v[6:7]
	v_mov_b32_e32 v3, v0
	v_mov_b32_e32 v5, v9
	v_pk_add_f32 v[10:11], v[2:3], v[4:5] neg_lo:[0,1] neg_hi:[0,1]
	v_pk_add_f32 v[2:3], v[2:3], v[4:5]
	v_mov_b32_e32 v6, v7
	v_mov_b32_e32 v4, v3
	v_pk_add_f32 v[12:13], v[4:5], v[0:1] neg_lo:[0,1] neg_hi:[0,1]
	v_mov_b32_e32 v2, v9
	v_mov_b32_e32 v5, v12
	v_pk_add_f32 v[14:15], v[8:9], v[4:5] neg_lo:[0,1] neg_hi:[0,1]
	v_mov_b32_e32 v8, v1
	v_mov_b32_e32 v9, v12
	;; [unrolled: 1-line block ×3, first 2 shown]
	v_pk_add_f32 v[2:3], v[2:3], v[8:9] neg_lo:[0,1] neg_hi:[0,1]
	v_mov_b32_e32 v7, v0
	v_pk_add_f32 v[0:1], v[6:7], v[2:3] neg_lo:[0,1] neg_hi:[0,1]
	v_mov_b32_e32 v14, v10
	v_pk_add_f32 v[2:3], v[14:15], v[0:1]
	v_cmp_eq_f32_e32 vcc, s2, v16
	v_mov_b32_e32 v6, v3
	v_pk_add_f32 v[6:7], v[2:3], v[6:7]
	v_cmp_gt_f32_e64 s[2:3], s83, v16
	v_pk_add_f32 v[4:5], v[4:5], v[6:7]
	v_mov_b32_e32 v1, v6
	v_mov_b32_e32 v3, v4
	v_pk_add_f32 v[8:9], v[2:3], v[10:11] neg_lo:[0,1] neg_hi:[0,1]
	s_or_b64 vcc, s[2:3], vcc
	v_sub_f32_e32 v2, v2, v8
	v_pk_add_f32 v[0:1], v[0:1], v[8:9] neg_lo:[0,1] neg_hi:[0,1]
	v_sub_f32_e32 v2, v10, v2
	v_add_f32_e32 v0, v0, v2
	v_add_f32_e32 v0, v0, v1
	;; [unrolled: 1-line block ×3, first 2 shown]
	v_cndmask_b32_e32 v83, v0, v16, vcc
.LBB51_31:                              ;   in Loop: Header=BB51_13 Depth=1
	s_or_b64 exec, exec, s[22:23]
	scratch_load_dwordx4 v[0:3], off, off offset:64 ; 16-byte Folded Reload
	s_waitcnt vmcnt(0)
	v_and_b32_e32 v0, 0xffff0000, v2
	v_add_f32_e32 v84, s33, v0
	v_cmp_ge_f32_e32 vcc, s82, v84
	s_and_b64 s[2:3], s[80:81], vcc
	s_and_saveexec_b64 s[22:23], s[2:3]
	s_cbranch_execz .LBB51_33
; %bb.32:                               ;   in Loop: Header=BB51_13 Depth=1
	v_mul_f32_e32 v0, 0x3fb8aa3b, v84
	v_rndne_f32_e32 v1, v0
	s_mov_b32 s2, 0x3fb8aa3b
	v_sub_f32_e32 v2, v0, v1
	v_fma_f32 v0, v84, s2, -v0
	v_fmac_f32_e32 v0, 0x32a5705f, v84
	v_add_f32_e32 v0, v2, v0
	v_cvt_i32_f32_e32 v1, v1
	v_exp_f32_e32 v0, v0
	s_mov_b32 s2, 0xc2ce8ed0
	v_cmp_ngt_f32_e32 vcc, s2, v84
	s_mov_b32 s2, 0x42b17218
	v_ldexp_f32 v0, v0, v1
	v_cndmask_b32_e32 v0, 0, v0, vcc
	v_cmp_nlt_f32_e32 vcc, s2, v84
	v_mov_b32_e32 v1, 0x7f800000
	s_mov_b32 s2, 0x3f2aaaab
	v_cndmask_b32_e32 v16, v1, v0, vcc
	v_add_f32_e32 v2, 1.0, v16
	v_add_f32_e32 v0, -1.0, v2
	v_sub_f32_e32 v1, v0, v2
	v_add_f32_e32 v1, 1.0, v1
	v_sub_f32_e32 v0, v16, v0
	v_add_f32_e32 v3, v0, v1
	v_frexp_mant_f32_e32 v4, v2
	v_cvt_f64_f32_e32 v[0:1], v2
	v_frexp_exp_i32_f64_e32 v0, v[0:1]
	v_cmp_gt_f32_e32 vcc, s2, v4
	s_mov_b32 s2, 0x3f317218
	s_nop 0
	v_subbrev_co_u32_e32 v8, vcc, 0, v0, vcc
	v_sub_u32_e32 v0, 0, v8
	v_ldexp_f32 v1, v2, v0
	v_add_f32_e32 v2, -1.0, v1
	v_add_f32_e32 v4, 1.0, v1
	v_ldexp_f32 v0, v3, v0
	v_add_f32_e32 v3, 1.0, v2
	v_add_f32_e32 v5, -1.0, v4
	v_sub_f32_e32 v3, v1, v3
	v_sub_f32_e32 v1, v1, v5
	v_add_f32_e32 v3, v0, v3
	v_add_f32_e32 v0, v0, v1
	;; [unrolled: 1-line block ×3, first 2 shown]
	v_rcp_f32_e32 v11, v9
	v_sub_f32_e32 v1, v4, v9
	v_add_f32_e32 v10, v0, v1
	v_add_f32_e32 v1, v2, v3
	v_mul_f32_e32 v13, v1, v11
	v_sub_f32_e32 v0, v2, v1
	v_mul_f32_e32 v2, v9, v13
	v_fma_f32 v4, v13, v9, -v2
	v_fmac_f32_e32 v4, v13, v10
	v_add_f32_e32 v12, v3, v0
	v_add_f32_e32 v0, v2, v4
	v_sub_f32_e32 v3, v1, v0
	v_pk_add_f32 v[6:7], v[0:1], v[2:3] neg_lo:[0,1] neg_hi:[0,1]
	v_mov_b32_e32 v5, v0
	v_pk_add_f32 v[0:1], v[6:7], v[4:5] neg_lo:[0,1] neg_hi:[0,1]
	s_nop 0
	v_add_f32_e32 v1, v12, v1
	v_add_f32_e32 v0, v0, v1
	;; [unrolled: 1-line block ×3, first 2 shown]
	v_mul_f32_e32 v12, v11, v1
	v_mul_f32_e32 v2, v9, v12
	v_fma_f32 v4, v12, v9, -v2
	v_fmac_f32_e32 v4, v12, v10
	v_sub_f32_e32 v3, v3, v1
	v_add_f32_e32 v9, v0, v3
	v_add_f32_e32 v0, v2, v4
	v_sub_f32_e32 v3, v1, v0
	v_pk_add_f32 v[6:7], v[0:1], v[2:3] neg_lo:[0,1] neg_hi:[0,1]
	v_mov_b32_e32 v5, v0
	v_pk_add_f32 v[0:1], v[6:7], v[4:5] neg_lo:[0,1] neg_hi:[0,1]
	scratch_load_dwordx2 v[6:7], off, off offset:56 ; 8-byte Folded Reload
	v_add_f32_e32 v1, v9, v1
	v_add_f32_e32 v0, v0, v1
	;; [unrolled: 1-line block ×4, first 2 shown]
	v_sub_f32_e32 v2, v1, v13
	v_mul_f32_e32 v0, v11, v0
	v_sub_f32_e32 v2, v12, v2
	v_add_f32_e32 v2, v2, v0
	v_add_f32_e32 v4, v1, v2
	v_mul_f32_e32 v5, v4, v4
	v_mov_b32_e32 v0, 0x3ecc95a3
	v_fmamk_f32 v0, v5, 0x3e9b6dac, v0
	v_fmaak_f32 v11, v5, v0, 0x3f2aaada
	v_cvt_f32_i32_e32 v0, v8
	v_sub_f32_e32 v1, v4, v1
	v_sub_f32_e32 v1, v2, v1
	v_ldexp_f32 v3, v4, 1
	s_waitcnt vmcnt(0)
	v_mov_b32_e32 v10, v6
	v_ldexp_f32 v6, v1, 1
	v_mul_f32_e32 v1, v4, v5
	v_mov_b32_e32 v2, v10
	v_pk_mul_f32 v[4:5], v[0:1], v[10:11]
	scratch_store_dwordx2 off, v[2:3], off offset:56 ; 8-byte Folded Spill
	v_fma_f32 v2, v0, s2, -v4
	v_fmac_f32_e32 v2, 0xb102e308, v0
	v_pk_add_f32 v[0:1], v[4:5], v[2:3]
	s_mov_b32 s2, 0x7f800000
	v_sub_f32_e32 v3, v1, v3
	v_sub_f32_e32 v3, v5, v3
	v_add_f32_e32 v7, v6, v3
	v_mov_b32_e32 v6, v4
	v_pk_add_f32 v[4:5], v[0:1], v[4:5] neg_lo:[0,1] neg_hi:[0,1]
	v_pk_add_f32 v[8:9], v[0:1], v[6:7]
	v_mov_b32_e32 v3, v0
	v_mov_b32_e32 v5, v9
	v_pk_add_f32 v[10:11], v[2:3], v[4:5] neg_lo:[0,1] neg_hi:[0,1]
	v_pk_add_f32 v[2:3], v[2:3], v[4:5]
	v_mov_b32_e32 v6, v7
	v_mov_b32_e32 v4, v3
	v_pk_add_f32 v[12:13], v[4:5], v[0:1] neg_lo:[0,1] neg_hi:[0,1]
	v_mov_b32_e32 v2, v9
	v_mov_b32_e32 v5, v12
	v_pk_add_f32 v[14:15], v[8:9], v[4:5] neg_lo:[0,1] neg_hi:[0,1]
	v_mov_b32_e32 v8, v1
	v_mov_b32_e32 v9, v12
	;; [unrolled: 1-line block ×3, first 2 shown]
	v_pk_add_f32 v[2:3], v[2:3], v[8:9] neg_lo:[0,1] neg_hi:[0,1]
	v_mov_b32_e32 v7, v0
	v_pk_add_f32 v[0:1], v[6:7], v[2:3] neg_lo:[0,1] neg_hi:[0,1]
	v_mov_b32_e32 v14, v10
	v_pk_add_f32 v[2:3], v[14:15], v[0:1]
	v_cmp_eq_f32_e32 vcc, s2, v16
	v_mov_b32_e32 v6, v3
	v_pk_add_f32 v[6:7], v[2:3], v[6:7]
	v_cmp_gt_f32_e64 s[2:3], s83, v16
	v_pk_add_f32 v[4:5], v[4:5], v[6:7]
	v_mov_b32_e32 v1, v6
	v_mov_b32_e32 v3, v4
	v_pk_add_f32 v[8:9], v[2:3], v[10:11] neg_lo:[0,1] neg_hi:[0,1]
	s_or_b64 vcc, s[2:3], vcc
	v_sub_f32_e32 v2, v2, v8
	v_pk_add_f32 v[0:1], v[0:1], v[8:9] neg_lo:[0,1] neg_hi:[0,1]
	v_sub_f32_e32 v2, v10, v2
	v_add_f32_e32 v0, v0, v2
	v_add_f32_e32 v0, v0, v1
	;; [unrolled: 1-line block ×3, first 2 shown]
	v_cndmask_b32_e32 v84, v0, v16, vcc
.LBB51_33:                              ;   in Loop: Header=BB51_13 Depth=1
	s_or_b64 exec, exec, s[22:23]
	scratch_load_dwordx4 v[0:3], off, off offset:64 ; 16-byte Folded Reload
	s_waitcnt vmcnt(0)
	v_lshlrev_b32_e32 v0, 16, v3
	v_add_f32_e32 v85, s33, v0
	v_cmp_ge_f32_e32 vcc, s82, v85
	s_and_b64 s[2:3], s[80:81], vcc
	s_and_saveexec_b64 s[22:23], s[2:3]
	s_cbranch_execz .LBB51_35
; %bb.34:                               ;   in Loop: Header=BB51_13 Depth=1
	v_mul_f32_e32 v0, 0x3fb8aa3b, v85
	v_rndne_f32_e32 v1, v0
	s_mov_b32 s2, 0x3fb8aa3b
	v_sub_f32_e32 v2, v0, v1
	v_fma_f32 v0, v85, s2, -v0
	v_fmac_f32_e32 v0, 0x32a5705f, v85
	v_add_f32_e32 v0, v2, v0
	v_cvt_i32_f32_e32 v1, v1
	v_exp_f32_e32 v0, v0
	s_mov_b32 s2, 0xc2ce8ed0
	v_cmp_ngt_f32_e32 vcc, s2, v85
	s_mov_b32 s2, 0x42b17218
	v_ldexp_f32 v0, v0, v1
	v_cndmask_b32_e32 v0, 0, v0, vcc
	v_cmp_nlt_f32_e32 vcc, s2, v85
	v_mov_b32_e32 v1, 0x7f800000
	s_mov_b32 s2, 0x3f2aaaab
	v_cndmask_b32_e32 v16, v1, v0, vcc
	v_add_f32_e32 v2, 1.0, v16
	v_add_f32_e32 v0, -1.0, v2
	v_sub_f32_e32 v1, v0, v2
	v_add_f32_e32 v1, 1.0, v1
	v_sub_f32_e32 v0, v16, v0
	v_add_f32_e32 v3, v0, v1
	v_frexp_mant_f32_e32 v4, v2
	v_cvt_f64_f32_e32 v[0:1], v2
	v_frexp_exp_i32_f64_e32 v0, v[0:1]
	v_cmp_gt_f32_e32 vcc, s2, v4
	s_mov_b32 s2, 0x3f317218
	s_nop 0
	v_subbrev_co_u32_e32 v8, vcc, 0, v0, vcc
	v_sub_u32_e32 v0, 0, v8
	v_ldexp_f32 v1, v2, v0
	v_add_f32_e32 v2, -1.0, v1
	v_add_f32_e32 v4, 1.0, v1
	v_ldexp_f32 v0, v3, v0
	v_add_f32_e32 v3, 1.0, v2
	v_add_f32_e32 v5, -1.0, v4
	v_sub_f32_e32 v3, v1, v3
	v_sub_f32_e32 v1, v1, v5
	v_add_f32_e32 v3, v0, v3
	v_add_f32_e32 v0, v0, v1
	;; [unrolled: 1-line block ×3, first 2 shown]
	v_rcp_f32_e32 v11, v9
	v_sub_f32_e32 v1, v4, v9
	v_add_f32_e32 v10, v0, v1
	v_add_f32_e32 v1, v2, v3
	v_mul_f32_e32 v13, v1, v11
	v_sub_f32_e32 v0, v2, v1
	v_mul_f32_e32 v2, v9, v13
	v_fma_f32 v4, v13, v9, -v2
	v_fmac_f32_e32 v4, v13, v10
	v_add_f32_e32 v12, v3, v0
	v_add_f32_e32 v0, v2, v4
	v_sub_f32_e32 v3, v1, v0
	v_pk_add_f32 v[6:7], v[0:1], v[2:3] neg_lo:[0,1] neg_hi:[0,1]
	v_mov_b32_e32 v5, v0
	v_pk_add_f32 v[0:1], v[6:7], v[4:5] neg_lo:[0,1] neg_hi:[0,1]
	s_nop 0
	v_add_f32_e32 v1, v12, v1
	v_add_f32_e32 v0, v0, v1
	;; [unrolled: 1-line block ×3, first 2 shown]
	v_mul_f32_e32 v12, v11, v1
	v_mul_f32_e32 v2, v9, v12
	v_fma_f32 v4, v12, v9, -v2
	v_fmac_f32_e32 v4, v12, v10
	v_sub_f32_e32 v3, v3, v1
	v_add_f32_e32 v9, v0, v3
	v_add_f32_e32 v0, v2, v4
	v_sub_f32_e32 v3, v1, v0
	v_pk_add_f32 v[6:7], v[0:1], v[2:3] neg_lo:[0,1] neg_hi:[0,1]
	v_mov_b32_e32 v5, v0
	v_pk_add_f32 v[0:1], v[6:7], v[4:5] neg_lo:[0,1] neg_hi:[0,1]
	scratch_load_dwordx2 v[6:7], off, off offset:56 ; 8-byte Folded Reload
	v_add_f32_e32 v1, v9, v1
	v_add_f32_e32 v0, v0, v1
	;; [unrolled: 1-line block ×4, first 2 shown]
	v_sub_f32_e32 v2, v1, v13
	v_mul_f32_e32 v0, v11, v0
	v_sub_f32_e32 v2, v12, v2
	v_add_f32_e32 v2, v2, v0
	v_add_f32_e32 v4, v1, v2
	v_mul_f32_e32 v5, v4, v4
	v_mov_b32_e32 v0, 0x3ecc95a3
	v_fmamk_f32 v0, v5, 0x3e9b6dac, v0
	v_fmaak_f32 v11, v5, v0, 0x3f2aaada
	v_cvt_f32_i32_e32 v0, v8
	v_sub_f32_e32 v1, v4, v1
	v_sub_f32_e32 v1, v2, v1
	v_ldexp_f32 v3, v4, 1
	s_waitcnt vmcnt(0)
	v_mov_b32_e32 v10, v6
	v_ldexp_f32 v6, v1, 1
	v_mul_f32_e32 v1, v4, v5
	v_mov_b32_e32 v2, v10
	v_pk_mul_f32 v[4:5], v[0:1], v[10:11]
	scratch_store_dwordx2 off, v[2:3], off offset:56 ; 8-byte Folded Spill
	v_fma_f32 v2, v0, s2, -v4
	v_fmac_f32_e32 v2, 0xb102e308, v0
	v_pk_add_f32 v[0:1], v[4:5], v[2:3]
	s_mov_b32 s2, 0x7f800000
	v_sub_f32_e32 v3, v1, v3
	v_sub_f32_e32 v3, v5, v3
	v_add_f32_e32 v7, v6, v3
	v_mov_b32_e32 v6, v4
	v_pk_add_f32 v[4:5], v[0:1], v[4:5] neg_lo:[0,1] neg_hi:[0,1]
	v_pk_add_f32 v[8:9], v[0:1], v[6:7]
	v_mov_b32_e32 v3, v0
	v_mov_b32_e32 v5, v9
	v_pk_add_f32 v[10:11], v[2:3], v[4:5] neg_lo:[0,1] neg_hi:[0,1]
	v_pk_add_f32 v[2:3], v[2:3], v[4:5]
	v_mov_b32_e32 v6, v7
	v_mov_b32_e32 v4, v3
	v_pk_add_f32 v[12:13], v[4:5], v[0:1] neg_lo:[0,1] neg_hi:[0,1]
	v_mov_b32_e32 v2, v9
	v_mov_b32_e32 v5, v12
	v_pk_add_f32 v[14:15], v[8:9], v[4:5] neg_lo:[0,1] neg_hi:[0,1]
	v_mov_b32_e32 v8, v1
	v_mov_b32_e32 v9, v12
	;; [unrolled: 1-line block ×3, first 2 shown]
	v_pk_add_f32 v[2:3], v[2:3], v[8:9] neg_lo:[0,1] neg_hi:[0,1]
	v_mov_b32_e32 v7, v0
	v_pk_add_f32 v[0:1], v[6:7], v[2:3] neg_lo:[0,1] neg_hi:[0,1]
	v_mov_b32_e32 v14, v10
	v_pk_add_f32 v[2:3], v[14:15], v[0:1]
	v_cmp_eq_f32_e32 vcc, s2, v16
	v_mov_b32_e32 v6, v3
	v_pk_add_f32 v[6:7], v[2:3], v[6:7]
	v_cmp_gt_f32_e64 s[2:3], s83, v16
	v_pk_add_f32 v[4:5], v[4:5], v[6:7]
	v_mov_b32_e32 v1, v6
	v_mov_b32_e32 v3, v4
	v_pk_add_f32 v[8:9], v[2:3], v[10:11] neg_lo:[0,1] neg_hi:[0,1]
	s_or_b64 vcc, s[2:3], vcc
	v_sub_f32_e32 v2, v2, v8
	v_pk_add_f32 v[0:1], v[0:1], v[8:9] neg_lo:[0,1] neg_hi:[0,1]
	v_sub_f32_e32 v2, v10, v2
	v_add_f32_e32 v0, v0, v2
	v_add_f32_e32 v0, v0, v1
	;; [unrolled: 1-line block ×3, first 2 shown]
	v_cndmask_b32_e32 v85, v0, v16, vcc
.LBB51_35:                              ;   in Loop: Header=BB51_13 Depth=1
	s_or_b64 exec, exec, s[22:23]
	scratch_load_dwordx4 v[0:3], off, off offset:64 ; 16-byte Folded Reload
	s_waitcnt vmcnt(0)
	v_and_b32_e32 v0, 0xffff0000, v3
	v_add_f32_e32 v86, s33, v0
	v_cmp_ge_f32_e32 vcc, s82, v86
	s_and_b64 s[2:3], s[80:81], vcc
	s_and_saveexec_b64 s[22:23], s[2:3]
	s_cbranch_execz .LBB51_37
; %bb.36:                               ;   in Loop: Header=BB51_13 Depth=1
	v_mul_f32_e32 v0, 0x3fb8aa3b, v86
	v_rndne_f32_e32 v1, v0
	s_mov_b32 s2, 0x3fb8aa3b
	v_sub_f32_e32 v2, v0, v1
	v_fma_f32 v0, v86, s2, -v0
	v_fmac_f32_e32 v0, 0x32a5705f, v86
	v_add_f32_e32 v0, v2, v0
	v_cvt_i32_f32_e32 v1, v1
	v_exp_f32_e32 v0, v0
	s_mov_b32 s2, 0xc2ce8ed0
	v_cmp_ngt_f32_e32 vcc, s2, v86
	s_mov_b32 s2, 0x42b17218
	v_ldexp_f32 v0, v0, v1
	v_cndmask_b32_e32 v0, 0, v0, vcc
	v_cmp_nlt_f32_e32 vcc, s2, v86
	v_mov_b32_e32 v1, 0x7f800000
	s_mov_b32 s2, 0x3f2aaaab
	v_cndmask_b32_e32 v16, v1, v0, vcc
	v_add_f32_e32 v2, 1.0, v16
	v_add_f32_e32 v0, -1.0, v2
	v_sub_f32_e32 v1, v0, v2
	v_add_f32_e32 v1, 1.0, v1
	v_sub_f32_e32 v0, v16, v0
	v_add_f32_e32 v3, v0, v1
	v_frexp_mant_f32_e32 v4, v2
	v_cvt_f64_f32_e32 v[0:1], v2
	v_frexp_exp_i32_f64_e32 v0, v[0:1]
	v_cmp_gt_f32_e32 vcc, s2, v4
	s_mov_b32 s2, 0x3f317218
	s_nop 0
	v_subbrev_co_u32_e32 v8, vcc, 0, v0, vcc
	v_sub_u32_e32 v0, 0, v8
	v_ldexp_f32 v1, v2, v0
	v_add_f32_e32 v2, -1.0, v1
	v_add_f32_e32 v4, 1.0, v1
	v_ldexp_f32 v0, v3, v0
	v_add_f32_e32 v3, 1.0, v2
	v_add_f32_e32 v5, -1.0, v4
	v_sub_f32_e32 v3, v1, v3
	v_sub_f32_e32 v1, v1, v5
	v_add_f32_e32 v3, v0, v3
	v_add_f32_e32 v0, v0, v1
	;; [unrolled: 1-line block ×3, first 2 shown]
	v_rcp_f32_e32 v11, v9
	v_sub_f32_e32 v1, v4, v9
	v_add_f32_e32 v10, v0, v1
	v_add_f32_e32 v1, v2, v3
	v_mul_f32_e32 v13, v1, v11
	v_sub_f32_e32 v0, v2, v1
	v_mul_f32_e32 v2, v9, v13
	v_fma_f32 v4, v13, v9, -v2
	v_fmac_f32_e32 v4, v13, v10
	v_add_f32_e32 v12, v3, v0
	v_add_f32_e32 v0, v2, v4
	v_sub_f32_e32 v3, v1, v0
	v_pk_add_f32 v[6:7], v[0:1], v[2:3] neg_lo:[0,1] neg_hi:[0,1]
	v_mov_b32_e32 v5, v0
	v_pk_add_f32 v[0:1], v[6:7], v[4:5] neg_lo:[0,1] neg_hi:[0,1]
	s_nop 0
	v_add_f32_e32 v1, v12, v1
	v_add_f32_e32 v0, v0, v1
	v_add_f32_e32 v1, v3, v0
	v_mul_f32_e32 v12, v11, v1
	v_mul_f32_e32 v2, v9, v12
	v_fma_f32 v4, v12, v9, -v2
	v_fmac_f32_e32 v4, v12, v10
	v_sub_f32_e32 v3, v3, v1
	v_add_f32_e32 v9, v0, v3
	v_add_f32_e32 v0, v2, v4
	v_sub_f32_e32 v3, v1, v0
	v_pk_add_f32 v[6:7], v[0:1], v[2:3] neg_lo:[0,1] neg_hi:[0,1]
	v_mov_b32_e32 v5, v0
	v_pk_add_f32 v[0:1], v[6:7], v[4:5] neg_lo:[0,1] neg_hi:[0,1]
	scratch_load_dwordx2 v[6:7], off, off offset:56 ; 8-byte Folded Reload
	v_add_f32_e32 v1, v9, v1
	v_add_f32_e32 v0, v0, v1
	;; [unrolled: 1-line block ×4, first 2 shown]
	v_sub_f32_e32 v2, v1, v13
	v_mul_f32_e32 v0, v11, v0
	v_sub_f32_e32 v2, v12, v2
	v_add_f32_e32 v2, v2, v0
	v_add_f32_e32 v4, v1, v2
	v_mul_f32_e32 v5, v4, v4
	v_mov_b32_e32 v0, 0x3ecc95a3
	v_fmamk_f32 v0, v5, 0x3e9b6dac, v0
	v_fmaak_f32 v11, v5, v0, 0x3f2aaada
	v_cvt_f32_i32_e32 v0, v8
	v_sub_f32_e32 v1, v4, v1
	v_sub_f32_e32 v1, v2, v1
	v_ldexp_f32 v3, v4, 1
	s_waitcnt vmcnt(0)
	v_mov_b32_e32 v10, v6
	v_ldexp_f32 v6, v1, 1
	v_mul_f32_e32 v1, v4, v5
	v_mov_b32_e32 v2, v10
	v_pk_mul_f32 v[4:5], v[0:1], v[10:11]
	scratch_store_dwordx2 off, v[2:3], off offset:56 ; 8-byte Folded Spill
	v_fma_f32 v2, v0, s2, -v4
	v_fmac_f32_e32 v2, 0xb102e308, v0
	v_pk_add_f32 v[0:1], v[4:5], v[2:3]
	s_mov_b32 s2, 0x7f800000
	v_sub_f32_e32 v3, v1, v3
	v_sub_f32_e32 v3, v5, v3
	v_add_f32_e32 v7, v6, v3
	v_mov_b32_e32 v6, v4
	v_pk_add_f32 v[4:5], v[0:1], v[4:5] neg_lo:[0,1] neg_hi:[0,1]
	v_pk_add_f32 v[8:9], v[0:1], v[6:7]
	v_mov_b32_e32 v3, v0
	v_mov_b32_e32 v5, v9
	v_pk_add_f32 v[10:11], v[2:3], v[4:5] neg_lo:[0,1] neg_hi:[0,1]
	v_pk_add_f32 v[2:3], v[2:3], v[4:5]
	v_mov_b32_e32 v6, v7
	v_mov_b32_e32 v4, v3
	v_pk_add_f32 v[12:13], v[4:5], v[0:1] neg_lo:[0,1] neg_hi:[0,1]
	v_mov_b32_e32 v2, v9
	v_mov_b32_e32 v5, v12
	v_pk_add_f32 v[14:15], v[8:9], v[4:5] neg_lo:[0,1] neg_hi:[0,1]
	v_mov_b32_e32 v8, v1
	v_mov_b32_e32 v9, v12
	;; [unrolled: 1-line block ×3, first 2 shown]
	v_pk_add_f32 v[2:3], v[2:3], v[8:9] neg_lo:[0,1] neg_hi:[0,1]
	v_mov_b32_e32 v7, v0
	v_pk_add_f32 v[0:1], v[6:7], v[2:3] neg_lo:[0,1] neg_hi:[0,1]
	v_mov_b32_e32 v14, v10
	v_pk_add_f32 v[2:3], v[14:15], v[0:1]
	v_cmp_eq_f32_e32 vcc, s2, v16
	v_mov_b32_e32 v6, v3
	v_pk_add_f32 v[6:7], v[2:3], v[6:7]
	v_cmp_gt_f32_e64 s[2:3], s83, v16
	v_pk_add_f32 v[4:5], v[4:5], v[6:7]
	v_mov_b32_e32 v1, v6
	v_mov_b32_e32 v3, v4
	v_pk_add_f32 v[8:9], v[2:3], v[10:11] neg_lo:[0,1] neg_hi:[0,1]
	s_or_b64 vcc, s[2:3], vcc
	v_sub_f32_e32 v2, v2, v8
	v_pk_add_f32 v[0:1], v[0:1], v[8:9] neg_lo:[0,1] neg_hi:[0,1]
	v_sub_f32_e32 v2, v10, v2
	v_add_f32_e32 v0, v0, v2
	v_add_f32_e32 v0, v0, v1
	;; [unrolled: 1-line block ×3, first 2 shown]
	v_cndmask_b32_e32 v86, v0, v16, vcc
.LBB51_37:                              ;   in Loop: Header=BB51_13 Depth=1
	s_or_b64 exec, exec, s[22:23]
	s_waitcnt lgkmcnt(0)
	v_lshlrev_b32_e32 v0, 16, v18
	v_add_f32_e32 v87, s33, v0
	v_cmp_ge_f32_e32 vcc, s82, v87
	s_and_b64 s[2:3], s[80:81], vcc
	s_and_saveexec_b64 s[22:23], s[2:3]
	s_cbranch_execz .LBB51_39
; %bb.38:                               ;   in Loop: Header=BB51_13 Depth=1
	v_mul_f32_e32 v0, 0x3fb8aa3b, v87
	v_rndne_f32_e32 v1, v0
	s_mov_b32 s2, 0x3fb8aa3b
	v_sub_f32_e32 v2, v0, v1
	v_fma_f32 v0, v87, s2, -v0
	v_fmac_f32_e32 v0, 0x32a5705f, v87
	v_add_f32_e32 v0, v2, v0
	v_cvt_i32_f32_e32 v1, v1
	v_exp_f32_e32 v0, v0
	s_mov_b32 s2, 0xc2ce8ed0
	v_cmp_ngt_f32_e32 vcc, s2, v87
	s_mov_b32 s2, 0x42b17218
	v_ldexp_f32 v0, v0, v1
	v_cndmask_b32_e32 v0, 0, v0, vcc
	v_cmp_nlt_f32_e32 vcc, s2, v87
	v_mov_b32_e32 v1, 0x7f800000
	s_mov_b32 s2, 0x3f2aaaab
	v_cndmask_b32_e32 v16, v1, v0, vcc
	v_add_f32_e32 v2, 1.0, v16
	v_add_f32_e32 v0, -1.0, v2
	v_sub_f32_e32 v1, v0, v2
	v_add_f32_e32 v1, 1.0, v1
	v_sub_f32_e32 v0, v16, v0
	v_add_f32_e32 v3, v0, v1
	v_frexp_mant_f32_e32 v4, v2
	v_cvt_f64_f32_e32 v[0:1], v2
	v_frexp_exp_i32_f64_e32 v0, v[0:1]
	v_cmp_gt_f32_e32 vcc, s2, v4
	s_mov_b32 s2, 0x3f317218
	s_nop 0
	v_subbrev_co_u32_e32 v8, vcc, 0, v0, vcc
	v_sub_u32_e32 v0, 0, v8
	v_ldexp_f32 v1, v2, v0
	v_add_f32_e32 v2, -1.0, v1
	v_add_f32_e32 v4, 1.0, v1
	v_ldexp_f32 v0, v3, v0
	v_add_f32_e32 v3, 1.0, v2
	v_add_f32_e32 v5, -1.0, v4
	v_sub_f32_e32 v3, v1, v3
	v_sub_f32_e32 v1, v1, v5
	v_add_f32_e32 v3, v0, v3
	v_add_f32_e32 v0, v0, v1
	;; [unrolled: 1-line block ×3, first 2 shown]
	v_rcp_f32_e32 v11, v9
	v_sub_f32_e32 v1, v4, v9
	v_add_f32_e32 v10, v0, v1
	v_add_f32_e32 v1, v2, v3
	v_mul_f32_e32 v13, v1, v11
	v_sub_f32_e32 v0, v2, v1
	v_mul_f32_e32 v2, v9, v13
	v_fma_f32 v4, v13, v9, -v2
	v_fmac_f32_e32 v4, v13, v10
	v_add_f32_e32 v12, v3, v0
	v_add_f32_e32 v0, v2, v4
	v_sub_f32_e32 v3, v1, v0
	v_pk_add_f32 v[6:7], v[0:1], v[2:3] neg_lo:[0,1] neg_hi:[0,1]
	v_mov_b32_e32 v5, v0
	v_pk_add_f32 v[0:1], v[6:7], v[4:5] neg_lo:[0,1] neg_hi:[0,1]
	s_nop 0
	v_add_f32_e32 v1, v12, v1
	v_add_f32_e32 v0, v0, v1
	;; [unrolled: 1-line block ×3, first 2 shown]
	v_mul_f32_e32 v12, v11, v1
	v_mul_f32_e32 v2, v9, v12
	v_fma_f32 v4, v12, v9, -v2
	v_fmac_f32_e32 v4, v12, v10
	v_sub_f32_e32 v3, v3, v1
	v_add_f32_e32 v9, v0, v3
	v_add_f32_e32 v0, v2, v4
	v_sub_f32_e32 v3, v1, v0
	v_pk_add_f32 v[6:7], v[0:1], v[2:3] neg_lo:[0,1] neg_hi:[0,1]
	v_mov_b32_e32 v5, v0
	v_pk_add_f32 v[0:1], v[6:7], v[4:5] neg_lo:[0,1] neg_hi:[0,1]
	scratch_load_dwordx2 v[6:7], off, off offset:56 ; 8-byte Folded Reload
	v_add_f32_e32 v1, v9, v1
	v_add_f32_e32 v0, v0, v1
	v_add_f32_e32 v1, v13, v12
	v_add_f32_e32 v0, v3, v0
	v_sub_f32_e32 v2, v1, v13
	v_mul_f32_e32 v0, v11, v0
	v_sub_f32_e32 v2, v12, v2
	v_add_f32_e32 v2, v2, v0
	v_add_f32_e32 v4, v1, v2
	v_mul_f32_e32 v5, v4, v4
	v_mov_b32_e32 v0, 0x3ecc95a3
	v_fmamk_f32 v0, v5, 0x3e9b6dac, v0
	v_fmaak_f32 v11, v5, v0, 0x3f2aaada
	v_cvt_f32_i32_e32 v0, v8
	v_sub_f32_e32 v1, v4, v1
	v_sub_f32_e32 v1, v2, v1
	v_ldexp_f32 v3, v4, 1
	s_waitcnt vmcnt(0)
	v_mov_b32_e32 v10, v6
	v_ldexp_f32 v6, v1, 1
	v_mul_f32_e32 v1, v4, v5
	v_mov_b32_e32 v2, v10
	v_pk_mul_f32 v[4:5], v[0:1], v[10:11]
	scratch_store_dwordx2 off, v[2:3], off offset:56 ; 8-byte Folded Spill
	v_fma_f32 v2, v0, s2, -v4
	v_fmac_f32_e32 v2, 0xb102e308, v0
	v_pk_add_f32 v[0:1], v[4:5], v[2:3]
	s_mov_b32 s2, 0x7f800000
	v_sub_f32_e32 v3, v1, v3
	v_sub_f32_e32 v3, v5, v3
	v_add_f32_e32 v7, v6, v3
	v_mov_b32_e32 v6, v4
	v_pk_add_f32 v[4:5], v[0:1], v[4:5] neg_lo:[0,1] neg_hi:[0,1]
	v_pk_add_f32 v[8:9], v[0:1], v[6:7]
	v_mov_b32_e32 v3, v0
	v_mov_b32_e32 v5, v9
	v_pk_add_f32 v[10:11], v[2:3], v[4:5] neg_lo:[0,1] neg_hi:[0,1]
	v_pk_add_f32 v[2:3], v[2:3], v[4:5]
	v_mov_b32_e32 v6, v7
	v_mov_b32_e32 v4, v3
	v_pk_add_f32 v[12:13], v[4:5], v[0:1] neg_lo:[0,1] neg_hi:[0,1]
	v_mov_b32_e32 v2, v9
	v_mov_b32_e32 v5, v12
	v_pk_add_f32 v[14:15], v[8:9], v[4:5] neg_lo:[0,1] neg_hi:[0,1]
	v_mov_b32_e32 v8, v1
	v_mov_b32_e32 v9, v12
	;; [unrolled: 1-line block ×3, first 2 shown]
	v_pk_add_f32 v[2:3], v[2:3], v[8:9] neg_lo:[0,1] neg_hi:[0,1]
	v_mov_b32_e32 v7, v0
	v_pk_add_f32 v[0:1], v[6:7], v[2:3] neg_lo:[0,1] neg_hi:[0,1]
	v_mov_b32_e32 v14, v10
	v_pk_add_f32 v[2:3], v[14:15], v[0:1]
	v_cmp_eq_f32_e32 vcc, s2, v16
	v_mov_b32_e32 v6, v3
	v_pk_add_f32 v[6:7], v[2:3], v[6:7]
	v_cmp_gt_f32_e64 s[2:3], s83, v16
	v_pk_add_f32 v[4:5], v[4:5], v[6:7]
	v_mov_b32_e32 v1, v6
	v_mov_b32_e32 v3, v4
	v_pk_add_f32 v[8:9], v[2:3], v[10:11] neg_lo:[0,1] neg_hi:[0,1]
	s_or_b64 vcc, s[2:3], vcc
	v_sub_f32_e32 v2, v2, v8
	v_pk_add_f32 v[0:1], v[0:1], v[8:9] neg_lo:[0,1] neg_hi:[0,1]
	v_sub_f32_e32 v2, v10, v2
	v_add_f32_e32 v0, v0, v2
	v_add_f32_e32 v0, v0, v1
	;; [unrolled: 1-line block ×3, first 2 shown]
	v_cndmask_b32_e32 v87, v0, v16, vcc
.LBB51_39:                              ;   in Loop: Header=BB51_13 Depth=1
	s_or_b64 exec, exec, s[22:23]
	v_and_b32_e32 v0, 0xffff0000, v18
	v_add_f32_e32 v88, s33, v0
	v_cmp_ge_f32_e32 vcc, s82, v88
	s_and_b64 s[2:3], s[80:81], vcc
	s_and_saveexec_b64 s[22:23], s[2:3]
	s_cbranch_execz .LBB51_41
; %bb.40:                               ;   in Loop: Header=BB51_13 Depth=1
	v_mul_f32_e32 v0, 0x3fb8aa3b, v88
	v_rndne_f32_e32 v1, v0
	s_mov_b32 s2, 0x3fb8aa3b
	v_sub_f32_e32 v2, v0, v1
	v_fma_f32 v0, v88, s2, -v0
	v_fmac_f32_e32 v0, 0x32a5705f, v88
	v_add_f32_e32 v0, v2, v0
	v_cvt_i32_f32_e32 v1, v1
	v_exp_f32_e32 v0, v0
	s_mov_b32 s2, 0xc2ce8ed0
	v_cmp_ngt_f32_e32 vcc, s2, v88
	s_mov_b32 s2, 0x42b17218
	v_ldexp_f32 v0, v0, v1
	v_cndmask_b32_e32 v0, 0, v0, vcc
	v_cmp_nlt_f32_e32 vcc, s2, v88
	v_mov_b32_e32 v1, 0x7f800000
	s_mov_b32 s2, 0x3f2aaaab
	v_cndmask_b32_e32 v16, v1, v0, vcc
	v_add_f32_e32 v2, 1.0, v16
	v_add_f32_e32 v0, -1.0, v2
	v_sub_f32_e32 v1, v0, v2
	v_add_f32_e32 v1, 1.0, v1
	v_sub_f32_e32 v0, v16, v0
	v_add_f32_e32 v3, v0, v1
	v_frexp_mant_f32_e32 v4, v2
	v_cvt_f64_f32_e32 v[0:1], v2
	v_frexp_exp_i32_f64_e32 v0, v[0:1]
	v_cmp_gt_f32_e32 vcc, s2, v4
	s_mov_b32 s2, 0x3f317218
	s_nop 0
	v_subbrev_co_u32_e32 v8, vcc, 0, v0, vcc
	v_sub_u32_e32 v0, 0, v8
	v_ldexp_f32 v1, v2, v0
	v_add_f32_e32 v2, -1.0, v1
	v_add_f32_e32 v4, 1.0, v1
	v_ldexp_f32 v0, v3, v0
	v_add_f32_e32 v3, 1.0, v2
	v_add_f32_e32 v5, -1.0, v4
	v_sub_f32_e32 v3, v1, v3
	v_sub_f32_e32 v1, v1, v5
	v_add_f32_e32 v3, v0, v3
	v_add_f32_e32 v0, v0, v1
	;; [unrolled: 1-line block ×3, first 2 shown]
	v_rcp_f32_e32 v11, v9
	v_sub_f32_e32 v1, v4, v9
	v_add_f32_e32 v10, v0, v1
	v_add_f32_e32 v1, v2, v3
	v_mul_f32_e32 v13, v1, v11
	v_sub_f32_e32 v0, v2, v1
	v_mul_f32_e32 v2, v9, v13
	v_fma_f32 v4, v13, v9, -v2
	v_fmac_f32_e32 v4, v13, v10
	v_add_f32_e32 v12, v3, v0
	v_add_f32_e32 v0, v2, v4
	v_sub_f32_e32 v3, v1, v0
	v_pk_add_f32 v[6:7], v[0:1], v[2:3] neg_lo:[0,1] neg_hi:[0,1]
	v_mov_b32_e32 v5, v0
	v_pk_add_f32 v[0:1], v[6:7], v[4:5] neg_lo:[0,1] neg_hi:[0,1]
	s_nop 0
	v_add_f32_e32 v1, v12, v1
	v_add_f32_e32 v0, v0, v1
	;; [unrolled: 1-line block ×3, first 2 shown]
	v_mul_f32_e32 v12, v11, v1
	v_mul_f32_e32 v2, v9, v12
	v_fma_f32 v4, v12, v9, -v2
	v_fmac_f32_e32 v4, v12, v10
	v_sub_f32_e32 v3, v3, v1
	v_add_f32_e32 v9, v0, v3
	v_add_f32_e32 v0, v2, v4
	v_sub_f32_e32 v3, v1, v0
	v_pk_add_f32 v[6:7], v[0:1], v[2:3] neg_lo:[0,1] neg_hi:[0,1]
	v_mov_b32_e32 v5, v0
	v_pk_add_f32 v[0:1], v[6:7], v[4:5] neg_lo:[0,1] neg_hi:[0,1]
	scratch_load_dwordx2 v[6:7], off, off offset:56 ; 8-byte Folded Reload
	v_add_f32_e32 v1, v9, v1
	v_add_f32_e32 v0, v0, v1
	v_add_f32_e32 v1, v13, v12
	v_add_f32_e32 v0, v3, v0
	v_sub_f32_e32 v2, v1, v13
	v_mul_f32_e32 v0, v11, v0
	v_sub_f32_e32 v2, v12, v2
	v_add_f32_e32 v2, v2, v0
	v_add_f32_e32 v4, v1, v2
	v_mul_f32_e32 v5, v4, v4
	v_mov_b32_e32 v0, 0x3ecc95a3
	v_fmamk_f32 v0, v5, 0x3e9b6dac, v0
	v_fmaak_f32 v11, v5, v0, 0x3f2aaada
	v_cvt_f32_i32_e32 v0, v8
	v_sub_f32_e32 v1, v4, v1
	v_sub_f32_e32 v1, v2, v1
	v_ldexp_f32 v3, v4, 1
	s_waitcnt vmcnt(0)
	v_mov_b32_e32 v10, v6
	v_ldexp_f32 v6, v1, 1
	v_mul_f32_e32 v1, v4, v5
	v_mov_b32_e32 v2, v10
	v_pk_mul_f32 v[4:5], v[0:1], v[10:11]
	scratch_store_dwordx2 off, v[2:3], off offset:56 ; 8-byte Folded Spill
	v_fma_f32 v2, v0, s2, -v4
	v_fmac_f32_e32 v2, 0xb102e308, v0
	v_pk_add_f32 v[0:1], v[4:5], v[2:3]
	s_mov_b32 s2, 0x7f800000
	v_sub_f32_e32 v3, v1, v3
	v_sub_f32_e32 v3, v5, v3
	v_add_f32_e32 v7, v6, v3
	v_mov_b32_e32 v6, v4
	v_pk_add_f32 v[4:5], v[0:1], v[4:5] neg_lo:[0,1] neg_hi:[0,1]
	v_pk_add_f32 v[8:9], v[0:1], v[6:7]
	v_mov_b32_e32 v3, v0
	v_mov_b32_e32 v5, v9
	v_pk_add_f32 v[10:11], v[2:3], v[4:5] neg_lo:[0,1] neg_hi:[0,1]
	v_pk_add_f32 v[2:3], v[2:3], v[4:5]
	v_mov_b32_e32 v6, v7
	v_mov_b32_e32 v4, v3
	v_pk_add_f32 v[12:13], v[4:5], v[0:1] neg_lo:[0,1] neg_hi:[0,1]
	v_mov_b32_e32 v2, v9
	v_mov_b32_e32 v5, v12
	v_pk_add_f32 v[14:15], v[8:9], v[4:5] neg_lo:[0,1] neg_hi:[0,1]
	v_mov_b32_e32 v8, v1
	v_mov_b32_e32 v9, v12
	;; [unrolled: 1-line block ×3, first 2 shown]
	v_pk_add_f32 v[2:3], v[2:3], v[8:9] neg_lo:[0,1] neg_hi:[0,1]
	v_mov_b32_e32 v7, v0
	v_pk_add_f32 v[0:1], v[6:7], v[2:3] neg_lo:[0,1] neg_hi:[0,1]
	v_mov_b32_e32 v14, v10
	v_pk_add_f32 v[2:3], v[14:15], v[0:1]
	v_cmp_eq_f32_e32 vcc, s2, v16
	v_mov_b32_e32 v6, v3
	v_pk_add_f32 v[6:7], v[2:3], v[6:7]
	v_cmp_gt_f32_e64 s[2:3], s83, v16
	v_pk_add_f32 v[4:5], v[4:5], v[6:7]
	v_mov_b32_e32 v1, v6
	v_mov_b32_e32 v3, v4
	v_pk_add_f32 v[8:9], v[2:3], v[10:11] neg_lo:[0,1] neg_hi:[0,1]
	s_or_b64 vcc, s[2:3], vcc
	v_sub_f32_e32 v2, v2, v8
	v_pk_add_f32 v[0:1], v[0:1], v[8:9] neg_lo:[0,1] neg_hi:[0,1]
	v_sub_f32_e32 v2, v10, v2
	v_add_f32_e32 v0, v0, v2
	v_add_f32_e32 v0, v0, v1
	;; [unrolled: 1-line block ×3, first 2 shown]
	v_cndmask_b32_e32 v88, v0, v16, vcc
.LBB51_41:                              ;   in Loop: Header=BB51_13 Depth=1
	s_or_b64 exec, exec, s[22:23]
	v_lshlrev_b32_e32 v0, 16, v19
	v_add_f32_e32 v89, s33, v0
	v_cmp_ge_f32_e32 vcc, s82, v89
	s_and_b64 s[2:3], s[80:81], vcc
	s_and_saveexec_b64 s[22:23], s[2:3]
	s_cbranch_execz .LBB51_43
; %bb.42:                               ;   in Loop: Header=BB51_13 Depth=1
	v_mul_f32_e32 v0, 0x3fb8aa3b, v89
	v_rndne_f32_e32 v1, v0
	s_mov_b32 s2, 0x3fb8aa3b
	v_sub_f32_e32 v2, v0, v1
	v_fma_f32 v0, v89, s2, -v0
	v_fmac_f32_e32 v0, 0x32a5705f, v89
	v_add_f32_e32 v0, v2, v0
	v_cvt_i32_f32_e32 v1, v1
	v_exp_f32_e32 v0, v0
	s_mov_b32 s2, 0xc2ce8ed0
	v_cmp_ngt_f32_e32 vcc, s2, v89
	s_mov_b32 s2, 0x42b17218
	v_ldexp_f32 v0, v0, v1
	v_cndmask_b32_e32 v0, 0, v0, vcc
	v_cmp_nlt_f32_e32 vcc, s2, v89
	v_mov_b32_e32 v1, 0x7f800000
	s_mov_b32 s2, 0x3f2aaaab
	v_cndmask_b32_e32 v16, v1, v0, vcc
	v_add_f32_e32 v2, 1.0, v16
	v_add_f32_e32 v0, -1.0, v2
	v_sub_f32_e32 v1, v0, v2
	v_add_f32_e32 v1, 1.0, v1
	v_sub_f32_e32 v0, v16, v0
	v_add_f32_e32 v3, v0, v1
	v_frexp_mant_f32_e32 v4, v2
	v_cvt_f64_f32_e32 v[0:1], v2
	v_frexp_exp_i32_f64_e32 v0, v[0:1]
	v_cmp_gt_f32_e32 vcc, s2, v4
	s_mov_b32 s2, 0x3f317218
	s_nop 0
	v_subbrev_co_u32_e32 v8, vcc, 0, v0, vcc
	v_sub_u32_e32 v0, 0, v8
	v_ldexp_f32 v1, v2, v0
	v_add_f32_e32 v2, -1.0, v1
	v_add_f32_e32 v4, 1.0, v1
	v_ldexp_f32 v0, v3, v0
	v_add_f32_e32 v3, 1.0, v2
	v_add_f32_e32 v5, -1.0, v4
	v_sub_f32_e32 v3, v1, v3
	v_sub_f32_e32 v1, v1, v5
	v_add_f32_e32 v3, v0, v3
	v_add_f32_e32 v0, v0, v1
	;; [unrolled: 1-line block ×3, first 2 shown]
	v_rcp_f32_e32 v11, v9
	v_sub_f32_e32 v1, v4, v9
	v_add_f32_e32 v10, v0, v1
	v_add_f32_e32 v1, v2, v3
	v_mul_f32_e32 v13, v1, v11
	v_sub_f32_e32 v0, v2, v1
	v_mul_f32_e32 v2, v9, v13
	v_fma_f32 v4, v13, v9, -v2
	v_fmac_f32_e32 v4, v13, v10
	v_add_f32_e32 v12, v3, v0
	v_add_f32_e32 v0, v2, v4
	v_sub_f32_e32 v3, v1, v0
	v_pk_add_f32 v[6:7], v[0:1], v[2:3] neg_lo:[0,1] neg_hi:[0,1]
	v_mov_b32_e32 v5, v0
	v_pk_add_f32 v[0:1], v[6:7], v[4:5] neg_lo:[0,1] neg_hi:[0,1]
	s_nop 0
	v_add_f32_e32 v1, v12, v1
	v_add_f32_e32 v0, v0, v1
	;; [unrolled: 1-line block ×3, first 2 shown]
	v_mul_f32_e32 v12, v11, v1
	v_mul_f32_e32 v2, v9, v12
	v_fma_f32 v4, v12, v9, -v2
	v_fmac_f32_e32 v4, v12, v10
	v_sub_f32_e32 v3, v3, v1
	v_add_f32_e32 v9, v0, v3
	v_add_f32_e32 v0, v2, v4
	v_sub_f32_e32 v3, v1, v0
	v_pk_add_f32 v[6:7], v[0:1], v[2:3] neg_lo:[0,1] neg_hi:[0,1]
	v_mov_b32_e32 v5, v0
	v_pk_add_f32 v[0:1], v[6:7], v[4:5] neg_lo:[0,1] neg_hi:[0,1]
	scratch_load_dwordx2 v[6:7], off, off offset:56 ; 8-byte Folded Reload
	v_add_f32_e32 v1, v9, v1
	v_add_f32_e32 v0, v0, v1
	;; [unrolled: 1-line block ×4, first 2 shown]
	v_sub_f32_e32 v2, v1, v13
	v_mul_f32_e32 v0, v11, v0
	v_sub_f32_e32 v2, v12, v2
	v_add_f32_e32 v2, v2, v0
	v_add_f32_e32 v4, v1, v2
	v_mul_f32_e32 v5, v4, v4
	v_mov_b32_e32 v0, 0x3ecc95a3
	v_fmamk_f32 v0, v5, 0x3e9b6dac, v0
	v_fmaak_f32 v11, v5, v0, 0x3f2aaada
	v_cvt_f32_i32_e32 v0, v8
	v_sub_f32_e32 v1, v4, v1
	v_sub_f32_e32 v1, v2, v1
	v_ldexp_f32 v3, v4, 1
	s_waitcnt vmcnt(0)
	v_mov_b32_e32 v10, v6
	v_ldexp_f32 v6, v1, 1
	v_mul_f32_e32 v1, v4, v5
	v_mov_b32_e32 v2, v10
	v_pk_mul_f32 v[4:5], v[0:1], v[10:11]
	scratch_store_dwordx2 off, v[2:3], off offset:56 ; 8-byte Folded Spill
	v_fma_f32 v2, v0, s2, -v4
	v_fmac_f32_e32 v2, 0xb102e308, v0
	v_pk_add_f32 v[0:1], v[4:5], v[2:3]
	s_mov_b32 s2, 0x7f800000
	v_sub_f32_e32 v3, v1, v3
	v_sub_f32_e32 v3, v5, v3
	v_add_f32_e32 v7, v6, v3
	v_mov_b32_e32 v6, v4
	v_pk_add_f32 v[4:5], v[0:1], v[4:5] neg_lo:[0,1] neg_hi:[0,1]
	v_pk_add_f32 v[8:9], v[0:1], v[6:7]
	v_mov_b32_e32 v3, v0
	v_mov_b32_e32 v5, v9
	v_pk_add_f32 v[10:11], v[2:3], v[4:5] neg_lo:[0,1] neg_hi:[0,1]
	v_pk_add_f32 v[2:3], v[2:3], v[4:5]
	v_mov_b32_e32 v6, v7
	v_mov_b32_e32 v4, v3
	v_pk_add_f32 v[12:13], v[4:5], v[0:1] neg_lo:[0,1] neg_hi:[0,1]
	v_mov_b32_e32 v2, v9
	v_mov_b32_e32 v5, v12
	v_pk_add_f32 v[14:15], v[8:9], v[4:5] neg_lo:[0,1] neg_hi:[0,1]
	v_mov_b32_e32 v8, v1
	v_mov_b32_e32 v9, v12
	;; [unrolled: 1-line block ×3, first 2 shown]
	v_pk_add_f32 v[2:3], v[2:3], v[8:9] neg_lo:[0,1] neg_hi:[0,1]
	v_mov_b32_e32 v7, v0
	v_pk_add_f32 v[0:1], v[6:7], v[2:3] neg_lo:[0,1] neg_hi:[0,1]
	v_mov_b32_e32 v14, v10
	v_pk_add_f32 v[2:3], v[14:15], v[0:1]
	v_cmp_eq_f32_e32 vcc, s2, v16
	v_mov_b32_e32 v6, v3
	v_pk_add_f32 v[6:7], v[2:3], v[6:7]
	v_cmp_gt_f32_e64 s[2:3], s83, v16
	v_pk_add_f32 v[4:5], v[4:5], v[6:7]
	v_mov_b32_e32 v1, v6
	v_mov_b32_e32 v3, v4
	v_pk_add_f32 v[8:9], v[2:3], v[10:11] neg_lo:[0,1] neg_hi:[0,1]
	s_or_b64 vcc, s[2:3], vcc
	v_sub_f32_e32 v2, v2, v8
	v_pk_add_f32 v[0:1], v[0:1], v[8:9] neg_lo:[0,1] neg_hi:[0,1]
	v_sub_f32_e32 v2, v10, v2
	v_add_f32_e32 v0, v0, v2
	v_add_f32_e32 v0, v0, v1
	;; [unrolled: 1-line block ×3, first 2 shown]
	v_cndmask_b32_e32 v89, v0, v16, vcc
.LBB51_43:                              ;   in Loop: Header=BB51_13 Depth=1
	s_or_b64 exec, exec, s[22:23]
	v_and_b32_e32 v0, 0xffff0000, v19
	v_add_f32_e32 v90, s33, v0
	v_cmp_ge_f32_e32 vcc, s82, v90
	s_and_b64 s[2:3], s[80:81], vcc
	s_and_saveexec_b64 s[22:23], s[2:3]
	s_cbranch_execz .LBB51_45
; %bb.44:                               ;   in Loop: Header=BB51_13 Depth=1
	v_mul_f32_e32 v0, 0x3fb8aa3b, v90
	v_rndne_f32_e32 v1, v0
	s_mov_b32 s2, 0x3fb8aa3b
	v_sub_f32_e32 v2, v0, v1
	v_fma_f32 v0, v90, s2, -v0
	v_fmac_f32_e32 v0, 0x32a5705f, v90
	v_add_f32_e32 v0, v2, v0
	v_cvt_i32_f32_e32 v1, v1
	v_exp_f32_e32 v0, v0
	s_mov_b32 s2, 0xc2ce8ed0
	v_cmp_ngt_f32_e32 vcc, s2, v90
	s_mov_b32 s2, 0x42b17218
	v_ldexp_f32 v0, v0, v1
	v_cndmask_b32_e32 v0, 0, v0, vcc
	v_cmp_nlt_f32_e32 vcc, s2, v90
	v_mov_b32_e32 v1, 0x7f800000
	s_mov_b32 s2, 0x3f2aaaab
	v_cndmask_b32_e32 v16, v1, v0, vcc
	v_add_f32_e32 v2, 1.0, v16
	v_add_f32_e32 v0, -1.0, v2
	v_sub_f32_e32 v1, v0, v2
	v_add_f32_e32 v1, 1.0, v1
	v_sub_f32_e32 v0, v16, v0
	v_add_f32_e32 v3, v0, v1
	v_frexp_mant_f32_e32 v4, v2
	v_cvt_f64_f32_e32 v[0:1], v2
	v_frexp_exp_i32_f64_e32 v0, v[0:1]
	v_cmp_gt_f32_e32 vcc, s2, v4
	s_mov_b32 s2, 0x3f317218
	s_nop 0
	v_subbrev_co_u32_e32 v8, vcc, 0, v0, vcc
	v_sub_u32_e32 v0, 0, v8
	v_ldexp_f32 v1, v2, v0
	v_add_f32_e32 v2, -1.0, v1
	v_add_f32_e32 v4, 1.0, v1
	v_ldexp_f32 v0, v3, v0
	v_add_f32_e32 v3, 1.0, v2
	v_add_f32_e32 v5, -1.0, v4
	v_sub_f32_e32 v3, v1, v3
	v_sub_f32_e32 v1, v1, v5
	v_add_f32_e32 v3, v0, v3
	v_add_f32_e32 v0, v0, v1
	;; [unrolled: 1-line block ×3, first 2 shown]
	v_rcp_f32_e32 v11, v9
	v_sub_f32_e32 v1, v4, v9
	v_add_f32_e32 v10, v0, v1
	v_add_f32_e32 v1, v2, v3
	v_mul_f32_e32 v13, v1, v11
	v_sub_f32_e32 v0, v2, v1
	v_mul_f32_e32 v2, v9, v13
	v_fma_f32 v4, v13, v9, -v2
	v_fmac_f32_e32 v4, v13, v10
	v_add_f32_e32 v12, v3, v0
	v_add_f32_e32 v0, v2, v4
	v_sub_f32_e32 v3, v1, v0
	v_pk_add_f32 v[6:7], v[0:1], v[2:3] neg_lo:[0,1] neg_hi:[0,1]
	v_mov_b32_e32 v5, v0
	v_pk_add_f32 v[0:1], v[6:7], v[4:5] neg_lo:[0,1] neg_hi:[0,1]
	s_nop 0
	v_add_f32_e32 v1, v12, v1
	v_add_f32_e32 v0, v0, v1
	;; [unrolled: 1-line block ×3, first 2 shown]
	v_mul_f32_e32 v12, v11, v1
	v_mul_f32_e32 v2, v9, v12
	v_fma_f32 v4, v12, v9, -v2
	v_fmac_f32_e32 v4, v12, v10
	v_sub_f32_e32 v3, v3, v1
	v_add_f32_e32 v9, v0, v3
	v_add_f32_e32 v0, v2, v4
	v_sub_f32_e32 v3, v1, v0
	v_pk_add_f32 v[6:7], v[0:1], v[2:3] neg_lo:[0,1] neg_hi:[0,1]
	v_mov_b32_e32 v5, v0
	v_pk_add_f32 v[0:1], v[6:7], v[4:5] neg_lo:[0,1] neg_hi:[0,1]
	scratch_load_dwordx2 v[6:7], off, off offset:56 ; 8-byte Folded Reload
	v_add_f32_e32 v1, v9, v1
	v_add_f32_e32 v0, v0, v1
	;; [unrolled: 1-line block ×4, first 2 shown]
	v_sub_f32_e32 v2, v1, v13
	v_mul_f32_e32 v0, v11, v0
	v_sub_f32_e32 v2, v12, v2
	v_add_f32_e32 v2, v2, v0
	v_add_f32_e32 v4, v1, v2
	v_mul_f32_e32 v5, v4, v4
	v_mov_b32_e32 v0, 0x3ecc95a3
	v_fmamk_f32 v0, v5, 0x3e9b6dac, v0
	v_fmaak_f32 v11, v5, v0, 0x3f2aaada
	v_cvt_f32_i32_e32 v0, v8
	v_sub_f32_e32 v1, v4, v1
	v_sub_f32_e32 v1, v2, v1
	v_ldexp_f32 v3, v4, 1
	s_waitcnt vmcnt(0)
	v_mov_b32_e32 v10, v6
	v_ldexp_f32 v6, v1, 1
	v_mul_f32_e32 v1, v4, v5
	v_mov_b32_e32 v2, v10
	v_pk_mul_f32 v[4:5], v[0:1], v[10:11]
	scratch_store_dwordx2 off, v[2:3], off offset:56 ; 8-byte Folded Spill
	v_fma_f32 v2, v0, s2, -v4
	v_fmac_f32_e32 v2, 0xb102e308, v0
	v_pk_add_f32 v[0:1], v[4:5], v[2:3]
	s_mov_b32 s2, 0x7f800000
	v_sub_f32_e32 v3, v1, v3
	v_sub_f32_e32 v3, v5, v3
	v_add_f32_e32 v7, v6, v3
	v_mov_b32_e32 v6, v4
	v_pk_add_f32 v[4:5], v[0:1], v[4:5] neg_lo:[0,1] neg_hi:[0,1]
	v_pk_add_f32 v[8:9], v[0:1], v[6:7]
	v_mov_b32_e32 v3, v0
	v_mov_b32_e32 v5, v9
	v_pk_add_f32 v[10:11], v[2:3], v[4:5] neg_lo:[0,1] neg_hi:[0,1]
	v_pk_add_f32 v[2:3], v[2:3], v[4:5]
	v_mov_b32_e32 v6, v7
	v_mov_b32_e32 v4, v3
	v_pk_add_f32 v[12:13], v[4:5], v[0:1] neg_lo:[0,1] neg_hi:[0,1]
	v_mov_b32_e32 v2, v9
	v_mov_b32_e32 v5, v12
	v_pk_add_f32 v[14:15], v[8:9], v[4:5] neg_lo:[0,1] neg_hi:[0,1]
	v_mov_b32_e32 v8, v1
	v_mov_b32_e32 v9, v12
	;; [unrolled: 1-line block ×3, first 2 shown]
	v_pk_add_f32 v[2:3], v[2:3], v[8:9] neg_lo:[0,1] neg_hi:[0,1]
	v_mov_b32_e32 v7, v0
	v_pk_add_f32 v[0:1], v[6:7], v[2:3] neg_lo:[0,1] neg_hi:[0,1]
	v_mov_b32_e32 v14, v10
	v_pk_add_f32 v[2:3], v[14:15], v[0:1]
	v_cmp_eq_f32_e32 vcc, s2, v16
	v_mov_b32_e32 v6, v3
	v_pk_add_f32 v[6:7], v[2:3], v[6:7]
	v_cmp_gt_f32_e64 s[2:3], s83, v16
	v_pk_add_f32 v[4:5], v[4:5], v[6:7]
	v_mov_b32_e32 v1, v6
	v_mov_b32_e32 v3, v4
	v_pk_add_f32 v[8:9], v[2:3], v[10:11] neg_lo:[0,1] neg_hi:[0,1]
	s_or_b64 vcc, s[2:3], vcc
	v_sub_f32_e32 v2, v2, v8
	v_pk_add_f32 v[0:1], v[0:1], v[8:9] neg_lo:[0,1] neg_hi:[0,1]
	v_sub_f32_e32 v2, v10, v2
	v_add_f32_e32 v0, v0, v2
	v_add_f32_e32 v0, v0, v1
	v_add_f32_e32 v0, v4, v0
	v_cndmask_b32_e32 v90, v0, v16, vcc
.LBB51_45:                              ;   in Loop: Header=BB51_13 Depth=1
	s_or_b64 exec, exec, s[22:23]
	v_lshlrev_b32_e32 v0, 16, v20
	v_add_f32_e32 v91, s33, v0
	v_cmp_ge_f32_e32 vcc, s82, v91
	s_and_b64 s[2:3], s[80:81], vcc
	s_and_saveexec_b64 s[22:23], s[2:3]
	s_cbranch_execz .LBB51_47
; %bb.46:                               ;   in Loop: Header=BB51_13 Depth=1
	v_mul_f32_e32 v0, 0x3fb8aa3b, v91
	v_rndne_f32_e32 v1, v0
	s_mov_b32 s2, 0x3fb8aa3b
	v_sub_f32_e32 v2, v0, v1
	v_fma_f32 v0, v91, s2, -v0
	v_fmac_f32_e32 v0, 0x32a5705f, v91
	v_add_f32_e32 v0, v2, v0
	v_cvt_i32_f32_e32 v1, v1
	v_exp_f32_e32 v0, v0
	s_mov_b32 s2, 0xc2ce8ed0
	v_cmp_ngt_f32_e32 vcc, s2, v91
	s_mov_b32 s2, 0x42b17218
	v_ldexp_f32 v0, v0, v1
	v_cndmask_b32_e32 v0, 0, v0, vcc
	v_cmp_nlt_f32_e32 vcc, s2, v91
	v_mov_b32_e32 v1, 0x7f800000
	s_mov_b32 s2, 0x3f2aaaab
	v_cndmask_b32_e32 v16, v1, v0, vcc
	v_add_f32_e32 v2, 1.0, v16
	v_add_f32_e32 v0, -1.0, v2
	v_sub_f32_e32 v1, v0, v2
	v_add_f32_e32 v1, 1.0, v1
	v_sub_f32_e32 v0, v16, v0
	v_add_f32_e32 v3, v0, v1
	v_frexp_mant_f32_e32 v4, v2
	v_cvt_f64_f32_e32 v[0:1], v2
	v_frexp_exp_i32_f64_e32 v0, v[0:1]
	v_cmp_gt_f32_e32 vcc, s2, v4
	s_mov_b32 s2, 0x3f317218
	s_nop 0
	v_subbrev_co_u32_e32 v8, vcc, 0, v0, vcc
	v_sub_u32_e32 v0, 0, v8
	v_ldexp_f32 v1, v2, v0
	v_add_f32_e32 v2, -1.0, v1
	v_add_f32_e32 v4, 1.0, v1
	v_ldexp_f32 v0, v3, v0
	v_add_f32_e32 v3, 1.0, v2
	v_add_f32_e32 v5, -1.0, v4
	v_sub_f32_e32 v3, v1, v3
	v_sub_f32_e32 v1, v1, v5
	v_add_f32_e32 v3, v0, v3
	v_add_f32_e32 v0, v0, v1
	;; [unrolled: 1-line block ×3, first 2 shown]
	v_rcp_f32_e32 v11, v9
	v_sub_f32_e32 v1, v4, v9
	v_add_f32_e32 v10, v0, v1
	v_add_f32_e32 v1, v2, v3
	v_mul_f32_e32 v13, v1, v11
	v_sub_f32_e32 v0, v2, v1
	v_mul_f32_e32 v2, v9, v13
	v_fma_f32 v4, v13, v9, -v2
	v_fmac_f32_e32 v4, v13, v10
	v_add_f32_e32 v12, v3, v0
	v_add_f32_e32 v0, v2, v4
	v_sub_f32_e32 v3, v1, v0
	v_pk_add_f32 v[6:7], v[0:1], v[2:3] neg_lo:[0,1] neg_hi:[0,1]
	v_mov_b32_e32 v5, v0
	v_pk_add_f32 v[0:1], v[6:7], v[4:5] neg_lo:[0,1] neg_hi:[0,1]
	s_nop 0
	v_add_f32_e32 v1, v12, v1
	v_add_f32_e32 v0, v0, v1
	;; [unrolled: 1-line block ×3, first 2 shown]
	v_mul_f32_e32 v12, v11, v1
	v_mul_f32_e32 v2, v9, v12
	v_fma_f32 v4, v12, v9, -v2
	v_fmac_f32_e32 v4, v12, v10
	v_sub_f32_e32 v3, v3, v1
	v_add_f32_e32 v9, v0, v3
	v_add_f32_e32 v0, v2, v4
	v_sub_f32_e32 v3, v1, v0
	v_pk_add_f32 v[6:7], v[0:1], v[2:3] neg_lo:[0,1] neg_hi:[0,1]
	v_mov_b32_e32 v5, v0
	v_pk_add_f32 v[0:1], v[6:7], v[4:5] neg_lo:[0,1] neg_hi:[0,1]
	scratch_load_dwordx2 v[6:7], off, off offset:56 ; 8-byte Folded Reload
	v_add_f32_e32 v1, v9, v1
	v_add_f32_e32 v0, v0, v1
	;; [unrolled: 1-line block ×4, first 2 shown]
	v_sub_f32_e32 v2, v1, v13
	v_mul_f32_e32 v0, v11, v0
	v_sub_f32_e32 v2, v12, v2
	v_add_f32_e32 v2, v2, v0
	v_add_f32_e32 v4, v1, v2
	v_mul_f32_e32 v5, v4, v4
	v_mov_b32_e32 v0, 0x3ecc95a3
	v_fmamk_f32 v0, v5, 0x3e9b6dac, v0
	v_fmaak_f32 v11, v5, v0, 0x3f2aaada
	v_cvt_f32_i32_e32 v0, v8
	v_sub_f32_e32 v1, v4, v1
	v_sub_f32_e32 v1, v2, v1
	v_ldexp_f32 v3, v4, 1
	s_waitcnt vmcnt(0)
	v_mov_b32_e32 v10, v6
	v_ldexp_f32 v6, v1, 1
	v_mul_f32_e32 v1, v4, v5
	v_mov_b32_e32 v2, v10
	v_pk_mul_f32 v[4:5], v[0:1], v[10:11]
	scratch_store_dwordx2 off, v[2:3], off offset:56 ; 8-byte Folded Spill
	v_fma_f32 v2, v0, s2, -v4
	v_fmac_f32_e32 v2, 0xb102e308, v0
	v_pk_add_f32 v[0:1], v[4:5], v[2:3]
	s_mov_b32 s2, 0x7f800000
	v_sub_f32_e32 v3, v1, v3
	v_sub_f32_e32 v3, v5, v3
	v_add_f32_e32 v7, v6, v3
	v_mov_b32_e32 v6, v4
	v_pk_add_f32 v[4:5], v[0:1], v[4:5] neg_lo:[0,1] neg_hi:[0,1]
	v_pk_add_f32 v[8:9], v[0:1], v[6:7]
	v_mov_b32_e32 v3, v0
	v_mov_b32_e32 v5, v9
	v_pk_add_f32 v[10:11], v[2:3], v[4:5] neg_lo:[0,1] neg_hi:[0,1]
	v_pk_add_f32 v[2:3], v[2:3], v[4:5]
	v_mov_b32_e32 v6, v7
	v_mov_b32_e32 v4, v3
	v_pk_add_f32 v[12:13], v[4:5], v[0:1] neg_lo:[0,1] neg_hi:[0,1]
	v_mov_b32_e32 v2, v9
	v_mov_b32_e32 v5, v12
	v_pk_add_f32 v[14:15], v[8:9], v[4:5] neg_lo:[0,1] neg_hi:[0,1]
	v_mov_b32_e32 v8, v1
	v_mov_b32_e32 v9, v12
	;; [unrolled: 1-line block ×3, first 2 shown]
	v_pk_add_f32 v[2:3], v[2:3], v[8:9] neg_lo:[0,1] neg_hi:[0,1]
	v_mov_b32_e32 v7, v0
	v_pk_add_f32 v[0:1], v[6:7], v[2:3] neg_lo:[0,1] neg_hi:[0,1]
	v_mov_b32_e32 v14, v10
	v_pk_add_f32 v[2:3], v[14:15], v[0:1]
	v_cmp_eq_f32_e32 vcc, s2, v16
	v_mov_b32_e32 v6, v3
	v_pk_add_f32 v[6:7], v[2:3], v[6:7]
	v_cmp_gt_f32_e64 s[2:3], s83, v16
	v_pk_add_f32 v[4:5], v[4:5], v[6:7]
	v_mov_b32_e32 v1, v6
	v_mov_b32_e32 v3, v4
	v_pk_add_f32 v[8:9], v[2:3], v[10:11] neg_lo:[0,1] neg_hi:[0,1]
	s_or_b64 vcc, s[2:3], vcc
	v_sub_f32_e32 v2, v2, v8
	v_pk_add_f32 v[0:1], v[0:1], v[8:9] neg_lo:[0,1] neg_hi:[0,1]
	v_sub_f32_e32 v2, v10, v2
	v_add_f32_e32 v0, v0, v2
	v_add_f32_e32 v0, v0, v1
	;; [unrolled: 1-line block ×3, first 2 shown]
	v_cndmask_b32_e32 v91, v0, v16, vcc
.LBB51_47:                              ;   in Loop: Header=BB51_13 Depth=1
	s_or_b64 exec, exec, s[22:23]
	v_and_b32_e32 v0, 0xffff0000, v20
	v_add_f32_e32 v75, s33, v0
	v_cmp_ge_f32_e32 vcc, s82, v75
	s_and_b64 s[2:3], s[80:81], vcc
	s_and_saveexec_b64 s[22:23], s[2:3]
	s_cbranch_execz .LBB51_49
; %bb.48:                               ;   in Loop: Header=BB51_13 Depth=1
	v_mul_f32_e32 v0, 0x3fb8aa3b, v75
	v_rndne_f32_e32 v1, v0
	s_mov_b32 s2, 0x3fb8aa3b
	v_sub_f32_e32 v2, v0, v1
	v_fma_f32 v0, v75, s2, -v0
	v_fmac_f32_e32 v0, 0x32a5705f, v75
	v_add_f32_e32 v0, v2, v0
	v_cvt_i32_f32_e32 v1, v1
	v_exp_f32_e32 v0, v0
	s_mov_b32 s2, 0xc2ce8ed0
	v_cmp_ngt_f32_e32 vcc, s2, v75
	s_mov_b32 s2, 0x42b17218
	v_ldexp_f32 v0, v0, v1
	v_cndmask_b32_e32 v0, 0, v0, vcc
	v_cmp_nlt_f32_e32 vcc, s2, v75
	v_mov_b32_e32 v1, 0x7f800000
	s_mov_b32 s2, 0x3f2aaaab
	v_cndmask_b32_e32 v16, v1, v0, vcc
	v_add_f32_e32 v2, 1.0, v16
	v_add_f32_e32 v0, -1.0, v2
	v_sub_f32_e32 v1, v0, v2
	v_add_f32_e32 v1, 1.0, v1
	v_sub_f32_e32 v0, v16, v0
	v_add_f32_e32 v3, v0, v1
	v_frexp_mant_f32_e32 v4, v2
	v_cvt_f64_f32_e32 v[0:1], v2
	v_frexp_exp_i32_f64_e32 v0, v[0:1]
	v_cmp_gt_f32_e32 vcc, s2, v4
	s_mov_b32 s2, 0x3f317218
	s_nop 0
	v_subbrev_co_u32_e32 v8, vcc, 0, v0, vcc
	v_sub_u32_e32 v0, 0, v8
	v_ldexp_f32 v1, v2, v0
	v_add_f32_e32 v2, -1.0, v1
	v_add_f32_e32 v4, 1.0, v1
	v_ldexp_f32 v0, v3, v0
	v_add_f32_e32 v3, 1.0, v2
	v_add_f32_e32 v5, -1.0, v4
	v_sub_f32_e32 v3, v1, v3
	v_sub_f32_e32 v1, v1, v5
	v_add_f32_e32 v3, v0, v3
	v_add_f32_e32 v0, v0, v1
	v_add_f32_e32 v9, v4, v0
	v_rcp_f32_e32 v11, v9
	v_sub_f32_e32 v1, v4, v9
	v_add_f32_e32 v10, v0, v1
	v_add_f32_e32 v1, v2, v3
	v_mul_f32_e32 v13, v1, v11
	v_sub_f32_e32 v0, v2, v1
	v_mul_f32_e32 v2, v9, v13
	v_fma_f32 v4, v13, v9, -v2
	v_fmac_f32_e32 v4, v13, v10
	v_add_f32_e32 v12, v3, v0
	v_add_f32_e32 v0, v2, v4
	v_sub_f32_e32 v3, v1, v0
	v_pk_add_f32 v[6:7], v[0:1], v[2:3] neg_lo:[0,1] neg_hi:[0,1]
	v_mov_b32_e32 v5, v0
	v_pk_add_f32 v[0:1], v[6:7], v[4:5] neg_lo:[0,1] neg_hi:[0,1]
	s_nop 0
	v_add_f32_e32 v1, v12, v1
	v_add_f32_e32 v0, v0, v1
	;; [unrolled: 1-line block ×3, first 2 shown]
	v_mul_f32_e32 v12, v11, v1
	v_mul_f32_e32 v2, v9, v12
	v_fma_f32 v4, v12, v9, -v2
	v_fmac_f32_e32 v4, v12, v10
	v_sub_f32_e32 v3, v3, v1
	v_add_f32_e32 v9, v0, v3
	v_add_f32_e32 v0, v2, v4
	v_sub_f32_e32 v3, v1, v0
	v_pk_add_f32 v[6:7], v[0:1], v[2:3] neg_lo:[0,1] neg_hi:[0,1]
	v_mov_b32_e32 v5, v0
	v_pk_add_f32 v[0:1], v[6:7], v[4:5] neg_lo:[0,1] neg_hi:[0,1]
	scratch_load_dwordx2 v[6:7], off, off offset:56 ; 8-byte Folded Reload
	v_add_f32_e32 v1, v9, v1
	v_add_f32_e32 v0, v0, v1
	;; [unrolled: 1-line block ×4, first 2 shown]
	v_sub_f32_e32 v2, v1, v13
	v_mul_f32_e32 v0, v11, v0
	v_sub_f32_e32 v2, v12, v2
	v_add_f32_e32 v2, v2, v0
	v_add_f32_e32 v4, v1, v2
	v_mul_f32_e32 v5, v4, v4
	v_mov_b32_e32 v0, 0x3ecc95a3
	v_fmamk_f32 v0, v5, 0x3e9b6dac, v0
	v_fmaak_f32 v11, v5, v0, 0x3f2aaada
	v_cvt_f32_i32_e32 v0, v8
	v_sub_f32_e32 v1, v4, v1
	v_sub_f32_e32 v1, v2, v1
	v_ldexp_f32 v3, v4, 1
	s_waitcnt vmcnt(0)
	v_mov_b32_e32 v10, v6
	v_ldexp_f32 v6, v1, 1
	v_mul_f32_e32 v1, v4, v5
	v_mov_b32_e32 v2, v10
	v_pk_mul_f32 v[4:5], v[0:1], v[10:11]
	scratch_store_dwordx2 off, v[2:3], off offset:56 ; 8-byte Folded Spill
	v_fma_f32 v2, v0, s2, -v4
	v_fmac_f32_e32 v2, 0xb102e308, v0
	v_pk_add_f32 v[0:1], v[4:5], v[2:3]
	s_mov_b32 s2, 0x7f800000
	v_sub_f32_e32 v3, v1, v3
	v_sub_f32_e32 v3, v5, v3
	v_add_f32_e32 v7, v6, v3
	v_mov_b32_e32 v6, v4
	v_pk_add_f32 v[4:5], v[0:1], v[4:5] neg_lo:[0,1] neg_hi:[0,1]
	v_pk_add_f32 v[8:9], v[0:1], v[6:7]
	v_mov_b32_e32 v3, v0
	v_mov_b32_e32 v5, v9
	v_pk_add_f32 v[10:11], v[2:3], v[4:5] neg_lo:[0,1] neg_hi:[0,1]
	v_pk_add_f32 v[2:3], v[2:3], v[4:5]
	v_mov_b32_e32 v6, v7
	v_mov_b32_e32 v4, v3
	v_pk_add_f32 v[12:13], v[4:5], v[0:1] neg_lo:[0,1] neg_hi:[0,1]
	v_mov_b32_e32 v2, v9
	v_mov_b32_e32 v5, v12
	v_pk_add_f32 v[14:15], v[8:9], v[4:5] neg_lo:[0,1] neg_hi:[0,1]
	v_mov_b32_e32 v8, v1
	v_mov_b32_e32 v9, v12
	;; [unrolled: 1-line block ×3, first 2 shown]
	v_pk_add_f32 v[2:3], v[2:3], v[8:9] neg_lo:[0,1] neg_hi:[0,1]
	v_mov_b32_e32 v7, v0
	v_pk_add_f32 v[0:1], v[6:7], v[2:3] neg_lo:[0,1] neg_hi:[0,1]
	v_mov_b32_e32 v14, v10
	v_pk_add_f32 v[2:3], v[14:15], v[0:1]
	v_cmp_eq_f32_e32 vcc, s2, v16
	v_mov_b32_e32 v6, v3
	v_pk_add_f32 v[6:7], v[2:3], v[6:7]
	v_cmp_gt_f32_e64 s[2:3], s83, v16
	v_pk_add_f32 v[4:5], v[4:5], v[6:7]
	v_mov_b32_e32 v1, v6
	v_mov_b32_e32 v3, v4
	v_pk_add_f32 v[8:9], v[2:3], v[10:11] neg_lo:[0,1] neg_hi:[0,1]
	s_or_b64 vcc, s[2:3], vcc
	v_sub_f32_e32 v2, v2, v8
	v_pk_add_f32 v[0:1], v[0:1], v[8:9] neg_lo:[0,1] neg_hi:[0,1]
	v_sub_f32_e32 v2, v10, v2
	v_add_f32_e32 v0, v0, v2
	v_add_f32_e32 v0, v0, v1
	v_add_f32_e32 v0, v4, v0
	v_cndmask_b32_e32 v75, v0, v16, vcc
.LBB51_49:                              ;   in Loop: Header=BB51_13 Depth=1
	s_or_b64 exec, exec, s[22:23]
	v_lshlrev_b32_e32 v0, 16, v21
	v_add_f32_e32 v34, s33, v0
	v_cmp_ge_f32_e32 vcc, s82, v34
	s_and_b64 s[2:3], s[80:81], vcc
	s_and_saveexec_b64 s[22:23], s[2:3]
	s_cbranch_execz .LBB51_51
; %bb.50:                               ;   in Loop: Header=BB51_13 Depth=1
	v_mul_f32_e32 v0, 0x3fb8aa3b, v34
	v_rndne_f32_e32 v1, v0
	s_mov_b32 s2, 0x3fb8aa3b
	v_sub_f32_e32 v2, v0, v1
	v_fma_f32 v0, v34, s2, -v0
	v_fmac_f32_e32 v0, 0x32a5705f, v34
	v_add_f32_e32 v0, v2, v0
	v_cvt_i32_f32_e32 v1, v1
	v_exp_f32_e32 v0, v0
	s_mov_b32 s2, 0xc2ce8ed0
	v_cmp_ngt_f32_e32 vcc, s2, v34
	s_mov_b32 s2, 0x42b17218
	v_ldexp_f32 v0, v0, v1
	v_cndmask_b32_e32 v0, 0, v0, vcc
	v_cmp_nlt_f32_e32 vcc, s2, v34
	v_mov_b32_e32 v1, 0x7f800000
	s_mov_b32 s2, 0x3f2aaaab
	v_cndmask_b32_e32 v16, v1, v0, vcc
	v_add_f32_e32 v2, 1.0, v16
	v_add_f32_e32 v0, -1.0, v2
	v_sub_f32_e32 v1, v0, v2
	v_add_f32_e32 v1, 1.0, v1
	v_sub_f32_e32 v0, v16, v0
	v_add_f32_e32 v3, v0, v1
	v_frexp_mant_f32_e32 v4, v2
	v_cvt_f64_f32_e32 v[0:1], v2
	v_frexp_exp_i32_f64_e32 v0, v[0:1]
	v_cmp_gt_f32_e32 vcc, s2, v4
	s_mov_b32 s2, 0x3f317218
	s_nop 0
	v_subbrev_co_u32_e32 v8, vcc, 0, v0, vcc
	v_sub_u32_e32 v0, 0, v8
	v_ldexp_f32 v1, v2, v0
	v_add_f32_e32 v2, -1.0, v1
	v_add_f32_e32 v4, 1.0, v1
	v_ldexp_f32 v0, v3, v0
	v_add_f32_e32 v3, 1.0, v2
	v_add_f32_e32 v5, -1.0, v4
	v_sub_f32_e32 v3, v1, v3
	v_sub_f32_e32 v1, v1, v5
	v_add_f32_e32 v3, v0, v3
	v_add_f32_e32 v0, v0, v1
	;; [unrolled: 1-line block ×3, first 2 shown]
	v_rcp_f32_e32 v11, v9
	v_sub_f32_e32 v1, v4, v9
	v_add_f32_e32 v10, v0, v1
	v_add_f32_e32 v1, v2, v3
	v_mul_f32_e32 v13, v1, v11
	v_sub_f32_e32 v0, v2, v1
	v_mul_f32_e32 v2, v9, v13
	v_fma_f32 v4, v13, v9, -v2
	v_fmac_f32_e32 v4, v13, v10
	v_add_f32_e32 v12, v3, v0
	v_add_f32_e32 v0, v2, v4
	v_sub_f32_e32 v3, v1, v0
	v_pk_add_f32 v[6:7], v[0:1], v[2:3] neg_lo:[0,1] neg_hi:[0,1]
	v_mov_b32_e32 v5, v0
	v_pk_add_f32 v[0:1], v[6:7], v[4:5] neg_lo:[0,1] neg_hi:[0,1]
	s_nop 0
	v_add_f32_e32 v1, v12, v1
	v_add_f32_e32 v0, v0, v1
	;; [unrolled: 1-line block ×3, first 2 shown]
	v_mul_f32_e32 v12, v11, v1
	v_mul_f32_e32 v2, v9, v12
	v_fma_f32 v4, v12, v9, -v2
	v_fmac_f32_e32 v4, v12, v10
	v_sub_f32_e32 v3, v3, v1
	v_add_f32_e32 v9, v0, v3
	v_add_f32_e32 v0, v2, v4
	v_sub_f32_e32 v3, v1, v0
	v_pk_add_f32 v[6:7], v[0:1], v[2:3] neg_lo:[0,1] neg_hi:[0,1]
	v_mov_b32_e32 v5, v0
	v_pk_add_f32 v[0:1], v[6:7], v[4:5] neg_lo:[0,1] neg_hi:[0,1]
	scratch_load_dwordx2 v[6:7], off, off offset:56 ; 8-byte Folded Reload
	v_add_f32_e32 v1, v9, v1
	v_add_f32_e32 v0, v0, v1
	;; [unrolled: 1-line block ×4, first 2 shown]
	v_sub_f32_e32 v2, v1, v13
	v_mul_f32_e32 v0, v11, v0
	v_sub_f32_e32 v2, v12, v2
	v_add_f32_e32 v2, v2, v0
	v_add_f32_e32 v4, v1, v2
	v_mul_f32_e32 v5, v4, v4
	v_mov_b32_e32 v0, 0x3ecc95a3
	v_fmamk_f32 v0, v5, 0x3e9b6dac, v0
	v_fmaak_f32 v11, v5, v0, 0x3f2aaada
	v_cvt_f32_i32_e32 v0, v8
	v_sub_f32_e32 v1, v4, v1
	v_sub_f32_e32 v1, v2, v1
	v_ldexp_f32 v3, v4, 1
	s_waitcnt vmcnt(0)
	v_mov_b32_e32 v10, v6
	v_ldexp_f32 v6, v1, 1
	v_mul_f32_e32 v1, v4, v5
	v_mov_b32_e32 v2, v10
	v_pk_mul_f32 v[4:5], v[0:1], v[10:11]
	scratch_store_dwordx2 off, v[2:3], off offset:56 ; 8-byte Folded Spill
	v_fma_f32 v2, v0, s2, -v4
	v_fmac_f32_e32 v2, 0xb102e308, v0
	v_pk_add_f32 v[0:1], v[4:5], v[2:3]
	s_mov_b32 s2, 0x7f800000
	v_sub_f32_e32 v3, v1, v3
	v_sub_f32_e32 v3, v5, v3
	v_add_f32_e32 v7, v6, v3
	v_mov_b32_e32 v6, v4
	v_pk_add_f32 v[4:5], v[0:1], v[4:5] neg_lo:[0,1] neg_hi:[0,1]
	v_pk_add_f32 v[8:9], v[0:1], v[6:7]
	v_mov_b32_e32 v3, v0
	v_mov_b32_e32 v5, v9
	v_pk_add_f32 v[10:11], v[2:3], v[4:5] neg_lo:[0,1] neg_hi:[0,1]
	v_pk_add_f32 v[2:3], v[2:3], v[4:5]
	v_mov_b32_e32 v6, v7
	v_mov_b32_e32 v4, v3
	v_pk_add_f32 v[12:13], v[4:5], v[0:1] neg_lo:[0,1] neg_hi:[0,1]
	v_mov_b32_e32 v2, v9
	v_mov_b32_e32 v5, v12
	v_pk_add_f32 v[14:15], v[8:9], v[4:5] neg_lo:[0,1] neg_hi:[0,1]
	v_mov_b32_e32 v8, v1
	v_mov_b32_e32 v9, v12
	v_mov_b32_e32 v11, v3
	v_pk_add_f32 v[2:3], v[2:3], v[8:9] neg_lo:[0,1] neg_hi:[0,1]
	v_mov_b32_e32 v7, v0
	v_pk_add_f32 v[0:1], v[6:7], v[2:3] neg_lo:[0,1] neg_hi:[0,1]
	v_mov_b32_e32 v14, v10
	v_pk_add_f32 v[2:3], v[14:15], v[0:1]
	v_cmp_eq_f32_e32 vcc, s2, v16
	v_mov_b32_e32 v6, v3
	v_pk_add_f32 v[6:7], v[2:3], v[6:7]
	v_cmp_gt_f32_e64 s[2:3], s83, v16
	v_pk_add_f32 v[4:5], v[4:5], v[6:7]
	v_mov_b32_e32 v1, v6
	v_mov_b32_e32 v3, v4
	v_pk_add_f32 v[8:9], v[2:3], v[10:11] neg_lo:[0,1] neg_hi:[0,1]
	s_or_b64 vcc, s[2:3], vcc
	v_sub_f32_e32 v2, v2, v8
	v_pk_add_f32 v[0:1], v[0:1], v[8:9] neg_lo:[0,1] neg_hi:[0,1]
	v_sub_f32_e32 v2, v10, v2
	v_add_f32_e32 v0, v0, v2
	v_add_f32_e32 v0, v0, v1
	;; [unrolled: 1-line block ×3, first 2 shown]
	v_cndmask_b32_e32 v34, v0, v16, vcc
.LBB51_51:                              ;   in Loop: Header=BB51_13 Depth=1
	s_or_b64 exec, exec, s[22:23]
	v_and_b32_e32 v0, 0xffff0000, v21
	v_add_f32_e32 v35, s33, v0
	v_cmp_ge_f32_e32 vcc, s82, v35
	s_and_b64 s[2:3], s[80:81], vcc
	s_and_saveexec_b64 s[22:23], s[2:3]
	s_cbranch_execz .LBB51_53
; %bb.52:                               ;   in Loop: Header=BB51_13 Depth=1
	v_mul_f32_e32 v0, 0x3fb8aa3b, v35
	v_rndne_f32_e32 v1, v0
	s_mov_b32 s2, 0x3fb8aa3b
	v_sub_f32_e32 v2, v0, v1
	v_fma_f32 v0, v35, s2, -v0
	v_fmac_f32_e32 v0, 0x32a5705f, v35
	v_add_f32_e32 v0, v2, v0
	v_cvt_i32_f32_e32 v1, v1
	v_exp_f32_e32 v0, v0
	s_mov_b32 s2, 0xc2ce8ed0
	v_cmp_ngt_f32_e32 vcc, s2, v35
	s_mov_b32 s2, 0x42b17218
	v_ldexp_f32 v0, v0, v1
	v_cndmask_b32_e32 v0, 0, v0, vcc
	v_cmp_nlt_f32_e32 vcc, s2, v35
	v_mov_b32_e32 v1, 0x7f800000
	s_mov_b32 s2, 0x3f2aaaab
	v_cndmask_b32_e32 v16, v1, v0, vcc
	v_add_f32_e32 v2, 1.0, v16
	v_add_f32_e32 v0, -1.0, v2
	v_sub_f32_e32 v1, v0, v2
	v_add_f32_e32 v1, 1.0, v1
	v_sub_f32_e32 v0, v16, v0
	v_add_f32_e32 v3, v0, v1
	v_frexp_mant_f32_e32 v4, v2
	v_cvt_f64_f32_e32 v[0:1], v2
	v_frexp_exp_i32_f64_e32 v0, v[0:1]
	v_cmp_gt_f32_e32 vcc, s2, v4
	s_mov_b32 s2, 0x3f317218
	s_nop 0
	v_subbrev_co_u32_e32 v8, vcc, 0, v0, vcc
	v_sub_u32_e32 v0, 0, v8
	v_ldexp_f32 v1, v2, v0
	v_add_f32_e32 v2, -1.0, v1
	v_add_f32_e32 v4, 1.0, v1
	v_ldexp_f32 v0, v3, v0
	v_add_f32_e32 v3, 1.0, v2
	v_add_f32_e32 v5, -1.0, v4
	v_sub_f32_e32 v3, v1, v3
	v_sub_f32_e32 v1, v1, v5
	v_add_f32_e32 v3, v0, v3
	v_add_f32_e32 v0, v0, v1
	;; [unrolled: 1-line block ×3, first 2 shown]
	v_rcp_f32_e32 v11, v9
	v_sub_f32_e32 v1, v4, v9
	v_add_f32_e32 v10, v0, v1
	v_add_f32_e32 v1, v2, v3
	v_mul_f32_e32 v13, v1, v11
	v_sub_f32_e32 v0, v2, v1
	v_mul_f32_e32 v2, v9, v13
	v_fma_f32 v4, v13, v9, -v2
	v_fmac_f32_e32 v4, v13, v10
	v_add_f32_e32 v12, v3, v0
	v_add_f32_e32 v0, v2, v4
	v_sub_f32_e32 v3, v1, v0
	v_pk_add_f32 v[6:7], v[0:1], v[2:3] neg_lo:[0,1] neg_hi:[0,1]
	v_mov_b32_e32 v5, v0
	v_pk_add_f32 v[0:1], v[6:7], v[4:5] neg_lo:[0,1] neg_hi:[0,1]
	s_nop 0
	v_add_f32_e32 v1, v12, v1
	v_add_f32_e32 v0, v0, v1
	;; [unrolled: 1-line block ×3, first 2 shown]
	v_mul_f32_e32 v12, v11, v1
	v_mul_f32_e32 v2, v9, v12
	v_fma_f32 v4, v12, v9, -v2
	v_fmac_f32_e32 v4, v12, v10
	v_sub_f32_e32 v3, v3, v1
	v_add_f32_e32 v9, v0, v3
	v_add_f32_e32 v0, v2, v4
	v_sub_f32_e32 v3, v1, v0
	v_pk_add_f32 v[6:7], v[0:1], v[2:3] neg_lo:[0,1] neg_hi:[0,1]
	v_mov_b32_e32 v5, v0
	v_pk_add_f32 v[0:1], v[6:7], v[4:5] neg_lo:[0,1] neg_hi:[0,1]
	scratch_load_dwordx2 v[6:7], off, off offset:56 ; 8-byte Folded Reload
	v_add_f32_e32 v1, v9, v1
	v_add_f32_e32 v0, v0, v1
	v_add_f32_e32 v1, v13, v12
	v_add_f32_e32 v0, v3, v0
	v_sub_f32_e32 v2, v1, v13
	v_mul_f32_e32 v0, v11, v0
	v_sub_f32_e32 v2, v12, v2
	v_add_f32_e32 v2, v2, v0
	v_add_f32_e32 v4, v1, v2
	v_mul_f32_e32 v5, v4, v4
	v_mov_b32_e32 v0, 0x3ecc95a3
	v_fmamk_f32 v0, v5, 0x3e9b6dac, v0
	v_fmaak_f32 v11, v5, v0, 0x3f2aaada
	v_cvt_f32_i32_e32 v0, v8
	v_sub_f32_e32 v1, v4, v1
	v_sub_f32_e32 v1, v2, v1
	v_ldexp_f32 v3, v4, 1
	s_waitcnt vmcnt(0)
	v_mov_b32_e32 v10, v6
	v_ldexp_f32 v6, v1, 1
	v_mul_f32_e32 v1, v4, v5
	v_mov_b32_e32 v2, v10
	v_pk_mul_f32 v[4:5], v[0:1], v[10:11]
	scratch_store_dwordx2 off, v[2:3], off offset:56 ; 8-byte Folded Spill
	v_fma_f32 v2, v0, s2, -v4
	v_fmac_f32_e32 v2, 0xb102e308, v0
	v_pk_add_f32 v[0:1], v[4:5], v[2:3]
	s_mov_b32 s2, 0x7f800000
	v_sub_f32_e32 v3, v1, v3
	v_sub_f32_e32 v3, v5, v3
	v_add_f32_e32 v7, v6, v3
	v_mov_b32_e32 v6, v4
	v_pk_add_f32 v[4:5], v[0:1], v[4:5] neg_lo:[0,1] neg_hi:[0,1]
	v_pk_add_f32 v[8:9], v[0:1], v[6:7]
	v_mov_b32_e32 v3, v0
	v_mov_b32_e32 v5, v9
	v_pk_add_f32 v[10:11], v[2:3], v[4:5] neg_lo:[0,1] neg_hi:[0,1]
	v_pk_add_f32 v[2:3], v[2:3], v[4:5]
	v_mov_b32_e32 v6, v7
	v_mov_b32_e32 v4, v3
	v_pk_add_f32 v[12:13], v[4:5], v[0:1] neg_lo:[0,1] neg_hi:[0,1]
	v_mov_b32_e32 v2, v9
	v_mov_b32_e32 v5, v12
	v_pk_add_f32 v[14:15], v[8:9], v[4:5] neg_lo:[0,1] neg_hi:[0,1]
	v_mov_b32_e32 v8, v1
	v_mov_b32_e32 v9, v12
	;; [unrolled: 1-line block ×3, first 2 shown]
	v_pk_add_f32 v[2:3], v[2:3], v[8:9] neg_lo:[0,1] neg_hi:[0,1]
	v_mov_b32_e32 v7, v0
	v_pk_add_f32 v[0:1], v[6:7], v[2:3] neg_lo:[0,1] neg_hi:[0,1]
	v_mov_b32_e32 v14, v10
	v_pk_add_f32 v[2:3], v[14:15], v[0:1]
	v_cmp_eq_f32_e32 vcc, s2, v16
	v_mov_b32_e32 v6, v3
	v_pk_add_f32 v[6:7], v[2:3], v[6:7]
	v_cmp_gt_f32_e64 s[2:3], s83, v16
	v_pk_add_f32 v[4:5], v[4:5], v[6:7]
	v_mov_b32_e32 v1, v6
	v_mov_b32_e32 v3, v4
	v_pk_add_f32 v[8:9], v[2:3], v[10:11] neg_lo:[0,1] neg_hi:[0,1]
	s_or_b64 vcc, s[2:3], vcc
	v_sub_f32_e32 v2, v2, v8
	v_pk_add_f32 v[0:1], v[0:1], v[8:9] neg_lo:[0,1] neg_hi:[0,1]
	v_sub_f32_e32 v2, v10, v2
	v_add_f32_e32 v0, v0, v2
	v_add_f32_e32 v0, v0, v1
	;; [unrolled: 1-line block ×3, first 2 shown]
	v_cndmask_b32_e32 v35, v0, v16, vcc
.LBB51_53:                              ;   in Loop: Header=BB51_13 Depth=1
	s_or_b64 exec, exec, s[22:23]
	v_readlane_b32 s22, v95, 4
	v_lshlrev_b32_e32 v0, 16, v25
	v_and_b32_e32 v6, 0xffff0000, v25
	v_and_b32_e32 v1, 0xffff0000, v24
	v_lshlrev_b32_e32 v2, 16, v24
	v_and_b32_e32 v3, 0xffff0000, v23
	v_lshlrev_b32_e32 v4, 16, v23
	v_and_b32_e32 v5, 0xffff0000, v22
	v_lshlrev_b32_e32 v7, 16, v22
	v_and_b32_e32 v8, 0xffff0000, v29
	v_lshlrev_b32_e32 v9, 16, v29
	v_and_b32_e32 v10, 0xffff0000, v28
	v_lshlrev_b32_e32 v11, 16, v28
	v_and_b32_e32 v12, 0xffff0000, v27
	v_lshlrev_b32_e32 v13, 16, v27
	v_and_b32_e32 v14, 0xffff0000, v26
	v_lshlrev_b32_e32 v15, 16, v26
	v_readlane_b32 s23, v95, 5
	v_mul_f32_e32 v38, s74, v0
	v_mul_f32_e32 v41, s74, v1
	;; [unrolled: 1-line block ×15, first 2 shown]
	s_lshl_b32 s2, s56, 10
	v_mul_f32_e32 v39, s74, v6
	s_and_b64 vcc, exec, s[22:23]
	s_waitcnt lgkmcnt(0)
	; wave barrier
	s_cbranch_vccz .LBB51_12
; %bb.54:                               ;   in Loop: Header=BB51_13 Depth=1
	v_mul_f32_e32 v0, v34, v0
	scratch_store_dwordx4 off, v[26:29], off offset:112 ; 16-byte Folded Spill
	scratch_store_dwordx4 off, v[22:25], off offset:96 ; 16-byte Folded Spill
	;; [unrolled: 1-line block ×3, first 2 shown]
	scratch_store_dword off, v0, off offset:16 ; 4-byte Folded Spill
	v_mul_f32_e32 v0, v75, v1
	scratch_store_dword off, v0, off offset:20 ; 4-byte Folded Spill
	v_mul_f32_e32 v0, v91, v2
	;; [unrolled: 2-line block ×6, first 2 shown]
	scratch_store_dword off, v0, off offset:40 ; 4-byte Folded Spill
	scratch_load_dword v0, off, off offset:136 ; 4-byte Folded Reload
	v_readlane_b32 s90, v95, 6
	s_sub_i32 s3, s90, s2
	s_cmp_lg_u32 s56, 0
	v_readlane_b32 s22, v95, 9
	s_cselect_b64 s[86:87], -1, 0
	s_cmp_eq_u32 s56, s22
	s_cselect_b64 s[88:89], -1, 0
	v_mul_f32_e32 v6, v35, v6
	v_readlane_b32 s91, v95, 7
	s_mov_b32 s76, 0
	scratch_store_dword off, v6, off offset:12 ; 4-byte Folded Spill
	v_lshl_add_u64 v[54:55], s[62:63], 0, v[32:33]
	v_lshl_add_u64 v[56:57], s[66:67], 0, v[32:33]
	v_mul_f32_e32 v2, v86, v8
	v_mul_f32_e32 v3, v85, v9
	;; [unrolled: 1-line block ×8, first 2 shown]
	s_mov_b32 s90, s76
	s_mov_b32 s92, s76
	;; [unrolled: 1-line block ×3, first 2 shown]
	v_readlane_b32 s57, v95, 10
	s_waitcnt vmcnt(1)
	v_cmp_gt_u32_e32 vcc, s3, v0
	scratch_load_dword v0, off, off offset:140 ; 4-byte Folded Reload
	s_or_b64 s[22:23], s[84:85], vcc
	s_waitcnt vmcnt(0)
	v_cmp_gt_u32_e32 vcc, s3, v0
	scratch_load_dword v0, off, off offset:144 ; 4-byte Folded Reload
	s_or_b64 s[24:25], s[84:85], vcc
	;; [unrolled: 4-line block ×15, first 2 shown]
	s_waitcnt vmcnt(0)
	v_cmp_gt_u32_e32 vcc, s3, v0
	s_or_b64 s[54:55], s[84:85], vcc
	s_mov_b32 s3, s91
	s_branch .LBB51_56
.LBB51_55:                              ;   in Loop: Header=BB51_56 Depth=2
	s_or_b64 exec, exec, s[96:97]
	v_mul_f32_e32 v1, v11, v24
	v_fma_f32 v0, v11, v0, v10
	v_cndmask_b32_e64 v24, v0, v10, s[20:21]
	v_cndmask_b32_e64 v0, v1, v11, s[20:21]
	s_waitcnt lgkmcnt(0)
	v_fmac_f32_e32 v24, v68, v0
	v_fmac_f32_e32 v25, v24, v12
	;; [unrolled: 1-line block ×16, first 2 shown]
	v_and_b32_e32 v11, 0xffff0000, v20
	v_and_b32_e32 v13, 0xffff0000, v21
	v_lshlrev_b32_e32 v10, 16, v20
	v_lshlrev_b32_e32 v12, 16, v21
	v_and_b32_e32 v15, 0xffff0000, v22
	v_and_b32_e32 v21, 0xffff0000, v23
	v_lshlrev_b32_e32 v14, 16, v22
	v_lshlrev_b32_e32 v20, 16, v23
	v_and_b32_e32 v23, 0xffff0000, v16
	v_and_b32_e32 v37, 0xffff0000, v17
	v_lshlrev_b32_e32 v22, 16, v16
	v_lshlrev_b32_e32 v36, 16, v17
	v_and_b32_e32 v17, 0xffff0000, v18
	v_and_b32_e32 v59, 0xffff0000, v19
	v_lshlrev_b32_e32 v16, 16, v18
	v_lshlrev_b32_e32 v58, 16, v19
	s_add_i32 s57, s57, 8
	s_add_i32 s3, s3, -1
	s_add_i32 s94, s94, s58
	s_add_i32 s92, s92, s68
	;; [unrolled: 1-line block ×4, first 2 shown]
	v_pk_fma_f32 v[50:51], v[26:27], v[12:13], v[50:51]
	v_pk_fma_f32 v[52:53], v[24:25], v[10:11], v[52:53]
	;; [unrolled: 1-line block ×7, first 2 shown]
	s_cmp_eq_u32 s3, 0
	v_pk_fma_f32 v[40:41], v[62:63], v[16:17], v[40:41]
	s_cbranch_scc1 .LBB51_11
.LBB51_56:                              ;   Parent Loop BB51_13 Depth=1
                                        ; =>  This Inner Loop Header: Depth=2
	s_lshl_b64 s[96:97], s[76:77], 2
	s_add_u32 s96, s59, s96
	s_mov_b32 s91, s77
	s_addc_u32 s97, s60, s97
	v_lshl_add_u64 v[16:17], s[90:91], 1, v[54:55]
	global_load_dword v10, v33, s[96:97]
	global_load_dwordx4 v[12:15], v[16:17], off
	scratch_load_dword v0, off, off         ; 4-byte Folded Reload
	s_mov_b32 s93, s77
	s_andn2_b64 vcc, exec, s[86:87]
	s_waitcnt vmcnt(0)
	ds_write_b128 v0, v[12:15]
	global_load_dwordx4 v[12:15], v[16:17], off offset:1024
	scratch_load_dword v1, off, off offset:4 ; 4-byte Folded Reload
	v_lshl_add_u64 v[16:17], s[92:93], 1, v[56:57]
	s_waitcnt vmcnt(0)
	ds_write_b128 v1, v[12:15] offset:1024
	; wave barrier
	scratch_load_dword v1, off, off offset:8 ; 4-byte Folded Reload
	s_waitcnt vmcnt(0)
	ds_read_b128 v[28:31], v1
	ds_read_b128 v[24:27], v1 offset:16
	global_load_dwordx4 v[12:15], v[16:17], off
	s_waitcnt vmcnt(0)
	ds_write_b128 v0, v[12:15] offset:2112
	global_load_dwordx4 v[12:15], v[16:17], off offset:1024
	scratch_load_dword v0, off, off offset:44 ; 4-byte Folded Reload
	s_waitcnt vmcnt(0)
	ds_write_b128 v0, v[12:15] offset:1024
	; wave barrier
	scratch_load_dword v0, off, off offset:48 ; 4-byte Folded Reload
	ds_read_b128 v[20:23], v1 offset:2112
	s_waitcnt vmcnt(0)
	ds_read_b128 v[16:19], v0 offset:16
	s_cbranch_vccnz .LBB51_58
; %bb.57:                               ;   in Loop: Header=BB51_56 Depth=2
	v_mov_b32_e32 v0, s57
	ds_read_b64 v[58:59], v0
	s_cbranch_execz .LBB51_59
	s_branch .LBB51_62
.LBB51_58:                              ;   in Loop: Header=BB51_56 Depth=2
                                        ; implicit-def: $vgpr59
.LBB51_59:                              ;   in Loop: Header=BB51_56 Depth=2
	s_andn2_b64 vcc, exec, s[72:73]
	s_waitcnt lgkmcnt(0)
	v_mov_b32_e32 v59, 0
	s_cbranch_vccnz .LBB51_61
; %bb.60:                               ;   in Loop: Header=BB51_56 Depth=2
	s_mov_b32 s95, s77
	s_lshl_b64 s[96:97], s[94:95], 2
	s_add_u32 s96, s65, s96
	s_addc_u32 s97, s69, s97
	global_load_dword v59, v33, s[96:97]
.LBB51_61:                              ;   in Loop: Header=BB51_56 Depth=2
	v_mov_b32_e32 v58, 1.0
.LBB51_62:                              ;   in Loop: Header=BB51_56 Depth=2
	scratch_load_dword v1, off, off offset:40 ; 4-byte Folded Reload
	s_waitcnt lgkmcnt(4)
	v_lshlrev_b32_e32 v36, 16, v24
	v_mul_f32_e32 v66, 0x3fb8aa3b, v10
	v_mul_f32_e32 v10, v66, v79
	v_cmp_gt_f32_e32 vcc, s75, v10
	v_and_b32_e32 v37, 0xffff0000, v24
	v_lshlrev_b32_e32 v62, 16, v25
	v_cndmask_b32_e32 v10, 0, v94, vcc
	v_fmac_f32_e32 v10, v66, v79
	v_exp_f32_e32 v10, v10
	v_cndmask_b32_e32 v11, 1.0, v77, vcc
	v_and_b32_e32 v63, 0xffff0000, v25
	v_lshlrev_b32_e32 v0, 16, v28
	v_mul_f32_e32 v11, v10, v11
	v_mul_f32_e32 v10, v66, v80
	v_cmp_gt_f32_e32 vcc, s75, v10
	v_mul_f32_e32 v0, v9, v0
	v_lshlrev_b32_e32 v67, 16, v26
	v_cndmask_b32_e32 v10, 0, v94, vcc
	v_fmac_f32_e32 v10, v66, v80
	v_exp_f32_e32 v25, v10
	v_cndmask_b32_e64 v10, 0, v0, s[22:23]
	v_cndmask_b32_e32 v0, 1.0, v77, vcc
	v_and_b32_e32 v68, 0xffff0000, v26
	v_mul_f32_e32 v0, v25, v0
	v_mul_f32_e32 v25, v66, v81
	v_cmp_gt_f32_e32 vcc, s75, v25
	v_and_b32_e32 v12, 0xffff0000, v28
	v_mul_f32_e32 v12, v8, v12
	v_cndmask_b32_e32 v25, 0, v94, vcc
	v_fmac_f32_e32 v25, v66, v81
	v_exp_f32_e32 v26, v25
	v_cndmask_b32_e64 v25, 0, v12, s[24:25]
	v_cndmask_b32_e64 v12, 1.0, v0, s[24:25]
	v_cndmask_b32_e32 v0, 1.0, v77, vcc
	v_mul_f32_e32 v0, v26, v0
	v_mul_f32_e32 v26, v66, v82
	v_cmp_gt_f32_e32 vcc, s75, v26
	v_lshlrev_b32_e32 v69, 16, v27
	v_and_b32_e32 v24, 0xffff0000, v27
	v_cndmask_b32_e32 v26, 0, v94, vcc
	v_fmac_f32_e32 v26, v66, v82
	v_exp_f32_e32 v27, v26
	v_lshlrev_b32_e32 v13, 16, v29
	v_mul_f32_e32 v13, v7, v13
	v_cndmask_b32_e64 v26, 0, v13, s[26:27]
	v_cndmask_b32_e64 v13, 1.0, v0, s[26:27]
	v_cndmask_b32_e32 v0, 1.0, v77, vcc
	v_mul_f32_e32 v0, v27, v0
	v_mul_f32_e32 v27, v66, v83
	v_cmp_gt_f32_e32 vcc, s75, v27
	v_and_b32_e32 v14, 0xffff0000, v29
	v_mul_f32_e32 v14, v6, v14
	v_cndmask_b32_e32 v27, 0, v94, vcc
	v_fmac_f32_e32 v27, v66, v83
	v_exp_f32_e32 v28, v27
	v_cndmask_b32_e64 v27, 0, v14, s[28:29]
	v_cndmask_b32_e64 v14, 1.0, v0, s[28:29]
	v_cndmask_b32_e32 v0, 1.0, v77, vcc
	v_mul_f32_e32 v0, v28, v0
	v_mul_f32_e32 v28, v66, v84
	v_cmp_gt_f32_e32 vcc, s75, v28
	v_lshlrev_b32_e32 v15, 16, v30
	v_mul_f32_e32 v15, v5, v15
	v_cndmask_b32_e32 v28, 0, v94, vcc
	v_fmac_f32_e32 v28, v66, v84
	v_exp_f32_e32 v60, v28
	v_cndmask_b32_e64 v28, 0, v15, s[30:31]
	v_cndmask_b32_e64 v15, 1.0, v0, s[30:31]
	v_cndmask_b32_e32 v0, 1.0, v77, vcc
	v_mul_f32_e32 v0, v60, v0
	v_mul_f32_e32 v60, v66, v85
	v_cmp_gt_f32_e32 vcc, s75, v60
	v_cndmask_b32_e64 v71, 1.0, v0, s[34:35]
	v_cndmask_b32_e64 v11, 1.0, v11, s[22:23]
	v_cndmask_b32_e32 v60, 0, v94, vcc
	v_fmac_f32_e32 v60, v66, v85
	v_exp_f32_e32 v60, v60
	v_cndmask_b32_e32 v0, 1.0, v77, vcc
	v_and_b32_e32 v29, 0xffff0000, v30
	s_waitcnt vmcnt(0)
	v_mul_f32_e32 v36, v1, v36
	scratch_load_dword v1, off, off offset:36 ; 4-byte Folded Reload
	v_mul_f32_e32 v0, v60, v0
	v_mul_f32_e32 v60, v66, v86
	v_cmp_gt_f32_e32 vcc, s75, v60
	v_cndmask_b32_e64 v76, 1.0, v0, s[36:37]
	v_lshlrev_b32_e32 v30, 16, v31
	v_cndmask_b32_e32 v60, 0, v94, vcc
	v_fmac_f32_e32 v60, v66, v86
	v_exp_f32_e32 v60, v60
	v_cndmask_b32_e32 v0, 1.0, v77, vcc
	v_mul_f32_e32 v29, v4, v29
	v_and_b32_e32 v31, 0xffff0000, v31
	v_mul_f32_e32 v0, v60, v0
	v_mul_f32_e32 v60, v66, v87
	v_cmp_gt_f32_e32 vcc, s75, v60
	v_cndmask_b32_e64 v70, 1.0, v0, s[38:39]
	v_cndmask_b32_e64 v29, 0, v29, s[34:35]
	v_cndmask_b32_e32 v60, 0, v94, vcc
	v_fmac_f32_e32 v60, v66, v87
	v_exp_f32_e32 v60, v60
	v_cndmask_b32_e32 v0, 1.0, v77, vcc
	v_mul_f32_e32 v30, v3, v30
	v_cndmask_b32_e64 v30, 0, v30, s[36:37]
	v_mul_f32_e32 v0, v60, v0
	v_mul_f32_e32 v60, v66, v88
	v_cmp_gt_f32_e32 vcc, s75, v60
	v_mul_f32_e32 v31, v2, v31
	v_cndmask_b32_e64 v31, 0, v31, s[38:39]
	v_cndmask_b32_e32 v60, 0, v94, vcc
	v_fmac_f32_e32 v60, v66, v88
	v_exp_f32_e32 v61, v60
	v_cndmask_b32_e64 v60, 0, v36, s[40:41]
	v_cndmask_b32_e64 v36, 1.0, v0, s[40:41]
	v_cndmask_b32_e32 v0, 1.0, v77, vcc
	v_mul_f32_e32 v0, v61, v0
	v_mul_f32_e32 v61, v66, v89
	v_cmp_gt_f32_e32 vcc, s75, v61
	v_cndmask_b32_e64 v72, 1.0, v0, s[42:43]
	s_waitcnt vmcnt(0)
	v_mul_f32_e32 v37, v1, v37
	scratch_load_dword v1, off, off offset:32 ; 4-byte Folded Reload
	v_cndmask_b32_e32 v61, 0, v94, vcc
	v_fmac_f32_e32 v61, v66, v89
	v_exp_f32_e32 v64, v61
	v_cndmask_b32_e64 v61, 0, v37, s[42:43]
	v_cndmask_b32_e32 v0, 1.0, v77, vcc
	v_mul_f32_e32 v0, v64, v0
	s_waitcnt vmcnt(0)
	v_mul_f32_e32 v37, v1, v62
	scratch_load_dword v1, off, off offset:28 ; 4-byte Folded Reload
	v_mul_f32_e32 v62, v66, v90
	v_cmp_gt_f32_e32 vcc, s75, v62
	v_cndmask_b32_e64 v64, 0, v37, s[44:45]
	v_cndmask_b32_e64 v37, 1.0, v0, s[44:45]
	v_cndmask_b32_e32 v62, 0, v94, vcc
	v_fmac_f32_e32 v62, v66, v90
	v_exp_f32_e32 v62, v62
	v_cndmask_b32_e32 v0, 1.0, v77, vcc
	v_mul_f32_e32 v0, v62, v0
	v_cndmask_b32_e64 v92, 1.0, v0, s[46:47]
	s_waitcnt vmcnt(0)
	v_mul_f32_e32 v62, v1, v63
	scratch_load_dword v1, off, off offset:24 ; 4-byte Folded Reload
	v_cndmask_b32_e64 v65, 0, v62, s[46:47]
	v_mul_f32_e32 v63, v66, v91
	v_cmp_gt_f32_e32 vcc, s75, v63
	s_waitcnt vmcnt(0)
	v_mul_f32_e32 v62, v1, v67
	scratch_load_dword v1, off, off offset:20 ; 4-byte Folded Reload
	v_cndmask_b32_e32 v63, 0, v94, vcc
	v_fmac_f32_e32 v63, v66, v91
	v_exp_f32_e32 v63, v63
	v_cndmask_b32_e32 v0, 1.0, v77, vcc
	v_mul_f32_e32 v67, v66, v34
	v_cndmask_b32_e64 v62, 0, v62, s[48:49]
	v_mul_f32_e32 v0, v63, v0
	v_mul_f32_e32 v63, v66, v75
	v_cmp_gt_f32_e32 vcc, s75, v63
	v_cndmask_b32_e64 v93, 1.0, v0, s[48:49]
	s_nop 0
	v_cndmask_b32_e32 v63, 0, v94, vcc
	v_fmac_f32_e32 v63, v66, v75
	v_exp_f32_e32 v63, v63
	v_cndmask_b32_e32 v0, 1.0, v77, vcc
	v_cmp_gt_f32_e32 vcc, s75, v67
	v_mul_f32_e32 v0, v63, v0
	s_nop 0
	v_cndmask_b32_e32 v67, 0, v94, vcc
	v_fmac_f32_e32 v67, v66, v34
	v_exp_f32_e32 v67, v67
	v_cndmask_b32_e64 v78, 1.0, v0, s[50:51]
	v_cndmask_b32_e32 v0, 1.0, v77, vcc
	v_mul_f32_e32 v0, v67, v0
	v_cndmask_b32_e64 v73, 1.0, v0, s[52:53]
	s_waitcnt vmcnt(0)
	v_mul_f32_e32 v63, v1, v68
	scratch_load_dword v1, off, off offset:16 ; 4-byte Folded Reload
	v_mul_f32_e32 v68, v66, v35
	v_cmp_gt_f32_e32 vcc, s75, v68
	v_cndmask_b32_e64 v63, 0, v63, s[50:51]
	s_waitcnt vmcnt(0)
	v_mul_f32_e32 v67, v1, v69
	scratch_load_dword v1, off, off offset:12 ; 4-byte Folded Reload
	v_cndmask_b32_e32 v68, 0, v94, vcc
	v_fmac_f32_e32 v68, v66, v35
	v_exp_f32_e32 v68, v68
	v_cndmask_b32_e32 v0, 1.0, v77, vcc
	v_cndmask_b32_e64 v66, 0, v67, s[52:53]
	v_mul_f32_e32 v0, v68, v0
	v_cndmask_b32_e64 v74, 1.0, v0, s[54:55]
	v_mul_f32_e32 v0, v12, v11
	v_mul_f32_e32 v0, v0, v13
	;; [unrolled: 1-line block ×15, first 2 shown]
	s_waitcnt vmcnt(0)
	v_mul_f32_e32 v24, v1, v24
	v_cndmask_b32_e64 v67, 0, v24, s[54:55]
	v_fma_f32 v24, v12, v10, v25
	v_fma_f32 v24, v24, v13, v26
	;; [unrolled: 1-line block ×15, first 2 shown]
	v_mov_b32_dpp v69, v68 row_shr:1 row_mask:0xf bank_mask:0xf
	s_nop 0
	v_mov_b32_dpp v0, v1 row_shr:1 row_mask:0xf bank_mask:0xf
	s_and_saveexec_b64 s[96:97], s[4:5]
; %bb.63:                               ;   in Loop: Header=BB51_56 Depth=2
	v_mul_f32_e32 v69, v68, v69
	v_fmac_f32_e32 v1, v68, v0
	v_mov_b32_e32 v68, v69
; %bb.64:                               ;   in Loop: Header=BB51_56 Depth=2
	s_or_b64 exec, exec, s[96:97]
	s_nop 0
	v_mov_b32_dpp v0, v68 row_shr:2 row_mask:0xf bank_mask:0xf
	v_mov_b32_dpp v69, v1 row_shr:2 row_mask:0xf bank_mask:0xf
	s_and_saveexec_b64 s[96:97], s[6:7]
; %bb.65:                               ;   in Loop: Header=BB51_56 Depth=2
	v_fmac_f32_e32 v1, v68, v69
	v_mul_f32_e32 v68, v68, v0
; %bb.66:                               ;   in Loop: Header=BB51_56 Depth=2
	s_or_b64 exec, exec, s[96:97]
	s_nop 0
	v_mov_b32_dpp v0, v68 row_shr:4 row_mask:0xf bank_mask:0xf
	v_mov_b32_dpp v69, v1 row_shr:4 row_mask:0xf bank_mask:0xf
	s_and_saveexec_b64 s[96:97], s[8:9]
; %bb.67:                               ;   in Loop: Header=BB51_56 Depth=2
	v_fmac_f32_e32 v1, v68, v69
	v_mul_f32_e32 v68, v68, v0
	;; [unrolled: 9-line block ×3, first 2 shown]
; %bb.70:                               ;   in Loop: Header=BB51_56 Depth=2
	s_or_b64 exec, exec, s[96:97]
	s_nop 0
	v_mov_b32_dpp v0, v68 row_bcast:15 row_mask:0xf bank_mask:0xf
	v_mov_b32_dpp v69, v1 row_bcast:15 row_mask:0xf bank_mask:0xf
	s_and_saveexec_b64 s[96:97], s[12:13]
; %bb.71:                               ;   in Loop: Header=BB51_56 Depth=2
	v_fmac_f32_e32 v1, v68, v69
	v_mul_f32_e32 v68, v68, v0
; %bb.72:                               ;   in Loop: Header=BB51_56 Depth=2
	s_or_b64 exec, exec, s[96:97]
	s_nop 0
	v_mov_b32_dpp v0, v68 row_bcast:31 row_mask:0xf bank_mask:0xf
	v_mov_b32_dpp v69, v1 row_bcast:31 row_mask:0xf bank_mask:0xf
	v_mov_b32_e32 v24, v1
	v_mul_f32_e32 v0, v68, v0
	v_fmac_f32_e32 v24, v68, v69
	v_cndmask_b32_e64 v68, v68, v0, s[14:15]
	v_cndmask_b32_e64 v69, v1, v24, s[14:15]
	s_and_saveexec_b64 s[96:97], s[16:17]
	s_cbranch_execz .LBB51_74
; %bb.73:                               ;   in Loop: Header=BB51_56 Depth=2
	ds_write_b64 v33, v[68:69] offset:4224
.LBB51_74:                              ;   in Loop: Header=BB51_56 Depth=2
	s_or_b64 exec, exec, s[96:97]
	scratch_load_dword v0, off, off offset:52 ; 4-byte Folded Reload
	s_waitcnt lgkmcnt(0)
	; wave barrier
	s_waitcnt vmcnt(0) lgkmcnt(0)
	ds_bpermute_b32 v24, v0, v68
	ds_bpermute_b32 v0, v0, v69
	v_mov_b32_e32 v69, v59
	s_and_saveexec_b64 s[96:97], s[18:19]
	s_cbranch_execz .LBB51_78
; %bb.75:                               ;   in Loop: Header=BB51_56 Depth=2
	ds_read_b64 v[68:69], v33 offset:4224
	s_and_saveexec_b64 s[98:99], s[20:21]
	s_cbranch_execz .LBB51_77
; %bb.76:                               ;   in Loop: Header=BB51_56 Depth=2
	ds_write_b64 v33, v[58:59] offset:4224
.LBB51_77:                              ;   in Loop: Header=BB51_56 Depth=2
	s_or_b64 exec, exec, s[98:99]
	s_waitcnt lgkmcnt(0)
	v_fmac_f32_e32 v69, v59, v68
	v_mul_f32_e32 v58, v58, v68
	v_mov_b32_e32 v59, v69
.LBB51_78:                              ;   in Loop: Header=BB51_56 Depth=2
	s_or_b64 exec, exec, s[96:97]
	s_waitcnt lgkmcnt(0)
	; wave barrier
	s_waitcnt lgkmcnt(0)
	ds_read_b32 v68, v33 offset:4228
	s_and_saveexec_b64 s[96:97], s[20:21]
	s_cbranch_execz .LBB51_55
; %bb.79:                               ;   in Loop: Header=BB51_56 Depth=2
	v_mov_b32_e32 v1, s57
	s_andn2_b64 vcc, exec, s[88:89]
	ds_write_b64 v1, v[58:59]
	s_cbranch_vccnz .LBB51_55
; %bb.80:                               ;   in Loop: Header=BB51_56 Depth=2
	s_mov_b32 s95, s77
	s_lshl_b64 s[98:99], s[94:95], 2
	s_add_u32 s98, s65, s98
	s_addc_u32 s99, s69, s99
	global_store_dword v33, v69, s[98:99]
	s_branch .LBB51_55
.LBB51_81:
	s_endpgm
	.section	.rodata,"a",@progbits
	.p2align	6, 0x0
	.amdhsa_kernel _Z25selective_scan_fwd_kernelI32Selective_Scan_fwd_kernel_traitsILi64ELi16ELi1ELb1ELb1ELb1ELb0ELb0EN3c108BFloat16EffEEv13SSMParamsBase
		.amdhsa_group_segment_fixed_size 0
		.amdhsa_private_segment_fixed_size 204
		.amdhsa_kernarg_size 248
		.amdhsa_user_sgpr_count 2
		.amdhsa_user_sgpr_dispatch_ptr 0
		.amdhsa_user_sgpr_queue_ptr 0
		.amdhsa_user_sgpr_kernarg_segment_ptr 1
		.amdhsa_user_sgpr_dispatch_id 0
		.amdhsa_user_sgpr_kernarg_preload_length 0
		.amdhsa_user_sgpr_kernarg_preload_offset 0
		.amdhsa_user_sgpr_private_segment_size 0
		.amdhsa_uses_dynamic_stack 0
		.amdhsa_enable_private_segment 1
		.amdhsa_system_sgpr_workgroup_id_x 1
		.amdhsa_system_sgpr_workgroup_id_y 1
		.amdhsa_system_sgpr_workgroup_id_z 0
		.amdhsa_system_sgpr_workgroup_info 0
		.amdhsa_system_vgpr_workitem_id 0
		.amdhsa_next_free_vgpr 96
		.amdhsa_next_free_sgpr 100
		.amdhsa_accum_offset 96
		.amdhsa_reserve_vcc 1
		.amdhsa_float_round_mode_32 0
		.amdhsa_float_round_mode_16_64 0
		.amdhsa_float_denorm_mode_32 3
		.amdhsa_float_denorm_mode_16_64 3
		.amdhsa_dx10_clamp 1
		.amdhsa_ieee_mode 1
		.amdhsa_fp16_overflow 0
		.amdhsa_tg_split 0
		.amdhsa_exception_fp_ieee_invalid_op 0
		.amdhsa_exception_fp_denorm_src 0
		.amdhsa_exception_fp_ieee_div_zero 0
		.amdhsa_exception_fp_ieee_overflow 0
		.amdhsa_exception_fp_ieee_underflow 0
		.amdhsa_exception_fp_ieee_inexact 0
		.amdhsa_exception_int_div_zero 0
	.end_amdhsa_kernel
	.section	.text._Z25selective_scan_fwd_kernelI32Selective_Scan_fwd_kernel_traitsILi64ELi16ELi1ELb1ELb1ELb1ELb0ELb0EN3c108BFloat16EffEEv13SSMParamsBase,"axG",@progbits,_Z25selective_scan_fwd_kernelI32Selective_Scan_fwd_kernel_traitsILi64ELi16ELi1ELb1ELb1ELb1ELb0ELb0EN3c108BFloat16EffEEv13SSMParamsBase,comdat
.Lfunc_end51:
	.size	_Z25selective_scan_fwd_kernelI32Selective_Scan_fwd_kernel_traitsILi64ELi16ELi1ELb1ELb1ELb1ELb0ELb0EN3c108BFloat16EffEEv13SSMParamsBase, .Lfunc_end51-_Z25selective_scan_fwd_kernelI32Selective_Scan_fwd_kernel_traitsILi64ELi16ELi1ELb1ELb1ELb1ELb0ELb0EN3c108BFloat16EffEEv13SSMParamsBase
                                        ; -- End function
	.section	.AMDGPU.csdata,"",@progbits
; Kernel info:
; codeLenInByte = 17912
; NumSgprs: 106
; NumVgprs: 96
; NumAgprs: 0
; TotalNumVgprs: 96
; ScratchSize: 204
; MemoryBound: 1
; FloatMode: 240
; IeeeMode: 1
; LDSByteSize: 0 bytes/workgroup (compile time only)
; SGPRBlocks: 13
; VGPRBlocks: 11
; NumSGPRsForWavesPerEU: 106
; NumVGPRsForWavesPerEU: 96
; AccumOffset: 96
; Occupancy: 5
; WaveLimiterHint : 1
; COMPUTE_PGM_RSRC2:SCRATCH_EN: 1
; COMPUTE_PGM_RSRC2:USER_SGPR: 2
; COMPUTE_PGM_RSRC2:TRAP_HANDLER: 0
; COMPUTE_PGM_RSRC2:TGID_X_EN: 1
; COMPUTE_PGM_RSRC2:TGID_Y_EN: 1
; COMPUTE_PGM_RSRC2:TGID_Z_EN: 0
; COMPUTE_PGM_RSRC2:TIDIG_COMP_CNT: 0
; COMPUTE_PGM_RSRC3_GFX90A:ACCUM_OFFSET: 23
; COMPUTE_PGM_RSRC3_GFX90A:TG_SPLIT: 0
	.section	.text._Z25selective_scan_fwd_kernelI32Selective_Scan_fwd_kernel_traitsILi64ELi16ELi1ELb0ELb1ELb1ELb1ELb1EN3c108BFloat16EffEEv13SSMParamsBase,"axG",@progbits,_Z25selective_scan_fwd_kernelI32Selective_Scan_fwd_kernel_traitsILi64ELi16ELi1ELb0ELb1ELb1ELb1ELb1EN3c108BFloat16EffEEv13SSMParamsBase,comdat
	.protected	_Z25selective_scan_fwd_kernelI32Selective_Scan_fwd_kernel_traitsILi64ELi16ELi1ELb0ELb1ELb1ELb1ELb1EN3c108BFloat16EffEEv13SSMParamsBase ; -- Begin function _Z25selective_scan_fwd_kernelI32Selective_Scan_fwd_kernel_traitsILi64ELi16ELi1ELb0ELb1ELb1ELb1ELb1EN3c108BFloat16EffEEv13SSMParamsBase
	.globl	_Z25selective_scan_fwd_kernelI32Selective_Scan_fwd_kernel_traitsILi64ELi16ELi1ELb0ELb1ELb1ELb1ELb1EN3c108BFloat16EffEEv13SSMParamsBase
	.p2align	8
	.type	_Z25selective_scan_fwd_kernelI32Selective_Scan_fwd_kernel_traitsILi64ELi16ELi1ELb0ELb1ELb1ELb1ELb1EN3c108BFloat16EffEEv13SSMParamsBase,@function
_Z25selective_scan_fwd_kernelI32Selective_Scan_fwd_kernel_traitsILi64ELi16ELi1ELb0ELb1ELb1ELb1ELb1EN3c108BFloat16EffEEv13SSMParamsBase: ; @_Z25selective_scan_fwd_kernelI32Selective_Scan_fwd_kernel_traitsILi64ELi16ELi1ELb0ELb1ELb1ELb1ELb1EN3c108BFloat16EffEEv13SSMParamsBase
; %bb.0:
	s_load_dword s36, s[0:1], 0x18
	s_load_dwordx4 s[4:7], s[0:1], 0xe8
	s_load_dwordx8 s[20:27], s[0:1], 0xc8
	s_mov_b32 s34, s3
	s_ashr_i32 s3, s2, 31
	s_lshl_b64 s[8:9], s[2:3], 2
	s_waitcnt lgkmcnt(0)
	s_abs_i32 s33, s36
	v_cvt_f32_u32_e32 v1, s33
	s_add_u32 s28, s26, s8
	s_addc_u32 s29, s27, s9
	s_cmp_eq_u64 s[6:7], 0
	v_rcp_iflag_f32_e32 v1, v1
                                        ; implicit-def: $vgpr95 : SGPR spill to VGPR lane
	s_nop 0
	v_mul_f32_e32 v1, 0x4f7ffffe, v1
	v_cvt_u32_f32_e32 v1, v1
	s_nop 0
	v_readfirstlane_b32 s37, v1
	s_cbranch_scc1 .LBB52_2
; %bb.1:
	s_add_u32 s6, s6, s2
	s_addc_u32 s7, s7, s3
	v_mov_b32_e32 v1, 0
	global_load_ubyte v1, v1, s[6:7]
	s_waitcnt vmcnt(0)
	v_and_b32_e32 v1, 1, v1
	v_cmp_eq_u32_e64 s[6:7], 1, v1
	s_branch .LBB52_3
.LBB52_2:
	s_mov_b64 s[6:7], 0
.LBB52_3:
	s_nop 0
	v_writelane_b32 v95, s6, 0
	s_cmp_eq_u64 s[4:5], 0
	s_nop 0
	v_writelane_b32 v95, s7, 1
	s_load_dwordx2 s[6:7], s[0:1], 0x20
	s_cbranch_scc1 .LBB52_5
; %bb.4:
	s_add_u32 s2, s4, s8
	s_addc_u32 s3, s5, s9
	s_load_dword s2, s[2:3], 0x0
	s_waitcnt lgkmcnt(0)
	s_ashr_i32 s3, s2, 31
.LBB52_5:
	s_waitcnt lgkmcnt(0)
	s_cmp_eq_u64 s[6:7], s[2:3]
	s_cbranch_scc1 .LBB52_298
; %bb.6:
	s_load_dwordx16 s[4:19], s[0:1], 0x88
	s_load_dwordx2 s[26:27], s[28:29], 0x0
	s_mov_b32 s3, 0
	v_writelane_b32 v95, s3, 2
	v_writelane_b32 v95, s3, 3
	s_waitcnt lgkmcnt(0)
	s_cmp_eq_u64 s[10:11], 0
	s_cbranch_scc1 .LBB52_8
; %bb.7:
	s_ashr_i32 s35, s34, 31
	s_lshl_b64 s[28:29], s[34:35], 2
	s_add_u32 s10, s10, s28
	s_addc_u32 s11, s11, s29
	s_load_dword s3, s[10:11], 0x0
	s_waitcnt lgkmcnt(0)
	v_writelane_b32 v95, s3, 3
.LBB52_8:
	s_cmp_eq_u64 s[16:17], 0
	s_cbranch_scc1 .LBB52_10
; %bb.9:
	s_ashr_i32 s35, s34, 31
	s_lshl_b64 s[10:11], s[34:35], 2
	s_add_u32 s10, s16, s10
	s_addc_u32 s11, s17, s11
	s_load_dword s3, s[10:11], 0x0
	s_waitcnt lgkmcnt(0)
	v_writelane_b32 v95, s3, 2
.LBB52_10:
	s_sub_i32 s35, s27, s26
	s_cmp_lt_i32 s35, 1
	s_cbranch_scc1 .LBB52_298
; %bb.11:
	v_mbcnt_lo_u32_b32 v1, -1, 0
	v_mbcnt_hi_u32_b32 v20, -1, v1
	s_sub_i32 s3, 0, s33
	v_lshrrev_b32_e32 v1, 5, v20
	s_mul_i32 s3, s3, s37
	v_and_b32_e32 v1, 2, v1
	s_mul_hi_u32 s3, s37, s3
	v_add_u32_e32 v1, v1, v20
	s_abs_i32 s16, s34
	s_add_i32 s37, s37, s3
	v_add_u32_e32 v2, 64, v20
	v_lshl_add_u32 v1, v1, 1, 0
	s_load_dwordx8 s[40:47], s[0:1], 0x2c
	s_load_dwordx2 s[10:11], s[0:1], 0x7c
	s_load_dwordx4 s[28:31], s[0:1], 0x6c
	s_load_dwordx8 s[48:55], s[0:1], 0x4c
	s_mul_hi_u32 s3, s16, s37
	s_load_dword s37, s[0:1], 0xc
	s_load_dword s17, s[0:1], 0x28
	scratch_store_dword off, v1, off        ; 4-byte Folded Spill
	scratch_store_dword off, v2, off offset:180 ; 4-byte Folded Spill
	v_lshrrev_b32_e32 v1, 5, v2
	v_and_b32_e32 v1, 6, v1
	v_add_lshl_u32 v1, v1, v20, 1
	v_or_b32_e32 v3, 0x80, v20
	v_add_u32_e32 v2, 0, v1
	scratch_store_dword off, v2, off offset:8 ; 4-byte Folded Spill
	scratch_store_dword off, v3, off offset:184 ; 4-byte Folded Spill
	v_lshrrev_b32_e32 v2, 5, v3
	v_and_b32_e32 v2, 6, v2
	s_load_dword s97, s[0:1], 0x84
	s_ashr_i32 s0, s34, 31
	s_ashr_i32 s1, s36, 31
	v_add_lshl_u32 v2, v2, v20, 1
	s_xor_b32 s0, s0, s1
	s_mul_i32 s1, s3, s33
	v_add_u32_e32 v4, 0xc0, v20
	v_add_u32_e32 v3, 0, v2
	s_sub_i32 s1, s16, s1
	scratch_store_dword off, v3, off offset:12 ; 4-byte Folded Spill
	scratch_store_dword off, v4, off offset:188 ; 4-byte Folded Spill
	v_lshrrev_b32_e32 v3, 5, v4
	s_add_i32 s16, s3, 1
	s_sub_i32 s27, s1, s33
	v_and_b32_e32 v3, 14, v3
	s_cmp_ge_u32 s1, s33
	v_add_lshl_u32 v3, v3, v20, 1
	s_cselect_b32 s3, s16, s3
	v_or_b32_e32 v5, 0x100, v20
	v_add_u32_e32 v4, 0, v3
	s_cselect_b32 s1, s27, s1
	s_add_i32 s16, s3, 1
	scratch_store_dword off, v4, off offset:16 ; 4-byte Folded Spill
	scratch_store_dword off, v5, off offset:192 ; 4-byte Folded Spill
	v_lshrrev_b32_e32 v4, 5, v5
	s_cmp_ge_u32 s1, s33
	v_and_b32_e32 v4, 10, v4
	s_cselect_b32 s1, s16, s3
	v_add_lshl_u32 v4, v4, v20, 1
	s_xor_b32 s1, s1, s0
	s_waitcnt lgkmcnt(0)
	s_mul_i32 s98, s26, s50
	s_mov_b32 s99, 0
	v_add_u32_e32 v6, 0x140, v20
	v_add_u32_e32 v5, 0, v4
	s_sub_i32 s3, s1, s0
	s_lshl_b64 s[0:1], s[98:99], 1
	scratch_store_dword off, v5, off offset:20 ; 4-byte Folded Spill
	scratch_store_dword off, v6, off offset:196 ; 4-byte Folded Spill
	v_lshrrev_b32_e32 v5, 5, v6
	s_add_u32 s12, s12, s0
	s_mul_i32 s98, s51, s34
	v_and_b32_e32 v5, 14, v5
	s_addc_u32 s13, s13, s1
	s_lshl_b64 s[0:1], s[98:99], 1
	v_add_lshl_u32 v5, v5, v20, 1
	s_add_u32 s38, s12, s0
	s_mul_i32 s98, s26, s52
	v_or_b32_e32 v7, 0x180, v20
	v_add_u32_e32 v6, 0, v5
	s_addc_u32 s39, s13, s1
	s_lshl_b64 s[0:1], s[98:99], 1
	scratch_store_dword off, v6, off offset:24 ; 4-byte Folded Spill
	scratch_store_dword off, v7, off offset:200 ; 4-byte Folded Spill
	v_lshrrev_b32_e32 v6, 5, v7
	s_add_u32 s12, s14, s0
	s_mul_i32 s98, s53, s34
	v_and_b32_e32 v6, 14, v6
	s_addc_u32 s13, s15, s1
	s_lshl_b64 s[0:1], s[98:99], 1
	v_add_lshl_u32 v6, v6, v20, 1
	s_add_u32 s0, s12, s0
	v_add_u32_e32 v8, 0x1c0, v20
	v_add_u32_e32 v7, 0, v6
	s_addc_u32 s1, s13, s1
	scratch_store_dword off, v7, off offset:28 ; 4-byte Folded Spill
	scratch_store_dword off, v8, off offset:204 ; 4-byte Folded Spill
	v_lshrrev_b32_e32 v7, 5, v8
	v_writelane_b32 v95, s0, 4
	s_mul_i32 s98, s40, s34
	v_and_b32_e32 v7, 30, v7
	v_writelane_b32 v95, s1, 5
	s_lshl_b64 s[0:1], s[98:99], 2
	v_add_lshl_u32 v7, v7, v20, 1
	s_add_u32 s0, s4, s0
	v_or_b32_e32 v9, 0x200, v20
	v_add_u32_e32 v8, 0, v7
	v_writelane_b32 v95, s0, 6
	s_addc_u32 s0, s5, s1
	s_mul_i32 s98, s26, s42
	scratch_store_dword off, v8, off offset:32 ; 4-byte Folded Spill
	scratch_store_dword off, v9, off offset:208 ; 4-byte Folded Spill
	v_lshrrev_b32_e32 v8, 5, v9
	v_writelane_b32 v95, s0, 7
	s_lshl_b64 s[0:1], s[98:99], 1
	v_and_b32_e32 v8, 18, v8
	s_add_u32 s4, s6, s0
	s_mul_i32 s98, s3, s45
	v_add_lshl_u32 v8, v8, v20, 1
	s_addc_u32 s5, s7, s1
	s_lshl_b64 s[0:1], s[98:99], 1
	v_add_u32_e32 v10, 0x240, v20
	v_add_u32_e32 v9, 0, v8
	s_add_u32 s0, s4, s0
	scratch_store_dword off, v9, off offset:36 ; 4-byte Folded Spill
	scratch_store_dword off, v10, off offset:212 ; 4-byte Folded Spill
	v_lshrrev_b32_e32 v9, 5, v10
	s_addc_u32 s1, s5, s1
	v_and_b32_e32 v9, 22, v9
	v_writelane_b32 v95, s0, 8
	v_add_lshl_u32 v9, v9, v20, 1
	v_or_b32_e32 v11, 0x280, v20
	v_writelane_b32 v95, s1, 9
	v_add_u32_e32 v10, 0, v9
	v_writelane_b32 v95, s40, 10
	scratch_store_dword off, v10, off offset:40 ; 4-byte Folded Spill
	scratch_store_dword off, v11, off offset:216 ; 4-byte Folded Spill
	v_lshrrev_b32_e32 v10, 5, v11
	v_writelane_b32 v95, s41, 11
	v_and_b32_e32 v10, 22, v10
	v_writelane_b32 v95, s42, 12
	s_mul_i32 s98, s26, s46
	v_add_lshl_u32 v10, v10, v20, 1
	v_writelane_b32 v95, s43, 13
	s_lshl_b64 s[0:1], s[98:99], 1
	v_add_u32_e32 v12, 0x2c0, v20
	v_add_u32_e32 v11, 0, v10
	v_writelane_b32 v95, s44, 14
	s_add_u32 s4, s8, s0
	s_mul_i32 s98, s3, s49
	scratch_store_dword off, v11, off offset:44 ; 4-byte Folded Spill
	scratch_store_dword off, v12, off offset:220 ; 4-byte Folded Spill
	v_lshrrev_b32_e32 v11, 5, v12
	v_writelane_b32 v95, s45, 15
	s_addc_u32 s5, s9, s1
	s_lshl_b64 s[0:1], s[98:99], 1
	v_and_b32_e32 v11, 30, v11
	v_writelane_b32 v95, s46, 16
	s_add_u32 s0, s4, s0
	v_add_lshl_u32 v11, v11, v20, 1
	v_writelane_b32 v95, s47, 17
	s_addc_u32 s1, s5, s1
	v_or_b32_e32 v13, 0x300, v20
	v_add_u32_e32 v12, 0, v11
	v_writelane_b32 v95, s0, 18
	s_mul_i32 s98, s2, s10
	scratch_store_dword off, v12, off offset:48 ; 4-byte Folded Spill
	scratch_store_dword off, v13, off offset:224 ; 4-byte Folded Spill
	v_lshrrev_b32_e32 v12, 5, v13
	v_writelane_b32 v95, s1, 19
	s_lshl_b64 s[0:1], s[98:99], 2
	v_and_b32_e32 v12, 26, v12
	s_add_u32 s2, s20, s0
	s_mul_i32 s98, s11, s34
	v_add_lshl_u32 v12, v12, v20, 1
	s_addc_u32 s3, s21, s1
	s_lshl_b64 s[0:1], s[98:99], 2
	v_add_u32_e32 v14, 0x340, v20
	v_add_u32_e32 v13, 0, v12
	s_add_u32 s0, s2, s0
	scratch_store_dword off, v13, off offset:52 ; 4-byte Folded Spill
	scratch_store_dword off, v14, off offset:228 ; 4-byte Folded Spill
	v_lshrrev_b32_e32 v13, 5, v14
	v_writelane_b32 v95, s0, 20
	s_addc_u32 s0, s3, s1
	v_and_b32_e32 v13, 30, v13
	v_writelane_b32 v95, s0, 21
	s_add_i32 s0, s35, 0x7ff
	v_add_lshl_u32 v13, v13, v20, 1
	s_lshr_b32 s1, s0, 11
	v_or_b32_e32 v15, 0x380, v20
	v_add_u32_e32 v14, 0, v13
	scratch_store_dword off, v14, off offset:56 ; 4-byte Folded Spill
	scratch_store_dword off, v15, off offset:232 ; 4-byte Folded Spill
	v_lshrrev_b32_e32 v14, 5, v15
	s_bitcmp1_b32 s17, 0
	v_and_b32_e32 v14, 30, v14
	s_cselect_b64 s[6:7], -1, 0
	s_cmp_gt_i32 s37, 0
	v_add_lshl_u32 v14, v14, v20, 1
	s_cselect_b64 s[2:3], -1, 0
	s_add_i32 s0, 0, 0x840
	v_add_u32_e32 v15, 0, v14
	v_add_u32_e32 v1, s0, v1
	;; [unrolled: 1-line block ×3, first 2 shown]
	scratch_store_dword off, v15, off offset:60 ; 4-byte Folded Spill
	scratch_store_dword off, v16, off offset:236 ; 4-byte Folded Spill
	;; [unrolled: 1-line block ×3, first 2 shown]
	v_add_u32_e32 v1, s0, v2
	scratch_store_dword off, v1, off offset:100 ; 4-byte Folded Spill
	v_add_u32_e32 v1, s0, v3
	scratch_store_dword off, v1, off offset:104 ; 4-byte Folded Spill
	;; [unrolled: 2-line block ×7, first 2 shown]
	v_add_u32_e32 v1, s0, v9
	v_lshrrev_b32_e32 v15, 5, v16
	scratch_store_dword off, v1, off offset:128 ; 4-byte Folded Spill
	v_add_u32_e32 v1, s0, v10
	v_and_b32_e32 v15, 62, v15
	scratch_store_dword off, v1, off offset:132 ; 4-byte Folded Spill
	v_add_u32_e32 v1, s0, v11
	v_add_lshl_u32 v15, v15, v20, 1
	scratch_store_dword off, v1, off offset:136 ; 4-byte Folded Spill
	v_add_u32_e32 v1, s0, v12
	v_add_u32_e32 v16, 0, v15
	v_lshrrev_b32_e32 v18, 1, v20
	scratch_store_dword off, v1, off offset:140 ; 4-byte Folded Spill
	v_add_u32_e32 v1, s0, v13
	scratch_store_dword off, v16, off offset:64 ; 4-byte Folded Spill
	v_lshlrev_b32_e32 v16, 4, v20
	v_and_b32_e32 v18, 62, v18
	scratch_store_dword off, v1, off offset:144 ; 4-byte Folded Spill
	v_add_u32_e32 v1, s0, v14
	v_add_lshl_u32 v16, v18, v16, 1
	v_writelane_b32 v95, s37, 22
	scratch_store_dword off, v1, off offset:148 ; 4-byte Folded Spill
	v_add_u32_e32 v1, s0, v15
	v_writelane_b32 v95, s2, 23
	scratch_store_dword off, v1, off offset:152 ; 4-byte Folded Spill
	v_add_u32_e32 v1, s0, v16
	s_and_b32 s0, s35, 0x3ff
	v_writelane_b32 v95, s3, 24
	s_cmp_eq_u32 s0, 0
	v_writelane_b32 v95, s35, 25
	s_cselect_b64 s[2:3], -1, 0
	v_writelane_b32 v95, s2, 26
	s_add_i32 s0, s1, -1
	s_mul_i32 s98, s26, s28
	v_writelane_b32 v95, s3, 27
	v_writelane_b32 v95, s1, 28
	;; [unrolled: 1-line block ×3, first 2 shown]
	s_lshl_b64 s[0:1], s[98:99], 1
	scratch_store_dword off, v1, off offset:156 ; 4-byte Folded Spill
	v_and_b32_e32 v1, 15, v20
	s_add_u32 s4, s18, s0
	s_addc_u32 s5, s19, s1
	v_cmp_ne_u32_e64 s[0:1], 0, v1
	v_cmp_lt_u32_e64 s[2:3], 3, v1
	s_mul_i32 s98, s29, s34
	v_writelane_b32 v95, s0, 30
	v_and_b32_e32 v2, 64, v20
	v_lshlrev_b32_e32 v19, 4, v0
	v_writelane_b32 v95, s1, 31
	v_cmp_lt_u32_e64 s[0:1], 1, v1
	v_cmp_eq_u32_e64 s[16:17], 0, v0
	v_add_u32_e32 v18, 0, v16
	v_writelane_b32 v95, s0, 32
	v_mov_b32_e32 v17, 0
	scratch_store_dword off, v18, off offset:4 ; 4-byte Folded Spill
	v_writelane_b32 v95, s1, 33
	v_cmp_lt_u32_e64 s[0:1], 7, v1
	v_and_b32_e32 v1, 16, v20
	v_lshlrev_b32_e32 v16, 1, v20
	v_writelane_b32 v95, s0, 34
	v_cmp_lt_u32_e64 s[12:13], 31, v20
	s_mov_b32 s8, 0xc2ce8ed0
	v_writelane_b32 v95, s1, 35
	v_cmp_ne_u32_e64 s[0:1], 0, v1
	v_add_u32_e32 v1, -1, v20
	v_cmp_lt_i32_e32 vcc, v1, v2
	v_writelane_b32 v95, s0, 36
	s_mov_b32 s9, 0x42b17218
	v_cndmask_b32_e32 v1, v1, v20, vcc
	v_writelane_b32 v95, s1, 37
	s_lshl_b64 s[0:1], s[98:99], 1
	s_add_u32 s0, s4, s0
	s_mul_i32 s98, s26, s54
	s_addc_u32 s1, s5, s1
	s_lshl_b64 s[4:5], s[98:99], 1
	s_add_u32 s14, s22, s4
	v_writelane_b32 v95, s48, 38
	s_mul_i32 s98, s55, s34
	s_addc_u32 s15, s23, s5
	s_lshl_b64 s[4:5], s[98:99], 1
	s_add_u32 s18, s14, s4
	s_mul_i32 s98, s26, s30
	s_addc_u32 s19, s15, s5
	s_lshl_b64 s[14:15], s[98:99], 1
	s_add_u32 s22, s24, s14
	v_cmp_eq_u32_e64 s[4:5], 63, v0
	v_lshlrev_b32_e32 v1, 2, v1
	s_addc_u32 s23, s25, s15
	v_cmp_gt_u32_e64 s[14:15], 64, v0
	v_mov_b32_e32 v0, v20
	scratch_store_dwordx2 off, v[0:1], off offset:172 ; 8-byte Folded Spill
	v_or_b32_e32 v0, 1, v19
	scratch_store_dword off, v0, off offset:268 ; 4-byte Folded Spill
	v_or_b32_e32 v0, 2, v19
	scratch_store_dword off, v0, off offset:272 ; 4-byte Folded Spill
	;; [unrolled: 2-line block ×6, first 2 shown]
                                        ; implicit-def: $vgpr0
	v_writelane_b32 v95, s49, 39
	v_or_b32_e32 v0, 7, v19
	v_writelane_b32 v95, s50, 40
	scratch_store_dword off, v0, off offset:292 ; 4-byte Folded Spill
	v_or_b32_e32 v0, 8, v19
	v_writelane_b32 v95, s51, 41
	scratch_store_dword off, v0, off offset:296 ; 4-byte Folded Spill
	v_or_b32_e32 v0, 9, v19
	v_writelane_b32 v95, s52, 42
	scratch_store_dword off, v0, off offset:300 ; 4-byte Folded Spill
	v_or_b32_e32 v0, 10, v19
	v_writelane_b32 v95, s53, 43
	scratch_store_dword off, v0, off offset:304 ; 4-byte Folded Spill
	v_or_b32_e32 v0, 11, v19
	v_writelane_b32 v95, s54, 44
	s_mul_i32 s98, s31, s34
	scratch_store_dword off, v0, off offset:308 ; 4-byte Folded Spill
	v_or_b32_e32 v0, 12, v19
	v_writelane_b32 v95, s55, 45
	s_lshl_b64 s[20:21], s[98:99], 1
	scratch_store_dword off, v0, off offset:312 ; 4-byte Folded Spill
	v_or_b32_e32 v0, 13, v19
	v_writelane_b32 v95, s4, 46
	s_add_u32 s20, s22, s20
	scratch_store_dword off, v0, off offset:316 ; 4-byte Folded Spill
	v_or_b32_e32 v0, 14, v19
	v_writelane_b32 v95, s5, 47
	scratch_store_dword off, v1, off offset:160 ; 4-byte Folded Spill
	s_addc_u32 s21, s23, s21
	s_add_i32 s22, 0, 0x1088
	scratch_store_dword off, v0, off offset:320 ; 4-byte Folded Spill
	scratch_store_dword off, v19, off offset:264 ; 4-byte Folded Spill
	v_or_b32_e32 v0, 15, v19
	v_writelane_b32 v95, s22, 48
	scratch_store_dword off, v0, off offset:324 ; 4-byte Folded Spill
	v_lshl_add_u64 v[0:1], s[0:1], 0, v[16:17]
	scratch_store_dwordx2 off, v[0:1], off offset:240 ; 8-byte Folded Spill
	v_lshl_add_u64 v[0:1], s[18:19], 0, v[16:17]
	v_writelane_b32 v95, s97, 49
	scratch_store_dwordx2 off, v[0:1], off offset:248 ; 8-byte Folded Spill
	v_lshl_add_u64 v[0:1], s[20:21], 0, v[16:17]
	v_writelane_b32 v95, s6, 50
	s_mov_b32 s4, 0x41a00000
	s_mov_b32 s5, 0x3fb8aa3b
	;; [unrolled: 1-line block ×7, first 2 shown]
	v_mov_b32_e32 v39, 0x7f800000
	v_mov_b32_e32 v20, 0x42800000
	;; [unrolled: 1-line block ×3, first 2 shown]
	s_mov_b32 s1, 0
	scratch_store_dwordx2 off, v[0:1], off offset:256 ; 8-byte Folded Spill
	v_mov_b32_e32 v0, 0x3f317218
	v_writelane_b32 v95, s7, 51
	scratch_store_dwordx2 off, v[0:1], off offset:164 ; 8-byte Folded Spill
	s_branch .LBB52_13
.LBB52_12:                              ;   in Loop: Header=BB52_13 Depth=1
	s_or_b64 exec, exec, s[18:19]
	v_readlane_b32 s0, v95, 4
	v_readlane_b32 s1, v95, 5
	s_add_u32 s0, s0, 0x800
	s_addc_u32 s1, s1, 0
	v_writelane_b32 v95, s0, 4
	s_nop 1
	v_writelane_b32 v95, s1, 5
	s_nop 0
	v_readlane_b32 s38, v95, 55
	v_readlane_b32 s39, v95, 56
	s_add_u32 s38, s38, 0x800
	s_addc_u32 s39, s39, 0
	v_readlane_b32 s0, v95, 8
	v_readlane_b32 s1, v95, 9
	s_add_u32 s0, s0, 0x800
	s_addc_u32 s1, s1, 0
	v_writelane_b32 v95, s0, 8
	s_nop 1
	v_writelane_b32 v95, s1, 9
	s_nop 0
	v_readlane_b32 s0, v95, 18
	v_readlane_b32 s1, v95, 19
	s_add_u32 s0, s0, 0x800
	s_addc_u32 s1, s1, 0
	v_writelane_b32 v95, s0, 18
	s_nop 1
	v_writelane_b32 v95, s1, 19
	s_nop 0
	v_readlane_b32 s1, v95, 52
	s_add_i32 s1, s1, 1
	v_readlane_b32 s0, v95, 28
	s_cmp_lg_u32 s1, s0
	s_cbranch_scc0 .LBB52_298
.LBB52_13:                              ; =>This Loop Header: Depth=1
                                        ;     Child Loop BB52_110 Depth 2
	s_waitcnt lgkmcnt(0)
	; wave barrier
	s_waitcnt vmcnt(63) expcnt(7) lgkmcnt(15)
	scratch_load_dwordx2 v[0:1], off, off offset:172 ; 8-byte Folded Reload
	s_lshl_b32 s20, s1, 10
	v_writelane_b32 v95, s1, 52
	s_mov_b32 s18, s20
	v_readlane_b32 s0, v95, 25
	v_writelane_b32 v95, s18, 53
	s_sub_i32 s82, s0, s20
	s_waitcnt vmcnt(0) lgkmcnt(0)
	v_mov_b32_e32 v2, v0
	v_writelane_b32 v95, s19, 54
	v_lshlrev_b32_e32 v16, 1, v2
	v_writelane_b32 v95, s38, 55
	v_cmp_gt_u32_e64 s[18:19], s82, v2
	v_mov_b32_e32 v2, 0
	v_writelane_b32 v95, s39, 56
	v_lshl_add_u64 v[0:1], s[38:39], 0, v[16:17]
	s_and_saveexec_b64 s[20:21], s[18:19]
	s_cbranch_execz .LBB52_15
; %bb.14:                               ;   in Loop: Header=BB52_13 Depth=1
	global_load_ushort v2, v[0:1], off
.LBB52_15:                              ;   in Loop: Header=BB52_13 Depth=1
	s_or_b64 exec, exec, s[20:21]
	scratch_load_dword v3, off, off offset:180 ; 4-byte Folded Reload
	v_mov_b32_e32 v4, 0
	s_waitcnt vmcnt(0)
	v_cmp_gt_u32_e64 s[20:21], s82, v3
	v_mov_b32_e32 v3, 0
	s_and_saveexec_b64 s[22:23], s[20:21]
	s_cbranch_execz .LBB52_17
; %bb.16:                               ;   in Loop: Header=BB52_13 Depth=1
	global_load_ushort v4, v[0:1], off offset:128
.LBB52_17:                              ;   in Loop: Header=BB52_13 Depth=1
	s_or_b64 exec, exec, s[22:23]
	scratch_load_dword v5, off, off offset:184 ; 4-byte Folded Reload
	s_waitcnt vmcnt(0)
	v_cmp_gt_u32_e64 s[22:23], s82, v5
	s_and_saveexec_b64 s[24:25], s[22:23]
	s_cbranch_execz .LBB52_19
; %bb.18:                               ;   in Loop: Header=BB52_13 Depth=1
	global_load_ushort v3, v[0:1], off offset:256
.LBB52_19:                              ;   in Loop: Header=BB52_13 Depth=1
	s_or_b64 exec, exec, s[24:25]
	scratch_load_dword v5, off, off offset:188 ; 4-byte Folded Reload
	v_mov_b32_e32 v6, 0
	s_waitcnt vmcnt(0)
	v_cmp_gt_u32_e64 s[24:25], s82, v5
	v_mov_b32_e32 v5, 0
	s_and_saveexec_b64 s[26:27], s[24:25]
	s_cbranch_execz .LBB52_21
; %bb.20:                               ;   in Loop: Header=BB52_13 Depth=1
	global_load_ushort v6, v[0:1], off offset:384
.LBB52_21:                              ;   in Loop: Header=BB52_13 Depth=1
	s_or_b64 exec, exec, s[26:27]
	scratch_load_dword v7, off, off offset:192 ; 4-byte Folded Reload
	s_waitcnt vmcnt(0)
	v_cmp_gt_u32_e64 s[26:27], s82, v7
	s_and_saveexec_b64 s[28:29], s[26:27]
	s_cbranch_execz .LBB52_23
; %bb.22:                               ;   in Loop: Header=BB52_13 Depth=1
	global_load_ushort v5, v[0:1], off offset:512
.LBB52_23:                              ;   in Loop: Header=BB52_13 Depth=1
	;; [unrolled: 20-line block ×4, first 2 shown]
	s_or_b64 exec, exec, s[38:39]
	scratch_load_dword v10, off, off offset:212 ; 4-byte Folded Reload
	v_mov_b32_e32 v12, 0
	v_mov_b32_e32 v13, 0
	s_waitcnt vmcnt(0)
	v_cmp_gt_u32_e64 s[38:39], s82, v10
	s_and_saveexec_b64 s[40:41], s[38:39]
	s_cbranch_execz .LBB52_33
; %bb.32:                               ;   in Loop: Header=BB52_13 Depth=1
	global_load_ushort v13, v[0:1], off offset:1152
.LBB52_33:                              ;   in Loop: Header=BB52_13 Depth=1
	s_or_b64 exec, exec, s[40:41]
	scratch_load_dword v10, off, off offset:216 ; 4-byte Folded Reload
	s_waitcnt vmcnt(0)
	v_cmp_gt_u32_e64 s[40:41], s82, v10
	s_and_saveexec_b64 s[42:43], s[40:41]
	s_cbranch_execz .LBB52_35
; %bb.34:                               ;   in Loop: Header=BB52_13 Depth=1
	global_load_ushort v12, v[0:1], off offset:1280
.LBB52_35:                              ;   in Loop: Header=BB52_13 Depth=1
	s_or_b64 exec, exec, s[42:43]
	scratch_load_dword v10, off, off offset:220 ; 4-byte Folded Reload
	v_mov_b32_e32 v14, 0
	v_mov_b32_e32 v15, 0
	s_waitcnt vmcnt(0)
	v_cmp_gt_u32_e64 s[42:43], s82, v10
	s_and_saveexec_b64 s[44:45], s[42:43]
	s_cbranch_execz .LBB52_37
; %bb.36:                               ;   in Loop: Header=BB52_13 Depth=1
	global_load_ushort v15, v[0:1], off offset:1408
.LBB52_37:                              ;   in Loop: Header=BB52_13 Depth=1
	s_or_b64 exec, exec, s[44:45]
	scratch_load_dword v10, off, off offset:224 ; 4-byte Folded Reload
	s_waitcnt vmcnt(0)
	v_cmp_gt_u32_e64 s[44:45], s82, v10
	s_and_saveexec_b64 s[46:47], s[44:45]
	s_cbranch_execz .LBB52_39
; %bb.38:                               ;   in Loop: Header=BB52_13 Depth=1
	global_load_ushort v14, v[0:1], off offset:1536
.LBB52_39:                              ;   in Loop: Header=BB52_13 Depth=1
	;; [unrolled: 20-line block ×3, first 2 shown]
	s_or_b64 exec, exec, s[50:51]
	scratch_load_dword v10, off, off offset:236 ; 4-byte Folded Reload
	v_mov_b32_e32 v22, 0
	s_waitcnt vmcnt(0)
	v_cmp_gt_u32_e64 s[50:51], s82, v10
	v_mov_b32_e32 v10, 0
	s_and_saveexec_b64 s[52:53], s[50:51]
	s_cbranch_execz .LBB52_45
; %bb.44:                               ;   in Loop: Header=BB52_13 Depth=1
	global_load_ushort v22, v[0:1], off offset:1920
.LBB52_45:                              ;   in Loop: Header=BB52_13 Depth=1
	s_or_b64 exec, exec, s[52:53]
	scratch_load_dword v0, off, off         ; 4-byte Folded Reload
	v_readlane_b32 s0, v95, 4
	v_readlane_b32 s1, v95, 5
	s_waitcnt vmcnt(0)
	ds_write_b16 v0, v2
	scratch_load_dword v0, off, off offset:8 ; 4-byte Folded Reload
	s_waitcnt vmcnt(0)
	ds_write_b16 v0, v4 offset:128
	scratch_load_dword v0, off, off offset:12 ; 4-byte Folded Reload
	s_waitcnt vmcnt(0)
	ds_write_b16 v0, v3 offset:256
	;; [unrolled: 3-line block ×8, first 2 shown]
	scratch_load_dword v0, off, off offset:40 ; 4-byte Folded Reload
	v_lshl_add_u64 v[8:9], s[0:1], 0, v[16:17]
	s_waitcnt vmcnt(0)
	ds_write_b16 v0, v13 offset:1152
	scratch_load_dword v0, off, off offset:44 ; 4-byte Folded Reload
	s_waitcnt vmcnt(0)
	ds_write_b16 v0, v12 offset:1280
	scratch_load_dword v0, off, off offset:48 ; 4-byte Folded Reload
	;; [unrolled: 3-line block ×6, first 2 shown]
	s_waitcnt vmcnt(0)
	ds_write_b16 v0, v22 offset:1920
	; wave barrier
	scratch_load_dword v4, off, off offset:4 ; 4-byte Folded Reload
	s_waitcnt vmcnt(0)
	ds_read_b128 v[0:3], v4
	ds_read_b128 v[4:7], v4 offset:16
	s_waitcnt lgkmcnt(0)
	; wave barrier
	s_waitcnt lgkmcnt(0)
	s_and_saveexec_b64 s[52:53], s[18:19]
	s_cbranch_execz .LBB52_47
; %bb.46:                               ;   in Loop: Header=BB52_13 Depth=1
	global_load_ushort v10, v[8:9], off
.LBB52_47:                              ;   in Loop: Header=BB52_13 Depth=1
	s_or_b64 exec, exec, s[52:53]
	v_mov_b32_e32 v11, 0
	v_mov_b32_e32 v12, 0
	s_and_saveexec_b64 s[52:53], s[20:21]
	s_cbranch_execz .LBB52_49
; %bb.48:                               ;   in Loop: Header=BB52_13 Depth=1
	global_load_ushort v12, v[8:9], off offset:128
.LBB52_49:                              ;   in Loop: Header=BB52_13 Depth=1
	s_or_b64 exec, exec, s[52:53]
	s_and_saveexec_b64 s[52:53], s[22:23]
	s_cbranch_execz .LBB52_51
; %bb.50:                               ;   in Loop: Header=BB52_13 Depth=1
	global_load_ushort v11, v[8:9], off offset:256
.LBB52_51:                              ;   in Loop: Header=BB52_13 Depth=1
	s_or_b64 exec, exec, s[52:53]
	v_mov_b32_e32 v13, 0
	v_mov_b32_e32 v14, 0
	s_and_saveexec_b64 s[52:53], s[24:25]
	s_cbranch_execz .LBB52_53
; %bb.52:                               ;   in Loop: Header=BB52_13 Depth=1
	global_load_ushort v14, v[8:9], off offset:384
.LBB52_53:                              ;   in Loop: Header=BB52_13 Depth=1
	s_or_b64 exec, exec, s[52:53]
	s_and_saveexec_b64 s[52:53], s[26:27]
	s_cbranch_execz .LBB52_55
; %bb.54:                               ;   in Loop: Header=BB52_13 Depth=1
	global_load_ushort v13, v[8:9], off offset:512
.LBB52_55:                              ;   in Loop: Header=BB52_13 Depth=1
	;; [unrolled: 14-line block ×6, first 2 shown]
	s_or_b64 exec, exec, s[52:53]
	v_mov_b32_e32 v27, 0
	v_mov_b32_e32 v28, 0
	s_and_saveexec_b64 s[52:53], s[46:47]
	s_cbranch_execnz .LBB52_267
; %bb.72:                               ;   in Loop: Header=BB52_13 Depth=1
	s_or_b64 exec, exec, s[52:53]
	s_and_saveexec_b64 s[52:53], s[48:49]
	s_cbranch_execnz .LBB52_268
.LBB52_73:                              ;   in Loop: Header=BB52_13 Depth=1
	s_or_b64 exec, exec, s[52:53]
	v_mov_b32_e32 v29, 0
	s_and_saveexec_b64 s[52:53], s[50:51]
	s_cbranch_execz .LBB52_75
.LBB52_74:                              ;   in Loop: Header=BB52_13 Depth=1
	global_load_ushort v29, v[8:9], off offset:1920
.LBB52_75:                              ;   in Loop: Header=BB52_13 Depth=1
	s_or_b64 exec, exec, s[52:53]
	scratch_load_dword v8, off, off         ; 4-byte Folded Reload
	v_readlane_b32 s0, v95, 2
	s_waitcnt vmcnt(0)
	ds_write_b16 v8, v10
	scratch_load_dword v8, off, off offset:8 ; 4-byte Folded Reload
	s_waitcnt vmcnt(0)
	ds_write_b16 v8, v12 offset:128
	scratch_load_dword v8, off, off offset:12 ; 4-byte Folded Reload
	s_waitcnt vmcnt(0)
	ds_write_b16 v8, v11 offset:256
	;; [unrolled: 3-line block ×15, first 2 shown]
	; wave barrier
	scratch_load_dword v8, off, off offset:4 ; 4-byte Folded Reload
	s_waitcnt vmcnt(0)
	ds_read_b128 v[12:15], v8
	ds_read_b128 v[8:11], v8 offset:16
	s_waitcnt lgkmcnt(1)
	v_lshlrev_b32_e32 v18, 16, v12
	v_add_f32_e32 v23, s0, v18
	v_cmp_ge_f32_e32 vcc, s4, v23
	s_and_b64 s[0:1], s[6:7], vcc
	s_and_saveexec_b64 s[54:55], s[0:1]
	s_cbranch_execz .LBB52_77
; %bb.76:                               ;   in Loop: Header=BB52_13 Depth=1
	v_mul_f32_e32 v18, 0x3fb8aa3b, v23
	v_rndne_f32_e32 v19, v18
	v_sub_f32_e32 v22, v18, v19
	v_fma_f32 v18, v23, s5, -v18
	v_fmac_f32_e32 v18, 0x32a5705f, v23
	v_add_f32_e32 v18, v22, v18
	v_cvt_i32_f32_e32 v19, v19
	v_exp_f32_e32 v18, v18
	v_cmp_ngt_f32_e32 vcc, s8, v23
	v_ldexp_f32 v18, v18, v19
	s_nop 0
	v_cndmask_b32_e32 v18, 0, v18, vcc
	v_cmp_nlt_f32_e32 vcc, s9, v23
	s_nop 1
	v_cndmask_b32_e32 v36, v39, v18, vcc
	v_add_f32_e32 v22, 1.0, v36
	v_add_f32_e32 v18, -1.0, v22
	v_sub_f32_e32 v19, v18, v22
	v_add_f32_e32 v19, 1.0, v19
	v_sub_f32_e32 v18, v36, v18
	v_add_f32_e32 v23, v18, v19
	v_frexp_mant_f32_e32 v24, v22
	v_cvt_f64_f32_e32 v[18:19], v22
	v_frexp_exp_i32_f64_e32 v18, v[18:19]
	v_cmp_gt_f32_e32 vcc, s11, v24
	v_cmp_gt_f32_e64 s[52:53], s57, v36
	s_nop 0
	v_subbrev_co_u32_e32 v28, vcc, 0, v18, vcc
	v_sub_u32_e32 v18, 0, v28
	v_ldexp_f32 v19, v22, v18
	v_add_f32_e32 v22, -1.0, v19
	v_add_f32_e32 v24, 1.0, v19
	v_ldexp_f32 v18, v23, v18
	v_add_f32_e32 v23, 1.0, v22
	v_add_f32_e32 v25, -1.0, v24
	v_sub_f32_e32 v23, v19, v23
	v_sub_f32_e32 v19, v19, v25
	v_add_f32_e32 v23, v18, v23
	v_add_f32_e32 v18, v18, v19
	v_add_f32_e32 v29, v24, v18
	v_rcp_f32_e32 v31, v29
	v_sub_f32_e32 v19, v24, v29
	v_add_f32_e32 v30, v18, v19
	v_add_f32_e32 v19, v22, v23
	v_mul_f32_e32 v33, v19, v31
	v_sub_f32_e32 v18, v22, v19
	v_mul_f32_e32 v22, v29, v33
	v_fma_f32 v24, v33, v29, -v22
	v_fmac_f32_e32 v24, v33, v30
	v_add_f32_e32 v32, v23, v18
	v_add_f32_e32 v18, v22, v24
	v_sub_f32_e32 v23, v19, v18
	v_pk_add_f32 v[26:27], v[18:19], v[22:23] neg_lo:[0,1] neg_hi:[0,1]
	v_mov_b32_e32 v25, v18
	v_pk_add_f32 v[18:19], v[26:27], v[24:25] neg_lo:[0,1] neg_hi:[0,1]
	v_cmp_eq_f32_e32 vcc, s10, v36
	v_add_f32_e32 v19, v32, v19
	v_add_f32_e32 v18, v18, v19
	v_add_f32_e32 v19, v23, v18
	v_mul_f32_e32 v32, v31, v19
	v_mul_f32_e32 v22, v29, v32
	v_fma_f32 v24, v32, v29, -v22
	v_fmac_f32_e32 v24, v32, v30
	v_sub_f32_e32 v23, v23, v19
	v_add_f32_e32 v29, v18, v23
	v_add_f32_e32 v18, v22, v24
	v_sub_f32_e32 v23, v19, v18
	v_pk_add_f32 v[26:27], v[18:19], v[22:23] neg_lo:[0,1] neg_hi:[0,1]
	v_mov_b32_e32 v25, v18
	v_pk_add_f32 v[18:19], v[26:27], v[24:25] neg_lo:[0,1] neg_hi:[0,1]
	scratch_load_dwordx2 v[26:27], off, off offset:164 ; 8-byte Folded Reload
	v_add_f32_e32 v19, v29, v19
	v_add_f32_e32 v18, v18, v19
	;; [unrolled: 1-line block ×4, first 2 shown]
	v_sub_f32_e32 v22, v19, v33
	v_mul_f32_e32 v18, v31, v18
	v_sub_f32_e32 v22, v32, v22
	v_add_f32_e32 v22, v22, v18
	v_add_f32_e32 v24, v19, v22
	v_mul_f32_e32 v25, v24, v24
	v_mov_b32_e32 v18, 0x3ecc95a3
	v_fmamk_f32 v18, v25, 0x3e9b6dac, v18
	v_fmaak_f32 v31, v25, v18, 0x3f2aaada
	v_cvt_f32_i32_e32 v18, v28
	v_sub_f32_e32 v19, v24, v19
	v_sub_f32_e32 v19, v22, v19
	v_ldexp_f32 v23, v24, 1
	s_or_b64 vcc, s[52:53], vcc
	s_waitcnt vmcnt(0)
	v_mov_b32_e32 v30, v26
	v_ldexp_f32 v26, v19, 1
	v_mul_f32_e32 v19, v24, v25
	v_mov_b32_e32 v22, v30
	v_pk_mul_f32 v[24:25], v[18:19], v[30:31]
	scratch_store_dwordx2 off, v[22:23], off offset:164 ; 8-byte Folded Spill
	v_fma_f32 v22, v18, s56, -v24
	v_fmac_f32_e32 v22, 0xb102e308, v18
	v_pk_add_f32 v[18:19], v[24:25], v[22:23]
	s_nop 0
	v_sub_f32_e32 v23, v19, v23
	v_sub_f32_e32 v23, v25, v23
	v_add_f32_e32 v27, v26, v23
	v_mov_b32_e32 v26, v24
	v_pk_add_f32 v[24:25], v[18:19], v[24:25] neg_lo:[0,1] neg_hi:[0,1]
	v_pk_add_f32 v[28:29], v[18:19], v[26:27]
	v_mov_b32_e32 v23, v18
	v_mov_b32_e32 v25, v29
	v_pk_add_f32 v[30:31], v[22:23], v[24:25] neg_lo:[0,1] neg_hi:[0,1]
	v_pk_add_f32 v[22:23], v[22:23], v[24:25]
	v_mov_b32_e32 v26, v27
	v_mov_b32_e32 v24, v23
	v_pk_add_f32 v[32:33], v[24:25], v[18:19] neg_lo:[0,1] neg_hi:[0,1]
	v_mov_b32_e32 v22, v29
	v_mov_b32_e32 v25, v32
	v_pk_add_f32 v[34:35], v[28:29], v[24:25] neg_lo:[0,1] neg_hi:[0,1]
	v_mov_b32_e32 v28, v19
	v_mov_b32_e32 v29, v32
	;; [unrolled: 1-line block ×3, first 2 shown]
	v_pk_add_f32 v[22:23], v[22:23], v[28:29] neg_lo:[0,1] neg_hi:[0,1]
	v_mov_b32_e32 v27, v18
	v_pk_add_f32 v[18:19], v[26:27], v[22:23] neg_lo:[0,1] neg_hi:[0,1]
	v_mov_b32_e32 v34, v30
	v_pk_add_f32 v[22:23], v[34:35], v[18:19]
	s_nop 0
	v_mov_b32_e32 v26, v23
	v_pk_add_f32 v[26:27], v[22:23], v[26:27]
	s_nop 0
	v_pk_add_f32 v[24:25], v[24:25], v[26:27]
	v_mov_b32_e32 v19, v26
	v_mov_b32_e32 v23, v24
	v_pk_add_f32 v[28:29], v[22:23], v[30:31] neg_lo:[0,1] neg_hi:[0,1]
	s_nop 0
	v_sub_f32_e32 v22, v22, v28
	v_pk_add_f32 v[18:19], v[18:19], v[28:29] neg_lo:[0,1] neg_hi:[0,1]
	v_sub_f32_e32 v22, v30, v22
	v_add_f32_e32 v18, v18, v22
	v_add_f32_e32 v18, v18, v19
	;; [unrolled: 1-line block ×3, first 2 shown]
	v_cndmask_b32_e32 v23, v18, v36, vcc
.LBB52_77:                              ;   in Loop: Header=BB52_13 Depth=1
	s_or_b64 exec, exec, s[54:55]
	v_and_b32_e32 v12, 0xffff0000, v12
	v_readlane_b32 s0, v95, 2
	s_nop 1
	v_add_f32_e32 v24, s0, v12
	v_cmp_ge_f32_e32 vcc, s4, v24
	s_and_b64 s[0:1], s[6:7], vcc
	s_and_saveexec_b64 s[54:55], s[0:1]
	s_cbranch_execz .LBB52_79
; %bb.78:                               ;   in Loop: Header=BB52_13 Depth=1
	v_mul_f32_e32 v12, 0x3fb8aa3b, v24
	v_rndne_f32_e32 v18, v12
	v_sub_f32_e32 v19, v12, v18
	v_fma_f32 v12, v24, s5, -v12
	v_fmac_f32_e32 v12, 0x32a5705f, v24
	v_add_f32_e32 v12, v19, v12
	v_cvt_i32_f32_e32 v18, v18
	v_exp_f32_e32 v12, v12
	v_cmp_ngt_f32_e32 vcc, s8, v24
	v_ldexp_f32 v12, v12, v18
	s_nop 0
	v_cndmask_b32_e32 v12, 0, v12, vcc
	v_cmp_nlt_f32_e32 vcc, s9, v24
	s_nop 1
	v_cndmask_b32_e32 v36, v39, v12, vcc
	v_add_f32_e32 v12, 1.0, v36
	v_add_f32_e32 v18, -1.0, v12
	v_sub_f32_e32 v19, v18, v12
	v_add_f32_e32 v19, 1.0, v19
	v_sub_f32_e32 v18, v36, v18
	v_add_f32_e32 v22, v18, v19
	v_frexp_mant_f32_e32 v24, v12
	v_cvt_f64_f32_e32 v[18:19], v12
	v_frexp_exp_i32_f64_e32 v18, v[18:19]
	v_cmp_gt_f32_e32 vcc, s11, v24
	v_cmp_gt_f32_e64 s[52:53], s57, v36
	s_nop 0
	v_subbrev_co_u32_e32 v30, vcc, 0, v18, vcc
	v_sub_u32_e32 v18, 0, v30
	v_ldexp_f32 v12, v12, v18
	v_ldexp_f32 v18, v22, v18
	v_add_f32_e32 v22, -1.0, v12
	v_add_f32_e32 v19, 1.0, v22
	v_sub_f32_e32 v19, v12, v19
	v_add_f32_e32 v24, v18, v19
	v_add_f32_e32 v19, 1.0, v12
	v_add_f32_e32 v25, -1.0, v19
	v_sub_f32_e32 v12, v12, v25
	v_add_f32_e32 v12, v18, v12
	v_add_f32_e32 v31, v19, v12
	v_rcp_f32_e32 v32, v31
	v_sub_f32_e32 v18, v19, v31
	v_add_f32_e32 v19, v22, v24
	v_add_f32_e32 v12, v12, v18
	v_sub_f32_e32 v18, v22, v19
	v_mul_f32_e32 v33, v19, v32
	v_add_f32_e32 v22, v24, v18
	v_mul_f32_e32 v24, v31, v33
	v_fma_f32 v26, v33, v31, -v24
	v_fmac_f32_e32 v26, v33, v12
	v_add_f32_e32 v18, v24, v26
	v_sub_f32_e32 v25, v19, v18
	v_pk_add_f32 v[28:29], v[18:19], v[24:25] neg_lo:[0,1] neg_hi:[0,1]
	v_mov_b32_e32 v27, v18
	v_pk_add_f32 v[18:19], v[28:29], v[26:27] neg_lo:[0,1] neg_hi:[0,1]
	v_cmp_eq_f32_e32 vcc, s10, v36
	v_add_f32_e32 v19, v22, v19
	v_add_f32_e32 v18, v18, v19
	;; [unrolled: 1-line block ×3, first 2 shown]
	v_mul_f32_e32 v22, v32, v19
	v_mul_f32_e32 v24, v31, v22
	v_fma_f32 v26, v22, v31, -v24
	v_fmac_f32_e32 v26, v22, v12
	v_sub_f32_e32 v12, v25, v19
	v_add_f32_e32 v12, v18, v12
	v_add_f32_e32 v18, v24, v26
	v_sub_f32_e32 v25, v19, v18
	v_pk_add_f32 v[28:29], v[18:19], v[24:25] neg_lo:[0,1] neg_hi:[0,1]
	v_mov_b32_e32 v27, v18
	v_pk_add_f32 v[18:19], v[28:29], v[26:27] neg_lo:[0,1] neg_hi:[0,1]
	scratch_load_dwordx2 v[26:27], off, off offset:164 ; 8-byte Folded Reload
	v_add_f32_e32 v12, v12, v19
	v_add_f32_e32 v12, v18, v12
	;; [unrolled: 1-line block ×4, first 2 shown]
	v_sub_f32_e32 v18, v19, v33
	v_mul_f32_e32 v12, v32, v12
	v_sub_f32_e32 v18, v22, v18
	v_add_f32_e32 v12, v18, v12
	v_add_f32_e32 v22, v19, v12
	v_mul_f32_e32 v24, v22, v22
	v_mov_b32_e32 v18, 0x3ecc95a3
	v_fmamk_f32 v18, v24, 0x3e9b6dac, v18
	s_waitcnt vmcnt(0)
	v_fmaak_f32 v27, v24, v18, 0x3f2aaada
	v_cvt_f32_i32_e32 v18, v30
	v_sub_f32_e32 v19, v22, v19
	v_sub_f32_e32 v12, v12, v19
	v_mul_f32_e32 v19, v22, v24
	v_ldexp_f32 v25, v22, 1
	v_ldexp_f32 v12, v12, 1
	s_or_b64 vcc, s[52:53], vcc
	v_mov_b32_e32 v22, v26
	v_pk_mul_f32 v[26:27], v[18:19], v[26:27]
	scratch_store_dwordx2 off, v[22:23], off offset:164 ; 8-byte Folded Spill
	v_fma_f32 v24, v18, s56, -v26
	v_fmac_f32_e32 v24, 0xb102e308, v18
	v_pk_add_f32 v[18:19], v[26:27], v[24:25]
	v_mov_b32_e32 v28, v26
	v_sub_f32_e32 v22, v19, v25
	v_sub_f32_e32 v22, v27, v22
	v_add_f32_e32 v29, v12, v22
	v_pk_add_f32 v[26:27], v[18:19], v[26:27] neg_lo:[0,1] neg_hi:[0,1]
	v_pk_add_f32 v[30:31], v[18:19], v[28:29]
	v_mov_b32_e32 v25, v18
	v_mov_b32_e32 v27, v31
	v_pk_add_f32 v[32:33], v[24:25], v[26:27] neg_lo:[0,1] neg_hi:[0,1]
	v_pk_add_f32 v[24:25], v[24:25], v[26:27]
	s_nop 0
	v_mov_b32_e32 v12, v25
	v_pk_add_f32 v[26:27], v[12:13], v[18:19] neg_lo:[0,1] neg_hi:[0,1]
	v_mov_b32_e32 v24, v31
	v_mov_b32_e32 v27, v26
	v_pk_add_f32 v[34:35], v[30:31], v[26:27] neg_lo:[0,1] neg_hi:[0,1]
	v_mov_b32_e32 v30, v19
	v_mov_b32_e32 v31, v26
	;; [unrolled: 1-line block ×3, first 2 shown]
	v_pk_add_f32 v[24:25], v[24:25], v[30:31] neg_lo:[0,1] neg_hi:[0,1]
	v_mov_b32_e32 v26, v29
	v_mov_b32_e32 v27, v18
	v_pk_add_f32 v[18:19], v[26:27], v[24:25] neg_lo:[0,1] neg_hi:[0,1]
	v_mov_b32_e32 v34, v32
	v_pk_add_f32 v[24:25], v[34:35], v[18:19]
	s_nop 0
	v_mov_b32_e32 v22, v25
	v_pk_add_f32 v[26:27], v[24:25], v[22:23]
	s_nop 0
	v_pk_add_f32 v[28:29], v[12:13], v[26:27]
	v_mov_b32_e32 v19, v26
	v_mov_b32_e32 v25, v28
	v_pk_add_f32 v[30:31], v[24:25], v[32:33] neg_lo:[0,1] neg_hi:[0,1]
	s_nop 0
	v_sub_f32_e32 v12, v24, v30
	v_pk_add_f32 v[18:19], v[18:19], v[30:31] neg_lo:[0,1] neg_hi:[0,1]
	v_sub_f32_e32 v12, v32, v12
	v_add_f32_e32 v12, v18, v12
	v_add_f32_e32 v12, v12, v19
	;; [unrolled: 1-line block ×3, first 2 shown]
	v_cndmask_b32_e32 v24, v12, v36, vcc
.LBB52_79:                              ;   in Loop: Header=BB52_13 Depth=1
	s_or_b64 exec, exec, s[54:55]
	v_lshlrev_b32_e32 v12, 16, v13
	v_readlane_b32 s0, v95, 2
	s_nop 1
	v_add_f32_e32 v25, s0, v12
	v_cmp_ge_f32_e32 vcc, s4, v25
	s_and_b64 s[0:1], s[6:7], vcc
	s_and_saveexec_b64 s[54:55], s[0:1]
	s_cbranch_execz .LBB52_81
; %bb.80:                               ;   in Loop: Header=BB52_13 Depth=1
	v_mul_f32_e32 v12, 0x3fb8aa3b, v25
	v_rndne_f32_e32 v18, v12
	v_sub_f32_e32 v19, v12, v18
	v_fma_f32 v12, v25, s5, -v12
	v_fmac_f32_e32 v12, 0x32a5705f, v25
	v_add_f32_e32 v12, v19, v12
	v_cvt_i32_f32_e32 v18, v18
	v_exp_f32_e32 v12, v12
	v_cmp_ngt_f32_e32 vcc, s8, v25
	v_ldexp_f32 v12, v12, v18
	s_nop 0
	v_cndmask_b32_e32 v12, 0, v12, vcc
	v_cmp_nlt_f32_e32 vcc, s9, v25
	s_nop 1
	v_cndmask_b32_e32 v38, v39, v12, vcc
	v_add_f32_e32 v12, 1.0, v38
	v_add_f32_e32 v18, -1.0, v12
	v_sub_f32_e32 v19, v18, v12
	v_add_f32_e32 v19, 1.0, v19
	v_sub_f32_e32 v18, v38, v18
	v_add_f32_e32 v22, v18, v19
	v_frexp_mant_f32_e32 v25, v12
	v_cvt_f64_f32_e32 v[18:19], v12
	v_frexp_exp_i32_f64_e32 v18, v[18:19]
	v_cmp_gt_f32_e32 vcc, s11, v25
	v_cmp_gt_f32_e64 s[52:53], s57, v38
	s_nop 0
	v_subbrev_co_u32_e32 v25, vcc, 0, v18, vcc
	v_sub_u32_e32 v18, 0, v25
	v_ldexp_f32 v12, v12, v18
	v_ldexp_f32 v18, v22, v18
	v_add_f32_e32 v22, -1.0, v12
	v_add_f32_e32 v19, 1.0, v22
	v_sub_f32_e32 v19, v12, v19
	v_add_f32_e32 v26, v18, v19
	v_add_f32_e32 v19, 1.0, v12
	v_add_f32_e32 v27, -1.0, v19
	v_sub_f32_e32 v12, v12, v27
	v_add_f32_e32 v12, v18, v12
	v_add_f32_e32 v32, v19, v12
	v_rcp_f32_e32 v33, v32
	v_sub_f32_e32 v18, v19, v32
	v_add_f32_e32 v19, v22, v26
	v_add_f32_e32 v12, v12, v18
	v_sub_f32_e32 v18, v22, v19
	v_mul_f32_e32 v34, v19, v33
	v_add_f32_e32 v22, v26, v18
	v_mul_f32_e32 v26, v32, v34
	v_fma_f32 v28, v34, v32, -v26
	v_fmac_f32_e32 v28, v34, v12
	v_add_f32_e32 v18, v26, v28
	v_sub_f32_e32 v27, v19, v18
	v_pk_add_f32 v[30:31], v[18:19], v[26:27] neg_lo:[0,1] neg_hi:[0,1]
	v_mov_b32_e32 v29, v18
	v_pk_add_f32 v[18:19], v[30:31], v[28:29] neg_lo:[0,1] neg_hi:[0,1]
	v_cmp_eq_f32_e32 vcc, s10, v38
	v_add_f32_e32 v19, v22, v19
	v_add_f32_e32 v18, v18, v19
	;; [unrolled: 1-line block ×3, first 2 shown]
	v_mul_f32_e32 v22, v33, v19
	v_mul_f32_e32 v26, v32, v22
	v_fma_f32 v28, v22, v32, -v26
	v_fmac_f32_e32 v28, v22, v12
	v_sub_f32_e32 v12, v27, v19
	v_add_f32_e32 v12, v18, v12
	v_add_f32_e32 v18, v26, v28
	v_sub_f32_e32 v27, v19, v18
	v_pk_add_f32 v[30:31], v[18:19], v[26:27] neg_lo:[0,1] neg_hi:[0,1]
	v_mov_b32_e32 v29, v18
	v_pk_add_f32 v[18:19], v[30:31], v[28:29] neg_lo:[0,1] neg_hi:[0,1]
	scratch_load_dwordx2 v[28:29], off, off offset:164 ; 8-byte Folded Reload
	v_add_f32_e32 v12, v12, v19
	v_add_f32_e32 v12, v18, v12
	;; [unrolled: 1-line block ×4, first 2 shown]
	v_sub_f32_e32 v18, v19, v34
	v_mul_f32_e32 v12, v33, v12
	v_sub_f32_e32 v18, v22, v18
	v_add_f32_e32 v12, v18, v12
	v_add_f32_e32 v22, v19, v12
	v_mul_f32_e32 v26, v22, v22
	v_mov_b32_e32 v18, 0x3ecc95a3
	v_fmamk_f32 v18, v26, 0x3e9b6dac, v18
	s_waitcnt vmcnt(0)
	v_fmaak_f32 v29, v26, v18, 0x3f2aaada
	v_cvt_f32_i32_e32 v18, v25
	v_sub_f32_e32 v19, v22, v19
	v_sub_f32_e32 v12, v12, v19
	v_mul_f32_e32 v19, v22, v26
	v_ldexp_f32 v27, v22, 1
	v_ldexp_f32 v12, v12, 1
	s_or_b64 vcc, s[52:53], vcc
	v_mov_b32_e32 v22, v28
	v_pk_mul_f32 v[28:29], v[18:19], v[28:29]
	scratch_store_dwordx2 off, v[22:23], off offset:164 ; 8-byte Folded Spill
	v_fma_f32 v26, v18, s56, -v28
	v_fmac_f32_e32 v26, 0xb102e308, v18
	v_pk_add_f32 v[18:19], v[28:29], v[26:27]
	v_mov_b32_e32 v30, v28
	v_sub_f32_e32 v22, v19, v27
	v_sub_f32_e32 v22, v29, v22
	v_add_f32_e32 v31, v12, v22
	v_pk_add_f32 v[28:29], v[18:19], v[28:29] neg_lo:[0,1] neg_hi:[0,1]
	v_pk_add_f32 v[32:33], v[18:19], v[30:31]
	v_mov_b32_e32 v27, v18
	v_mov_b32_e32 v29, v33
	v_pk_add_f32 v[34:35], v[26:27], v[28:29] neg_lo:[0,1] neg_hi:[0,1]
	v_pk_add_f32 v[26:27], v[26:27], v[28:29]
	s_nop 0
	v_mov_b32_e32 v12, v27
	v_pk_add_f32 v[28:29], v[12:13], v[18:19] neg_lo:[0,1] neg_hi:[0,1]
	v_mov_b32_e32 v26, v33
	v_mov_b32_e32 v25, v28
	v_pk_add_f32 v[36:37], v[32:33], v[24:25] neg_lo:[0,1] neg_hi:[0,1]
	v_mov_b32_e32 v32, v19
	v_mov_b32_e32 v33, v28
	;; [unrolled: 1-line block ×3, first 2 shown]
	v_pk_add_f32 v[26:27], v[26:27], v[32:33] neg_lo:[0,1] neg_hi:[0,1]
	v_mov_b32_e32 v28, v31
	v_mov_b32_e32 v29, v18
	v_pk_add_f32 v[18:19], v[28:29], v[26:27] neg_lo:[0,1] neg_hi:[0,1]
	v_mov_b32_e32 v36, v34
	v_pk_add_f32 v[26:27], v[36:37], v[18:19]
	s_nop 0
	v_mov_b32_e32 v22, v27
	v_pk_add_f32 v[28:29], v[26:27], v[22:23]
	s_nop 0
	v_pk_add_f32 v[30:31], v[12:13], v[28:29]
	v_mov_b32_e32 v19, v28
	v_mov_b32_e32 v27, v30
	v_pk_add_f32 v[32:33], v[26:27], v[34:35] neg_lo:[0,1] neg_hi:[0,1]
	s_nop 0
	v_sub_f32_e32 v12, v26, v32
	v_pk_add_f32 v[18:19], v[18:19], v[32:33] neg_lo:[0,1] neg_hi:[0,1]
	v_sub_f32_e32 v12, v34, v12
	v_add_f32_e32 v12, v18, v12
	v_add_f32_e32 v12, v12, v19
	;; [unrolled: 1-line block ×3, first 2 shown]
	v_cndmask_b32_e32 v25, v12, v38, vcc
.LBB52_81:                              ;   in Loop: Header=BB52_13 Depth=1
	s_or_b64 exec, exec, s[54:55]
	v_and_b32_e32 v12, 0xffff0000, v13
	v_readlane_b32 s0, v95, 2
	s_nop 1
	v_add_f32_e32 v18, s0, v12
	v_cmp_ge_f32_e32 vcc, s4, v18
	s_and_b64 s[0:1], s[6:7], vcc
	s_and_saveexec_b64 s[54:55], s[0:1]
	s_cbranch_execz .LBB52_83
; %bb.82:                               ;   in Loop: Header=BB52_13 Depth=1
	v_mul_f32_e32 v12, 0x3fb8aa3b, v18
	v_rndne_f32_e32 v13, v12
	v_sub_f32_e32 v19, v12, v13
	v_fma_f32 v12, v18, s5, -v12
	v_fmac_f32_e32 v12, 0x32a5705f, v18
	v_add_f32_e32 v12, v19, v12
	v_cvt_i32_f32_e32 v13, v13
	v_exp_f32_e32 v12, v12
	v_cmp_ngt_f32_e32 vcc, s8, v18
	v_ldexp_f32 v12, v12, v13
	s_nop 0
	v_cndmask_b32_e32 v12, 0, v12, vcc
	v_cmp_nlt_f32_e32 vcc, s9, v18
	s_nop 1
	v_cndmask_b32_e32 v36, v39, v12, vcc
	v_add_f32_e32 v18, 1.0, v36
	v_add_f32_e32 v12, -1.0, v18
	v_sub_f32_e32 v13, v12, v18
	v_add_f32_e32 v13, 1.0, v13
	v_sub_f32_e32 v12, v36, v12
	v_add_f32_e32 v19, v12, v13
	v_frexp_mant_f32_e32 v22, v18
	v_cvt_f64_f32_e32 v[12:13], v18
	v_frexp_exp_i32_f64_e32 v12, v[12:13]
	v_cmp_gt_f32_e32 vcc, s11, v22
	v_cmp_gt_f32_e64 s[52:53], s57, v36
	s_nop 0
	v_subbrev_co_u32_e32 v22, vcc, 0, v12, vcc
	v_sub_u32_e32 v12, 0, v22
	v_ldexp_f32 v13, v18, v12
	v_add_f32_e32 v18, -1.0, v13
	v_add_f32_e32 v26, 1.0, v13
	v_ldexp_f32 v12, v19, v12
	v_add_f32_e32 v19, 1.0, v18
	v_add_f32_e32 v27, -1.0, v26
	v_sub_f32_e32 v19, v13, v19
	v_sub_f32_e32 v13, v13, v27
	v_add_f32_e32 v19, v12, v19
	v_add_f32_e32 v12, v12, v13
	;; [unrolled: 1-line block ×3, first 2 shown]
	v_rcp_f32_e32 v32, v30
	v_sub_f32_e32 v13, v26, v30
	v_add_f32_e32 v31, v12, v13
	v_add_f32_e32 v13, v18, v19
	v_mul_f32_e32 v34, v13, v32
	v_sub_f32_e32 v12, v18, v13
	v_mul_f32_e32 v18, v30, v34
	v_fma_f32 v26, v34, v30, -v18
	v_fmac_f32_e32 v26, v34, v31
	v_add_f32_e32 v33, v19, v12
	v_add_f32_e32 v12, v18, v26
	v_sub_f32_e32 v19, v13, v12
	v_pk_add_f32 v[28:29], v[12:13], v[18:19] neg_lo:[0,1] neg_hi:[0,1]
	v_mov_b32_e32 v27, v12
	v_pk_add_f32 v[12:13], v[28:29], v[26:27] neg_lo:[0,1] neg_hi:[0,1]
	v_cmp_eq_f32_e32 vcc, s10, v36
	v_add_f32_e32 v13, v33, v13
	v_add_f32_e32 v12, v12, v13
	;; [unrolled: 1-line block ×3, first 2 shown]
	v_mul_f32_e32 v33, v32, v13
	v_mul_f32_e32 v18, v30, v33
	v_fma_f32 v26, v33, v30, -v18
	v_fmac_f32_e32 v26, v33, v31
	v_sub_f32_e32 v19, v19, v13
	v_add_f32_e32 v30, v12, v19
	v_add_f32_e32 v12, v18, v26
	v_sub_f32_e32 v19, v13, v12
	v_pk_add_f32 v[28:29], v[12:13], v[18:19] neg_lo:[0,1] neg_hi:[0,1]
	v_mov_b32_e32 v27, v12
	v_pk_add_f32 v[12:13], v[28:29], v[26:27] neg_lo:[0,1] neg_hi:[0,1]
	scratch_load_dwordx2 v[28:29], off, off offset:164 ; 8-byte Folded Reload
	v_add_f32_e32 v13, v30, v13
	v_add_f32_e32 v12, v12, v13
	;; [unrolled: 1-line block ×4, first 2 shown]
	v_sub_f32_e32 v18, v13, v34
	v_mul_f32_e32 v12, v32, v12
	v_sub_f32_e32 v18, v33, v18
	v_add_f32_e32 v18, v18, v12
	v_add_f32_e32 v26, v13, v18
	v_mul_f32_e32 v27, v26, v26
	v_mov_b32_e32 v12, 0x3ecc95a3
	v_fmamk_f32 v12, v27, 0x3e9b6dac, v12
	s_waitcnt vmcnt(0)
	v_fmaak_f32 v29, v27, v12, 0x3f2aaada
	v_cvt_f32_i32_e32 v12, v22
	v_sub_f32_e32 v13, v26, v13
	v_sub_f32_e32 v13, v18, v13
	v_ldexp_f32 v22, v13, 1
	v_mul_f32_e32 v13, v26, v27
	v_ldexp_f32 v19, v26, 1
	s_or_b64 vcc, s[52:53], vcc
	v_mov_b32_e32 v18, v28
	v_pk_mul_f32 v[26:27], v[12:13], v[28:29]
	scratch_store_dwordx2 off, v[18:19], off offset:164 ; 8-byte Folded Spill
	v_fma_f32 v18, v12, s56, -v26
	v_fmac_f32_e32 v18, 0xb102e308, v12
	v_pk_add_f32 v[12:13], v[26:27], v[18:19]
	v_mov_b32_e32 v28, v26
	v_sub_f32_e32 v19, v13, v19
	v_sub_f32_e32 v19, v27, v19
	v_add_f32_e32 v29, v22, v19
	v_pk_add_f32 v[26:27], v[12:13], v[26:27] neg_lo:[0,1] neg_hi:[0,1]
	v_pk_add_f32 v[30:31], v[12:13], v[28:29]
	v_mov_b32_e32 v19, v12
	v_mov_b32_e32 v27, v31
	v_pk_add_f32 v[32:33], v[18:19], v[26:27] neg_lo:[0,1] neg_hi:[0,1]
	v_pk_add_f32 v[18:19], v[18:19], v[26:27]
	s_nop 0
	v_mov_b32_e32 v22, v19
	v_pk_add_f32 v[26:27], v[22:23], v[12:13] neg_lo:[0,1] neg_hi:[0,1]
	v_mov_b32_e32 v18, v31
	v_mov_b32_e32 v27, v26
	v_pk_add_f32 v[34:35], v[30:31], v[26:27] neg_lo:[0,1] neg_hi:[0,1]
	v_mov_b32_e32 v30, v13
	v_mov_b32_e32 v31, v26
	;; [unrolled: 1-line block ×3, first 2 shown]
	v_pk_add_f32 v[18:19], v[18:19], v[30:31] neg_lo:[0,1] neg_hi:[0,1]
	v_mov_b32_e32 v26, v29
	v_mov_b32_e32 v27, v12
	v_pk_add_f32 v[12:13], v[26:27], v[18:19] neg_lo:[0,1] neg_hi:[0,1]
	v_mov_b32_e32 v34, v32
	v_pk_add_f32 v[18:19], v[34:35], v[12:13]
	s_nop 0
	v_mov_b32_e32 v26, v19
	v_pk_add_f32 v[26:27], v[18:19], v[26:27]
	s_nop 0
	v_pk_add_f32 v[28:29], v[22:23], v[26:27]
	v_mov_b32_e32 v13, v26
	v_mov_b32_e32 v19, v28
	v_pk_add_f32 v[30:31], v[18:19], v[32:33] neg_lo:[0,1] neg_hi:[0,1]
	s_nop 0
	v_sub_f32_e32 v18, v18, v30
	v_pk_add_f32 v[12:13], v[12:13], v[30:31] neg_lo:[0,1] neg_hi:[0,1]
	v_sub_f32_e32 v18, v32, v18
	v_add_f32_e32 v12, v12, v18
	v_add_f32_e32 v12, v12, v13
	;; [unrolled: 1-line block ×3, first 2 shown]
	v_cndmask_b32_e32 v18, v12, v36, vcc
.LBB52_83:                              ;   in Loop: Header=BB52_13 Depth=1
	s_or_b64 exec, exec, s[54:55]
	v_lshlrev_b32_e32 v12, 16, v14
	v_readlane_b32 s0, v95, 2
	s_nop 1
	v_add_f32_e32 v74, s0, v12
	v_cmp_ge_f32_e32 vcc, s4, v74
	s_and_b64 s[0:1], s[6:7], vcc
	s_and_saveexec_b64 s[54:55], s[0:1]
	s_cbranch_execz .LBB52_85
; %bb.84:                               ;   in Loop: Header=BB52_13 Depth=1
	v_mul_f32_e32 v12, 0x3fb8aa3b, v74
	v_rndne_f32_e32 v13, v12
	v_sub_f32_e32 v19, v12, v13
	v_fma_f32 v12, v74, s5, -v12
	v_fmac_f32_e32 v12, 0x32a5705f, v74
	v_add_f32_e32 v12, v19, v12
	v_cvt_i32_f32_e32 v13, v13
	v_exp_f32_e32 v12, v12
	v_cmp_ngt_f32_e32 vcc, s8, v74
	v_ldexp_f32 v12, v12, v13
	s_nop 0
	v_cndmask_b32_e32 v12, 0, v12, vcc
	v_cmp_nlt_f32_e32 vcc, s9, v74
	s_nop 1
	v_cndmask_b32_e32 v38, v39, v12, vcc
	v_add_f32_e32 v19, 1.0, v38
	v_add_f32_e32 v12, -1.0, v19
	v_sub_f32_e32 v13, v12, v19
	v_add_f32_e32 v13, 1.0, v13
	v_sub_f32_e32 v12, v38, v12
	v_add_f32_e32 v22, v12, v13
	v_frexp_mant_f32_e32 v26, v19
	v_cvt_f64_f32_e32 v[12:13], v19
	v_frexp_exp_i32_f64_e32 v12, v[12:13]
	v_cmp_gt_f32_e32 vcc, s11, v26
	v_cmp_gt_f32_e64 s[52:53], s57, v38
	s_nop 0
	v_subbrev_co_u32_e32 v32, vcc, 0, v12, vcc
	v_sub_u32_e32 v12, 0, v32
	v_ldexp_f32 v13, v19, v12
	v_add_f32_e32 v19, -1.0, v13
	v_add_f32_e32 v26, 1.0, v13
	v_ldexp_f32 v12, v22, v12
	v_add_f32_e32 v22, 1.0, v19
	v_add_f32_e32 v27, -1.0, v26
	v_sub_f32_e32 v22, v13, v22
	v_sub_f32_e32 v13, v13, v27
	v_add_f32_e32 v22, v12, v22
	v_add_f32_e32 v12, v12, v13
	;; [unrolled: 1-line block ×3, first 2 shown]
	v_rcp_f32_e32 v35, v33
	v_sub_f32_e32 v13, v26, v33
	v_add_f32_e32 v34, v12, v13
	v_add_f32_e32 v13, v19, v22
	v_sub_f32_e32 v12, v19, v13
	v_add_f32_e32 v19, v22, v12
	v_mul_f32_e32 v22, v13, v35
	v_mul_f32_e32 v26, v33, v22
	v_fma_f32 v28, v22, v33, -v26
	v_fmac_f32_e32 v28, v22, v34
	v_add_f32_e32 v12, v26, v28
	v_sub_f32_e32 v27, v13, v12
	v_pk_add_f32 v[30:31], v[12:13], v[26:27] neg_lo:[0,1] neg_hi:[0,1]
	v_mov_b32_e32 v29, v12
	v_pk_add_f32 v[12:13], v[30:31], v[28:29] neg_lo:[0,1] neg_hi:[0,1]
	v_cmp_eq_f32_e32 vcc, s10, v38
	v_add_f32_e32 v13, v19, v13
	v_add_f32_e32 v12, v12, v13
	;; [unrolled: 1-line block ×3, first 2 shown]
	v_mul_f32_e32 v19, v35, v13
	v_mul_f32_e32 v26, v33, v19
	v_fma_f32 v28, v19, v33, -v26
	v_fmac_f32_e32 v28, v19, v34
	v_sub_f32_e32 v27, v27, v13
	v_add_f32_e32 v33, v12, v27
	v_add_f32_e32 v12, v26, v28
	v_sub_f32_e32 v27, v13, v12
	v_pk_add_f32 v[30:31], v[12:13], v[26:27] neg_lo:[0,1] neg_hi:[0,1]
	v_mov_b32_e32 v29, v12
	v_pk_add_f32 v[12:13], v[30:31], v[28:29] neg_lo:[0,1] neg_hi:[0,1]
	scratch_load_dwordx2 v[28:29], off, off offset:164 ; 8-byte Folded Reload
	v_add_f32_e32 v13, v33, v13
	v_add_f32_e32 v12, v12, v13
	;; [unrolled: 1-line block ×4, first 2 shown]
	v_sub_f32_e32 v22, v13, v22
	v_mul_f32_e32 v12, v35, v12
	v_sub_f32_e32 v19, v19, v22
	v_add_f32_e32 v19, v19, v12
	v_add_f32_e32 v22, v13, v19
	v_mul_f32_e32 v26, v22, v22
	v_mov_b32_e32 v12, 0x3ecc95a3
	v_fmamk_f32 v12, v26, 0x3e9b6dac, v12
	s_waitcnt vmcnt(0)
	v_fmaak_f32 v29, v26, v12, 0x3f2aaada
	v_cvt_f32_i32_e32 v12, v32
	v_sub_f32_e32 v13, v22, v13
	v_sub_f32_e32 v13, v19, v13
	v_ldexp_f32 v19, v13, 1
	v_mul_f32_e32 v13, v22, v26
	v_ldexp_f32 v27, v22, 1
	s_or_b64 vcc, s[52:53], vcc
	v_mov_b32_e32 v22, v28
	v_pk_mul_f32 v[28:29], v[12:13], v[28:29]
	scratch_store_dwordx2 off, v[22:23], off offset:164 ; 8-byte Folded Spill
	v_fma_f32 v26, v12, s56, -v28
	v_fmac_f32_e32 v26, 0xb102e308, v12
	v_pk_add_f32 v[12:13], v[28:29], v[26:27]
	v_mov_b32_e32 v30, v28
	v_sub_f32_e32 v22, v13, v27
	v_sub_f32_e32 v22, v29, v22
	v_add_f32_e32 v31, v19, v22
	v_pk_add_f32 v[28:29], v[12:13], v[28:29] neg_lo:[0,1] neg_hi:[0,1]
	v_pk_add_f32 v[32:33], v[12:13], v[30:31]
	v_mov_b32_e32 v27, v12
	v_mov_b32_e32 v29, v33
	v_pk_add_f32 v[34:35], v[26:27], v[28:29] neg_lo:[0,1] neg_hi:[0,1]
	v_pk_add_f32 v[26:27], v[26:27], v[28:29]
	s_nop 0
	v_mov_b32_e32 v22, v27
	v_pk_add_f32 v[28:29], v[22:23], v[12:13] neg_lo:[0,1] neg_hi:[0,1]
	v_mov_b32_e32 v26, v33
	v_mov_b32_e32 v19, v28
	v_pk_add_f32 v[36:37], v[32:33], v[18:19] neg_lo:[0,1] neg_hi:[0,1]
	v_mov_b32_e32 v32, v13
	v_mov_b32_e32 v33, v28
	;; [unrolled: 1-line block ×3, first 2 shown]
	v_pk_add_f32 v[26:27], v[26:27], v[32:33] neg_lo:[0,1] neg_hi:[0,1]
	v_mov_b32_e32 v28, v31
	v_mov_b32_e32 v29, v12
	v_pk_add_f32 v[12:13], v[28:29], v[26:27] neg_lo:[0,1] neg_hi:[0,1]
	v_mov_b32_e32 v36, v34
	v_pk_add_f32 v[26:27], v[36:37], v[12:13]
	s_nop 0
	v_mov_b32_e32 v28, v27
	v_pk_add_f32 v[28:29], v[26:27], v[28:29]
	s_nop 0
	v_pk_add_f32 v[30:31], v[22:23], v[28:29]
	v_mov_b32_e32 v13, v28
	v_mov_b32_e32 v27, v30
	v_pk_add_f32 v[32:33], v[26:27], v[34:35] neg_lo:[0,1] neg_hi:[0,1]
	s_nop 0
	v_sub_f32_e32 v19, v26, v32
	v_pk_add_f32 v[12:13], v[12:13], v[32:33] neg_lo:[0,1] neg_hi:[0,1]
	v_sub_f32_e32 v19, v34, v19
	v_add_f32_e32 v12, v12, v19
	v_add_f32_e32 v12, v12, v13
	v_add_f32_e32 v12, v30, v12
	v_cndmask_b32_e32 v74, v12, v38, vcc
.LBB52_85:                              ;   in Loop: Header=BB52_13 Depth=1
	s_or_b64 exec, exec, s[54:55]
	v_and_b32_e32 v12, 0xffff0000, v14
	v_readlane_b32 s0, v95, 2
	s_nop 1
	v_add_f32_e32 v92, s0, v12
	v_cmp_ge_f32_e32 vcc, s4, v92
	s_and_b64 s[0:1], s[6:7], vcc
	s_and_saveexec_b64 s[54:55], s[0:1]
	s_cbranch_execz .LBB52_87
; %bb.86:                               ;   in Loop: Header=BB52_13 Depth=1
	v_mul_f32_e32 v12, 0x3fb8aa3b, v92
	v_rndne_f32_e32 v13, v12
	v_sub_f32_e32 v14, v12, v13
	v_fma_f32 v12, v92, s5, -v12
	v_fmac_f32_e32 v12, 0x32a5705f, v92
	v_add_f32_e32 v12, v14, v12
	v_cvt_i32_f32_e32 v13, v13
	v_exp_f32_e32 v12, v12
	v_cmp_ngt_f32_e32 vcc, s8, v92
	v_ldexp_f32 v12, v12, v13
	s_nop 0
	v_cndmask_b32_e32 v12, 0, v12, vcc
	v_cmp_nlt_f32_e32 vcc, s9, v92
	s_nop 1
	v_cndmask_b32_e32 v38, v39, v12, vcc
	v_add_f32_e32 v14, 1.0, v38
	v_add_f32_e32 v12, -1.0, v14
	v_sub_f32_e32 v13, v12, v14
	v_add_f32_e32 v13, 1.0, v13
	v_sub_f32_e32 v12, v38, v12
	v_add_f32_e32 v19, v12, v13
	v_frexp_mant_f32_e32 v22, v14
	v_cvt_f64_f32_e32 v[12:13], v14
	v_frexp_exp_i32_f64_e32 v12, v[12:13]
	v_cmp_gt_f32_e32 vcc, s11, v22
	v_cmp_gt_f32_e64 s[52:53], s57, v38
	s_nop 0
	v_subbrev_co_u32_e32 v22, vcc, 0, v12, vcc
	v_sub_u32_e32 v12, 0, v22
	v_ldexp_f32 v13, v14, v12
	v_add_f32_e32 v14, -1.0, v13
	v_add_f32_e32 v26, 1.0, v13
	v_ldexp_f32 v12, v19, v12
	v_add_f32_e32 v19, 1.0, v14
	v_add_f32_e32 v27, -1.0, v26
	v_sub_f32_e32 v19, v13, v19
	v_sub_f32_e32 v13, v13, v27
	v_add_f32_e32 v19, v12, v19
	v_add_f32_e32 v12, v12, v13
	;; [unrolled: 1-line block ×3, first 2 shown]
	v_rcp_f32_e32 v34, v32
	v_sub_f32_e32 v13, v26, v32
	v_add_f32_e32 v33, v12, v13
	v_add_f32_e32 v13, v14, v19
	v_sub_f32_e32 v12, v14, v13
	v_add_f32_e32 v14, v19, v12
	v_mul_f32_e32 v19, v13, v34
	v_mul_f32_e32 v26, v32, v19
	v_fma_f32 v28, v19, v32, -v26
	v_fmac_f32_e32 v28, v19, v33
	v_add_f32_e32 v12, v26, v28
	v_sub_f32_e32 v27, v13, v12
	v_pk_add_f32 v[30:31], v[12:13], v[26:27] neg_lo:[0,1] neg_hi:[0,1]
	v_mov_b32_e32 v29, v12
	v_pk_add_f32 v[12:13], v[30:31], v[28:29] neg_lo:[0,1] neg_hi:[0,1]
	v_cmp_eq_f32_e32 vcc, s10, v38
	v_add_f32_e32 v13, v14, v13
	v_add_f32_e32 v12, v12, v13
	;; [unrolled: 1-line block ×3, first 2 shown]
	v_mul_f32_e32 v14, v34, v13
	v_mul_f32_e32 v26, v32, v14
	v_fma_f32 v28, v14, v32, -v26
	v_fmac_f32_e32 v28, v14, v33
	v_sub_f32_e32 v27, v27, v13
	v_add_f32_e32 v32, v12, v27
	v_add_f32_e32 v12, v26, v28
	v_sub_f32_e32 v27, v13, v12
	v_pk_add_f32 v[30:31], v[12:13], v[26:27] neg_lo:[0,1] neg_hi:[0,1]
	v_mov_b32_e32 v29, v12
	v_pk_add_f32 v[12:13], v[30:31], v[28:29] neg_lo:[0,1] neg_hi:[0,1]
	scratch_load_dwordx2 v[28:29], off, off offset:164 ; 8-byte Folded Reload
	v_add_f32_e32 v13, v32, v13
	v_add_f32_e32 v12, v12, v13
	;; [unrolled: 1-line block ×4, first 2 shown]
	v_sub_f32_e32 v19, v13, v19
	v_mul_f32_e32 v12, v34, v12
	v_sub_f32_e32 v14, v14, v19
	v_add_f32_e32 v14, v14, v12
	v_add_f32_e32 v19, v13, v14
	v_mul_f32_e32 v26, v19, v19
	v_mov_b32_e32 v12, 0x3ecc95a3
	v_fmamk_f32 v12, v26, 0x3e9b6dac, v12
	s_waitcnt vmcnt(0)
	v_fmaak_f32 v29, v26, v12, 0x3f2aaada
	v_cvt_f32_i32_e32 v12, v22
	v_sub_f32_e32 v13, v19, v13
	v_sub_f32_e32 v13, v14, v13
	v_ldexp_f32 v14, v13, 1
	v_mul_f32_e32 v13, v19, v26
	v_ldexp_f32 v27, v19, 1
	s_or_b64 vcc, s[52:53], vcc
	v_mov_b32_e32 v22, v28
	v_pk_mul_f32 v[28:29], v[12:13], v[28:29]
	scratch_store_dwordx2 off, v[22:23], off offset:164 ; 8-byte Folded Spill
	v_fma_f32 v26, v12, s56, -v28
	v_fmac_f32_e32 v26, 0xb102e308, v12
	v_pk_add_f32 v[12:13], v[28:29], v[26:27]
	v_mov_b32_e32 v30, v28
	v_sub_f32_e32 v19, v13, v27
	v_sub_f32_e32 v19, v29, v19
	v_add_f32_e32 v31, v14, v19
	v_pk_add_f32 v[28:29], v[12:13], v[28:29] neg_lo:[0,1] neg_hi:[0,1]
	v_pk_add_f32 v[32:33], v[12:13], v[30:31]
	v_mov_b32_e32 v27, v12
	v_mov_b32_e32 v29, v33
	v_pk_add_f32 v[34:35], v[26:27], v[28:29] neg_lo:[0,1] neg_hi:[0,1]
	v_pk_add_f32 v[26:27], v[26:27], v[28:29]
	s_nop 0
	v_mov_b32_e32 v14, v27
	v_pk_add_f32 v[28:29], v[14:15], v[12:13] neg_lo:[0,1] neg_hi:[0,1]
	v_mov_b32_e32 v26, v33
	v_mov_b32_e32 v19, v28
	v_pk_add_f32 v[36:37], v[32:33], v[18:19] neg_lo:[0,1] neg_hi:[0,1]
	v_mov_b32_e32 v32, v13
	v_mov_b32_e32 v33, v28
	;; [unrolled: 1-line block ×3, first 2 shown]
	v_pk_add_f32 v[26:27], v[26:27], v[32:33] neg_lo:[0,1] neg_hi:[0,1]
	v_mov_b32_e32 v28, v31
	v_mov_b32_e32 v29, v12
	v_pk_add_f32 v[12:13], v[28:29], v[26:27] neg_lo:[0,1] neg_hi:[0,1]
	v_mov_b32_e32 v36, v34
	v_pk_add_f32 v[26:27], v[36:37], v[12:13]
	s_nop 0
	v_mov_b32_e32 v22, v27
	v_pk_add_f32 v[28:29], v[26:27], v[22:23]
	s_nop 0
	v_pk_add_f32 v[30:31], v[14:15], v[28:29]
	v_mov_b32_e32 v13, v28
	v_mov_b32_e32 v27, v30
	v_pk_add_f32 v[32:33], v[26:27], v[34:35] neg_lo:[0,1] neg_hi:[0,1]
	s_nop 0
	v_sub_f32_e32 v14, v26, v32
	v_pk_add_f32 v[12:13], v[12:13], v[32:33] neg_lo:[0,1] neg_hi:[0,1]
	v_sub_f32_e32 v14, v34, v14
	v_add_f32_e32 v12, v12, v14
	v_add_f32_e32 v12, v12, v13
	;; [unrolled: 1-line block ×3, first 2 shown]
	v_cndmask_b32_e32 v92, v12, v38, vcc
.LBB52_87:                              ;   in Loop: Header=BB52_13 Depth=1
	s_or_b64 exec, exec, s[54:55]
	v_lshlrev_b32_e32 v12, 16, v15
	v_readlane_b32 s0, v95, 2
	s_nop 1
	v_add_f32_e32 v93, s0, v12
	v_cmp_ge_f32_e32 vcc, s4, v93
	s_and_b64 s[0:1], s[6:7], vcc
	s_and_saveexec_b64 s[54:55], s[0:1]
	s_cbranch_execz .LBB52_89
; %bb.88:                               ;   in Loop: Header=BB52_13 Depth=1
	v_mul_f32_e32 v12, 0x3fb8aa3b, v93
	v_rndne_f32_e32 v13, v12
	v_sub_f32_e32 v14, v12, v13
	v_fma_f32 v12, v93, s5, -v12
	v_fmac_f32_e32 v12, 0x32a5705f, v93
	v_add_f32_e32 v12, v14, v12
	v_cvt_i32_f32_e32 v13, v13
	v_exp_f32_e32 v12, v12
	v_cmp_ngt_f32_e32 vcc, s8, v93
	v_ldexp_f32 v12, v12, v13
	s_nop 0
	v_cndmask_b32_e32 v12, 0, v12, vcc
	v_cmp_nlt_f32_e32 vcc, s9, v93
	s_nop 1
	v_cndmask_b32_e32 v38, v39, v12, vcc
	v_add_f32_e32 v14, 1.0, v38
	v_add_f32_e32 v12, -1.0, v14
	v_sub_f32_e32 v13, v12, v14
	v_add_f32_e32 v13, 1.0, v13
	v_sub_f32_e32 v12, v38, v12
	v_add_f32_e32 v19, v12, v13
	v_frexp_mant_f32_e32 v22, v14
	v_cvt_f64_f32_e32 v[12:13], v14
	v_frexp_exp_i32_f64_e32 v12, v[12:13]
	v_cmp_gt_f32_e32 vcc, s11, v22
	v_cmp_gt_f32_e64 s[52:53], s57, v38
	s_nop 0
	v_subbrev_co_u32_e32 v22, vcc, 0, v12, vcc
	v_sub_u32_e32 v12, 0, v22
	v_ldexp_f32 v13, v14, v12
	v_add_f32_e32 v14, -1.0, v13
	v_add_f32_e32 v26, 1.0, v13
	v_ldexp_f32 v12, v19, v12
	v_add_f32_e32 v19, 1.0, v14
	v_add_f32_e32 v27, -1.0, v26
	v_sub_f32_e32 v19, v13, v19
	v_sub_f32_e32 v13, v13, v27
	v_add_f32_e32 v19, v12, v19
	v_add_f32_e32 v12, v12, v13
	;; [unrolled: 1-line block ×3, first 2 shown]
	v_rcp_f32_e32 v34, v32
	v_sub_f32_e32 v13, v26, v32
	v_add_f32_e32 v33, v12, v13
	v_add_f32_e32 v13, v14, v19
	v_sub_f32_e32 v12, v14, v13
	v_add_f32_e32 v14, v19, v12
	v_mul_f32_e32 v19, v13, v34
	v_mul_f32_e32 v26, v32, v19
	v_fma_f32 v28, v19, v32, -v26
	v_fmac_f32_e32 v28, v19, v33
	v_add_f32_e32 v12, v26, v28
	v_sub_f32_e32 v27, v13, v12
	v_pk_add_f32 v[30:31], v[12:13], v[26:27] neg_lo:[0,1] neg_hi:[0,1]
	v_mov_b32_e32 v29, v12
	v_pk_add_f32 v[12:13], v[30:31], v[28:29] neg_lo:[0,1] neg_hi:[0,1]
	v_cmp_eq_f32_e32 vcc, s10, v38
	v_add_f32_e32 v13, v14, v13
	v_add_f32_e32 v12, v12, v13
	;; [unrolled: 1-line block ×3, first 2 shown]
	v_mul_f32_e32 v14, v34, v13
	v_mul_f32_e32 v26, v32, v14
	v_fma_f32 v28, v14, v32, -v26
	v_fmac_f32_e32 v28, v14, v33
	v_sub_f32_e32 v27, v27, v13
	v_add_f32_e32 v32, v12, v27
	v_add_f32_e32 v12, v26, v28
	v_sub_f32_e32 v27, v13, v12
	v_pk_add_f32 v[30:31], v[12:13], v[26:27] neg_lo:[0,1] neg_hi:[0,1]
	v_mov_b32_e32 v29, v12
	v_pk_add_f32 v[12:13], v[30:31], v[28:29] neg_lo:[0,1] neg_hi:[0,1]
	scratch_load_dwordx2 v[28:29], off, off offset:164 ; 8-byte Folded Reload
	v_add_f32_e32 v13, v32, v13
	v_add_f32_e32 v12, v12, v13
	;; [unrolled: 1-line block ×4, first 2 shown]
	v_sub_f32_e32 v19, v13, v19
	v_mul_f32_e32 v12, v34, v12
	v_sub_f32_e32 v14, v14, v19
	v_add_f32_e32 v14, v14, v12
	v_add_f32_e32 v19, v13, v14
	v_mul_f32_e32 v26, v19, v19
	v_mov_b32_e32 v12, 0x3ecc95a3
	v_fmamk_f32 v12, v26, 0x3e9b6dac, v12
	s_waitcnt vmcnt(0)
	v_fmaak_f32 v29, v26, v12, 0x3f2aaada
	v_cvt_f32_i32_e32 v12, v22
	v_sub_f32_e32 v13, v19, v13
	v_sub_f32_e32 v13, v14, v13
	v_ldexp_f32 v14, v13, 1
	v_mul_f32_e32 v13, v19, v26
	v_ldexp_f32 v27, v19, 1
	s_or_b64 vcc, s[52:53], vcc
	v_mov_b32_e32 v22, v28
	v_pk_mul_f32 v[28:29], v[12:13], v[28:29]
	scratch_store_dwordx2 off, v[22:23], off offset:164 ; 8-byte Folded Spill
	v_fma_f32 v26, v12, s56, -v28
	v_fmac_f32_e32 v26, 0xb102e308, v12
	v_pk_add_f32 v[12:13], v[28:29], v[26:27]
	v_mov_b32_e32 v30, v28
	v_sub_f32_e32 v19, v13, v27
	v_sub_f32_e32 v19, v29, v19
	v_add_f32_e32 v31, v14, v19
	v_pk_add_f32 v[28:29], v[12:13], v[28:29] neg_lo:[0,1] neg_hi:[0,1]
	v_pk_add_f32 v[32:33], v[12:13], v[30:31]
	v_mov_b32_e32 v27, v12
	v_mov_b32_e32 v29, v33
	v_pk_add_f32 v[34:35], v[26:27], v[28:29] neg_lo:[0,1] neg_hi:[0,1]
	v_pk_add_f32 v[26:27], v[26:27], v[28:29]
	s_nop 0
	v_mov_b32_e32 v14, v27
	v_pk_add_f32 v[28:29], v[14:15], v[12:13] neg_lo:[0,1] neg_hi:[0,1]
	v_mov_b32_e32 v26, v33
	v_mov_b32_e32 v19, v28
	v_pk_add_f32 v[36:37], v[32:33], v[18:19] neg_lo:[0,1] neg_hi:[0,1]
	v_mov_b32_e32 v32, v13
	v_mov_b32_e32 v33, v28
	;; [unrolled: 1-line block ×3, first 2 shown]
	v_pk_add_f32 v[26:27], v[26:27], v[32:33] neg_lo:[0,1] neg_hi:[0,1]
	v_mov_b32_e32 v28, v31
	v_mov_b32_e32 v29, v12
	v_pk_add_f32 v[12:13], v[28:29], v[26:27] neg_lo:[0,1] neg_hi:[0,1]
	v_mov_b32_e32 v36, v34
	v_pk_add_f32 v[26:27], v[36:37], v[12:13]
	s_nop 0
	v_mov_b32_e32 v22, v27
	v_pk_add_f32 v[28:29], v[26:27], v[22:23]
	s_nop 0
	v_pk_add_f32 v[30:31], v[14:15], v[28:29]
	v_mov_b32_e32 v13, v28
	v_mov_b32_e32 v27, v30
	v_pk_add_f32 v[32:33], v[26:27], v[34:35] neg_lo:[0,1] neg_hi:[0,1]
	s_nop 0
	v_sub_f32_e32 v14, v26, v32
	v_pk_add_f32 v[12:13], v[12:13], v[32:33] neg_lo:[0,1] neg_hi:[0,1]
	v_sub_f32_e32 v14, v34, v14
	v_add_f32_e32 v12, v12, v14
	v_add_f32_e32 v12, v12, v13
	;; [unrolled: 1-line block ×3, first 2 shown]
	v_cndmask_b32_e32 v93, v12, v38, vcc
.LBB52_89:                              ;   in Loop: Header=BB52_13 Depth=1
	s_or_b64 exec, exec, s[54:55]
	v_and_b32_e32 v12, 0xffff0000, v15
	v_readlane_b32 s0, v95, 2
	s_nop 1
	v_add_f32_e32 v94, s0, v12
	v_cmp_ge_f32_e32 vcc, s4, v94
	s_and_b64 s[0:1], s[6:7], vcc
	s_and_saveexec_b64 s[54:55], s[0:1]
	s_cbranch_execz .LBB52_91
; %bb.90:                               ;   in Loop: Header=BB52_13 Depth=1
	v_mul_f32_e32 v12, 0x3fb8aa3b, v94
	v_rndne_f32_e32 v13, v12
	v_sub_f32_e32 v14, v12, v13
	v_fma_f32 v12, v94, s5, -v12
	v_fmac_f32_e32 v12, 0x32a5705f, v94
	v_add_f32_e32 v12, v14, v12
	v_cvt_i32_f32_e32 v13, v13
	v_exp_f32_e32 v12, v12
	v_cmp_ngt_f32_e32 vcc, s8, v94
	v_ldexp_f32 v12, v12, v13
	s_nop 0
	v_cndmask_b32_e32 v12, 0, v12, vcc
	v_cmp_nlt_f32_e32 vcc, s9, v94
	s_nop 1
	v_cndmask_b32_e32 v36, v39, v12, vcc
	v_add_f32_e32 v14, 1.0, v36
	v_add_f32_e32 v12, -1.0, v14
	v_sub_f32_e32 v13, v12, v14
	v_add_f32_e32 v13, 1.0, v13
	v_sub_f32_e32 v12, v36, v12
	v_add_f32_e32 v15, v12, v13
	v_frexp_mant_f32_e32 v19, v14
	v_cvt_f64_f32_e32 v[12:13], v14
	v_frexp_exp_i32_f64_e32 v12, v[12:13]
	v_cmp_gt_f32_e32 vcc, s11, v19
	v_cmp_gt_f32_e64 s[52:53], s57, v36
	s_nop 0
	v_subbrev_co_u32_e32 v19, vcc, 0, v12, vcc
	v_sub_u32_e32 v12, 0, v19
	v_ldexp_f32 v13, v14, v12
	v_add_f32_e32 v14, -1.0, v13
	v_add_f32_e32 v22, 1.0, v13
	v_ldexp_f32 v12, v15, v12
	v_add_f32_e32 v15, 1.0, v14
	v_add_f32_e32 v26, -1.0, v22
	v_sub_f32_e32 v15, v13, v15
	v_sub_f32_e32 v13, v13, v26
	v_add_f32_e32 v15, v12, v15
	v_add_f32_e32 v12, v12, v13
	;; [unrolled: 1-line block ×3, first 2 shown]
	v_rcp_f32_e32 v31, v30
	v_sub_f32_e32 v13, v22, v30
	v_add_f32_e32 v22, v12, v13
	v_add_f32_e32 v13, v14, v15
	v_mul_f32_e32 v33, v13, v31
	v_sub_f32_e32 v12, v14, v13
	v_mul_f32_e32 v14, v30, v33
	v_fma_f32 v26, v33, v30, -v14
	v_fmac_f32_e32 v26, v33, v22
	v_add_f32_e32 v32, v15, v12
	v_add_f32_e32 v12, v14, v26
	v_sub_f32_e32 v15, v13, v12
	v_pk_add_f32 v[28:29], v[12:13], v[14:15] neg_lo:[0,1] neg_hi:[0,1]
	v_mov_b32_e32 v27, v12
	v_pk_add_f32 v[12:13], v[28:29], v[26:27] neg_lo:[0,1] neg_hi:[0,1]
	v_cmp_eq_f32_e32 vcc, s10, v36
	v_add_f32_e32 v13, v32, v13
	v_add_f32_e32 v12, v12, v13
	;; [unrolled: 1-line block ×3, first 2 shown]
	v_mul_f32_e32 v32, v31, v13
	v_mul_f32_e32 v14, v30, v32
	v_fma_f32 v26, v32, v30, -v14
	v_fmac_f32_e32 v26, v32, v22
	v_sub_f32_e32 v15, v15, v13
	v_add_f32_e32 v22, v12, v15
	v_add_f32_e32 v12, v14, v26
	v_sub_f32_e32 v15, v13, v12
	v_pk_add_f32 v[28:29], v[12:13], v[14:15] neg_lo:[0,1] neg_hi:[0,1]
	v_mov_b32_e32 v27, v12
	v_pk_add_f32 v[12:13], v[28:29], v[26:27] neg_lo:[0,1] neg_hi:[0,1]
	scratch_load_dwordx2 v[28:29], off, off offset:164 ; 8-byte Folded Reload
	v_add_f32_e32 v13, v22, v13
	v_add_f32_e32 v12, v12, v13
	;; [unrolled: 1-line block ×4, first 2 shown]
	v_sub_f32_e32 v14, v13, v33
	v_mul_f32_e32 v12, v31, v12
	v_sub_f32_e32 v14, v32, v14
	v_add_f32_e32 v14, v14, v12
	v_add_f32_e32 v22, v13, v14
	v_mul_f32_e32 v26, v22, v22
	v_mov_b32_e32 v12, 0x3ecc95a3
	v_fmamk_f32 v12, v26, 0x3e9b6dac, v12
	s_waitcnt vmcnt(0)
	v_fmaak_f32 v29, v26, v12, 0x3f2aaada
	v_cvt_f32_i32_e32 v12, v19
	v_sub_f32_e32 v13, v22, v13
	v_sub_f32_e32 v13, v14, v13
	v_ldexp_f32 v19, v13, 1
	v_mul_f32_e32 v13, v22, v26
	v_ldexp_f32 v15, v22, 1
	s_or_b64 vcc, s[52:53], vcc
	v_mov_b32_e32 v14, v28
	v_pk_mul_f32 v[26:27], v[12:13], v[28:29]
	scratch_store_dwordx2 off, v[14:15], off offset:164 ; 8-byte Folded Spill
	v_fma_f32 v14, v12, s56, -v26
	v_fmac_f32_e32 v14, 0xb102e308, v12
	v_pk_add_f32 v[12:13], v[26:27], v[14:15]
	v_mov_b32_e32 v28, v26
	v_sub_f32_e32 v15, v13, v15
	v_sub_f32_e32 v15, v27, v15
	v_add_f32_e32 v29, v19, v15
	v_pk_add_f32 v[26:27], v[12:13], v[26:27] neg_lo:[0,1] neg_hi:[0,1]
	v_pk_add_f32 v[30:31], v[12:13], v[28:29]
	v_mov_b32_e32 v15, v12
	v_mov_b32_e32 v27, v31
	v_pk_add_f32 v[32:33], v[14:15], v[26:27] neg_lo:[0,1] neg_hi:[0,1]
	v_pk_add_f32 v[14:15], v[14:15], v[26:27]
	s_nop 0
	v_mov_b32_e32 v22, v15
	v_pk_add_f32 v[26:27], v[22:23], v[12:13] neg_lo:[0,1] neg_hi:[0,1]
	v_mov_b32_e32 v14, v31
	v_mov_b32_e32 v19, v26
	v_pk_add_f32 v[34:35], v[30:31], v[18:19] neg_lo:[0,1] neg_hi:[0,1]
	v_mov_b32_e32 v30, v13
	v_mov_b32_e32 v31, v26
	;; [unrolled: 1-line block ×3, first 2 shown]
	v_pk_add_f32 v[14:15], v[14:15], v[30:31] neg_lo:[0,1] neg_hi:[0,1]
	v_mov_b32_e32 v26, v29
	v_mov_b32_e32 v27, v12
	v_pk_add_f32 v[12:13], v[26:27], v[14:15] neg_lo:[0,1] neg_hi:[0,1]
	v_mov_b32_e32 v34, v32
	v_pk_add_f32 v[14:15], v[34:35], v[12:13]
	s_nop 0
	v_mov_b32_e32 v26, v15
	v_pk_add_f32 v[26:27], v[14:15], v[26:27]
	s_nop 0
	v_pk_add_f32 v[28:29], v[22:23], v[26:27]
	v_mov_b32_e32 v13, v26
	v_mov_b32_e32 v15, v28
	v_pk_add_f32 v[30:31], v[14:15], v[32:33] neg_lo:[0,1] neg_hi:[0,1]
	s_nop 0
	v_sub_f32_e32 v14, v14, v30
	v_pk_add_f32 v[12:13], v[12:13], v[30:31] neg_lo:[0,1] neg_hi:[0,1]
	v_sub_f32_e32 v14, v32, v14
	v_add_f32_e32 v12, v12, v14
	v_add_f32_e32 v12, v12, v13
	v_add_f32_e32 v12, v28, v12
	v_cndmask_b32_e32 v94, v12, v36, vcc
.LBB52_91:                              ;   in Loop: Header=BB52_13 Depth=1
	s_or_b64 exec, exec, s[54:55]
	s_waitcnt lgkmcnt(0)
	v_lshlrev_b32_e32 v12, 16, v8
	v_readlane_b32 s0, v95, 2
	s_nop 1
	v_add_f32_e32 v60, s0, v12
	v_cmp_ge_f32_e32 vcc, s4, v60
	s_and_b64 s[0:1], s[6:7], vcc
	s_and_saveexec_b64 s[54:55], s[0:1]
	s_cbranch_execz .LBB52_93
; %bb.92:                               ;   in Loop: Header=BB52_13 Depth=1
	v_mul_f32_e32 v12, 0x3fb8aa3b, v60
	v_rndne_f32_e32 v13, v12
	v_sub_f32_e32 v14, v12, v13
	v_fma_f32 v12, v60, s5, -v12
	v_fmac_f32_e32 v12, 0x32a5705f, v60
	v_add_f32_e32 v12, v14, v12
	v_cvt_i32_f32_e32 v13, v13
	v_exp_f32_e32 v12, v12
	v_cmp_ngt_f32_e32 vcc, s8, v60
	v_ldexp_f32 v12, v12, v13
	s_nop 0
	v_cndmask_b32_e32 v12, 0, v12, vcc
	v_cmp_nlt_f32_e32 vcc, s9, v60
	s_nop 1
	v_cndmask_b32_e32 v36, v39, v12, vcc
	v_add_f32_e32 v14, 1.0, v36
	v_add_f32_e32 v12, -1.0, v14
	v_sub_f32_e32 v13, v12, v14
	v_add_f32_e32 v13, 1.0, v13
	v_sub_f32_e32 v12, v36, v12
	v_add_f32_e32 v15, v12, v13
	v_frexp_mant_f32_e32 v19, v14
	v_cvt_f64_f32_e32 v[12:13], v14
	v_frexp_exp_i32_f64_e32 v12, v[12:13]
	v_cmp_gt_f32_e32 vcc, s11, v19
	v_cmp_gt_f32_e64 s[52:53], s57, v36
	s_nop 0
	v_subbrev_co_u32_e32 v19, vcc, 0, v12, vcc
	v_sub_u32_e32 v12, 0, v19
	v_ldexp_f32 v13, v14, v12
	v_add_f32_e32 v14, -1.0, v13
	v_add_f32_e32 v22, 1.0, v13
	v_ldexp_f32 v12, v15, v12
	v_add_f32_e32 v15, 1.0, v14
	v_add_f32_e32 v26, -1.0, v22
	v_sub_f32_e32 v15, v13, v15
	v_sub_f32_e32 v13, v13, v26
	v_add_f32_e32 v15, v12, v15
	v_add_f32_e32 v12, v12, v13
	;; [unrolled: 1-line block ×3, first 2 shown]
	v_rcp_f32_e32 v31, v30
	v_sub_f32_e32 v13, v22, v30
	v_add_f32_e32 v22, v12, v13
	v_add_f32_e32 v13, v14, v15
	v_mul_f32_e32 v33, v13, v31
	v_sub_f32_e32 v12, v14, v13
	v_mul_f32_e32 v14, v30, v33
	v_fma_f32 v26, v33, v30, -v14
	v_fmac_f32_e32 v26, v33, v22
	v_add_f32_e32 v32, v15, v12
	v_add_f32_e32 v12, v14, v26
	v_sub_f32_e32 v15, v13, v12
	v_pk_add_f32 v[28:29], v[12:13], v[14:15] neg_lo:[0,1] neg_hi:[0,1]
	v_mov_b32_e32 v27, v12
	v_pk_add_f32 v[12:13], v[28:29], v[26:27] neg_lo:[0,1] neg_hi:[0,1]
	v_cmp_eq_f32_e32 vcc, s10, v36
	v_add_f32_e32 v13, v32, v13
	v_add_f32_e32 v12, v12, v13
	;; [unrolled: 1-line block ×3, first 2 shown]
	v_mul_f32_e32 v32, v31, v13
	v_mul_f32_e32 v14, v30, v32
	v_fma_f32 v26, v32, v30, -v14
	v_fmac_f32_e32 v26, v32, v22
	v_sub_f32_e32 v15, v15, v13
	v_add_f32_e32 v22, v12, v15
	v_add_f32_e32 v12, v14, v26
	v_sub_f32_e32 v15, v13, v12
	v_pk_add_f32 v[28:29], v[12:13], v[14:15] neg_lo:[0,1] neg_hi:[0,1]
	v_mov_b32_e32 v27, v12
	v_pk_add_f32 v[12:13], v[28:29], v[26:27] neg_lo:[0,1] neg_hi:[0,1]
	scratch_load_dwordx2 v[28:29], off, off offset:164 ; 8-byte Folded Reload
	v_add_f32_e32 v13, v22, v13
	v_add_f32_e32 v12, v12, v13
	;; [unrolled: 1-line block ×4, first 2 shown]
	v_sub_f32_e32 v14, v13, v33
	v_mul_f32_e32 v12, v31, v12
	v_sub_f32_e32 v14, v32, v14
	v_add_f32_e32 v14, v14, v12
	v_add_f32_e32 v22, v13, v14
	v_mul_f32_e32 v26, v22, v22
	v_mov_b32_e32 v12, 0x3ecc95a3
	v_fmamk_f32 v12, v26, 0x3e9b6dac, v12
	s_waitcnt vmcnt(0)
	v_fmaak_f32 v29, v26, v12, 0x3f2aaada
	v_cvt_f32_i32_e32 v12, v19
	v_sub_f32_e32 v13, v22, v13
	v_sub_f32_e32 v13, v14, v13
	v_ldexp_f32 v19, v13, 1
	v_mul_f32_e32 v13, v22, v26
	v_ldexp_f32 v15, v22, 1
	s_or_b64 vcc, s[52:53], vcc
	v_mov_b32_e32 v14, v28
	v_pk_mul_f32 v[26:27], v[12:13], v[28:29]
	scratch_store_dwordx2 off, v[14:15], off offset:164 ; 8-byte Folded Spill
	v_fma_f32 v14, v12, s56, -v26
	v_fmac_f32_e32 v14, 0xb102e308, v12
	v_pk_add_f32 v[12:13], v[26:27], v[14:15]
	v_mov_b32_e32 v28, v26
	v_sub_f32_e32 v15, v13, v15
	v_sub_f32_e32 v15, v27, v15
	v_add_f32_e32 v29, v19, v15
	v_pk_add_f32 v[26:27], v[12:13], v[26:27] neg_lo:[0,1] neg_hi:[0,1]
	v_pk_add_f32 v[30:31], v[12:13], v[28:29]
	v_mov_b32_e32 v15, v12
	v_mov_b32_e32 v27, v31
	v_pk_add_f32 v[32:33], v[14:15], v[26:27] neg_lo:[0,1] neg_hi:[0,1]
	v_pk_add_f32 v[14:15], v[14:15], v[26:27]
	s_nop 0
	v_mov_b32_e32 v22, v15
	v_pk_add_f32 v[26:27], v[22:23], v[12:13] neg_lo:[0,1] neg_hi:[0,1]
	v_mov_b32_e32 v14, v31
	v_mov_b32_e32 v19, v26
	v_pk_add_f32 v[34:35], v[30:31], v[18:19] neg_lo:[0,1] neg_hi:[0,1]
	v_mov_b32_e32 v30, v13
	v_mov_b32_e32 v31, v26
	;; [unrolled: 1-line block ×3, first 2 shown]
	v_pk_add_f32 v[14:15], v[14:15], v[30:31] neg_lo:[0,1] neg_hi:[0,1]
	v_mov_b32_e32 v26, v29
	v_mov_b32_e32 v27, v12
	v_pk_add_f32 v[12:13], v[26:27], v[14:15] neg_lo:[0,1] neg_hi:[0,1]
	v_mov_b32_e32 v34, v32
	v_pk_add_f32 v[14:15], v[34:35], v[12:13]
	s_nop 0
	v_mov_b32_e32 v26, v15
	v_pk_add_f32 v[26:27], v[14:15], v[26:27]
	s_nop 0
	v_pk_add_f32 v[28:29], v[22:23], v[26:27]
	v_mov_b32_e32 v13, v26
	v_mov_b32_e32 v15, v28
	v_pk_add_f32 v[30:31], v[14:15], v[32:33] neg_lo:[0,1] neg_hi:[0,1]
	s_nop 0
	v_sub_f32_e32 v14, v14, v30
	v_pk_add_f32 v[12:13], v[12:13], v[30:31] neg_lo:[0,1] neg_hi:[0,1]
	v_sub_f32_e32 v14, v32, v14
	v_add_f32_e32 v12, v12, v14
	v_add_f32_e32 v12, v12, v13
	;; [unrolled: 1-line block ×3, first 2 shown]
	v_cndmask_b32_e32 v60, v12, v36, vcc
.LBB52_93:                              ;   in Loop: Header=BB52_13 Depth=1
	s_or_b64 exec, exec, s[54:55]
	v_and_b32_e32 v8, 0xffff0000, v8
	v_readlane_b32 s0, v95, 2
	s_nop 1
	v_add_f32_e32 v61, s0, v8
	v_cmp_ge_f32_e32 vcc, s4, v61
	s_and_b64 s[0:1], s[6:7], vcc
	s_and_saveexec_b64 s[54:55], s[0:1]
	s_cbranch_execz .LBB52_95
; %bb.94:                               ;   in Loop: Header=BB52_13 Depth=1
	v_mul_f32_e32 v8, 0x3fb8aa3b, v61
	v_rndne_f32_e32 v12, v8
	v_sub_f32_e32 v13, v8, v12
	v_fma_f32 v8, v61, s5, -v8
	v_fmac_f32_e32 v8, 0x32a5705f, v61
	v_add_f32_e32 v8, v13, v8
	v_cvt_i32_f32_e32 v12, v12
	v_exp_f32_e32 v8, v8
	v_cmp_ngt_f32_e32 vcc, s8, v61
	v_ldexp_f32 v8, v8, v12
	s_nop 0
	v_cndmask_b32_e32 v8, 0, v8, vcc
	v_cmp_nlt_f32_e32 vcc, s9, v61
	s_nop 1
	v_cndmask_b32_e32 v36, v39, v8, vcc
	v_add_f32_e32 v8, 1.0, v36
	v_add_f32_e32 v12, -1.0, v8
	v_sub_f32_e32 v13, v12, v8
	v_add_f32_e32 v13, 1.0, v13
	v_sub_f32_e32 v12, v36, v12
	v_add_f32_e32 v14, v12, v13
	v_frexp_mant_f32_e32 v15, v8
	v_cvt_f64_f32_e32 v[12:13], v8
	v_frexp_exp_i32_f64_e32 v12, v[12:13]
	v_cmp_gt_f32_e32 vcc, s11, v15
	v_cmp_gt_f32_e64 s[52:53], s57, v36
	s_nop 0
	v_subbrev_co_u32_e32 v19, vcc, 0, v12, vcc
	v_sub_u32_e32 v12, 0, v19
	v_ldexp_f32 v8, v8, v12
	v_ldexp_f32 v12, v14, v12
	v_add_f32_e32 v14, -1.0, v8
	v_add_f32_e32 v13, 1.0, v14
	v_sub_f32_e32 v13, v8, v13
	v_add_f32_e32 v15, v12, v13
	v_add_f32_e32 v13, 1.0, v8
	v_add_f32_e32 v22, -1.0, v13
	v_sub_f32_e32 v8, v8, v22
	v_add_f32_e32 v8, v12, v8
	v_add_f32_e32 v22, v13, v8
	v_rcp_f32_e32 v30, v22
	v_sub_f32_e32 v12, v13, v22
	v_add_f32_e32 v13, v14, v15
	v_add_f32_e32 v8, v8, v12
	v_mul_f32_e32 v32, v13, v30
	v_sub_f32_e32 v12, v14, v13
	v_mul_f32_e32 v14, v22, v32
	v_fma_f32 v26, v32, v22, -v14
	v_fmac_f32_e32 v26, v32, v8
	v_add_f32_e32 v31, v15, v12
	v_add_f32_e32 v12, v14, v26
	v_sub_f32_e32 v15, v13, v12
	v_pk_add_f32 v[28:29], v[12:13], v[14:15] neg_lo:[0,1] neg_hi:[0,1]
	v_mov_b32_e32 v27, v12
	v_pk_add_f32 v[12:13], v[28:29], v[26:27] neg_lo:[0,1] neg_hi:[0,1]
	v_cmp_eq_f32_e32 vcc, s10, v36
	v_add_f32_e32 v13, v31, v13
	v_add_f32_e32 v12, v12, v13
	;; [unrolled: 1-line block ×3, first 2 shown]
	v_mul_f32_e32 v31, v30, v13
	v_mul_f32_e32 v14, v22, v31
	v_fma_f32 v26, v31, v22, -v14
	v_fmac_f32_e32 v26, v31, v8
	v_sub_f32_e32 v8, v15, v13
	v_add_f32_e32 v8, v12, v8
	v_add_f32_e32 v12, v14, v26
	v_sub_f32_e32 v15, v13, v12
	v_pk_add_f32 v[28:29], v[12:13], v[14:15] neg_lo:[0,1] neg_hi:[0,1]
	v_mov_b32_e32 v27, v12
	v_pk_add_f32 v[12:13], v[28:29], v[26:27] neg_lo:[0,1] neg_hi:[0,1]
	scratch_load_dwordx2 v[26:27], off, off offset:164 ; 8-byte Folded Reload
	v_add_f32_e32 v8, v8, v13
	v_add_f32_e32 v8, v12, v8
	;; [unrolled: 1-line block ×4, first 2 shown]
	v_sub_f32_e32 v12, v13, v32
	v_mul_f32_e32 v8, v30, v8
	v_sub_f32_e32 v12, v31, v12
	v_add_f32_e32 v8, v12, v8
	v_add_f32_e32 v14, v13, v8
	v_mul_f32_e32 v22, v14, v14
	v_mov_b32_e32 v12, 0x3ecc95a3
	v_fmamk_f32 v12, v22, 0x3e9b6dac, v12
	s_waitcnt vmcnt(0)
	v_fmaak_f32 v27, v22, v12, 0x3f2aaada
	v_cvt_f32_i32_e32 v12, v19
	v_sub_f32_e32 v13, v14, v13
	v_sub_f32_e32 v8, v8, v13
	v_mul_f32_e32 v13, v14, v22
	v_ldexp_f32 v15, v14, 1
	v_ldexp_f32 v8, v8, 1
	s_or_b64 vcc, s[52:53], vcc
	v_mov_b32_e32 v14, v26
	v_pk_mul_f32 v[26:27], v[12:13], v[26:27]
	scratch_store_dwordx2 off, v[14:15], off offset:164 ; 8-byte Folded Spill
	v_fma_f32 v14, v12, s56, -v26
	v_fmac_f32_e32 v14, 0xb102e308, v12
	v_pk_add_f32 v[12:13], v[26:27], v[14:15]
	v_mov_b32_e32 v28, v26
	v_sub_f32_e32 v15, v13, v15
	v_sub_f32_e32 v15, v27, v15
	v_add_f32_e32 v29, v8, v15
	v_pk_add_f32 v[26:27], v[12:13], v[26:27] neg_lo:[0,1] neg_hi:[0,1]
	v_pk_add_f32 v[30:31], v[12:13], v[28:29]
	v_mov_b32_e32 v15, v12
	v_mov_b32_e32 v27, v31
	v_pk_add_f32 v[32:33], v[14:15], v[26:27] neg_lo:[0,1] neg_hi:[0,1]
	v_pk_add_f32 v[14:15], v[14:15], v[26:27]
	s_nop 0
	v_mov_b32_e32 v8, v15
	v_pk_add_f32 v[26:27], v[8:9], v[12:13] neg_lo:[0,1] neg_hi:[0,1]
	v_mov_b32_e32 v14, v31
	v_mov_b32_e32 v19, v26
	v_pk_add_f32 v[34:35], v[30:31], v[18:19] neg_lo:[0,1] neg_hi:[0,1]
	v_mov_b32_e32 v30, v13
	v_mov_b32_e32 v31, v26
	;; [unrolled: 1-line block ×3, first 2 shown]
	v_pk_add_f32 v[14:15], v[14:15], v[30:31] neg_lo:[0,1] neg_hi:[0,1]
	v_mov_b32_e32 v26, v29
	v_mov_b32_e32 v27, v12
	v_pk_add_f32 v[12:13], v[26:27], v[14:15] neg_lo:[0,1] neg_hi:[0,1]
	v_mov_b32_e32 v34, v32
	v_pk_add_f32 v[14:15], v[34:35], v[12:13]
	s_nop 0
	v_mov_b32_e32 v22, v15
	v_pk_add_f32 v[26:27], v[14:15], v[22:23]
	s_nop 0
	v_pk_add_f32 v[28:29], v[8:9], v[26:27]
	v_mov_b32_e32 v13, v26
	v_mov_b32_e32 v15, v28
	v_pk_add_f32 v[30:31], v[14:15], v[32:33] neg_lo:[0,1] neg_hi:[0,1]
	s_nop 0
	v_sub_f32_e32 v8, v14, v30
	v_pk_add_f32 v[12:13], v[12:13], v[30:31] neg_lo:[0,1] neg_hi:[0,1]
	v_sub_f32_e32 v8, v32, v8
	v_add_f32_e32 v8, v12, v8
	v_add_f32_e32 v8, v8, v13
	;; [unrolled: 1-line block ×3, first 2 shown]
	v_cndmask_b32_e32 v61, v8, v36, vcc
.LBB52_95:                              ;   in Loop: Header=BB52_13 Depth=1
	s_or_b64 exec, exec, s[54:55]
	v_lshlrev_b32_e32 v8, 16, v9
	v_readlane_b32 s0, v95, 2
	s_nop 1
	v_add_f32_e32 v62, s0, v8
	v_cmp_ge_f32_e32 vcc, s4, v62
	s_and_b64 s[0:1], s[6:7], vcc
	s_and_saveexec_b64 s[54:55], s[0:1]
	s_cbranch_execz .LBB52_97
; %bb.96:                               ;   in Loop: Header=BB52_13 Depth=1
	v_mul_f32_e32 v8, 0x3fb8aa3b, v62
	v_rndne_f32_e32 v12, v8
	v_sub_f32_e32 v13, v8, v12
	v_fma_f32 v8, v62, s5, -v8
	v_fmac_f32_e32 v8, 0x32a5705f, v62
	v_add_f32_e32 v8, v13, v8
	v_cvt_i32_f32_e32 v12, v12
	v_exp_f32_e32 v8, v8
	v_cmp_ngt_f32_e32 vcc, s8, v62
	v_ldexp_f32 v8, v8, v12
	s_nop 0
	v_cndmask_b32_e32 v8, 0, v8, vcc
	v_cmp_nlt_f32_e32 vcc, s9, v62
	s_nop 1
	v_cndmask_b32_e32 v36, v39, v8, vcc
	v_add_f32_e32 v8, 1.0, v36
	v_add_f32_e32 v12, -1.0, v8
	v_sub_f32_e32 v13, v12, v8
	v_add_f32_e32 v13, 1.0, v13
	v_sub_f32_e32 v12, v36, v12
	v_add_f32_e32 v14, v12, v13
	v_frexp_mant_f32_e32 v15, v8
	v_cvt_f64_f32_e32 v[12:13], v8
	v_frexp_exp_i32_f64_e32 v12, v[12:13]
	v_cmp_gt_f32_e32 vcc, s11, v15
	v_cmp_gt_f32_e64 s[52:53], s57, v36
	s_nop 0
	v_subbrev_co_u32_e32 v19, vcc, 0, v12, vcc
	v_sub_u32_e32 v12, 0, v19
	v_ldexp_f32 v8, v8, v12
	v_ldexp_f32 v12, v14, v12
	v_add_f32_e32 v14, -1.0, v8
	v_add_f32_e32 v13, 1.0, v14
	v_sub_f32_e32 v13, v8, v13
	v_add_f32_e32 v15, v12, v13
	v_add_f32_e32 v13, 1.0, v8
	v_add_f32_e32 v22, -1.0, v13
	v_sub_f32_e32 v8, v8, v22
	v_add_f32_e32 v8, v12, v8
	v_add_f32_e32 v22, v13, v8
	v_rcp_f32_e32 v30, v22
	v_sub_f32_e32 v12, v13, v22
	v_add_f32_e32 v13, v14, v15
	v_add_f32_e32 v8, v8, v12
	v_mul_f32_e32 v32, v13, v30
	v_sub_f32_e32 v12, v14, v13
	v_mul_f32_e32 v14, v22, v32
	v_fma_f32 v26, v32, v22, -v14
	v_fmac_f32_e32 v26, v32, v8
	v_add_f32_e32 v31, v15, v12
	v_add_f32_e32 v12, v14, v26
	v_sub_f32_e32 v15, v13, v12
	v_pk_add_f32 v[28:29], v[12:13], v[14:15] neg_lo:[0,1] neg_hi:[0,1]
	v_mov_b32_e32 v27, v12
	v_pk_add_f32 v[12:13], v[28:29], v[26:27] neg_lo:[0,1] neg_hi:[0,1]
	v_cmp_eq_f32_e32 vcc, s10, v36
	v_add_f32_e32 v13, v31, v13
	v_add_f32_e32 v12, v12, v13
	;; [unrolled: 1-line block ×3, first 2 shown]
	v_mul_f32_e32 v31, v30, v13
	v_mul_f32_e32 v14, v22, v31
	v_fma_f32 v26, v31, v22, -v14
	v_fmac_f32_e32 v26, v31, v8
	v_sub_f32_e32 v8, v15, v13
	v_add_f32_e32 v8, v12, v8
	v_add_f32_e32 v12, v14, v26
	v_sub_f32_e32 v15, v13, v12
	v_pk_add_f32 v[28:29], v[12:13], v[14:15] neg_lo:[0,1] neg_hi:[0,1]
	v_mov_b32_e32 v27, v12
	v_pk_add_f32 v[12:13], v[28:29], v[26:27] neg_lo:[0,1] neg_hi:[0,1]
	scratch_load_dwordx2 v[26:27], off, off offset:164 ; 8-byte Folded Reload
	v_add_f32_e32 v8, v8, v13
	v_add_f32_e32 v8, v12, v8
	;; [unrolled: 1-line block ×4, first 2 shown]
	v_sub_f32_e32 v12, v13, v32
	v_mul_f32_e32 v8, v30, v8
	v_sub_f32_e32 v12, v31, v12
	v_add_f32_e32 v8, v12, v8
	v_add_f32_e32 v14, v13, v8
	v_mul_f32_e32 v22, v14, v14
	v_mov_b32_e32 v12, 0x3ecc95a3
	v_fmamk_f32 v12, v22, 0x3e9b6dac, v12
	s_waitcnt vmcnt(0)
	v_fmaak_f32 v27, v22, v12, 0x3f2aaada
	v_cvt_f32_i32_e32 v12, v19
	v_sub_f32_e32 v13, v14, v13
	v_sub_f32_e32 v8, v8, v13
	v_mul_f32_e32 v13, v14, v22
	v_ldexp_f32 v15, v14, 1
	v_ldexp_f32 v8, v8, 1
	s_or_b64 vcc, s[52:53], vcc
	v_mov_b32_e32 v14, v26
	v_pk_mul_f32 v[26:27], v[12:13], v[26:27]
	scratch_store_dwordx2 off, v[14:15], off offset:164 ; 8-byte Folded Spill
	v_fma_f32 v14, v12, s56, -v26
	v_fmac_f32_e32 v14, 0xb102e308, v12
	v_pk_add_f32 v[12:13], v[26:27], v[14:15]
	v_mov_b32_e32 v28, v26
	v_sub_f32_e32 v15, v13, v15
	v_sub_f32_e32 v15, v27, v15
	v_add_f32_e32 v29, v8, v15
	v_pk_add_f32 v[26:27], v[12:13], v[26:27] neg_lo:[0,1] neg_hi:[0,1]
	v_pk_add_f32 v[30:31], v[12:13], v[28:29]
	v_mov_b32_e32 v15, v12
	v_mov_b32_e32 v27, v31
	v_pk_add_f32 v[32:33], v[14:15], v[26:27] neg_lo:[0,1] neg_hi:[0,1]
	v_pk_add_f32 v[14:15], v[14:15], v[26:27]
	s_nop 0
	v_mov_b32_e32 v8, v15
	v_pk_add_f32 v[26:27], v[8:9], v[12:13] neg_lo:[0,1] neg_hi:[0,1]
	v_mov_b32_e32 v14, v31
	v_mov_b32_e32 v19, v26
	v_pk_add_f32 v[34:35], v[30:31], v[18:19] neg_lo:[0,1] neg_hi:[0,1]
	v_mov_b32_e32 v30, v13
	v_mov_b32_e32 v31, v26
	;; [unrolled: 1-line block ×3, first 2 shown]
	v_pk_add_f32 v[14:15], v[14:15], v[30:31] neg_lo:[0,1] neg_hi:[0,1]
	v_mov_b32_e32 v26, v29
	v_mov_b32_e32 v27, v12
	v_pk_add_f32 v[12:13], v[26:27], v[14:15] neg_lo:[0,1] neg_hi:[0,1]
	v_mov_b32_e32 v34, v32
	v_pk_add_f32 v[14:15], v[34:35], v[12:13]
	s_nop 0
	v_mov_b32_e32 v22, v15
	v_pk_add_f32 v[26:27], v[14:15], v[22:23]
	s_nop 0
	v_pk_add_f32 v[28:29], v[8:9], v[26:27]
	v_mov_b32_e32 v13, v26
	v_mov_b32_e32 v15, v28
	v_pk_add_f32 v[30:31], v[14:15], v[32:33] neg_lo:[0,1] neg_hi:[0,1]
	s_nop 0
	v_sub_f32_e32 v8, v14, v30
	v_pk_add_f32 v[12:13], v[12:13], v[30:31] neg_lo:[0,1] neg_hi:[0,1]
	v_sub_f32_e32 v8, v32, v8
	v_add_f32_e32 v8, v12, v8
	v_add_f32_e32 v8, v8, v13
	;; [unrolled: 1-line block ×3, first 2 shown]
	v_cndmask_b32_e32 v62, v8, v36, vcc
.LBB52_97:                              ;   in Loop: Header=BB52_13 Depth=1
	s_or_b64 exec, exec, s[54:55]
	v_and_b32_e32 v8, 0xffff0000, v9
	v_readlane_b32 s0, v95, 2
	s_nop 1
	v_add_f32_e32 v63, s0, v8
	v_cmp_ge_f32_e32 vcc, s4, v63
	s_and_b64 s[0:1], s[6:7], vcc
	s_and_saveexec_b64 s[54:55], s[0:1]
	s_cbranch_execz .LBB52_99
; %bb.98:                               ;   in Loop: Header=BB52_13 Depth=1
	v_mul_f32_e32 v8, 0x3fb8aa3b, v63
	v_rndne_f32_e32 v9, v8
	v_sub_f32_e32 v12, v8, v9
	v_fma_f32 v8, v63, s5, -v8
	v_fmac_f32_e32 v8, 0x32a5705f, v63
	v_add_f32_e32 v8, v12, v8
	v_cvt_i32_f32_e32 v9, v9
	v_exp_f32_e32 v8, v8
	v_cmp_ngt_f32_e32 vcc, s8, v63
	v_ldexp_f32 v8, v8, v9
	s_nop 0
	v_cndmask_b32_e32 v8, 0, v8, vcc
	v_cmp_nlt_f32_e32 vcc, s9, v63
	s_nop 1
	v_cndmask_b32_e32 v19, v39, v8, vcc
	v_add_f32_e32 v12, 1.0, v19
	v_add_f32_e32 v8, -1.0, v12
	v_sub_f32_e32 v9, v8, v12
	v_add_f32_e32 v9, 1.0, v9
	v_sub_f32_e32 v8, v19, v8
	v_add_f32_e32 v13, v8, v9
	v_frexp_mant_f32_e32 v14, v12
	v_cvt_f64_f32_e32 v[8:9], v12
	v_frexp_exp_i32_f64_e32 v8, v[8:9]
	v_cmp_gt_f32_e32 vcc, s11, v14
	v_cmp_gt_f32_e64 s[52:53], s57, v19
	s_nop 0
	v_subbrev_co_u32_e32 v22, vcc, 0, v8, vcc
	v_sub_u32_e32 v8, 0, v22
	v_ldexp_f32 v9, v12, v8
	v_add_f32_e32 v12, -1.0, v9
	v_add_f32_e32 v14, 1.0, v9
	v_ldexp_f32 v8, v13, v8
	v_add_f32_e32 v13, 1.0, v12
	v_add_f32_e32 v15, -1.0, v14
	v_sub_f32_e32 v13, v9, v13
	v_sub_f32_e32 v9, v9, v15
	v_add_f32_e32 v13, v8, v13
	v_add_f32_e32 v8, v8, v9
	;; [unrolled: 1-line block ×3, first 2 shown]
	v_rcp_f32_e32 v30, v28
	v_sub_f32_e32 v9, v14, v28
	v_add_f32_e32 v29, v8, v9
	v_add_f32_e32 v9, v12, v13
	v_mul_f32_e32 v32, v9, v30
	v_sub_f32_e32 v8, v12, v9
	v_mul_f32_e32 v12, v28, v32
	v_fma_f32 v14, v32, v28, -v12
	v_fmac_f32_e32 v14, v32, v29
	v_add_f32_e32 v31, v13, v8
	v_add_f32_e32 v8, v12, v14
	v_sub_f32_e32 v13, v9, v8
	v_pk_add_f32 v[26:27], v[8:9], v[12:13] neg_lo:[0,1] neg_hi:[0,1]
	v_mov_b32_e32 v15, v8
	v_pk_add_f32 v[8:9], v[26:27], v[14:15] neg_lo:[0,1] neg_hi:[0,1]
	v_cmp_eq_f32_e32 vcc, s10, v19
	v_add_f32_e32 v9, v31, v9
	v_add_f32_e32 v8, v8, v9
	;; [unrolled: 1-line block ×3, first 2 shown]
	v_mul_f32_e32 v31, v30, v9
	v_mul_f32_e32 v12, v28, v31
	v_fma_f32 v14, v31, v28, -v12
	v_fmac_f32_e32 v14, v31, v29
	v_sub_f32_e32 v13, v13, v9
	v_add_f32_e32 v28, v8, v13
	v_add_f32_e32 v8, v12, v14
	v_sub_f32_e32 v13, v9, v8
	v_pk_add_f32 v[26:27], v[8:9], v[12:13] neg_lo:[0,1] neg_hi:[0,1]
	v_mov_b32_e32 v15, v8
	v_pk_add_f32 v[8:9], v[26:27], v[14:15] neg_lo:[0,1] neg_hi:[0,1]
	scratch_load_dwordx2 v[26:27], off, off offset:164 ; 8-byte Folded Reload
	v_add_f32_e32 v9, v28, v9
	v_add_f32_e32 v8, v8, v9
	;; [unrolled: 1-line block ×4, first 2 shown]
	v_sub_f32_e32 v12, v9, v32
	v_mul_f32_e32 v8, v30, v8
	v_sub_f32_e32 v12, v31, v12
	v_add_f32_e32 v12, v12, v8
	v_add_f32_e32 v14, v9, v12
	v_mul_f32_e32 v15, v14, v14
	v_mov_b32_e32 v8, 0x3ecc95a3
	v_fmamk_f32 v8, v15, 0x3e9b6dac, v8
	s_waitcnt vmcnt(0)
	v_fmaak_f32 v27, v15, v8, 0x3f2aaada
	v_cvt_f32_i32_e32 v8, v22
	v_sub_f32_e32 v9, v14, v9
	v_sub_f32_e32 v9, v12, v9
	v_ldexp_f32 v22, v9, 1
	v_mul_f32_e32 v9, v14, v15
	v_ldexp_f32 v13, v14, 1
	s_or_b64 vcc, s[52:53], vcc
	v_mov_b32_e32 v12, v26
	v_pk_mul_f32 v[14:15], v[8:9], v[26:27]
	scratch_store_dwordx2 off, v[12:13], off offset:164 ; 8-byte Folded Spill
	v_fma_f32 v12, v8, s56, -v14
	v_fmac_f32_e32 v12, 0xb102e308, v8
	v_pk_add_f32 v[8:9], v[14:15], v[12:13]
	v_mov_b32_e32 v26, v14
	v_sub_f32_e32 v13, v9, v13
	v_sub_f32_e32 v13, v15, v13
	v_add_f32_e32 v27, v22, v13
	v_pk_add_f32 v[14:15], v[8:9], v[14:15] neg_lo:[0,1] neg_hi:[0,1]
	v_pk_add_f32 v[28:29], v[8:9], v[26:27]
	v_mov_b32_e32 v13, v8
	v_mov_b32_e32 v15, v29
	v_pk_add_f32 v[30:31], v[12:13], v[14:15] neg_lo:[0,1] neg_hi:[0,1]
	v_pk_add_f32 v[12:13], v[12:13], v[14:15]
	v_mov_b32_e32 v26, v27
	v_mov_b32_e32 v14, v13
	v_pk_add_f32 v[32:33], v[14:15], v[8:9] neg_lo:[0,1] neg_hi:[0,1]
	v_mov_b32_e32 v12, v29
	v_mov_b32_e32 v15, v32
	v_pk_add_f32 v[34:35], v[28:29], v[14:15] neg_lo:[0,1] neg_hi:[0,1]
	v_mov_b32_e32 v28, v9
	v_mov_b32_e32 v29, v32
	;; [unrolled: 1-line block ×3, first 2 shown]
	v_pk_add_f32 v[12:13], v[12:13], v[28:29] neg_lo:[0,1] neg_hi:[0,1]
	v_mov_b32_e32 v27, v8
	v_pk_add_f32 v[8:9], v[26:27], v[12:13] neg_lo:[0,1] neg_hi:[0,1]
	v_mov_b32_e32 v34, v30
	v_pk_add_f32 v[12:13], v[34:35], v[8:9]
	s_nop 0
	v_mov_b32_e32 v22, v13
	v_pk_add_f32 v[26:27], v[12:13], v[22:23]
	s_nop 0
	v_pk_add_f32 v[14:15], v[14:15], v[26:27]
	v_mov_b32_e32 v9, v26
	v_mov_b32_e32 v13, v14
	v_pk_add_f32 v[28:29], v[12:13], v[30:31] neg_lo:[0,1] neg_hi:[0,1]
	s_nop 0
	v_sub_f32_e32 v12, v12, v28
	v_pk_add_f32 v[8:9], v[8:9], v[28:29] neg_lo:[0,1] neg_hi:[0,1]
	v_sub_f32_e32 v12, v30, v12
	v_add_f32_e32 v8, v8, v12
	v_add_f32_e32 v8, v8, v9
	;; [unrolled: 1-line block ×3, first 2 shown]
	v_cndmask_b32_e32 v63, v8, v19, vcc
.LBB52_99:                              ;   in Loop: Header=BB52_13 Depth=1
	s_or_b64 exec, exec, s[54:55]
	v_lshlrev_b32_e32 v8, 16, v10
	v_readlane_b32 s0, v95, 2
	s_nop 1
	v_add_f32_e32 v64, s0, v8
	v_cmp_ge_f32_e32 vcc, s4, v64
	s_and_b64 s[0:1], s[6:7], vcc
	s_and_saveexec_b64 s[54:55], s[0:1]
	s_cbranch_execz .LBB52_101
; %bb.100:                              ;   in Loop: Header=BB52_13 Depth=1
	v_mul_f32_e32 v8, 0x3fb8aa3b, v64
	v_rndne_f32_e32 v9, v8
	v_sub_f32_e32 v12, v8, v9
	v_fma_f32 v8, v64, s5, -v8
	v_fmac_f32_e32 v8, 0x32a5705f, v64
	v_add_f32_e32 v8, v12, v8
	v_cvt_i32_f32_e32 v9, v9
	v_exp_f32_e32 v8, v8
	v_cmp_ngt_f32_e32 vcc, s8, v64
	v_ldexp_f32 v8, v8, v9
	s_nop 0
	v_cndmask_b32_e32 v8, 0, v8, vcc
	v_cmp_nlt_f32_e32 vcc, s9, v64
	s_nop 1
	v_cndmask_b32_e32 v19, v39, v8, vcc
	v_add_f32_e32 v12, 1.0, v19
	v_add_f32_e32 v8, -1.0, v12
	v_sub_f32_e32 v9, v8, v12
	v_add_f32_e32 v9, 1.0, v9
	v_sub_f32_e32 v8, v19, v8
	v_add_f32_e32 v13, v8, v9
	v_frexp_mant_f32_e32 v14, v12
	v_cvt_f64_f32_e32 v[8:9], v12
	v_frexp_exp_i32_f64_e32 v8, v[8:9]
	v_cmp_gt_f32_e32 vcc, s11, v14
	v_cmp_gt_f32_e64 s[52:53], s57, v19
	s_nop 0
	v_subbrev_co_u32_e32 v22, vcc, 0, v8, vcc
	v_sub_u32_e32 v8, 0, v22
	v_ldexp_f32 v9, v12, v8
	v_add_f32_e32 v12, -1.0, v9
	v_add_f32_e32 v14, 1.0, v9
	v_ldexp_f32 v8, v13, v8
	v_add_f32_e32 v13, 1.0, v12
	v_add_f32_e32 v15, -1.0, v14
	v_sub_f32_e32 v13, v9, v13
	v_sub_f32_e32 v9, v9, v15
	v_add_f32_e32 v13, v8, v13
	v_add_f32_e32 v8, v8, v9
	v_add_f32_e32 v28, v14, v8
	v_rcp_f32_e32 v30, v28
	v_sub_f32_e32 v9, v14, v28
	v_add_f32_e32 v29, v8, v9
	v_add_f32_e32 v9, v12, v13
	v_mul_f32_e32 v32, v9, v30
	v_sub_f32_e32 v8, v12, v9
	v_mul_f32_e32 v12, v28, v32
	v_fma_f32 v14, v32, v28, -v12
	v_fmac_f32_e32 v14, v32, v29
	v_add_f32_e32 v31, v13, v8
	v_add_f32_e32 v8, v12, v14
	v_sub_f32_e32 v13, v9, v8
	v_pk_add_f32 v[26:27], v[8:9], v[12:13] neg_lo:[0,1] neg_hi:[0,1]
	v_mov_b32_e32 v15, v8
	v_pk_add_f32 v[8:9], v[26:27], v[14:15] neg_lo:[0,1] neg_hi:[0,1]
	v_cmp_eq_f32_e32 vcc, s10, v19
	v_add_f32_e32 v9, v31, v9
	v_add_f32_e32 v8, v8, v9
	;; [unrolled: 1-line block ×3, first 2 shown]
	v_mul_f32_e32 v31, v30, v9
	v_mul_f32_e32 v12, v28, v31
	v_fma_f32 v14, v31, v28, -v12
	v_fmac_f32_e32 v14, v31, v29
	v_sub_f32_e32 v13, v13, v9
	v_add_f32_e32 v28, v8, v13
	v_add_f32_e32 v8, v12, v14
	v_sub_f32_e32 v13, v9, v8
	v_pk_add_f32 v[26:27], v[8:9], v[12:13] neg_lo:[0,1] neg_hi:[0,1]
	v_mov_b32_e32 v15, v8
	v_pk_add_f32 v[8:9], v[26:27], v[14:15] neg_lo:[0,1] neg_hi:[0,1]
	scratch_load_dwordx2 v[26:27], off, off offset:164 ; 8-byte Folded Reload
	v_add_f32_e32 v9, v28, v9
	v_add_f32_e32 v8, v8, v9
	v_add_f32_e32 v9, v32, v31
	v_add_f32_e32 v8, v13, v8
	v_sub_f32_e32 v12, v9, v32
	v_mul_f32_e32 v8, v30, v8
	v_sub_f32_e32 v12, v31, v12
	v_add_f32_e32 v12, v12, v8
	v_add_f32_e32 v14, v9, v12
	v_mul_f32_e32 v15, v14, v14
	v_mov_b32_e32 v8, 0x3ecc95a3
	v_fmamk_f32 v8, v15, 0x3e9b6dac, v8
	s_waitcnt vmcnt(0)
	v_fmaak_f32 v27, v15, v8, 0x3f2aaada
	v_cvt_f32_i32_e32 v8, v22
	v_sub_f32_e32 v9, v14, v9
	v_sub_f32_e32 v9, v12, v9
	v_ldexp_f32 v22, v9, 1
	v_mul_f32_e32 v9, v14, v15
	v_ldexp_f32 v13, v14, 1
	s_or_b64 vcc, s[52:53], vcc
	v_mov_b32_e32 v12, v26
	v_pk_mul_f32 v[14:15], v[8:9], v[26:27]
	scratch_store_dwordx2 off, v[12:13], off offset:164 ; 8-byte Folded Spill
	v_fma_f32 v12, v8, s56, -v14
	v_fmac_f32_e32 v12, 0xb102e308, v8
	v_pk_add_f32 v[8:9], v[14:15], v[12:13]
	v_mov_b32_e32 v26, v14
	v_sub_f32_e32 v13, v9, v13
	v_sub_f32_e32 v13, v15, v13
	v_add_f32_e32 v27, v22, v13
	v_pk_add_f32 v[14:15], v[8:9], v[14:15] neg_lo:[0,1] neg_hi:[0,1]
	v_pk_add_f32 v[28:29], v[8:9], v[26:27]
	v_mov_b32_e32 v13, v8
	v_mov_b32_e32 v15, v29
	v_pk_add_f32 v[30:31], v[12:13], v[14:15] neg_lo:[0,1] neg_hi:[0,1]
	v_pk_add_f32 v[12:13], v[12:13], v[14:15]
	v_mov_b32_e32 v26, v27
	v_mov_b32_e32 v14, v13
	v_pk_add_f32 v[32:33], v[14:15], v[8:9] neg_lo:[0,1] neg_hi:[0,1]
	v_mov_b32_e32 v12, v29
	v_mov_b32_e32 v15, v32
	v_pk_add_f32 v[34:35], v[28:29], v[14:15] neg_lo:[0,1] neg_hi:[0,1]
	v_mov_b32_e32 v28, v9
	v_mov_b32_e32 v29, v32
	;; [unrolled: 1-line block ×3, first 2 shown]
	v_pk_add_f32 v[12:13], v[12:13], v[28:29] neg_lo:[0,1] neg_hi:[0,1]
	v_mov_b32_e32 v27, v8
	v_pk_add_f32 v[8:9], v[26:27], v[12:13] neg_lo:[0,1] neg_hi:[0,1]
	v_mov_b32_e32 v34, v30
	v_pk_add_f32 v[12:13], v[34:35], v[8:9]
	s_nop 0
	v_mov_b32_e32 v22, v13
	v_pk_add_f32 v[26:27], v[12:13], v[22:23]
	s_nop 0
	v_pk_add_f32 v[14:15], v[14:15], v[26:27]
	v_mov_b32_e32 v9, v26
	v_mov_b32_e32 v13, v14
	v_pk_add_f32 v[28:29], v[12:13], v[30:31] neg_lo:[0,1] neg_hi:[0,1]
	s_nop 0
	v_sub_f32_e32 v12, v12, v28
	v_pk_add_f32 v[8:9], v[8:9], v[28:29] neg_lo:[0,1] neg_hi:[0,1]
	v_sub_f32_e32 v12, v30, v12
	v_add_f32_e32 v8, v8, v12
	v_add_f32_e32 v8, v8, v9
	v_add_f32_e32 v8, v14, v8
	v_cndmask_b32_e32 v64, v8, v19, vcc
.LBB52_101:                             ;   in Loop: Header=BB52_13 Depth=1
	s_or_b64 exec, exec, s[54:55]
	v_and_b32_e32 v8, 0xffff0000, v10
	v_readlane_b32 s0, v95, 2
	s_nop 1
	v_add_f32_e32 v65, s0, v8
	v_cmp_ge_f32_e32 vcc, s4, v65
	s_and_b64 s[0:1], s[6:7], vcc
	s_and_saveexec_b64 s[54:55], s[0:1]
	s_cbranch_execz .LBB52_103
; %bb.102:                              ;   in Loop: Header=BB52_13 Depth=1
	v_mul_f32_e32 v8, 0x3fb8aa3b, v65
	v_rndne_f32_e32 v9, v8
	v_sub_f32_e32 v10, v8, v9
	v_fma_f32 v8, v65, s5, -v8
	v_fmac_f32_e32 v8, 0x32a5705f, v65
	v_add_f32_e32 v8, v10, v8
	v_cvt_i32_f32_e32 v9, v9
	v_exp_f32_e32 v8, v8
	v_cmp_ngt_f32_e32 vcc, s8, v65
	v_ldexp_f32 v8, v8, v9
	s_nop 0
	v_cndmask_b32_e32 v8, 0, v8, vcc
	v_cmp_nlt_f32_e32 vcc, s9, v65
	s_nop 1
	v_cndmask_b32_e32 v19, v39, v8, vcc
	v_add_f32_e32 v10, 1.0, v19
	v_add_f32_e32 v8, -1.0, v10
	v_sub_f32_e32 v9, v8, v10
	v_add_f32_e32 v9, 1.0, v9
	v_sub_f32_e32 v8, v19, v8
	v_add_f32_e32 v12, v8, v9
	v_frexp_mant_f32_e32 v13, v10
	v_cvt_f64_f32_e32 v[8:9], v10
	v_frexp_exp_i32_f64_e32 v8, v[8:9]
	v_cmp_gt_f32_e32 vcc, s11, v13
	v_cmp_gt_f32_e64 s[52:53], s57, v19
	s_nop 0
	v_subbrev_co_u32_e32 v22, vcc, 0, v8, vcc
	v_sub_u32_e32 v8, 0, v22
	v_ldexp_f32 v9, v10, v8
	v_add_f32_e32 v10, -1.0, v9
	v_add_f32_e32 v13, 1.0, v9
	v_ldexp_f32 v8, v12, v8
	v_add_f32_e32 v12, 1.0, v10
	v_add_f32_e32 v14, -1.0, v13
	v_sub_f32_e32 v12, v9, v12
	v_sub_f32_e32 v9, v9, v14
	v_add_f32_e32 v12, v8, v12
	v_add_f32_e32 v8, v8, v9
	;; [unrolled: 1-line block ×3, first 2 shown]
	v_rcp_f32_e32 v30, v28
	v_sub_f32_e32 v9, v13, v28
	v_add_f32_e32 v29, v8, v9
	v_add_f32_e32 v9, v10, v12
	v_sub_f32_e32 v8, v10, v9
	v_mul_f32_e32 v31, v9, v30
	v_add_f32_e32 v10, v12, v8
	v_mul_f32_e32 v12, v28, v31
	v_fma_f32 v14, v31, v28, -v12
	v_fmac_f32_e32 v14, v31, v29
	v_add_f32_e32 v8, v12, v14
	v_sub_f32_e32 v13, v9, v8
	v_pk_add_f32 v[26:27], v[8:9], v[12:13] neg_lo:[0,1] neg_hi:[0,1]
	v_mov_b32_e32 v15, v8
	v_pk_add_f32 v[8:9], v[26:27], v[14:15] neg_lo:[0,1] neg_hi:[0,1]
	v_cmp_eq_f32_e32 vcc, s10, v19
	v_add_f32_e32 v9, v10, v9
	v_add_f32_e32 v8, v8, v9
	;; [unrolled: 1-line block ×3, first 2 shown]
	v_mul_f32_e32 v10, v30, v9
	v_mul_f32_e32 v12, v28, v10
	v_fma_f32 v14, v10, v28, -v12
	v_fmac_f32_e32 v14, v10, v29
	v_sub_f32_e32 v13, v13, v9
	v_add_f32_e32 v28, v8, v13
	v_add_f32_e32 v8, v12, v14
	v_sub_f32_e32 v13, v9, v8
	v_pk_add_f32 v[26:27], v[8:9], v[12:13] neg_lo:[0,1] neg_hi:[0,1]
	v_mov_b32_e32 v15, v8
	v_pk_add_f32 v[8:9], v[26:27], v[14:15] neg_lo:[0,1] neg_hi:[0,1]
	scratch_load_dwordx2 v[26:27], off, off offset:164 ; 8-byte Folded Reload
	v_add_f32_e32 v9, v28, v9
	v_add_f32_e32 v8, v8, v9
	v_add_f32_e32 v9, v31, v10
	v_add_f32_e32 v8, v13, v8
	v_sub_f32_e32 v12, v9, v31
	v_mul_f32_e32 v8, v30, v8
	v_sub_f32_e32 v10, v10, v12
	v_add_f32_e32 v10, v10, v8
	v_add_f32_e32 v12, v9, v10
	v_mul_f32_e32 v14, v12, v12
	v_mov_b32_e32 v8, 0x3ecc95a3
	v_fmamk_f32 v8, v14, 0x3e9b6dac, v8
	s_waitcnt vmcnt(0)
	v_fmaak_f32 v27, v14, v8, 0x3f2aaada
	v_cvt_f32_i32_e32 v8, v22
	v_sub_f32_e32 v9, v12, v9
	v_sub_f32_e32 v9, v10, v9
	v_ldexp_f32 v10, v9, 1
	v_mul_f32_e32 v9, v12, v14
	v_ldexp_f32 v13, v12, 1
	s_or_b64 vcc, s[52:53], vcc
	v_mov_b32_e32 v12, v26
	v_pk_mul_f32 v[14:15], v[8:9], v[26:27]
	scratch_store_dwordx2 off, v[12:13], off offset:164 ; 8-byte Folded Spill
	v_fma_f32 v12, v8, s56, -v14
	v_fmac_f32_e32 v12, 0xb102e308, v8
	v_pk_add_f32 v[8:9], v[14:15], v[12:13]
	v_mov_b32_e32 v26, v14
	v_sub_f32_e32 v13, v9, v13
	v_sub_f32_e32 v13, v15, v13
	v_add_f32_e32 v27, v10, v13
	v_pk_add_f32 v[14:15], v[8:9], v[14:15] neg_lo:[0,1] neg_hi:[0,1]
	v_pk_add_f32 v[28:29], v[8:9], v[26:27]
	v_mov_b32_e32 v13, v8
	v_mov_b32_e32 v15, v29
	v_pk_add_f32 v[30:31], v[12:13], v[14:15] neg_lo:[0,1] neg_hi:[0,1]
	v_pk_add_f32 v[12:13], v[12:13], v[14:15]
	s_nop 0
	v_mov_b32_e32 v10, v13
	v_pk_add_f32 v[14:15], v[10:11], v[8:9] neg_lo:[0,1] neg_hi:[0,1]
	v_mov_b32_e32 v12, v29
	v_mov_b32_e32 v15, v14
	v_pk_add_f32 v[32:33], v[28:29], v[14:15] neg_lo:[0,1] neg_hi:[0,1]
	v_mov_b32_e32 v28, v9
	v_mov_b32_e32 v29, v14
	;; [unrolled: 1-line block ×3, first 2 shown]
	v_pk_add_f32 v[12:13], v[12:13], v[28:29] neg_lo:[0,1] neg_hi:[0,1]
	v_mov_b32_e32 v14, v27
	v_mov_b32_e32 v15, v8
	v_pk_add_f32 v[8:9], v[14:15], v[12:13] neg_lo:[0,1] neg_hi:[0,1]
	v_mov_b32_e32 v32, v30
	v_pk_add_f32 v[12:13], v[32:33], v[8:9]
	s_nop 0
	v_mov_b32_e32 v14, v13
	v_pk_add_f32 v[14:15], v[12:13], v[14:15]
	s_nop 0
	v_pk_add_f32 v[26:27], v[10:11], v[14:15]
	v_mov_b32_e32 v9, v14
	v_mov_b32_e32 v13, v26
	v_pk_add_f32 v[28:29], v[12:13], v[30:31] neg_lo:[0,1] neg_hi:[0,1]
	s_nop 0
	v_sub_f32_e32 v10, v12, v28
	v_pk_add_f32 v[8:9], v[8:9], v[28:29] neg_lo:[0,1] neg_hi:[0,1]
	v_sub_f32_e32 v10, v30, v10
	v_add_f32_e32 v8, v8, v10
	v_add_f32_e32 v8, v8, v9
	;; [unrolled: 1-line block ×3, first 2 shown]
	v_cndmask_b32_e32 v65, v8, v19, vcc
.LBB52_103:                             ;   in Loop: Header=BB52_13 Depth=1
	s_or_b64 exec, exec, s[54:55]
	v_lshlrev_b32_e32 v8, 16, v11
	v_readlane_b32 s0, v95, 2
	s_nop 1
	v_add_f32_e32 v66, s0, v8
	v_cmp_ge_f32_e32 vcc, s4, v66
	s_and_b64 s[0:1], s[6:7], vcc
	s_and_saveexec_b64 s[54:55], s[0:1]
	s_cbranch_execz .LBB52_105
; %bb.104:                              ;   in Loop: Header=BB52_13 Depth=1
	v_mul_f32_e32 v8, 0x3fb8aa3b, v66
	v_rndne_f32_e32 v9, v8
	v_sub_f32_e32 v10, v8, v9
	v_fma_f32 v8, v66, s5, -v8
	v_fmac_f32_e32 v8, 0x32a5705f, v66
	v_add_f32_e32 v8, v10, v8
	v_cvt_i32_f32_e32 v9, v9
	v_exp_f32_e32 v8, v8
	v_cmp_ngt_f32_e32 vcc, s8, v66
	v_ldexp_f32 v8, v8, v9
	s_nop 0
	v_cndmask_b32_e32 v8, 0, v8, vcc
	v_cmp_nlt_f32_e32 vcc, s9, v66
	s_nop 1
	v_cndmask_b32_e32 v19, v39, v8, vcc
	v_add_f32_e32 v10, 1.0, v19
	v_add_f32_e32 v8, -1.0, v10
	v_sub_f32_e32 v9, v8, v10
	v_add_f32_e32 v9, 1.0, v9
	v_sub_f32_e32 v8, v19, v8
	v_add_f32_e32 v12, v8, v9
	v_frexp_mant_f32_e32 v13, v10
	v_cvt_f64_f32_e32 v[8:9], v10
	v_frexp_exp_i32_f64_e32 v8, v[8:9]
	v_cmp_gt_f32_e32 vcc, s11, v13
	v_cmp_gt_f32_e64 s[52:53], s57, v19
	s_nop 0
	v_subbrev_co_u32_e32 v22, vcc, 0, v8, vcc
	v_sub_u32_e32 v8, 0, v22
	v_ldexp_f32 v9, v10, v8
	v_add_f32_e32 v10, -1.0, v9
	v_add_f32_e32 v13, 1.0, v9
	v_ldexp_f32 v8, v12, v8
	v_add_f32_e32 v12, 1.0, v10
	v_add_f32_e32 v14, -1.0, v13
	v_sub_f32_e32 v12, v9, v12
	v_sub_f32_e32 v9, v9, v14
	v_add_f32_e32 v12, v8, v12
	v_add_f32_e32 v8, v8, v9
	;; [unrolled: 1-line block ×3, first 2 shown]
	v_rcp_f32_e32 v30, v28
	v_sub_f32_e32 v9, v13, v28
	v_add_f32_e32 v29, v8, v9
	v_add_f32_e32 v9, v10, v12
	v_sub_f32_e32 v8, v10, v9
	v_mul_f32_e32 v31, v9, v30
	v_add_f32_e32 v10, v12, v8
	v_mul_f32_e32 v12, v28, v31
	v_fma_f32 v14, v31, v28, -v12
	v_fmac_f32_e32 v14, v31, v29
	v_add_f32_e32 v8, v12, v14
	v_sub_f32_e32 v13, v9, v8
	v_pk_add_f32 v[26:27], v[8:9], v[12:13] neg_lo:[0,1] neg_hi:[0,1]
	v_mov_b32_e32 v15, v8
	v_pk_add_f32 v[8:9], v[26:27], v[14:15] neg_lo:[0,1] neg_hi:[0,1]
	v_cmp_eq_f32_e32 vcc, s10, v19
	v_add_f32_e32 v9, v10, v9
	v_add_f32_e32 v8, v8, v9
	;; [unrolled: 1-line block ×3, first 2 shown]
	v_mul_f32_e32 v10, v30, v9
	v_mul_f32_e32 v12, v28, v10
	v_fma_f32 v14, v10, v28, -v12
	v_fmac_f32_e32 v14, v10, v29
	v_sub_f32_e32 v13, v13, v9
	v_add_f32_e32 v28, v8, v13
	v_add_f32_e32 v8, v12, v14
	v_sub_f32_e32 v13, v9, v8
	v_pk_add_f32 v[26:27], v[8:9], v[12:13] neg_lo:[0,1] neg_hi:[0,1]
	v_mov_b32_e32 v15, v8
	v_pk_add_f32 v[8:9], v[26:27], v[14:15] neg_lo:[0,1] neg_hi:[0,1]
	scratch_load_dwordx2 v[26:27], off, off offset:164 ; 8-byte Folded Reload
	v_add_f32_e32 v9, v28, v9
	v_add_f32_e32 v8, v8, v9
	;; [unrolled: 1-line block ×4, first 2 shown]
	v_sub_f32_e32 v12, v9, v31
	v_mul_f32_e32 v8, v30, v8
	v_sub_f32_e32 v10, v10, v12
	v_add_f32_e32 v10, v10, v8
	v_add_f32_e32 v12, v9, v10
	v_mul_f32_e32 v14, v12, v12
	v_mov_b32_e32 v8, 0x3ecc95a3
	v_fmamk_f32 v8, v14, 0x3e9b6dac, v8
	s_waitcnt vmcnt(0)
	v_fmaak_f32 v27, v14, v8, 0x3f2aaada
	v_cvt_f32_i32_e32 v8, v22
	v_sub_f32_e32 v9, v12, v9
	v_sub_f32_e32 v9, v10, v9
	v_ldexp_f32 v10, v9, 1
	v_mul_f32_e32 v9, v12, v14
	v_ldexp_f32 v13, v12, 1
	s_or_b64 vcc, s[52:53], vcc
	v_mov_b32_e32 v12, v26
	v_pk_mul_f32 v[14:15], v[8:9], v[26:27]
	scratch_store_dwordx2 off, v[12:13], off offset:164 ; 8-byte Folded Spill
	v_fma_f32 v12, v8, s56, -v14
	v_fmac_f32_e32 v12, 0xb102e308, v8
	v_pk_add_f32 v[8:9], v[14:15], v[12:13]
	v_mov_b32_e32 v26, v14
	v_sub_f32_e32 v13, v9, v13
	v_sub_f32_e32 v13, v15, v13
	v_add_f32_e32 v27, v10, v13
	v_pk_add_f32 v[14:15], v[8:9], v[14:15] neg_lo:[0,1] neg_hi:[0,1]
	v_pk_add_f32 v[28:29], v[8:9], v[26:27]
	v_mov_b32_e32 v13, v8
	v_mov_b32_e32 v15, v29
	v_pk_add_f32 v[30:31], v[12:13], v[14:15] neg_lo:[0,1] neg_hi:[0,1]
	v_pk_add_f32 v[12:13], v[12:13], v[14:15]
	s_nop 0
	v_mov_b32_e32 v10, v13
	v_pk_add_f32 v[14:15], v[10:11], v[8:9] neg_lo:[0,1] neg_hi:[0,1]
	v_mov_b32_e32 v12, v29
	v_mov_b32_e32 v15, v14
	v_pk_add_f32 v[32:33], v[28:29], v[14:15] neg_lo:[0,1] neg_hi:[0,1]
	v_mov_b32_e32 v28, v9
	v_mov_b32_e32 v29, v14
	;; [unrolled: 1-line block ×3, first 2 shown]
	v_pk_add_f32 v[12:13], v[12:13], v[28:29] neg_lo:[0,1] neg_hi:[0,1]
	v_mov_b32_e32 v14, v27
	v_mov_b32_e32 v15, v8
	v_pk_add_f32 v[8:9], v[14:15], v[12:13] neg_lo:[0,1] neg_hi:[0,1]
	v_mov_b32_e32 v32, v30
	v_pk_add_f32 v[12:13], v[32:33], v[8:9]
	s_nop 0
	v_mov_b32_e32 v14, v13
	v_pk_add_f32 v[14:15], v[12:13], v[14:15]
	s_nop 0
	v_pk_add_f32 v[26:27], v[10:11], v[14:15]
	v_mov_b32_e32 v9, v14
	v_mov_b32_e32 v13, v26
	v_pk_add_f32 v[28:29], v[12:13], v[30:31] neg_lo:[0,1] neg_hi:[0,1]
	s_nop 0
	v_sub_f32_e32 v10, v12, v28
	v_pk_add_f32 v[8:9], v[8:9], v[28:29] neg_lo:[0,1] neg_hi:[0,1]
	v_sub_f32_e32 v10, v30, v10
	v_add_f32_e32 v8, v8, v10
	v_add_f32_e32 v8, v8, v9
	;; [unrolled: 1-line block ×3, first 2 shown]
	v_cndmask_b32_e32 v66, v8, v19, vcc
.LBB52_105:                             ;   in Loop: Header=BB52_13 Depth=1
	s_or_b64 exec, exec, s[54:55]
	v_and_b32_e32 v8, 0xffff0000, v11
	v_readlane_b32 s0, v95, 2
	s_nop 1
	v_add_f32_e32 v27, s0, v8
	v_cmp_ge_f32_e32 vcc, s4, v27
	s_and_b64 s[0:1], s[6:7], vcc
	s_and_saveexec_b64 s[54:55], s[0:1]
	s_cbranch_execz .LBB52_107
; %bb.106:                              ;   in Loop: Header=BB52_13 Depth=1
	v_mul_f32_e32 v8, 0x3fb8aa3b, v27
	v_rndne_f32_e32 v9, v8
	v_sub_f32_e32 v10, v8, v9
	v_fma_f32 v8, v27, s5, -v8
	v_fmac_f32_e32 v8, 0x32a5705f, v27
	v_add_f32_e32 v8, v10, v8
	v_cvt_i32_f32_e32 v9, v9
	v_exp_f32_e32 v8, v8
	v_cmp_ngt_f32_e32 vcc, s8, v27
	v_ldexp_f32 v8, v8, v9
	s_nop 0
	v_cndmask_b32_e32 v8, 0, v8, vcc
	v_cmp_nlt_f32_e32 vcc, s9, v27
	s_nop 1
	v_cndmask_b32_e32 v19, v39, v8, vcc
	v_add_f32_e32 v10, 1.0, v19
	v_add_f32_e32 v8, -1.0, v10
	v_sub_f32_e32 v9, v8, v10
	v_add_f32_e32 v9, 1.0, v9
	v_sub_f32_e32 v8, v19, v8
	v_add_f32_e32 v11, v8, v9
	v_frexp_mant_f32_e32 v12, v10
	v_cvt_f64_f32_e32 v[8:9], v10
	v_frexp_exp_i32_f64_e32 v8, v[8:9]
	v_cmp_gt_f32_e32 vcc, s11, v12
	v_cmp_gt_f32_e64 s[52:53], s57, v19
	s_nop 0
	v_subbrev_co_u32_e32 v22, vcc, 0, v8, vcc
	v_sub_u32_e32 v8, 0, v22
	v_ldexp_f32 v9, v10, v8
	v_add_f32_e32 v10, -1.0, v9
	v_add_f32_e32 v12, 1.0, v9
	v_ldexp_f32 v8, v11, v8
	v_add_f32_e32 v11, 1.0, v10
	v_add_f32_e32 v13, -1.0, v12
	v_sub_f32_e32 v11, v9, v11
	v_sub_f32_e32 v9, v9, v13
	v_add_f32_e32 v11, v8, v11
	v_add_f32_e32 v8, v8, v9
	;; [unrolled: 1-line block ×3, first 2 shown]
	v_rcp_f32_e32 v28, v26
	v_sub_f32_e32 v9, v12, v26
	v_add_f32_e32 v27, v8, v9
	v_add_f32_e32 v9, v10, v11
	v_mul_f32_e32 v30, v9, v28
	v_sub_f32_e32 v8, v10, v9
	v_mul_f32_e32 v10, v26, v30
	v_fma_f32 v12, v30, v26, -v10
	v_fmac_f32_e32 v12, v30, v27
	v_add_f32_e32 v29, v11, v8
	v_add_f32_e32 v8, v10, v12
	v_sub_f32_e32 v11, v9, v8
	v_pk_add_f32 v[14:15], v[8:9], v[10:11] neg_lo:[0,1] neg_hi:[0,1]
	v_mov_b32_e32 v13, v8
	v_pk_add_f32 v[8:9], v[14:15], v[12:13] neg_lo:[0,1] neg_hi:[0,1]
	v_cmp_eq_f32_e32 vcc, s10, v19
	v_add_f32_e32 v9, v29, v9
	v_add_f32_e32 v8, v8, v9
	;; [unrolled: 1-line block ×3, first 2 shown]
	v_mul_f32_e32 v29, v28, v9
	v_mul_f32_e32 v10, v26, v29
	v_fma_f32 v12, v29, v26, -v10
	v_fmac_f32_e32 v12, v29, v27
	v_sub_f32_e32 v11, v11, v9
	v_add_f32_e32 v26, v8, v11
	v_add_f32_e32 v8, v10, v12
	v_sub_f32_e32 v11, v9, v8
	v_pk_add_f32 v[14:15], v[8:9], v[10:11] neg_lo:[0,1] neg_hi:[0,1]
	v_mov_b32_e32 v13, v8
	v_pk_add_f32 v[8:9], v[14:15], v[12:13] neg_lo:[0,1] neg_hi:[0,1]
	scratch_load_dwordx2 v[14:15], off, off offset:164 ; 8-byte Folded Reload
	v_add_f32_e32 v9, v26, v9
	v_add_f32_e32 v8, v8, v9
	;; [unrolled: 1-line block ×4, first 2 shown]
	v_sub_f32_e32 v10, v9, v30
	v_mul_f32_e32 v8, v28, v8
	v_sub_f32_e32 v10, v29, v10
	v_add_f32_e32 v10, v10, v8
	v_add_f32_e32 v12, v9, v10
	v_mul_f32_e32 v13, v12, v12
	v_mov_b32_e32 v8, 0x3ecc95a3
	v_fmamk_f32 v8, v13, 0x3e9b6dac, v8
	v_fmaak_f32 v27, v13, v8, 0x3f2aaada
	v_cvt_f32_i32_e32 v8, v22
	v_sub_f32_e32 v9, v12, v9
	v_sub_f32_e32 v9, v10, v9
	v_ldexp_f32 v11, v12, 1
	s_or_b64 vcc, s[52:53], vcc
	s_waitcnt vmcnt(0)
	v_mov_b32_e32 v26, v14
	v_ldexp_f32 v14, v9, 1
	v_mul_f32_e32 v9, v12, v13
	v_mov_b32_e32 v10, v26
	v_pk_mul_f32 v[12:13], v[8:9], v[26:27]
	scratch_store_dwordx2 off, v[10:11], off offset:164 ; 8-byte Folded Spill
	v_fma_f32 v10, v8, s56, -v12
	v_fmac_f32_e32 v10, 0xb102e308, v8
	v_pk_add_f32 v[8:9], v[12:13], v[10:11]
	s_nop 0
	v_sub_f32_e32 v11, v9, v11
	v_sub_f32_e32 v11, v13, v11
	v_add_f32_e32 v15, v14, v11
	v_mov_b32_e32 v14, v12
	v_pk_add_f32 v[12:13], v[8:9], v[12:13] neg_lo:[0,1] neg_hi:[0,1]
	v_pk_add_f32 v[26:27], v[8:9], v[14:15]
	v_mov_b32_e32 v11, v8
	v_mov_b32_e32 v13, v27
	v_pk_add_f32 v[28:29], v[10:11], v[12:13] neg_lo:[0,1] neg_hi:[0,1]
	v_pk_add_f32 v[10:11], v[10:11], v[12:13]
	v_mov_b32_e32 v14, v15
	v_mov_b32_e32 v12, v11
	v_pk_add_f32 v[30:31], v[12:13], v[8:9] neg_lo:[0,1] neg_hi:[0,1]
	v_mov_b32_e32 v10, v27
	v_mov_b32_e32 v13, v30
	v_pk_add_f32 v[32:33], v[26:27], v[12:13] neg_lo:[0,1] neg_hi:[0,1]
	v_mov_b32_e32 v26, v9
	v_mov_b32_e32 v27, v30
	;; [unrolled: 1-line block ×3, first 2 shown]
	v_pk_add_f32 v[10:11], v[10:11], v[26:27] neg_lo:[0,1] neg_hi:[0,1]
	v_mov_b32_e32 v15, v8
	v_pk_add_f32 v[8:9], v[14:15], v[10:11] neg_lo:[0,1] neg_hi:[0,1]
	v_mov_b32_e32 v32, v28
	v_pk_add_f32 v[10:11], v[32:33], v[8:9]
	s_nop 0
	v_mov_b32_e32 v14, v11
	v_pk_add_f32 v[14:15], v[10:11], v[14:15]
	s_nop 0
	v_pk_add_f32 v[12:13], v[12:13], v[14:15]
	v_mov_b32_e32 v9, v14
	v_mov_b32_e32 v11, v12
	v_pk_add_f32 v[26:27], v[10:11], v[28:29] neg_lo:[0,1] neg_hi:[0,1]
	s_nop 0
	v_sub_f32_e32 v10, v10, v26
	v_pk_add_f32 v[8:9], v[8:9], v[26:27] neg_lo:[0,1] neg_hi:[0,1]
	v_sub_f32_e32 v10, v28, v10
	v_add_f32_e32 v8, v8, v10
	v_add_f32_e32 v8, v8, v9
	;; [unrolled: 1-line block ×3, first 2 shown]
	v_cndmask_b32_e32 v27, v8, v19, vcc
.LBB52_107:                             ;   in Loop: Header=BB52_13 Depth=1
	s_or_b64 exec, exec, s[54:55]
	v_lshlrev_b32_e32 v8, 16, v7
	v_readlane_b32 s0, v95, 3
	v_and_b32_e32 v13, 0xffff0000, v7
	v_and_b32_e32 v7, 0xffff0000, v6
	v_lshlrev_b32_e32 v6, 16, v6
	v_and_b32_e32 v9, 0xffff0000, v5
	v_lshlrev_b32_e32 v5, 16, v5
	;; [unrolled: 2-line block ×7, first 2 shown]
	v_mul_f32_e32 v28, s0, v8
	v_mul_f32_e32 v31, s0, v7
	;; [unrolled: 1-line block ×16, first 2 shown]
	v_readlane_b32 s0, v95, 23
	v_readlane_b32 s1, v95, 24
	s_and_b64 vcc, exec, s[0:1]
	s_waitcnt lgkmcnt(0)
	; wave barrier
	s_cbranch_vccz .LBB52_200
; %bb.108:                              ;   in Loop: Header=BB52_13 Depth=1
	v_mul_f32_e32 v83, v23, v0
	scratch_load_dword v0, off, off offset:264 ; 4-byte Folded Reload
	v_readlane_b32 s0, v95, 8
	v_readlane_b32 s1, v95, 9
	v_mul_f32_e32 v6, v64, v6
	v_mul_f32_e32 v5, v62, v5
	v_lshl_add_u64 v[44:45], s[0:1], 0, v[16:17]
	v_readlane_b32 s0, v95, 18
	v_readlane_b32 s1, v95, 19
	s_mov_b32 s98, 0
	v_mul_f32_e32 v13, v27, v13
	v_lshl_add_u64 v[46:47], s[0:1], 0, v[16:17]
	v_readlane_b32 s1, v95, 52
	s_cmp_lg_u32 s1, 0
	v_readlane_b32 s0, v95, 29
	s_cselect_b64 s[86:87], -1, 0
	s_cmp_eq_u32 s1, s0
	v_readlane_b32 s0, v95, 26
	v_readlane_b32 s1, v95, 27
	s_cselect_b64 s[90:91], -1, 0
	v_mul_f32_e32 v8, v66, v8
	v_mul_f32_e32 v7, v65, v7
	scratch_store_dword off, v6, off offset:80 ; 4-byte Folded Spill
	v_mul_f32_e32 v6, v63, v9
	scratch_store_dword off, v5, off offset:88 ; 4-byte Folded Spill
	v_mul_f32_e32 v5, v61, v10
	v_mul_f32_e32 v19, v60, v4
	;; [unrolled: 1-line block ×9, first 2 shown]
	s_mov_b32 s92, s98
	s_mov_b32 s94, s98
	;; [unrolled: 1-line block ×3, first 2 shown]
	scratch_store_dword off, v13, off offset:68 ; 4-byte Folded Spill
	scratch_store_dword off, v8, off offset:72 ; 4-byte Folded Spill
	;; [unrolled: 1-line block ×5, first 2 shown]
	s_waitcnt vmcnt(7)
	v_cmp_gt_u32_e32 vcc, s82, v0
	scratch_load_dword v0, off, off offset:268 ; 4-byte Folded Reload
	s_or_b64 s[52:53], s[0:1], vcc
	s_waitcnt vmcnt(0)
	v_cmp_gt_u32_e32 vcc, s82, v0
	scratch_load_dword v0, off, off offset:272 ; 4-byte Folded Reload
	s_or_b64 s[54:55], s[0:1], vcc
	;; [unrolled: 4-line block ×15, first 2 shown]
	s_waitcnt vmcnt(0)
	v_cmp_gt_u32_e32 vcc, s82, v0
	s_or_b64 s[82:83], s[0:1], vcc
	v_readlane_b32 s0, v95, 22
	v_readlane_b32 s1, v95, 48
	s_branch .LBB52_110
.LBB52_109:                             ;   in Loop: Header=BB52_110 Depth=2
	s_or_b64 exec, exec, s[84:85]
	v_mul_f32_e32 v48, v84, v70
	v_fma_f32 v49, v84, v71, v8
	v_cndmask_b32_e64 v8, v49, v8, s[16:17]
	v_cndmask_b32_e64 v48, v48, v84, s[16:17]
	s_waitcnt lgkmcnt(0)
	v_fmac_f32_e32 v8, v58, v48
	v_fmac_f32_e32 v9, v8, v85
	;; [unrolled: 1-line block ×12, first 2 shown]
	v_readlane_b32 s4, v95, 38
	v_fmac_f32_e32 v50, v55, v67
	v_readlane_b32 s5, v95, 39
	v_readlane_b32 s6, v95, 40
	;; [unrolled: 1-line block ×7, first 2 shown]
	v_fmac_f32_e32 v51, v50, v16
	s_add_i32 s94, s94, s4
	v_readlane_b32 s4, v95, 10
	v_fmac_f32_e32 v56, v51, v68
	v_readlane_b32 s5, v95, 11
	v_readlane_b32 s8, v95, 14
	v_fmac_f32_e32 v57, v56, v69
	v_and_b32_e32 v49, 0xffff0000, v4
	v_and_b32_e32 v59, 0xffff0000, v5
	v_lshlrev_b32_e32 v48, 16, v4
	v_lshlrev_b32_e32 v58, 16, v5
	v_and_b32_e32 v5, 0xffff0000, v6
	v_and_b32_e32 v69, 0xffff0000, v7
	v_lshlrev_b32_e32 v4, 16, v6
	v_lshlrev_b32_e32 v68, 16, v7
	;; [unrolled: 4-line block ×4, first 2 shown]
	s_add_i32 s1, s1, 8
	s_add_i32 s0, s0, -1
	s_add_i32 s96, s96, s97
	s_add_i32 s92, s92, s8
	;; [unrolled: 1-line block ×3, first 2 shown]
	v_pk_fma_f32 v[40:41], v[10:11], v[58:59], v[40:41]
	v_pk_fma_f32 v[42:43], v[8:9], v[48:49], v[42:43]
	;; [unrolled: 1-line block ×7, first 2 shown]
	s_cmp_eq_u32 s0, 0
	v_pk_fma_f32 v[30:31], v[50:51], v[0:1], v[30:31]
	v_readlane_b32 s6, v95, 12
	v_readlane_b32 s7, v95, 13
	;; [unrolled: 1-line block ×5, first 2 shown]
	s_cbranch_scc1 .LBB52_199
.LBB52_110:                             ;   Parent Loop BB52_13 Depth=1
                                        ; =>  This Inner Loop Header: Depth=2
	s_lshl_b64 s[84:85], s[98:99], 2
	v_readlane_b32 s4, v95, 6
	s_add_u32 s84, s4, s84
	v_readlane_b32 s4, v95, 7
	s_addc_u32 s85, s4, s85
	global_load_dword v50, v17, s[84:85]
	s_mov_b32 s93, s99
	v_lshl_add_u64 v[0:1], s[92:93], 1, v[44:45]
	v_mov_b32_e32 v2, 0
	v_mov_b32_e32 v3, 0
	s_and_saveexec_b64 s[84:85], s[18:19]
	s_cbranch_execz .LBB52_112
; %bb.111:                              ;   in Loop: Header=BB52_110 Depth=2
	global_load_ushort v3, v[0:1], off
.LBB52_112:                             ;   in Loop: Header=BB52_110 Depth=2
	s_or_b64 exec, exec, s[84:85]
	s_and_saveexec_b64 s[84:85], s[20:21]
	s_cbranch_execz .LBB52_114
; %bb.113:                              ;   in Loop: Header=BB52_110 Depth=2
	global_load_ushort v2, v[0:1], off offset:128
.LBB52_114:                             ;   in Loop: Header=BB52_110 Depth=2
	s_or_b64 exec, exec, s[84:85]
	v_mov_b32_e32 v4, 0
	v_mov_b32_e32 v5, 0
	s_and_saveexec_b64 s[84:85], s[22:23]
	s_cbranch_execz .LBB52_116
; %bb.115:                              ;   in Loop: Header=BB52_110 Depth=2
	global_load_ushort v5, v[0:1], off offset:256
.LBB52_116:                             ;   in Loop: Header=BB52_110 Depth=2
	s_or_b64 exec, exec, s[84:85]
	s_and_saveexec_b64 s[84:85], s[24:25]
	s_cbranch_execz .LBB52_118
; %bb.117:                              ;   in Loop: Header=BB52_110 Depth=2
	global_load_ushort v4, v[0:1], off offset:384
.LBB52_118:                             ;   in Loop: Header=BB52_110 Depth=2
	s_or_b64 exec, exec, s[84:85]
	v_mov_b32_e32 v6, 0
	v_mov_b32_e32 v7, 0
	s_and_saveexec_b64 s[84:85], s[26:27]
	s_cbranch_execz .LBB52_120
; %bb.119:                              ;   in Loop: Header=BB52_110 Depth=2
	global_load_ushort v7, v[0:1], off offset:512
.LBB52_120:                             ;   in Loop: Header=BB52_110 Depth=2
	;; [unrolled: 14-line block ×7, first 2 shown]
	s_or_b64 exec, exec, s[84:85]
	s_and_saveexec_b64 s[84:85], s[50:51]
	s_cbranch_execz .LBB52_142
; %bb.141:                              ;   in Loop: Header=BB52_110 Depth=2
	global_load_ushort v16, v[0:1], off offset:1920
.LBB52_142:                             ;   in Loop: Header=BB52_110 Depth=2
	s_or_b64 exec, exec, s[84:85]
	scratch_load_dword v0, off, off         ; 4-byte Folded Reload
	s_mov_b32 s95, s99
	s_waitcnt vmcnt(0)
	ds_write_b16 v0, v3
	scratch_load_dword v0, off, off offset:8 ; 4-byte Folded Reload
	v_mov_b32_e32 v3, 0
	s_waitcnt vmcnt(0)
	ds_write_b16 v0, v2 offset:128
	scratch_load_dword v0, off, off offset:12 ; 4-byte Folded Reload
	v_mov_b32_e32 v2, 0
	s_waitcnt vmcnt(0)
	ds_write_b16 v0, v5 offset:256
	scratch_load_dword v0, off, off offset:16 ; 4-byte Folded Reload
	s_waitcnt vmcnt(0)
	ds_write_b16 v0, v4 offset:384
	scratch_load_dword v0, off, off offset:20 ; 4-byte Folded Reload
	;; [unrolled: 3-line block ×13, first 2 shown]
	s_waitcnt vmcnt(0)
	ds_write_b16 v0, v16 offset:1920
	; wave barrier
	scratch_load_dword v0, off, off offset:4 ; 4-byte Folded Reload
	s_waitcnt vmcnt(0)
	ds_read_b128 v[12:15], v0
	ds_read_b128 v[8:11], v0 offset:16
	v_lshl_add_u64 v[0:1], s[94:95], 1, v[46:47]
	s_and_saveexec_b64 s[84:85], s[18:19]
	s_cbranch_execz .LBB52_144
; %bb.143:                              ;   in Loop: Header=BB52_110 Depth=2
	global_load_ushort v3, v[0:1], off
.LBB52_144:                             ;   in Loop: Header=BB52_110 Depth=2
	s_or_b64 exec, exec, s[84:85]
	s_and_saveexec_b64 s[84:85], s[20:21]
	s_cbranch_execz .LBB52_146
; %bb.145:                              ;   in Loop: Header=BB52_110 Depth=2
	global_load_ushort v2, v[0:1], off offset:128
.LBB52_146:                             ;   in Loop: Header=BB52_110 Depth=2
	s_or_b64 exec, exec, s[84:85]
	v_mov_b32_e32 v4, 0
	v_mov_b32_e32 v5, 0
	s_and_saveexec_b64 s[84:85], s[22:23]
	s_cbranch_execz .LBB52_148
; %bb.147:                              ;   in Loop: Header=BB52_110 Depth=2
	global_load_ushort v5, v[0:1], off offset:256
.LBB52_148:                             ;   in Loop: Header=BB52_110 Depth=2
	s_or_b64 exec, exec, s[84:85]
	s_and_saveexec_b64 s[84:85], s[24:25]
	s_cbranch_execz .LBB52_150
; %bb.149:                              ;   in Loop: Header=BB52_110 Depth=2
	global_load_ushort v4, v[0:1], off offset:384
.LBB52_150:                             ;   in Loop: Header=BB52_110 Depth=2
	s_or_b64 exec, exec, s[84:85]
	v_mov_b32_e32 v6, 0
	v_mov_b32_e32 v7, 0
	s_and_saveexec_b64 s[84:85], s[26:27]
	s_cbranch_execz .LBB52_152
; %bb.151:                              ;   in Loop: Header=BB52_110 Depth=2
	global_load_ushort v7, v[0:1], off offset:512
.LBB52_152:                             ;   in Loop: Header=BB52_110 Depth=2
	;; [unrolled: 14-line block ×7, first 2 shown]
	s_or_b64 exec, exec, s[84:85]
	s_and_saveexec_b64 s[84:85], s[50:51]
	s_cbranch_execz .LBB52_174
; %bb.173:                              ;   in Loop: Header=BB52_110 Depth=2
	global_load_ushort v54, v[0:1], off offset:1920
.LBB52_174:                             ;   in Loop: Header=BB52_110 Depth=2
	s_or_b64 exec, exec, s[84:85]
	scratch_load_dword v0, off, off         ; 4-byte Folded Reload
	s_andn2_b64 vcc, exec, s[86:87]
	s_waitcnt vmcnt(0)
	ds_write_b16 v0, v3 offset:2112
	scratch_load_dword v0, off, off offset:96 ; 4-byte Folded Reload
	s_waitcnt vmcnt(0)
	ds_write_b16 v0, v2 offset:128
	scratch_load_dword v0, off, off offset:100 ; 4-byte Folded Reload
	;; [unrolled: 3-line block ×15, first 2 shown]
	s_waitcnt vmcnt(0)
	ds_write_b16 v0, v54 offset:1920
	; wave barrier
	scratch_load_dword v0, off, off offset:4 ; 4-byte Folded Reload
	s_waitcnt vmcnt(0)
	ds_read_b128 v[4:7], v0 offset:2112
	scratch_load_dword v0, off, off offset:156 ; 4-byte Folded Reload
	s_waitcnt vmcnt(0)
	ds_read_b128 v[0:3], v0 offset:16
	s_cbranch_vccnz .LBB52_176
; %bb.175:                              ;   in Loop: Header=BB52_110 Depth=2
	v_mov_b32_e32 v16, s1
	ds_read_b64 v[48:49], v16
	s_cbranch_execz .LBB52_177
	s_branch .LBB52_180
.LBB52_176:                             ;   in Loop: Header=BB52_110 Depth=2
                                        ; implicit-def: $vgpr49
.LBB52_177:                             ;   in Loop: Header=BB52_110 Depth=2
	v_readlane_b32 s84, v95, 0
	v_readlane_b32 s85, v95, 1
	s_andn2_b64 vcc, exec, s[84:85]
	s_waitcnt lgkmcnt(0)
	v_mov_b32_e32 v49, 0
	s_cbranch_vccnz .LBB52_179
; %bb.178:                              ;   in Loop: Header=BB52_110 Depth=2
	s_mov_b32 s97, s99
	s_lshl_b64 s[84:85], s[96:97], 2
	v_readlane_b32 s4, v95, 20
	s_add_u32 s84, s4, s84
	v_readlane_b32 s4, v95, 21
	s_addc_u32 s85, s4, s85
	global_load_dword v49, v17, s[84:85]
	v_readlane_b32 s97, v95, 49
.LBB52_179:                             ;   in Loop: Header=BB52_110 Depth=2
	v_mov_b32_e32 v48, 1.0
.LBB52_180:                             ;   in Loop: Header=BB52_110 Depth=2
	v_mul_f32_e32 v56, 0x3fb8aa3b, v50
	s_waitcnt lgkmcnt(14)
	v_lshlrev_b32_e32 v52, 16, v8
	v_and_b32_e32 v53, 0xffff0000, v8
	v_mul_f32_e32 v8, v56, v23
	v_cmp_gt_f32_e32 vcc, s33, v8
	v_lshlrev_b32_e32 v58, 16, v10
	v_and_b32_e32 v59, 0xffff0000, v10
	v_cndmask_b32_e32 v8, 0, v20, vcc
	v_mul_f32_e32 v10, v56, v24
	v_lshlrev_b32_e32 v54, 16, v9
	v_and_b32_e32 v55, 0xffff0000, v9
	v_fmac_f32_e32 v8, v56, v23
	v_cndmask_b32_e32 v9, 1.0, v21, vcc
	v_cmp_gt_f32_e32 vcc, s33, v10
	v_exp_f32_e32 v8, v8
	v_lshlrev_b32_e32 v68, 16, v11
	v_cndmask_b32_e32 v10, 0, v20, vcc
	v_fmac_f32_e32 v10, v56, v24
	v_exp_f32_e32 v10, v10
	v_and_b32_e32 v57, 0xffff0000, v11
	v_mul_f32_e32 v9, v8, v9
	v_mul_f32_e32 v11, v56, v25
	v_lshlrev_b32_e32 v16, 16, v12
	v_and_b32_e32 v12, 0xffff0000, v12
	v_cndmask_b32_e64 v84, 1.0, v9, s[52:53]
	v_cndmask_b32_e32 v9, 1.0, v21, vcc
	v_cmp_gt_f32_e32 vcc, s33, v11
	v_mul_f32_e32 v10, v10, v9
	v_mul_f32_e32 v9, v82, v12
	v_cndmask_b32_e32 v11, 0, v20, vcc
	v_mul_f32_e32 v12, v56, v18
	v_fmac_f32_e32 v11, v56, v25
	v_cndmask_b32_e64 v85, 1.0, v10, s[54:55]
	v_cndmask_b32_e32 v10, 1.0, v21, vcc
	v_cmp_gt_f32_e32 vcc, s33, v12
	v_exp_f32_e32 v11, v11
	v_lshlrev_b32_e32 v22, 16, v13
	v_cndmask_b32_e32 v12, 0, v20, vcc
	v_fmac_f32_e32 v12, v56, v18
	v_exp_f32_e32 v12, v12
	v_mul_f32_e32 v11, v11, v10
	v_and_b32_e32 v13, 0xffff0000, v13
	v_cndmask_b32_e64 v86, 1.0, v11, s[56:57]
	v_cndmask_b32_e32 v11, 1.0, v21, vcc
	v_mul_f32_e32 v12, v12, v11
	v_mul_f32_e32 v11, v80, v13
	;; [unrolled: 1-line block ×3, first 2 shown]
	v_cmp_gt_f32_e32 vcc, s33, v13
	v_mul_f32_e32 v8, v83, v16
	v_mul_f32_e32 v16, v56, v92
	v_cndmask_b32_e32 v13, 0, v20, vcc
	v_fmac_f32_e32 v13, v56, v74
	v_cndmask_b32_e64 v87, 1.0, v12, s[58:59]
	v_cndmask_b32_e32 v12, 1.0, v21, vcc
	v_cmp_gt_f32_e32 vcc, s33, v16
	v_exp_f32_e32 v13, v13
	v_lshlrev_b32_e32 v26, 16, v14
	v_cndmask_b32_e32 v16, 0, v20, vcc
	v_fmac_f32_e32 v16, v56, v92
	v_exp_f32_e32 v16, v16
	v_mul_f32_e32 v13, v13, v12
	v_and_b32_e32 v14, 0xffff0000, v14
	v_cndmask_b32_e64 v88, 1.0, v13, s[60:61]
	v_cndmask_b32_e32 v13, 1.0, v21, vcc
	v_mul_f32_e32 v16, v16, v13
	v_mul_f32_e32 v13, v78, v14
	;; [unrolled: 1-line block ×3, first 2 shown]
	v_cmp_gt_f32_e32 vcc, s33, v14
	v_mul_f32_e32 v10, v81, v22
	v_mul_f32_e32 v22, v56, v94
	v_cndmask_b32_e32 v14, 0, v20, vcc
	v_fmac_f32_e32 v14, v56, v93
	v_cndmask_b32_e64 v89, 1.0, v16, s[62:63]
	v_cndmask_b32_e32 v16, 1.0, v21, vcc
	v_cmp_gt_f32_e32 vcc, s33, v22
	v_exp_f32_e32 v14, v14
	v_mul_f32_e32 v12, v79, v26
	v_cndmask_b32_e32 v22, 0, v20, vcc
	v_fmac_f32_e32 v22, v56, v94
	v_exp_f32_e32 v22, v22
	v_mul_f32_e32 v16, v14, v16
	v_cndmask_b32_e64 v90, 1.0, v16, s[64:65]
	v_cndmask_b32_e32 v16, 1.0, v21, vcc
	v_mul_f32_e32 v16, v22, v16
	v_mul_f32_e32 v22, v56, v60
	v_cmp_gt_f32_e32 vcc, s33, v22
	v_mul_f32_e32 v50, v56, v61
	v_lshlrev_b32_e32 v51, 16, v15
	v_cndmask_b32_e32 v22, 0, v20, vcc
	v_fmac_f32_e32 v22, v56, v60
	v_exp_f32_e32 v26, v22
	v_cndmask_b32_e64 v22, 1.0, v16, s[66:67]
	v_cndmask_b32_e32 v16, 1.0, v21, vcc
	v_cmp_gt_f32_e32 vcc, s33, v50
	v_mul_f32_e32 v16, v26, v16
	v_mul_f32_e32 v26, v19, v52
	v_cndmask_b32_e64 v52, 0, v26, s[68:69]
	scratch_load_dword v26, off, off offset:92 ; 4-byte Folded Reload
	v_cndmask_b32_e32 v50, 0, v20, vcc
	v_fmac_f32_e32 v50, v56, v61
	v_exp_f32_e32 v50, v50
	v_cndmask_b32_e64 v73, 1.0, v16, s[68:69]
	v_cndmask_b32_e32 v16, 1.0, v21, vcc
	v_mul_f32_e32 v14, v77, v51
	v_mul_f32_e32 v16, v50, v16
	v_mul_f32_e32 v50, v56, v62
	v_cmp_gt_f32_e32 vcc, s33, v50
	v_cndmask_b32_e64 v75, 1.0, v16, s[70:71]
	v_mul_f32_e32 v51, v56, v64
	v_cndmask_b32_e32 v50, 0, v20, vcc
	v_fmac_f32_e32 v50, v56, v62
	v_exp_f32_e32 v50, v50
	v_cndmask_b32_e32 v16, 1.0, v21, vcc
	v_cndmask_b32_e64 v8, 0, v8, s[52:53]
	v_cndmask_b32_e64 v9, 0, v9, s[54:55]
	v_mul_f32_e32 v16, v50, v16
	v_mul_f32_e32 v50, v56, v63
	v_cmp_gt_f32_e32 vcc, s33, v50
	v_cndmask_b32_e64 v10, 0, v10, s[56:57]
	v_cndmask_b32_e64 v11, 0, v11, s[58:59]
	v_cndmask_b32_e32 v50, 0, v20, vcc
	v_fmac_f32_e32 v50, v56, v63
	v_exp_f32_e32 v50, v50
	v_cndmask_b32_e64 v12, 0, v12, s[60:61]
	v_and_b32_e32 v15, 0xffff0000, v15
	v_cndmask_b32_e64 v13, 0, v13, s[62:63]
	v_cndmask_b32_e64 v14, 0, v14, s[64:65]
	v_mul_f32_e32 v15, v76, v15
	v_cndmask_b32_e64 v15, 0, v15, s[66:67]
	v_readlane_b32 s4, v95, 30
	v_readlane_b32 s5, v95, 31
	s_waitcnt vmcnt(0)
	v_mul_f32_e32 v26, v26, v53
	v_cndmask_b32_e64 v53, 0, v26, s[70:71]
	scratch_load_dword v26, off, off offset:88 ; 4-byte Folded Reload
	s_waitcnt vmcnt(0)
	v_mul_f32_e32 v26, v26, v54
	v_cndmask_b32_e64 v54, 0, v26, s[72:73]
	v_cndmask_b32_e64 v26, 1.0, v16, s[72:73]
	v_cndmask_b32_e32 v16, 1.0, v21, vcc
	v_mul_f32_e32 v16, v50, v16
	scratch_load_dword v50, off, off offset:84 ; 4-byte Folded Reload
	v_cmp_gt_f32_e32 vcc, s33, v51
	v_cndmask_b32_e64 v91, 1.0, v16, s[74:75]
	s_waitcnt vmcnt(0)
	v_mul_f32_e32 v50, v50, v55
	v_cndmask_b32_e32 v51, 0, v20, vcc
	v_fmac_f32_e32 v51, v56, v64
	v_exp_f32_e32 v51, v51
	v_cndmask_b32_e32 v16, 1.0, v21, vcc
	v_cndmask_b32_e64 v55, 0, v50, s[74:75]
	scratch_load_dword v50, off, off offset:80 ; 4-byte Folded Reload
	v_mul_f32_e32 v16, v51, v16
	v_mul_f32_e32 v51, v56, v65
	v_cmp_gt_f32_e32 vcc, s33, v51
	v_cndmask_b32_e64 v67, 1.0, v16, s[76:77]
	s_nop 0
	v_cndmask_b32_e32 v51, 0, v20, vcc
	v_fmac_f32_e32 v51, v56, v65
	v_exp_f32_e32 v51, v51
	v_cndmask_b32_e32 v16, 1.0, v21, vcc
	v_mul_f32_e32 v16, v51, v16
	scratch_load_dword v51, off, off offset:76 ; 4-byte Folded Reload
	v_cndmask_b32_e64 v16, 1.0, v16, s[78:79]
	s_waitcnt vmcnt(1)
	v_mul_f32_e32 v50, v50, v58
	v_mul_f32_e32 v58, v56, v66
	v_cmp_gt_f32_e32 vcc, s33, v58
	v_cndmask_b32_e64 v50, 0, v50, s[76:77]
	s_waitcnt vmcnt(0)
	v_mul_f32_e32 v51, v51, v59
	v_cndmask_b32_e32 v58, 0, v20, vcc
	v_fmac_f32_e32 v58, v56, v66
	v_exp_f32_e32 v58, v58
	v_cndmask_b32_e32 v59, 1.0, v21, vcc
	v_cndmask_b32_e64 v51, 0, v51, s[78:79]
	v_mul_f32_e32 v58, v58, v59
	scratch_load_dword v59, off, off offset:72 ; 4-byte Folded Reload
	s_waitcnt vmcnt(0)
	v_mul_f32_e32 v59, v59, v68
	v_mul_f32_e32 v68, v56, v27
	v_cmp_gt_f32_e32 vcc, s33, v68
	s_nop 1
	v_cndmask_b32_e32 v68, 0, v20, vcc
	v_fmac_f32_e32 v68, v56, v27
	v_cndmask_b32_e64 v56, 0, v59, s[80:81]
	scratch_load_dword v59, off, off offset:68 ; 4-byte Folded Reload
	v_exp_f32_e32 v69, v68
	v_cndmask_b32_e64 v68, 1.0, v58, s[80:81]
	v_cndmask_b32_e32 v58, 1.0, v21, vcc
	v_mul_f32_e32 v58, v69, v58
	v_cndmask_b32_e64 v69, 1.0, v58, s[82:83]
	v_mul_f32_e32 v58, v85, v84
	v_mul_f32_e32 v58, v58, v86
	;; [unrolled: 1-line block ×15, first 2 shown]
	s_waitcnt vmcnt(0)
	v_mul_f32_e32 v57, v59, v57
	v_fma_f32 v59, v85, v8, v9
	v_fma_f32 v59, v59, v86, v10
	;; [unrolled: 1-line block ×13, first 2 shown]
	v_cndmask_b32_e64 v57, 0, v57, s[82:83]
	v_fma_f32 v59, v59, v68, v56
	v_fma_f32 v72, v59, v69, v57
	v_mov_b32_dpp v71, v58 row_shr:1 row_mask:0xf bank_mask:0xf
	s_nop 0
	v_mov_b32_dpp v70, v72 row_shr:1 row_mask:0xf bank_mask:0xf
	s_and_saveexec_b64 s[84:85], s[4:5]
; %bb.181:                              ;   in Loop: Header=BB52_110 Depth=2
	v_mul_f32_e32 v71, v58, v71
	v_fmac_f32_e32 v72, v58, v70
	v_mov_b32_e32 v58, v71
; %bb.182:                              ;   in Loop: Header=BB52_110 Depth=2
	s_or_b64 exec, exec, s[84:85]
	v_readlane_b32 s4, v95, 32
	v_mov_b32_dpp v70, v58 row_shr:2 row_mask:0xf bank_mask:0xf
	v_mov_b32_dpp v71, v72 row_shr:2 row_mask:0xf bank_mask:0xf
	v_readlane_b32 s5, v95, 33
	s_and_saveexec_b64 s[84:85], s[4:5]
; %bb.183:                              ;   in Loop: Header=BB52_110 Depth=2
	v_fmac_f32_e32 v72, v58, v71
	v_mul_f32_e32 v58, v58, v70
; %bb.184:                              ;   in Loop: Header=BB52_110 Depth=2
	s_or_b64 exec, exec, s[84:85]
	s_nop 0
	v_mov_b32_dpp v70, v58 row_shr:4 row_mask:0xf bank_mask:0xf
	v_mov_b32_dpp v71, v72 row_shr:4 row_mask:0xf bank_mask:0xf
	s_and_saveexec_b64 s[84:85], s[2:3]
; %bb.185:                              ;   in Loop: Header=BB52_110 Depth=2
	v_fmac_f32_e32 v72, v58, v71
	v_mul_f32_e32 v58, v58, v70
; %bb.186:                              ;   in Loop: Header=BB52_110 Depth=2
	s_or_b64 exec, exec, s[84:85]
	v_readlane_b32 s4, v95, 34
	v_mov_b32_dpp v70, v58 row_shr:8 row_mask:0xf bank_mask:0xf
	v_mov_b32_dpp v71, v72 row_shr:8 row_mask:0xf bank_mask:0xf
	v_readlane_b32 s5, v95, 35
	s_and_saveexec_b64 s[84:85], s[4:5]
; %bb.187:                              ;   in Loop: Header=BB52_110 Depth=2
	v_fmac_f32_e32 v72, v58, v71
	v_mul_f32_e32 v58, v58, v70
; %bb.188:                              ;   in Loop: Header=BB52_110 Depth=2
	s_or_b64 exec, exec, s[84:85]
	v_readlane_b32 s4, v95, 36
	v_mov_b32_dpp v70, v58 row_bcast:15 row_mask:0xf bank_mask:0xf
	v_mov_b32_dpp v71, v72 row_bcast:15 row_mask:0xf bank_mask:0xf
	v_readlane_b32 s5, v95, 37
	s_and_saveexec_b64 s[84:85], s[4:5]
; %bb.189:                              ;   in Loop: Header=BB52_110 Depth=2
	v_fmac_f32_e32 v72, v58, v71
	v_mul_f32_e32 v58, v58, v70
; %bb.190:                              ;   in Loop: Header=BB52_110 Depth=2
	s_or_b64 exec, exec, s[84:85]
	s_nop 0
	v_mov_b32_dpp v70, v58 row_bcast:31 row_mask:0xf bank_mask:0xf
	v_mov_b32_dpp v71, v72 row_bcast:31 row_mask:0xf bank_mask:0xf
	v_mov_b32_e32 v59, v72
	v_mul_f32_e32 v70, v58, v70
	v_fmac_f32_e32 v59, v58, v71
	v_readlane_b32 s4, v95, 46
	v_cndmask_b32_e64 v58, v58, v70, s[12:13]
	v_cndmask_b32_e64 v59, v72, v59, s[12:13]
	v_readlane_b32 s5, v95, 47
	s_and_saveexec_b64 s[84:85], s[4:5]
	s_cbranch_execz .LBB52_192
; %bb.191:                              ;   in Loop: Header=BB52_110 Depth=2
	ds_write_b64 v17, v[58:59] offset:4224
.LBB52_192:                             ;   in Loop: Header=BB52_110 Depth=2
	s_or_b64 exec, exec, s[84:85]
	scratch_load_dword v71, off, off offset:160 ; 4-byte Folded Reload
	s_waitcnt lgkmcnt(0)
	; wave barrier
	s_waitcnt vmcnt(0) lgkmcnt(0)
	ds_bpermute_b32 v70, v71, v58
	ds_bpermute_b32 v71, v71, v59
	v_mov_b32_e32 v59, v49
	s_and_saveexec_b64 s[84:85], s[14:15]
	s_cbranch_execz .LBB52_196
; %bb.193:                              ;   in Loop: Header=BB52_110 Depth=2
	ds_read_b64 v[58:59], v17 offset:4224
	s_and_saveexec_b64 s[88:89], s[16:17]
	s_cbranch_execz .LBB52_195
; %bb.194:                              ;   in Loop: Header=BB52_110 Depth=2
	ds_write_b64 v17, v[48:49] offset:4224
.LBB52_195:                             ;   in Loop: Header=BB52_110 Depth=2
	s_or_b64 exec, exec, s[88:89]
	s_waitcnt lgkmcnt(0)
	v_fmac_f32_e32 v59, v49, v58
	v_mul_f32_e32 v48, v48, v58
	v_mov_b32_e32 v49, v59
.LBB52_196:                             ;   in Loop: Header=BB52_110 Depth=2
	s_or_b64 exec, exec, s[84:85]
	s_waitcnt lgkmcnt(0)
	; wave barrier
	s_waitcnt lgkmcnt(0)
	ds_read_b32 v58, v17 offset:4228
	s_and_saveexec_b64 s[84:85], s[16:17]
	s_cbranch_execz .LBB52_109
; %bb.197:                              ;   in Loop: Header=BB52_110 Depth=2
	v_mov_b32_e32 v72, s1
	s_andn2_b64 vcc, exec, s[90:91]
	ds_write_b64 v72, v[48:49]
	s_cbranch_vccnz .LBB52_109
; %bb.198:                              ;   in Loop: Header=BB52_110 Depth=2
	s_mov_b32 s97, s99
	s_lshl_b64 s[88:89], s[96:97], 2
	v_readlane_b32 s4, v95, 20
	s_add_u32 s88, s4, s88
	v_readlane_b32 s4, v95, 21
	v_readlane_b32 s97, v95, 49
	s_addc_u32 s89, s4, s89
	global_store_dword v17, v59, s[88:89]
	s_branch .LBB52_109
.LBB52_199:                             ;   in Loop: Header=BB52_13 Depth=1
	v_readlane_b32 s6, v95, 50
	v_readlane_b32 s7, v95, 51
	s_mov_b32 s4, 0x41a00000
	s_mov_b32 s5, 0x3fb8aa3b
	;; [unrolled: 1-line block ×8, first 2 shown]
.LBB52_200:                             ;   in Loop: Header=BB52_13 Depth=1
	s_waitcnt lgkmcnt(0)
	; wave barrier
	scratch_load_dword v9, off, off offset:4 ; 4-byte Folded Reload
	v_bfe_u32 v0, v42, 16, 1
	s_movk_i32 s0, 0x7fff
	v_bfe_u32 v1, v43, 16, 1
	v_add3_u32 v0, v42, v0, s0
	v_bfe_u32 v2, v40, 16, 1
	v_add3_u32 v1, v43, v1, s0
	v_lshrrev_b32_e32 v0, 16, v0
	v_cmp_o_f32_e32 vcc, v42, v42
	v_mov_b32_e32 v10, 0x7fc0
	v_bfe_u32 v3, v41, 16, 1
	v_add3_u32 v2, v40, v2, s0
	v_lshrrev_b32_e32 v1, 16, v1
	v_cndmask_b32_e32 v0, v10, v0, vcc
	v_cmp_o_f32_e32 vcc, v43, v43
	v_add3_u32 v3, v41, v3, s0
	v_lshrrev_b32_e32 v2, 16, v2
	v_cndmask_b32_e32 v4, v10, v1, vcc
	v_cmp_o_f32_e32 vcc, v40, v40
	v_lshrrev_b32_e32 v3, 16, v3
	v_bfe_u32 v6, v36, 16, 1
	v_cndmask_b32_e32 v1, v10, v2, vcc
	v_cmp_o_f32_e32 vcc, v41, v41
	v_bfe_u32 v2, v38, 16, 1
	v_add3_u32 v2, v38, v2, s0
	v_cndmask_b32_e32 v5, v10, v3, vcc
	v_bfe_u32 v3, v39, 16, 1
	v_add3_u32 v3, v39, v3, s0
	v_lshrrev_b32_e32 v2, 16, v2
	v_cmp_o_f32_e32 vcc, v38, v38
	v_bfe_u32 v7, v37, 16, 1
	v_add3_u32 v6, v36, v6, s0
	v_lshrrev_b32_e32 v3, 16, v3
	v_cndmask_b32_e32 v2, v10, v2, vcc
	v_cmp_o_f32_e32 vcc, v39, v39
	v_add3_u32 v7, v37, v7, s0
	v_lshrrev_b32_e32 v6, 16, v6
	v_cndmask_b32_e32 v8, v10, v3, vcc
	v_cmp_o_f32_e32 vcc, v36, v36
	v_lshrrev_b32_e32 v7, 16, v7
	s_mov_b32 s1, 0x5040100
	v_cndmask_b32_e32 v3, v10, v6, vcc
	v_cmp_o_f32_e32 vcc, v37, v37
	v_perm_b32 v2, v8, v2, s1
	v_perm_b32 v1, v5, v1, s1
	v_cndmask_b32_e32 v6, v10, v7, vcc
	v_perm_b32 v3, v6, v3, s1
	v_perm_b32 v0, v4, v0, s1
	v_cmp_o_f32_e32 vcc, v34, v34
	v_bfe_u32 v6, v28, 16, 1
	v_bfe_u32 v7, v29, 16, 1
	v_add3_u32 v6, v28, v6, s0
	v_add3_u32 v7, v29, v7, s0
	v_lshrrev_b32_e32 v6, 16, v6
	v_lshrrev_b32_e32 v7, 16, v7
	v_readlane_b32 s52, v95, 53
	v_readlane_b32 s53, v95, 54
	s_mov_b32 s53, s99
	s_mov_b64 s[58:59], s[52:53]
	s_waitcnt vmcnt(0)
	ds_write_b128 v9, v[0:3]
	v_bfe_u32 v0, v34, 16, 1
	v_bfe_u32 v1, v35, 16, 1
	v_add3_u32 v0, v34, v0, s0
	v_bfe_u32 v2, v32, 16, 1
	v_add3_u32 v1, v35, v1, s0
	v_lshrrev_b32_e32 v0, 16, v0
	v_bfe_u32 v3, v33, 16, 1
	v_add3_u32 v2, v32, v2, s0
	v_lshrrev_b32_e32 v1, 16, v1
	v_cndmask_b32_e32 v0, v10, v0, vcc
	v_cmp_o_f32_e32 vcc, v35, v35
	v_add3_u32 v3, v33, v3, s0
	v_lshrrev_b32_e32 v2, 16, v2
	v_cndmask_b32_e32 v4, v10, v1, vcc
	v_cmp_o_f32_e32 vcc, v32, v32
	v_lshrrev_b32_e32 v3, 16, v3
	v_perm_b32 v0, v4, v0, s1
	v_cndmask_b32_e32 v1, v10, v2, vcc
	v_cmp_o_f32_e32 vcc, v33, v33
	v_bfe_u32 v2, v30, 16, 1
	v_add3_u32 v2, v30, v2, s0
	v_cndmask_b32_e32 v5, v10, v3, vcc
	v_bfe_u32 v3, v31, 16, 1
	v_add3_u32 v3, v31, v3, s0
	v_lshrrev_b32_e32 v2, 16, v2
	v_cmp_o_f32_e32 vcc, v30, v30
	v_lshrrev_b32_e32 v3, 16, v3
	v_perm_b32 v1, v5, v1, s1
	v_cndmask_b32_e32 v2, v10, v2, vcc
	v_cmp_o_f32_e32 vcc, v31, v31
	s_nop 1
	v_cndmask_b32_e32 v8, v10, v3, vcc
	v_cmp_o_f32_e32 vcc, v28, v28
	v_perm_b32 v2, v8, v2, s1
	s_nop 0
	v_cndmask_b32_e32 v3, v10, v6, vcc
	v_cmp_o_f32_e32 vcc, v29, v29
	s_nop 1
	v_cndmask_b32_e32 v6, v10, v7, vcc
	v_perm_b32 v3, v6, v3, s1
	ds_write_b128 v9, v[0:3] offset:16
	; wave barrier
	scratch_load_dword v0, off, off offset:8 ; 4-byte Folded Reload
	s_waitcnt vmcnt(0)
	ds_read_u16 v16, v0 offset:128
	scratch_load_dword v0, off, off offset:12 ; 4-byte Folded Reload
	s_waitcnt vmcnt(0)
	ds_read_u16 v15, v0 offset:256
	;; [unrolled: 3-line block ×15, first 2 shown]
	scratch_load_dwordx2 v[0:1], off, off offset:240 ; 8-byte Folded Reload
	s_waitcnt vmcnt(0)
	v_lshl_add_u64 v[0:1], s[52:53], 1, v[0:1]
	s_and_saveexec_b64 s[52:53], s[18:19]
	s_cbranch_execnz .LBB52_269
; %bb.201:                              ;   in Loop: Header=BB52_13 Depth=1
	s_or_b64 exec, exec, s[52:53]
	s_and_saveexec_b64 s[52:53], s[20:21]
	s_cbranch_execnz .LBB52_270
.LBB52_202:                             ;   in Loop: Header=BB52_13 Depth=1
	s_or_b64 exec, exec, s[52:53]
	s_and_saveexec_b64 s[52:53], s[22:23]
	s_cbranch_execnz .LBB52_271
.LBB52_203:                             ;   in Loop: Header=BB52_13 Depth=1
	s_or_b64 exec, exec, s[52:53]
	s_and_saveexec_b64 s[52:53], s[24:25]
	s_cbranch_execnz .LBB52_272
.LBB52_204:                             ;   in Loop: Header=BB52_13 Depth=1
	s_or_b64 exec, exec, s[52:53]
	s_and_saveexec_b64 s[52:53], s[26:27]
	s_cbranch_execnz .LBB52_273
.LBB52_205:                             ;   in Loop: Header=BB52_13 Depth=1
	s_or_b64 exec, exec, s[52:53]
	s_and_saveexec_b64 s[52:53], s[28:29]
	s_cbranch_execnz .LBB52_274
.LBB52_206:                             ;   in Loop: Header=BB52_13 Depth=1
	s_or_b64 exec, exec, s[52:53]
	s_and_saveexec_b64 s[52:53], s[30:31]
	s_cbranch_execnz .LBB52_275
.LBB52_207:                             ;   in Loop: Header=BB52_13 Depth=1
	s_or_b64 exec, exec, s[52:53]
	s_and_saveexec_b64 s[52:53], s[34:35]
	s_cbranch_execnz .LBB52_276
.LBB52_208:                             ;   in Loop: Header=BB52_13 Depth=1
	s_or_b64 exec, exec, s[52:53]
	s_and_saveexec_b64 s[52:53], s[36:37]
	s_cbranch_execnz .LBB52_277
.LBB52_209:                             ;   in Loop: Header=BB52_13 Depth=1
	s_or_b64 exec, exec, s[52:53]
	s_and_saveexec_b64 s[52:53], s[38:39]
	s_cbranch_execnz .LBB52_278
.LBB52_210:                             ;   in Loop: Header=BB52_13 Depth=1
	s_or_b64 exec, exec, s[52:53]
	s_and_saveexec_b64 s[52:53], s[40:41]
	s_cbranch_execnz .LBB52_279
.LBB52_211:                             ;   in Loop: Header=BB52_13 Depth=1
	s_or_b64 exec, exec, s[52:53]
	s_and_saveexec_b64 s[52:53], s[42:43]
	s_cbranch_execnz .LBB52_280
.LBB52_212:                             ;   in Loop: Header=BB52_13 Depth=1
	s_or_b64 exec, exec, s[52:53]
	s_and_saveexec_b64 s[52:53], s[44:45]
	s_cbranch_execnz .LBB52_281
.LBB52_213:                             ;   in Loop: Header=BB52_13 Depth=1
	s_or_b64 exec, exec, s[52:53]
	s_and_saveexec_b64 s[52:53], s[46:47]
	s_cbranch_execnz .LBB52_282
.LBB52_214:                             ;   in Loop: Header=BB52_13 Depth=1
	s_or_b64 exec, exec, s[52:53]
	s_and_saveexec_b64 s[52:53], s[48:49]
	s_cbranch_execnz .LBB52_283
.LBB52_215:                             ;   in Loop: Header=BB52_13 Depth=1
	s_or_b64 exec, exec, s[52:53]
	s_and_saveexec_b64 s[52:53], s[50:51]
	s_cbranch_execz .LBB52_217
.LBB52_216:                             ;   in Loop: Header=BB52_13 Depth=1
	s_waitcnt lgkmcnt(0)
	global_store_short v[0:1], v2, off offset:1920
.LBB52_217:                             ;   in Loop: Header=BB52_13 Depth=1
	s_or_b64 exec, exec, s[52:53]
	s_waitcnt lgkmcnt(0)
	; wave barrier
	s_waitcnt lgkmcnt(0)
	scratch_load_dwordx2 v[0:1], off, off offset:248 ; 8-byte Folded Reload
	v_mov_b32_e32 v2, 0
	v_mov_b32_e32 v3, 0
	s_waitcnt vmcnt(0)
	v_lshl_add_u64 v[0:1], s[58:59], 1, v[0:1]
	s_and_saveexec_b64 s[52:53], s[18:19]
	s_cbranch_execz .LBB52_219
; %bb.218:                              ;   in Loop: Header=BB52_13 Depth=1
	global_load_ushort v3, v[0:1], off
.LBB52_219:                             ;   in Loop: Header=BB52_13 Depth=1
	s_or_b64 exec, exec, s[52:53]
	s_and_saveexec_b64 s[52:53], s[20:21]
	s_cbranch_execz .LBB52_221
; %bb.220:                              ;   in Loop: Header=BB52_13 Depth=1
	global_load_ushort v2, v[0:1], off offset:128
.LBB52_221:                             ;   in Loop: Header=BB52_13 Depth=1
	s_or_b64 exec, exec, s[52:53]
	v_mov_b32_e32 v4, 0
	v_mov_b32_e32 v5, 0
	s_and_saveexec_b64 s[52:53], s[22:23]
	s_cbranch_execz .LBB52_223
; %bb.222:                              ;   in Loop: Header=BB52_13 Depth=1
	global_load_ushort v5, v[0:1], off offset:256
.LBB52_223:                             ;   in Loop: Header=BB52_13 Depth=1
	s_or_b64 exec, exec, s[52:53]
	s_and_saveexec_b64 s[52:53], s[24:25]
	s_cbranch_execz .LBB52_225
; %bb.224:                              ;   in Loop: Header=BB52_13 Depth=1
	global_load_ushort v4, v[0:1], off offset:384
.LBB52_225:                             ;   in Loop: Header=BB52_13 Depth=1
	s_or_b64 exec, exec, s[52:53]
	v_mov_b32_e32 v6, 0
	v_mov_b32_e32 v7, 0
	s_and_saveexec_b64 s[52:53], s[26:27]
	s_cbranch_execz .LBB52_227
; %bb.226:                              ;   in Loop: Header=BB52_13 Depth=1
	global_load_ushort v7, v[0:1], off offset:512
.LBB52_227:                             ;   in Loop: Header=BB52_13 Depth=1
	;; [unrolled: 14-line block ×7, first 2 shown]
	s_or_b64 exec, exec, s[52:53]
	s_and_saveexec_b64 s[52:53], s[50:51]
	s_cbranch_execz .LBB52_249
; %bb.248:                              ;   in Loop: Header=BB52_13 Depth=1
	global_load_ushort v16, v[0:1], off offset:1920
.LBB52_249:                             ;   in Loop: Header=BB52_13 Depth=1
	s_or_b64 exec, exec, s[52:53]
	scratch_load_dword v0, off, off         ; 4-byte Folded Reload
	scratch_load_dword v44, off, off offset:8 ; 4-byte Folded Reload
	scratch_load_dword v45, off, off offset:12 ; 4-byte Folded Reload
	;; [unrolled: 1-line block ×15, first 2 shown]
	s_mov_b32 s53, 0xbfb8aa3b
	s_mov_b32 s54, 0x42ce8ed0
	;; [unrolled: 1-line block ×3, first 2 shown]
	v_mov_b32_e32 v26, 0x7f800000
	s_movk_i32 s52, 0x7fff
	s_waitcnt vmcnt(15)
	ds_write_b16 v0, v3
	s_waitcnt vmcnt(14)
	ds_write_b16 v44, v2 offset:128
	s_waitcnt vmcnt(13)
	ds_write_b16 v45, v5 offset:256
	;; [unrolled: 2-line block ×15, first 2 shown]
	; wave barrier
	scratch_load_dword v59, off, off offset:4 ; 4-byte Folded Reload
	s_waitcnt vmcnt(0)
	ds_read_b128 v[4:7], v59
	ds_read_b128 v[0:3], v59 offset:16
	s_waitcnt lgkmcnt(0)
	; wave barrier
	s_waitcnt lgkmcnt(0)
	v_and_b32_e32 v13, 0xffff0000, v5
	v_and_b32_e32 v11, 0xffff0000, v4
	v_lshlrev_b32_e32 v10, 16, v4
	v_mul_f32_e32 v4, 0xbfb8aa3b, v13
	v_lshlrev_b32_e32 v12, 16, v5
	v_fma_f32 v5, v13, s53, -v4
	v_rndne_f32_e32 v8, v4
	v_fmac_f32_e32 v5, 0xb2a5705f, v13
	v_sub_f32_e32 v4, v4, v8
	v_add_f32_e32 v4, v4, v5
	v_exp_f32_e32 v4, v4
	v_cvt_i32_f32_e32 v5, v8
	v_cmp_nlt_f32_e32 vcc, s54, v13
	v_ldexp_f32 v4, v4, v5
	s_nop 0
	v_cndmask_b32_e32 v4, 0, v4, vcc
	v_cmp_ngt_f32_e32 vcc, s55, v13
	s_nop 1
	v_cndmask_b32_e32 v9, v26, v4, vcc
	v_mul_f32_e32 v4, 0xbfb8aa3b, v11
	v_fma_f32 v5, v11, s53, -v4
	v_rndne_f32_e32 v8, v4
	v_fmac_f32_e32 v5, 0xb2a5705f, v11
	v_sub_f32_e32 v4, v4, v8
	v_add_f32_e32 v4, v4, v5
	v_exp_f32_e32 v4, v4
	v_cvt_i32_f32_e32 v5, v8
	v_cmp_nlt_f32_e32 vcc, s54, v11
	v_ldexp_f32 v4, v4, v5
	s_nop 0
	v_cndmask_b32_e32 v4, 0, v4, vcc
	v_cmp_ngt_f32_e32 vcc, s55, v11
	s_nop 1
	v_cndmask_b32_e32 v5, v26, v4, vcc
	v_mul_f32_e32 v4, 0xbfb8aa3b, v12
	v_rndne_f32_e32 v8, v4
	v_sub_f32_e32 v14, v4, v8
	v_fma_f32 v4, v12, s53, -v4
	v_fmac_f32_e32 v4, 0xb2a5705f, v12
	v_add_f32_e32 v4, v14, v4
	v_exp_f32_e32 v4, v4
	v_cvt_i32_f32_e32 v8, v8
	v_cmp_nlt_f32_e32 vcc, s54, v12
	v_ldexp_f32 v4, v4, v8
	s_nop 0
	v_cndmask_b32_e32 v4, 0, v4, vcc
	v_cmp_ngt_f32_e32 vcc, s55, v12
	s_nop 1
	v_cndmask_b32_e32 v8, v26, v4, vcc
	v_mul_f32_e32 v4, 0xbfb8aa3b, v10
	v_rndne_f32_e32 v14, v4
	v_sub_f32_e32 v15, v4, v14
	v_fma_f32 v4, v10, s53, -v4
	v_fmac_f32_e32 v4, 0xb2a5705f, v10
	v_add_f32_e32 v4, v15, v4
	v_exp_f32_e32 v4, v4
	v_cvt_i32_f32_e32 v14, v14
	v_pk_add_f32 v[8:9], v[8:9], 1.0 op_sel_hi:[1,0]
	v_cmp_nlt_f32_e32 vcc, s54, v10
	v_ldexp_f32 v4, v4, v14
	v_div_scale_f32 v14, s[0:1], v9, v9, v13
	v_rcp_f32_e32 v15, v14
	v_cndmask_b32_e32 v4, 0, v4, vcc
	v_cmp_ngt_f32_e32 vcc, s55, v10
	v_fma_f32 v16, -v14, v15, 1.0
	s_nop 0
	v_cndmask_b32_e32 v4, v26, v4, vcc
	v_fmac_f32_e32 v15, v16, v15
	v_div_scale_f32 v16, vcc, v13, v9, v13
	v_mul_f32_e32 v18, v16, v15
	v_fma_f32 v19, -v14, v18, v16
	v_fmac_f32_e32 v18, v19, v15
	v_fma_f32 v14, -v14, v18, v16
	v_div_fmas_f32 v14, v14, v15, v18
	v_div_fixup_f32 v9, v14, v9, v13
	v_div_scale_f32 v13, s[0:1], v8, v8, v12
	v_rcp_f32_e32 v14, v13
	v_pk_add_f32 v[4:5], v[4:5], 1.0 op_sel_hi:[1,0]
	v_fma_f32 v15, -v13, v14, 1.0
	v_fmac_f32_e32 v14, v15, v14
	v_div_scale_f32 v15, vcc, v12, v8, v12
	v_mul_f32_e32 v16, v15, v14
	v_fma_f32 v18, -v13, v16, v15
	v_fmac_f32_e32 v16, v18, v14
	v_fma_f32 v13, -v13, v16, v15
	v_div_fmas_f32 v13, v13, v14, v16
	v_div_fixup_f32 v8, v13, v8, v12
	v_div_scale_f32 v12, s[0:1], v5, v5, v11
	v_rcp_f32_e32 v13, v12
	s_nop 0
	v_fma_f32 v14, -v12, v13, 1.0
	v_fmac_f32_e32 v13, v14, v13
	v_div_scale_f32 v14, vcc, v11, v5, v11
	v_mul_f32_e32 v15, v14, v13
	v_fma_f32 v16, -v12, v15, v14
	v_fmac_f32_e32 v15, v16, v13
	v_fma_f32 v12, -v12, v15, v14
	v_div_fmas_f32 v12, v12, v13, v15
	v_div_fixup_f32 v5, v12, v5, v11
	v_div_scale_f32 v11, s[0:1], v4, v4, v10
	v_rcp_f32_e32 v12, v11
	s_nop 0
	v_fma_f32 v13, -v11, v12, 1.0
	v_fmac_f32_e32 v12, v13, v12
	v_div_scale_f32 v13, vcc, v10, v4, v10
	v_mul_f32_e32 v14, v13, v12
	v_fma_f32 v15, -v11, v14, v13
	v_fmac_f32_e32 v14, v15, v12
	v_fma_f32 v11, -v11, v14, v13
	v_div_fmas_f32 v11, v11, v12, v14
	v_div_fixup_f32 v4, v11, v4, v10
	v_pk_mul_f32 v[4:5], v[42:43], v[4:5]
	v_pk_mul_f32 v[10:11], v[40:41], v[8:9]
	v_bfe_u32 v8, v4, 16, 1
	v_bfe_u32 v9, v5, 16, 1
	v_add3_u32 v8, v4, v8, s52
	v_bfe_u32 v12, v10, 16, 1
	v_add3_u32 v9, v5, v9, s52
	v_lshrrev_b32_e32 v8, 16, v8
	v_cmp_o_f32_e32 vcc, v4, v4
	v_mov_b32_e32 v40, 0x7fc0
	v_bfe_u32 v13, v11, 16, 1
	v_add3_u32 v12, v10, v12, s52
	v_lshrrev_b32_e32 v9, 16, v9
	v_cndmask_b32_e32 v8, v40, v8, vcc
	v_cmp_o_f32_e32 vcc, v5, v5
	v_add3_u32 v13, v11, v13, s52
	v_lshrrev_b32_e32 v12, 16, v12
	v_cndmask_b32_e32 v9, v40, v9, vcc
	v_cmp_o_f32_e32 vcc, v10, v10
	v_and_b32_e32 v15, 0xffff0000, v7
	v_lshrrev_b32_e32 v13, 16, v13
	v_cndmask_b32_e32 v10, v40, v12, vcc
	v_cmp_o_f32_e32 vcc, v11, v11
	v_mul_f32_e32 v4, 0xbfb8aa3b, v15
	v_lshlrev_b32_e32 v12, 16, v6
	v_cndmask_b32_e32 v11, v40, v13, vcc
	v_and_b32_e32 v13, 0xffff0000, v6
	v_fma_f32 v5, v15, s53, -v4
	v_rndne_f32_e32 v6, v4
	v_fmac_f32_e32 v5, 0xb2a5705f, v15
	v_sub_f32_e32 v4, v4, v6
	v_add_f32_e32 v4, v4, v5
	v_exp_f32_e32 v4, v4
	v_cvt_i32_f32_e32 v5, v6
	v_cmp_nlt_f32_e32 vcc, s54, v15
	v_lshlrev_b32_e32 v14, 16, v7
	v_ldexp_f32 v4, v4, v5
	v_cndmask_b32_e32 v4, 0, v4, vcc
	v_cmp_ngt_f32_e32 vcc, s55, v15
	s_nop 1
	v_cndmask_b32_e32 v7, v26, v4, vcc
	v_mul_f32_e32 v4, 0xbfb8aa3b, v13
	v_fma_f32 v5, v13, s53, -v4
	v_rndne_f32_e32 v6, v4
	v_fmac_f32_e32 v5, 0xb2a5705f, v13
	v_sub_f32_e32 v4, v4, v6
	v_add_f32_e32 v4, v4, v5
	v_exp_f32_e32 v4, v4
	v_cvt_i32_f32_e32 v5, v6
	v_cmp_nlt_f32_e32 vcc, s54, v13
	v_ldexp_f32 v4, v4, v5
	s_nop 0
	v_cndmask_b32_e32 v4, 0, v4, vcc
	v_cmp_ngt_f32_e32 vcc, s55, v13
	s_nop 1
	v_cndmask_b32_e32 v5, v26, v4, vcc
	v_mul_f32_e32 v4, 0xbfb8aa3b, v14
	v_rndne_f32_e32 v6, v4
	v_sub_f32_e32 v16, v4, v6
	v_fma_f32 v4, v14, s53, -v4
	v_fmac_f32_e32 v4, 0xb2a5705f, v14
	v_add_f32_e32 v4, v16, v4
	v_exp_f32_e32 v4, v4
	v_cvt_i32_f32_e32 v6, v6
	v_cmp_nlt_f32_e32 vcc, s54, v14
	v_ldexp_f32 v4, v4, v6
	s_nop 0
	v_cndmask_b32_e32 v4, 0, v4, vcc
	v_cmp_ngt_f32_e32 vcc, s55, v14
	s_nop 1
	v_cndmask_b32_e32 v6, v26, v4, vcc
	v_mul_f32_e32 v4, 0xbfb8aa3b, v12
	v_rndne_f32_e32 v16, v4
	v_sub_f32_e32 v18, v4, v16
	v_fma_f32 v4, v12, s53, -v4
	v_fmac_f32_e32 v4, 0xb2a5705f, v12
	v_add_f32_e32 v4, v18, v4
	v_exp_f32_e32 v4, v4
	v_cvt_i32_f32_e32 v16, v16
	v_pk_add_f32 v[6:7], v[6:7], 1.0 op_sel_hi:[1,0]
	v_cmp_nlt_f32_e32 vcc, s54, v12
	v_ldexp_f32 v4, v4, v16
	v_div_scale_f32 v16, s[0:1], v7, v7, v15
	v_rcp_f32_e32 v18, v16
	v_cndmask_b32_e32 v4, 0, v4, vcc
	v_cmp_ngt_f32_e32 vcc, s55, v12
	v_fma_f32 v19, -v16, v18, 1.0
	s_nop 0
	v_cndmask_b32_e32 v4, v26, v4, vcc
	v_fmac_f32_e32 v18, v19, v18
	v_div_scale_f32 v19, vcc, v15, v7, v15
	v_mul_f32_e32 v22, v19, v18
	v_fma_f32 v23, -v16, v22, v19
	v_fmac_f32_e32 v22, v23, v18
	v_fma_f32 v16, -v16, v22, v19
	v_div_fmas_f32 v16, v16, v18, v22
	v_div_fixup_f32 v7, v16, v7, v15
	v_div_scale_f32 v15, s[0:1], v6, v6, v14
	v_rcp_f32_e32 v16, v15
	v_pk_add_f32 v[4:5], v[4:5], 1.0 op_sel_hi:[1,0]
	v_fma_f32 v18, -v15, v16, 1.0
	v_fmac_f32_e32 v16, v18, v16
	v_div_scale_f32 v18, vcc, v14, v6, v14
	v_mul_f32_e32 v19, v18, v16
	v_fma_f32 v22, -v15, v19, v18
	v_fmac_f32_e32 v19, v22, v16
	v_fma_f32 v15, -v15, v19, v18
	v_div_fmas_f32 v15, v15, v16, v19
	v_div_fixup_f32 v6, v15, v6, v14
	v_div_scale_f32 v14, s[0:1], v5, v5, v13
	v_rcp_f32_e32 v15, v14
	s_nop 0
	v_fma_f32 v16, -v14, v15, 1.0
	v_fmac_f32_e32 v15, v16, v15
	v_div_scale_f32 v16, vcc, v13, v5, v13
	v_mul_f32_e32 v18, v16, v15
	v_fma_f32 v19, -v14, v18, v16
	v_fmac_f32_e32 v18, v19, v15
	v_fma_f32 v14, -v14, v18, v16
	v_div_fmas_f32 v14, v14, v15, v18
	v_div_fixup_f32 v5, v14, v5, v13
	v_div_scale_f32 v13, s[0:1], v4, v4, v12
	v_rcp_f32_e32 v14, v13
	s_nop 0
	v_fma_f32 v15, -v13, v14, 1.0
	v_fmac_f32_e32 v14, v15, v14
	v_div_scale_f32 v15, vcc, v12, v4, v12
	v_mul_f32_e32 v16, v15, v14
	v_fma_f32 v18, -v13, v16, v15
	v_fmac_f32_e32 v16, v18, v14
	v_fma_f32 v13, -v13, v16, v15
	v_div_fmas_f32 v13, v13, v14, v16
	v_div_fixup_f32 v4, v13, v4, v12
	v_pk_mul_f32 v[4:5], v[38:39], v[4:5]
	v_pk_mul_f32 v[12:13], v[36:37], v[6:7]
	v_bfe_u32 v6, v4, 16, 1
	v_bfe_u32 v7, v5, 16, 1
	v_add3_u32 v6, v4, v6, s52
	v_bfe_u32 v14, v12, 16, 1
	v_add3_u32 v7, v5, v7, s52
	v_lshrrev_b32_e32 v6, 16, v6
	v_cmp_o_f32_e32 vcc, v4, v4
	v_bfe_u32 v15, v13, 16, 1
	v_add3_u32 v14, v12, v14, s52
	v_lshrrev_b32_e32 v7, 16, v7
	v_cndmask_b32_e32 v6, v40, v6, vcc
	v_cmp_o_f32_e32 vcc, v5, v5
	v_add3_u32 v15, v13, v15, s52
	v_lshrrev_b32_e32 v14, 16, v14
	v_cndmask_b32_e32 v7, v40, v7, vcc
	v_cmp_o_f32_e32 vcc, v12, v12
	v_lshrrev_b32_e32 v15, 16, v15
	v_and_b32_e32 v18, 0xffff0000, v1
	v_cndmask_b32_e32 v12, v40, v14, vcc
	v_cmp_o_f32_e32 vcc, v13, v13
	v_lshlrev_b32_e32 v14, 16, v0
	v_lshlrev_b32_e32 v16, 16, v1
	v_cndmask_b32_e32 v13, v40, v15, vcc
	v_and_b32_e32 v15, 0xffff0000, v0
	v_mul_f32_e32 v0, 0xbfb8aa3b, v18
	v_fma_f32 v1, v18, s53, -v0
	v_rndne_f32_e32 v4, v0
	v_fmac_f32_e32 v1, 0xb2a5705f, v18
	v_sub_f32_e32 v0, v0, v4
	v_add_f32_e32 v0, v0, v1
	v_exp_f32_e32 v0, v0
	v_cvt_i32_f32_e32 v1, v4
	v_cmp_nlt_f32_e32 vcc, s54, v18
	v_ldexp_f32 v0, v0, v1
	s_nop 0
	v_cndmask_b32_e32 v0, 0, v0, vcc
	v_cmp_ngt_f32_e32 vcc, s55, v18
	s_nop 1
	v_cndmask_b32_e32 v5, v26, v0, vcc
	v_mul_f32_e32 v0, 0xbfb8aa3b, v15
	v_fma_f32 v1, v15, s53, -v0
	v_rndne_f32_e32 v4, v0
	v_fmac_f32_e32 v1, 0xb2a5705f, v15
	v_sub_f32_e32 v0, v0, v4
	v_add_f32_e32 v0, v0, v1
	v_exp_f32_e32 v0, v0
	v_cvt_i32_f32_e32 v1, v4
	v_cmp_nlt_f32_e32 vcc, s54, v15
	v_ldexp_f32 v0, v0, v1
	s_nop 0
	v_cndmask_b32_e32 v0, 0, v0, vcc
	v_cmp_ngt_f32_e32 vcc, s55, v15
	s_nop 1
	v_cndmask_b32_e32 v1, v26, v0, vcc
	v_mul_f32_e32 v0, 0xbfb8aa3b, v16
	v_rndne_f32_e32 v4, v0
	v_sub_f32_e32 v19, v0, v4
	v_fma_f32 v0, v16, s53, -v0
	v_fmac_f32_e32 v0, 0xb2a5705f, v16
	v_add_f32_e32 v0, v19, v0
	v_exp_f32_e32 v0, v0
	v_cvt_i32_f32_e32 v4, v4
	v_cmp_nlt_f32_e32 vcc, s54, v16
	v_ldexp_f32 v0, v0, v4
	s_nop 0
	v_cndmask_b32_e32 v0, 0, v0, vcc
	v_cmp_ngt_f32_e32 vcc, s55, v16
	s_nop 1
	v_cndmask_b32_e32 v4, v26, v0, vcc
	v_mul_f32_e32 v0, 0xbfb8aa3b, v14
	v_rndne_f32_e32 v19, v0
	v_sub_f32_e32 v22, v0, v19
	v_fma_f32 v0, v14, s53, -v0
	v_fmac_f32_e32 v0, 0xb2a5705f, v14
	v_add_f32_e32 v0, v22, v0
	v_exp_f32_e32 v0, v0
	v_cvt_i32_f32_e32 v19, v19
	v_pk_add_f32 v[4:5], v[4:5], 1.0 op_sel_hi:[1,0]
	v_cmp_nlt_f32_e32 vcc, s54, v14
	v_ldexp_f32 v0, v0, v19
	v_div_scale_f32 v19, s[0:1], v5, v5, v18
	v_rcp_f32_e32 v22, v19
	v_cndmask_b32_e32 v0, 0, v0, vcc
	v_cmp_ngt_f32_e32 vcc, s55, v14
	v_fma_f32 v23, -v19, v22, 1.0
	s_nop 0
	v_cndmask_b32_e32 v0, v26, v0, vcc
	v_fmac_f32_e32 v22, v23, v22
	v_div_scale_f32 v23, vcc, v18, v5, v18
	v_mul_f32_e32 v24, v23, v22
	v_fma_f32 v25, -v19, v24, v23
	v_fmac_f32_e32 v24, v25, v22
	v_fma_f32 v19, -v19, v24, v23
	v_div_fmas_f32 v19, v19, v22, v24
	v_div_fixup_f32 v5, v19, v5, v18
	v_div_scale_f32 v18, s[0:1], v4, v4, v16
	v_rcp_f32_e32 v19, v18
	v_pk_add_f32 v[0:1], v[0:1], 1.0 op_sel_hi:[1,0]
	v_fma_f32 v22, -v18, v19, 1.0
	v_fmac_f32_e32 v19, v22, v19
	v_div_scale_f32 v22, vcc, v16, v4, v16
	v_mul_f32_e32 v23, v22, v19
	v_fma_f32 v24, -v18, v23, v22
	v_fmac_f32_e32 v23, v24, v19
	v_fma_f32 v18, -v18, v23, v22
	v_div_fmas_f32 v18, v18, v19, v23
	v_div_fixup_f32 v4, v18, v4, v16
	v_div_scale_f32 v16, s[0:1], v1, v1, v15
	v_rcp_f32_e32 v18, v16
	s_nop 0
	v_fma_f32 v19, -v16, v18, 1.0
	v_fmac_f32_e32 v18, v19, v18
	v_div_scale_f32 v19, vcc, v15, v1, v15
	v_mul_f32_e32 v22, v19, v18
	v_fma_f32 v23, -v16, v22, v19
	v_fmac_f32_e32 v22, v23, v18
	v_fma_f32 v16, -v16, v22, v19
	v_div_fmas_f32 v16, v16, v18, v22
	v_div_fixup_f32 v1, v16, v1, v15
	v_div_scale_f32 v15, s[0:1], v0, v0, v14
	v_rcp_f32_e32 v16, v15
	s_nop 0
	v_fma_f32 v18, -v15, v16, 1.0
	v_fmac_f32_e32 v16, v18, v16
	v_div_scale_f32 v18, vcc, v14, v0, v14
	v_mul_f32_e32 v19, v18, v16
	v_fma_f32 v22, -v15, v19, v18
	v_fmac_f32_e32 v19, v22, v16
	v_fma_f32 v15, -v15, v19, v18
	v_div_fmas_f32 v15, v15, v16, v19
	v_div_fixup_f32 v0, v15, v0, v14
	v_pk_mul_f32 v[0:1], v[34:35], v[0:1]
	v_pk_mul_f32 v[14:15], v[32:33], v[4:5]
	v_bfe_u32 v4, v0, 16, 1
	v_bfe_u32 v5, v1, 16, 1
	v_add3_u32 v4, v0, v4, s52
	v_bfe_u32 v16, v14, 16, 1
	v_add3_u32 v5, v1, v5, s52
	v_lshrrev_b32_e32 v4, 16, v4
	v_cmp_o_f32_e32 vcc, v0, v0
	v_bfe_u32 v18, v15, 16, 1
	v_add3_u32 v16, v14, v16, s52
	v_lshrrev_b32_e32 v5, 16, v5
	v_cndmask_b32_e32 v4, v40, v4, vcc
	v_cmp_o_f32_e32 vcc, v1, v1
	v_add3_u32 v18, v15, v18, s52
	v_lshrrev_b32_e32 v16, 16, v16
	v_cndmask_b32_e32 v5, v40, v5, vcc
	v_cmp_o_f32_e32 vcc, v14, v14
	v_and_b32_e32 v22, 0xffff0000, v3
	v_lshrrev_b32_e32 v18, 16, v18
	v_cndmask_b32_e32 v14, v40, v16, vcc
	v_cmp_o_f32_e32 vcc, v15, v15
	v_mul_f32_e32 v0, 0xbfb8aa3b, v22
	v_lshlrev_b32_e32 v16, 16, v2
	v_cndmask_b32_e32 v15, v40, v18, vcc
	v_and_b32_e32 v18, 0xffff0000, v2
	v_fma_f32 v1, v22, s53, -v0
	v_rndne_f32_e32 v2, v0
	v_fmac_f32_e32 v1, 0xb2a5705f, v22
	v_sub_f32_e32 v0, v0, v2
	v_add_f32_e32 v0, v0, v1
	v_exp_f32_e32 v0, v0
	v_cvt_i32_f32_e32 v1, v2
	v_cmp_nlt_f32_e32 vcc, s54, v22
	v_lshlrev_b32_e32 v19, 16, v3
	v_ldexp_f32 v0, v0, v1
	v_cndmask_b32_e32 v0, 0, v0, vcc
	v_cmp_ngt_f32_e32 vcc, s55, v22
	s_nop 1
	v_cndmask_b32_e32 v3, v26, v0, vcc
	v_mul_f32_e32 v0, 0xbfb8aa3b, v18
	v_fma_f32 v1, v18, s53, -v0
	v_rndne_f32_e32 v2, v0
	v_fmac_f32_e32 v1, 0xb2a5705f, v18
	v_sub_f32_e32 v0, v0, v2
	v_add_f32_e32 v0, v0, v1
	v_exp_f32_e32 v0, v0
	v_cvt_i32_f32_e32 v1, v2
	v_cmp_nlt_f32_e32 vcc, s54, v18
	v_ldexp_f32 v0, v0, v1
	s_nop 0
	v_cndmask_b32_e32 v0, 0, v0, vcc
	v_cmp_ngt_f32_e32 vcc, s55, v18
	s_nop 1
	v_cndmask_b32_e32 v1, v26, v0, vcc
	v_mul_f32_e32 v0, 0xbfb8aa3b, v19
	v_rndne_f32_e32 v2, v0
	v_sub_f32_e32 v23, v0, v2
	v_fma_f32 v0, v19, s53, -v0
	v_fmac_f32_e32 v0, 0xb2a5705f, v19
	v_add_f32_e32 v0, v23, v0
	v_exp_f32_e32 v0, v0
	v_cvt_i32_f32_e32 v2, v2
	v_cmp_nlt_f32_e32 vcc, s54, v19
	v_ldexp_f32 v0, v0, v2
	s_nop 0
	v_cndmask_b32_e32 v0, 0, v0, vcc
	v_cmp_ngt_f32_e32 vcc, s55, v19
	s_nop 1
	v_cndmask_b32_e32 v2, v26, v0, vcc
	v_mul_f32_e32 v0, 0xbfb8aa3b, v16
	v_rndne_f32_e32 v23, v0
	v_sub_f32_e32 v24, v0, v23
	v_fma_f32 v0, v16, s53, -v0
	v_fmac_f32_e32 v0, 0xb2a5705f, v16
	v_add_f32_e32 v0, v24, v0
	v_exp_f32_e32 v0, v0
	v_cvt_i32_f32_e32 v23, v23
	v_pk_add_f32 v[2:3], v[2:3], 1.0 op_sel_hi:[1,0]
	v_cmp_nlt_f32_e32 vcc, s54, v16
	v_ldexp_f32 v0, v0, v23
	v_div_scale_f32 v23, s[0:1], v3, v3, v22
	v_rcp_f32_e32 v24, v23
	v_cndmask_b32_e32 v0, 0, v0, vcc
	v_cmp_ngt_f32_e32 vcc, s55, v16
	v_fma_f32 v25, -v23, v24, 1.0
	s_nop 0
	v_cndmask_b32_e32 v0, v26, v0, vcc
	v_fmac_f32_e32 v24, v25, v24
	v_div_scale_f32 v25, vcc, v22, v3, v22
	v_mul_f32_e32 v26, v25, v24
	v_fma_f32 v27, -v23, v26, v25
	v_fmac_f32_e32 v26, v27, v24
	v_fma_f32 v23, -v23, v26, v25
	v_div_fmas_f32 v23, v23, v24, v26
	v_div_fixup_f32 v3, v23, v3, v22
	v_div_scale_f32 v22, s[0:1], v2, v2, v19
	v_rcp_f32_e32 v23, v22
	v_pk_add_f32 v[0:1], v[0:1], 1.0 op_sel_hi:[1,0]
	v_fma_f32 v24, -v22, v23, 1.0
	v_fmac_f32_e32 v23, v24, v23
	v_div_scale_f32 v24, vcc, v19, v2, v19
	v_mul_f32_e32 v25, v24, v23
	v_fma_f32 v26, -v22, v25, v24
	v_fmac_f32_e32 v25, v26, v23
	v_fma_f32 v22, -v22, v25, v24
	v_div_fmas_f32 v22, v22, v23, v25
	v_div_fixup_f32 v2, v22, v2, v19
	v_div_scale_f32 v19, s[0:1], v1, v1, v18
	v_rcp_f32_e32 v22, v19
	v_pk_mul_f32 v[2:3], v[28:29], v[2:3]
	v_fma_f32 v23, -v19, v22, 1.0
	v_fmac_f32_e32 v22, v23, v22
	v_div_scale_f32 v23, vcc, v18, v1, v18
	v_mul_f32_e32 v24, v23, v22
	v_fma_f32 v25, -v19, v24, v23
	v_fmac_f32_e32 v24, v25, v22
	v_fma_f32 v19, -v19, v24, v23
	v_div_fmas_f32 v19, v19, v22, v24
	v_div_fixup_f32 v1, v19, v1, v18
	v_div_scale_f32 v18, s[0:1], v0, v0, v16
	v_rcp_f32_e32 v19, v18
	s_mov_b32 s0, 0x5040100
	v_fma_f32 v22, -v18, v19, 1.0
	v_fmac_f32_e32 v19, v22, v19
	v_div_scale_f32 v22, vcc, v16, v0, v16
	v_mul_f32_e32 v23, v22, v19
	v_fma_f32 v24, -v18, v23, v22
	v_fmac_f32_e32 v23, v24, v19
	v_fma_f32 v18, -v18, v23, v22
	v_div_fmas_f32 v18, v18, v19, v23
	v_div_fixup_f32 v0, v18, v0, v16
	v_pk_mul_f32 v[0:1], v[30:31], v[0:1]
	v_bfe_u32 v19, v2, 16, 1
	v_bfe_u32 v16, v0, 16, 1
	;; [unrolled: 1-line block ×3, first 2 shown]
	v_add3_u32 v16, v0, v16, s52
	v_add3_u32 v18, v1, v18, s52
	v_lshrrev_b32_e32 v16, 16, v16
	v_cmp_o_f32_e32 vcc, v0, v0
	v_bfe_u32 v22, v3, 16, 1
	v_add3_u32 v19, v2, v19, s52
	v_lshrrev_b32_e32 v18, 16, v18
	v_cndmask_b32_e32 v16, v40, v16, vcc
	v_cmp_o_f32_e32 vcc, v1, v1
	v_add3_u32 v22, v3, v22, s52
	v_lshrrev_b32_e32 v19, 16, v19
	v_cndmask_b32_e32 v18, v40, v18, vcc
	v_cmp_o_f32_e32 vcc, v2, v2
	v_lshrrev_b32_e32 v22, 16, v22
	v_perm_b32 v2, v7, v6, s0
	v_cndmask_b32_e32 v19, v40, v19, vcc
	v_cmp_o_f32_e32 vcc, v3, v3
	v_perm_b32 v3, v13, v12, s0
	v_perm_b32 v1, v11, v10, s0
	v_cndmask_b32_e32 v22, v40, v22, vcc
	v_perm_b32 v0, v9, v8, s0
	ds_write_b128 v59, v[0:3]
	v_perm_b32 v3, v22, v19, s0
	v_perm_b32 v2, v18, v16, s0
	;; [unrolled: 1-line block ×4, first 2 shown]
	ds_write_b128 v59, v[0:3] offset:16
	; wave barrier
	ds_read_u16 v16, v44 offset:128
	ds_read_u16 v15, v45 offset:256
	;; [unrolled: 1-line block ×15, first 2 shown]
	scratch_load_dwordx2 v[0:1], off, off offset:256 ; 8-byte Folded Reload
	s_waitcnt vmcnt(0)
	v_lshl_add_u64 v[0:1], s[58:59], 1, v[0:1]
	s_and_saveexec_b64 s[52:53], s[18:19]
	s_cbranch_execz .LBB52_251
; %bb.250:                              ;   in Loop: Header=BB52_13 Depth=1
	scratch_load_dword v18, off, off        ; 4-byte Folded Reload
	s_waitcnt vmcnt(0)
	ds_read_u16 v18, v18
	s_waitcnt lgkmcnt(0)
	global_store_short v[0:1], v18, off
.LBB52_251:                             ;   in Loop: Header=BB52_13 Depth=1
	s_or_b64 exec, exec, s[52:53]
	s_and_saveexec_b64 s[18:19], s[20:21]
	s_cbranch_execz .LBB52_253
; %bb.252:                              ;   in Loop: Header=BB52_13 Depth=1
	s_waitcnt lgkmcnt(14)
	global_store_short v[0:1], v16, off offset:128
.LBB52_253:                             ;   in Loop: Header=BB52_13 Depth=1
	s_or_b64 exec, exec, s[18:19]
	s_mov_b64 s[18:19], exec
	s_and_b64 s[0:1], s[18:19], s[22:23]
	v_mov_b32_e32 v39, 0x7f800000
	s_mov_b64 exec, s[0:1]
	s_cbranch_execnz .LBB52_284
; %bb.254:                              ;   in Loop: Header=BB52_13 Depth=1
	s_or_b64 exec, exec, s[18:19]
	s_and_saveexec_b64 s[18:19], s[24:25]
	s_cbranch_execnz .LBB52_285
.LBB52_255:                             ;   in Loop: Header=BB52_13 Depth=1
	s_or_b64 exec, exec, s[18:19]
	s_and_saveexec_b64 s[18:19], s[26:27]
	s_cbranch_execnz .LBB52_286
.LBB52_256:                             ;   in Loop: Header=BB52_13 Depth=1
	s_or_b64 exec, exec, s[18:19]
	s_and_saveexec_b64 s[18:19], s[28:29]
	s_cbranch_execnz .LBB52_287
.LBB52_257:                             ;   in Loop: Header=BB52_13 Depth=1
	s_or_b64 exec, exec, s[18:19]
	s_and_saveexec_b64 s[18:19], s[30:31]
	s_cbranch_execnz .LBB52_288
.LBB52_258:                             ;   in Loop: Header=BB52_13 Depth=1
	s_or_b64 exec, exec, s[18:19]
	s_and_saveexec_b64 s[18:19], s[34:35]
	s_cbranch_execnz .LBB52_289
.LBB52_259:                             ;   in Loop: Header=BB52_13 Depth=1
	s_or_b64 exec, exec, s[18:19]
	s_and_saveexec_b64 s[18:19], s[36:37]
	s_cbranch_execnz .LBB52_290
.LBB52_260:                             ;   in Loop: Header=BB52_13 Depth=1
	s_or_b64 exec, exec, s[18:19]
	s_and_saveexec_b64 s[18:19], s[38:39]
	s_cbranch_execnz .LBB52_291
.LBB52_261:                             ;   in Loop: Header=BB52_13 Depth=1
	s_or_b64 exec, exec, s[18:19]
	s_and_saveexec_b64 s[18:19], s[40:41]
	s_cbranch_execnz .LBB52_292
.LBB52_262:                             ;   in Loop: Header=BB52_13 Depth=1
	s_or_b64 exec, exec, s[18:19]
	s_and_saveexec_b64 s[18:19], s[42:43]
	s_cbranch_execnz .LBB52_293
.LBB52_263:                             ;   in Loop: Header=BB52_13 Depth=1
	s_or_b64 exec, exec, s[18:19]
	s_and_saveexec_b64 s[18:19], s[44:45]
	s_cbranch_execnz .LBB52_294
.LBB52_264:                             ;   in Loop: Header=BB52_13 Depth=1
	s_or_b64 exec, exec, s[18:19]
	s_and_saveexec_b64 s[18:19], s[46:47]
	s_cbranch_execnz .LBB52_295
.LBB52_265:                             ;   in Loop: Header=BB52_13 Depth=1
	s_or_b64 exec, exec, s[18:19]
	s_and_saveexec_b64 s[18:19], s[48:49]
	s_cbranch_execnz .LBB52_296
.LBB52_266:                             ;   in Loop: Header=BB52_13 Depth=1
	s_or_b64 exec, exec, s[18:19]
	s_and_saveexec_b64 s[18:19], s[50:51]
	s_cbranch_execz .LBB52_12
	s_branch .LBB52_297
.LBB52_267:                             ;   in Loop: Header=BB52_13 Depth=1
	global_load_ushort v28, v[8:9], off offset:1664
	s_or_b64 exec, exec, s[52:53]
	s_and_saveexec_b64 s[52:53], s[48:49]
	s_cbranch_execz .LBB52_73
.LBB52_268:                             ;   in Loop: Header=BB52_13 Depth=1
	global_load_ushort v27, v[8:9], off offset:1792
	s_or_b64 exec, exec, s[52:53]
	v_mov_b32_e32 v29, 0
	s_and_saveexec_b64 s[52:53], s[50:51]
	s_cbranch_execnz .LBB52_74
	s_branch .LBB52_75
.LBB52_269:                             ;   in Loop: Header=BB52_13 Depth=1
	scratch_load_dword v18, off, off        ; 4-byte Folded Reload
	s_waitcnt vmcnt(0)
	ds_read_u16 v18, v18
	s_waitcnt lgkmcnt(0)
	global_store_short v[0:1], v18, off
	s_or_b64 exec, exec, s[52:53]
	s_and_saveexec_b64 s[52:53], s[20:21]
	s_cbranch_execz .LBB52_202
.LBB52_270:                             ;   in Loop: Header=BB52_13 Depth=1
	s_waitcnt lgkmcnt(14)
	global_store_short v[0:1], v16, off offset:128
	s_or_b64 exec, exec, s[52:53]
	s_and_saveexec_b64 s[52:53], s[22:23]
	s_cbranch_execz .LBB52_203
.LBB52_271:                             ;   in Loop: Header=BB52_13 Depth=1
	s_waitcnt lgkmcnt(13)
	global_store_short v[0:1], v15, off offset:256
	s_or_b64 exec, exec, s[52:53]
	s_and_saveexec_b64 s[52:53], s[24:25]
	s_cbranch_execz .LBB52_204
.LBB52_272:                             ;   in Loop: Header=BB52_13 Depth=1
	s_waitcnt lgkmcnt(12)
	global_store_short v[0:1], v14, off offset:384
	s_or_b64 exec, exec, s[52:53]
	s_and_saveexec_b64 s[52:53], s[26:27]
	s_cbranch_execz .LBB52_205
.LBB52_273:                             ;   in Loop: Header=BB52_13 Depth=1
	s_waitcnt lgkmcnt(11)
	global_store_short v[0:1], v13, off offset:512
	s_or_b64 exec, exec, s[52:53]
	s_and_saveexec_b64 s[52:53], s[28:29]
	s_cbranch_execz .LBB52_206
.LBB52_274:                             ;   in Loop: Header=BB52_13 Depth=1
	s_waitcnt lgkmcnt(10)
	global_store_short v[0:1], v12, off offset:640
	s_or_b64 exec, exec, s[52:53]
	s_and_saveexec_b64 s[52:53], s[30:31]
	s_cbranch_execz .LBB52_207
.LBB52_275:                             ;   in Loop: Header=BB52_13 Depth=1
	s_waitcnt lgkmcnt(9)
	global_store_short v[0:1], v11, off offset:768
	s_or_b64 exec, exec, s[52:53]
	s_and_saveexec_b64 s[52:53], s[34:35]
	s_cbranch_execz .LBB52_208
.LBB52_276:                             ;   in Loop: Header=BB52_13 Depth=1
	s_waitcnt lgkmcnt(8)
	global_store_short v[0:1], v10, off offset:896
	s_or_b64 exec, exec, s[52:53]
	s_and_saveexec_b64 s[52:53], s[36:37]
	s_cbranch_execz .LBB52_209
.LBB52_277:                             ;   in Loop: Header=BB52_13 Depth=1
	s_waitcnt lgkmcnt(7)
	global_store_short v[0:1], v9, off offset:1024
	s_or_b64 exec, exec, s[52:53]
	s_and_saveexec_b64 s[52:53], s[38:39]
	s_cbranch_execz .LBB52_210
.LBB52_278:                             ;   in Loop: Header=BB52_13 Depth=1
	s_waitcnt lgkmcnt(6)
	global_store_short v[0:1], v8, off offset:1152
	s_or_b64 exec, exec, s[52:53]
	s_and_saveexec_b64 s[52:53], s[40:41]
	s_cbranch_execz .LBB52_211
.LBB52_279:                             ;   in Loop: Header=BB52_13 Depth=1
	s_waitcnt lgkmcnt(5)
	global_store_short v[0:1], v7, off offset:1280
	s_or_b64 exec, exec, s[52:53]
	s_and_saveexec_b64 s[52:53], s[42:43]
	s_cbranch_execz .LBB52_212
.LBB52_280:                             ;   in Loop: Header=BB52_13 Depth=1
	s_waitcnt lgkmcnt(4)
	global_store_short v[0:1], v6, off offset:1408
	s_or_b64 exec, exec, s[52:53]
	s_and_saveexec_b64 s[52:53], s[44:45]
	s_cbranch_execz .LBB52_213
.LBB52_281:                             ;   in Loop: Header=BB52_13 Depth=1
	s_waitcnt lgkmcnt(3)
	global_store_short v[0:1], v5, off offset:1536
	s_or_b64 exec, exec, s[52:53]
	s_and_saveexec_b64 s[52:53], s[46:47]
	s_cbranch_execz .LBB52_214
.LBB52_282:                             ;   in Loop: Header=BB52_13 Depth=1
	s_waitcnt lgkmcnt(2)
	global_store_short v[0:1], v4, off offset:1664
	s_or_b64 exec, exec, s[52:53]
	s_and_saveexec_b64 s[52:53], s[48:49]
	s_cbranch_execz .LBB52_215
.LBB52_283:                             ;   in Loop: Header=BB52_13 Depth=1
	s_waitcnt lgkmcnt(1)
	global_store_short v[0:1], v3, off offset:1792
	s_or_b64 exec, exec, s[52:53]
	s_and_saveexec_b64 s[52:53], s[50:51]
	s_cbranch_execnz .LBB52_216
	s_branch .LBB52_217
.LBB52_284:                             ;   in Loop: Header=BB52_13 Depth=1
	s_waitcnt lgkmcnt(13)
	global_store_short v[0:1], v15, off offset:256
	s_or_b64 exec, exec, s[18:19]
	s_and_saveexec_b64 s[18:19], s[24:25]
	s_cbranch_execz .LBB52_255
.LBB52_285:                             ;   in Loop: Header=BB52_13 Depth=1
	s_waitcnt lgkmcnt(12)
	global_store_short v[0:1], v14, off offset:384
	s_or_b64 exec, exec, s[18:19]
	s_and_saveexec_b64 s[18:19], s[26:27]
	s_cbranch_execz .LBB52_256
.LBB52_286:                             ;   in Loop: Header=BB52_13 Depth=1
	s_waitcnt lgkmcnt(11)
	global_store_short v[0:1], v13, off offset:512
	s_or_b64 exec, exec, s[18:19]
	s_and_saveexec_b64 s[18:19], s[28:29]
	s_cbranch_execz .LBB52_257
.LBB52_287:                             ;   in Loop: Header=BB52_13 Depth=1
	s_waitcnt lgkmcnt(10)
	global_store_short v[0:1], v12, off offset:640
	s_or_b64 exec, exec, s[18:19]
	s_and_saveexec_b64 s[18:19], s[30:31]
	s_cbranch_execz .LBB52_258
.LBB52_288:                             ;   in Loop: Header=BB52_13 Depth=1
	s_waitcnt lgkmcnt(9)
	global_store_short v[0:1], v11, off offset:768
	s_or_b64 exec, exec, s[18:19]
	s_and_saveexec_b64 s[18:19], s[34:35]
	s_cbranch_execz .LBB52_259
.LBB52_289:                             ;   in Loop: Header=BB52_13 Depth=1
	s_waitcnt lgkmcnt(8)
	global_store_short v[0:1], v10, off offset:896
	s_or_b64 exec, exec, s[18:19]
	s_and_saveexec_b64 s[18:19], s[36:37]
	s_cbranch_execz .LBB52_260
.LBB52_290:                             ;   in Loop: Header=BB52_13 Depth=1
	s_waitcnt lgkmcnt(7)
	global_store_short v[0:1], v9, off offset:1024
	s_or_b64 exec, exec, s[18:19]
	s_and_saveexec_b64 s[18:19], s[38:39]
	s_cbranch_execz .LBB52_261
.LBB52_291:                             ;   in Loop: Header=BB52_13 Depth=1
	s_waitcnt lgkmcnt(6)
	global_store_short v[0:1], v8, off offset:1152
	s_or_b64 exec, exec, s[18:19]
	s_and_saveexec_b64 s[18:19], s[40:41]
	s_cbranch_execz .LBB52_262
.LBB52_292:                             ;   in Loop: Header=BB52_13 Depth=1
	s_waitcnt lgkmcnt(5)
	global_store_short v[0:1], v7, off offset:1280
	s_or_b64 exec, exec, s[18:19]
	s_and_saveexec_b64 s[18:19], s[42:43]
	s_cbranch_execz .LBB52_263
.LBB52_293:                             ;   in Loop: Header=BB52_13 Depth=1
	s_waitcnt lgkmcnt(4)
	global_store_short v[0:1], v6, off offset:1408
	s_or_b64 exec, exec, s[18:19]
	s_and_saveexec_b64 s[18:19], s[44:45]
	s_cbranch_execz .LBB52_264
.LBB52_294:                             ;   in Loop: Header=BB52_13 Depth=1
	s_waitcnt lgkmcnt(3)
	global_store_short v[0:1], v5, off offset:1536
	s_or_b64 exec, exec, s[18:19]
	s_and_saveexec_b64 s[18:19], s[46:47]
	s_cbranch_execz .LBB52_265
.LBB52_295:                             ;   in Loop: Header=BB52_13 Depth=1
	s_waitcnt lgkmcnt(2)
	global_store_short v[0:1], v4, off offset:1664
	s_or_b64 exec, exec, s[18:19]
	s_and_saveexec_b64 s[18:19], s[48:49]
	s_cbranch_execz .LBB52_266
.LBB52_296:                             ;   in Loop: Header=BB52_13 Depth=1
	s_waitcnt lgkmcnt(1)
	global_store_short v[0:1], v3, off offset:1792
	s_or_b64 exec, exec, s[18:19]
	s_and_saveexec_b64 s[18:19], s[50:51]
	s_cbranch_execz .LBB52_12
.LBB52_297:                             ;   in Loop: Header=BB52_13 Depth=1
	s_waitcnt lgkmcnt(0)
	global_store_short v[0:1], v2, off offset:1920
	s_branch .LBB52_12
.LBB52_298:
	s_endpgm
	.section	.rodata,"a",@progbits
	.p2align	6, 0x0
	.amdhsa_kernel _Z25selective_scan_fwd_kernelI32Selective_Scan_fwd_kernel_traitsILi64ELi16ELi1ELb0ELb1ELb1ELb1ELb1EN3c108BFloat16EffEEv13SSMParamsBase
		.amdhsa_group_segment_fixed_size 0
		.amdhsa_private_segment_fixed_size 332
		.amdhsa_kernarg_size 248
		.amdhsa_user_sgpr_count 2
		.amdhsa_user_sgpr_dispatch_ptr 0
		.amdhsa_user_sgpr_queue_ptr 0
		.amdhsa_user_sgpr_kernarg_segment_ptr 1
		.amdhsa_user_sgpr_dispatch_id 0
		.amdhsa_user_sgpr_kernarg_preload_length 0
		.amdhsa_user_sgpr_kernarg_preload_offset 0
		.amdhsa_user_sgpr_private_segment_size 0
		.amdhsa_uses_dynamic_stack 0
		.amdhsa_enable_private_segment 1
		.amdhsa_system_sgpr_workgroup_id_x 1
		.amdhsa_system_sgpr_workgroup_id_y 1
		.amdhsa_system_sgpr_workgroup_id_z 0
		.amdhsa_system_sgpr_workgroup_info 0
		.amdhsa_system_vgpr_workitem_id 0
		.amdhsa_next_free_vgpr 96
		.amdhsa_next_free_sgpr 100
		.amdhsa_accum_offset 96
		.amdhsa_reserve_vcc 1
		.amdhsa_float_round_mode_32 0
		.amdhsa_float_round_mode_16_64 0
		.amdhsa_float_denorm_mode_32 3
		.amdhsa_float_denorm_mode_16_64 3
		.amdhsa_dx10_clamp 1
		.amdhsa_ieee_mode 1
		.amdhsa_fp16_overflow 0
		.amdhsa_tg_split 0
		.amdhsa_exception_fp_ieee_invalid_op 0
		.amdhsa_exception_fp_denorm_src 0
		.amdhsa_exception_fp_ieee_div_zero 0
		.amdhsa_exception_fp_ieee_overflow 0
		.amdhsa_exception_fp_ieee_underflow 0
		.amdhsa_exception_fp_ieee_inexact 0
		.amdhsa_exception_int_div_zero 0
	.end_amdhsa_kernel
	.section	.text._Z25selective_scan_fwd_kernelI32Selective_Scan_fwd_kernel_traitsILi64ELi16ELi1ELb0ELb1ELb1ELb1ELb1EN3c108BFloat16EffEEv13SSMParamsBase,"axG",@progbits,_Z25selective_scan_fwd_kernelI32Selective_Scan_fwd_kernel_traitsILi64ELi16ELi1ELb0ELb1ELb1ELb1ELb1EN3c108BFloat16EffEEv13SSMParamsBase,comdat
.Lfunc_end52:
	.size	_Z25selective_scan_fwd_kernelI32Selective_Scan_fwd_kernel_traitsILi64ELi16ELi1ELb0ELb1ELb1ELb1ELb1EN3c108BFloat16EffEEv13SSMParamsBase, .Lfunc_end52-_Z25selective_scan_fwd_kernelI32Selective_Scan_fwd_kernel_traitsILi64ELi16ELi1ELb0ELb1ELb1ELb1ELb1EN3c108BFloat16EffEEv13SSMParamsBase
                                        ; -- End function
	.section	.AMDGPU.csdata,"",@progbits
; Kernel info:
; codeLenInByte = 27464
; NumSgprs: 106
; NumVgprs: 96
; NumAgprs: 0
; TotalNumVgprs: 96
; ScratchSize: 332
; MemoryBound: 0
; FloatMode: 240
; IeeeMode: 1
; LDSByteSize: 0 bytes/workgroup (compile time only)
; SGPRBlocks: 13
; VGPRBlocks: 11
; NumSGPRsForWavesPerEU: 106
; NumVGPRsForWavesPerEU: 96
; AccumOffset: 96
; Occupancy: 5
; WaveLimiterHint : 1
; COMPUTE_PGM_RSRC2:SCRATCH_EN: 1
; COMPUTE_PGM_RSRC2:USER_SGPR: 2
; COMPUTE_PGM_RSRC2:TRAP_HANDLER: 0
; COMPUTE_PGM_RSRC2:TGID_X_EN: 1
; COMPUTE_PGM_RSRC2:TGID_Y_EN: 1
; COMPUTE_PGM_RSRC2:TGID_Z_EN: 0
; COMPUTE_PGM_RSRC2:TIDIG_COMP_CNT: 0
; COMPUTE_PGM_RSRC3_GFX90A:ACCUM_OFFSET: 23
; COMPUTE_PGM_RSRC3_GFX90A:TG_SPLIT: 0
	.section	.text._Z25selective_scan_fwd_kernelI32Selective_Scan_fwd_kernel_traitsILi64ELi16ELi1ELb0ELb1ELb1ELb1ELb0EN3c108BFloat16EffEEv13SSMParamsBase,"axG",@progbits,_Z25selective_scan_fwd_kernelI32Selective_Scan_fwd_kernel_traitsILi64ELi16ELi1ELb0ELb1ELb1ELb1ELb0EN3c108BFloat16EffEEv13SSMParamsBase,comdat
	.protected	_Z25selective_scan_fwd_kernelI32Selective_Scan_fwd_kernel_traitsILi64ELi16ELi1ELb0ELb1ELb1ELb1ELb0EN3c108BFloat16EffEEv13SSMParamsBase ; -- Begin function _Z25selective_scan_fwd_kernelI32Selective_Scan_fwd_kernel_traitsILi64ELi16ELi1ELb0ELb1ELb1ELb1ELb0EN3c108BFloat16EffEEv13SSMParamsBase
	.globl	_Z25selective_scan_fwd_kernelI32Selective_Scan_fwd_kernel_traitsILi64ELi16ELi1ELb0ELb1ELb1ELb1ELb0EN3c108BFloat16EffEEv13SSMParamsBase
	.p2align	8
	.type	_Z25selective_scan_fwd_kernelI32Selective_Scan_fwd_kernel_traitsILi64ELi16ELi1ELb0ELb1ELb1ELb1ELb0EN3c108BFloat16EffEEv13SSMParamsBase,@function
_Z25selective_scan_fwd_kernelI32Selective_Scan_fwd_kernel_traitsILi64ELi16ELi1ELb0ELb1ELb1ELb1ELb0EN3c108BFloat16EffEEv13SSMParamsBase: ; @_Z25selective_scan_fwd_kernelI32Selective_Scan_fwd_kernel_traitsILi64ELi16ELi1ELb0ELb1ELb1ELb1ELb0EN3c108BFloat16EffEEv13SSMParamsBase
; %bb.0:
	s_load_dword s36, s[0:1], 0x18
	s_load_dwordx4 s[4:7], s[0:1], 0xe8
	s_mov_b32 s28, s3
                                        ; implicit-def: $vgpr95 : SGPR spill to VGPR lane
	s_waitcnt lgkmcnt(0)
	s_abs_i32 s33, s36
	v_cvt_f32_u32_e32 v1, s33
	s_cmp_eq_u64 s[6:7], 0
	v_rcp_iflag_f32_e32 v1, v1
	s_nop 0
	v_mul_f32_e32 v1, 0x4f7ffffe, v1
	v_cvt_u32_f32_e32 v1, v1
	s_nop 0
	v_readfirstlane_b32 s24, v1
	s_cbranch_scc1 .LBB53_2
; %bb.1:
	s_ashr_i32 s3, s2, 31
	s_add_u32 s6, s6, s2
	s_addc_u32 s7, s7, s3
	v_mov_b32_e32 v1, 0
	global_load_ubyte v1, v1, s[6:7]
	s_waitcnt vmcnt(0)
	v_and_b32_e32 v1, 1, v1
	v_cmp_eq_u32_e64 s[6:7], 1, v1
	s_branch .LBB53_3
.LBB53_2:
	s_mov_b64 s[6:7], 0
.LBB53_3:
	s_nop 0
	v_writelane_b32 v95, s6, 0
	s_cmp_eq_u64 s[4:5], 0
	s_nop 0
	v_writelane_b32 v95, s7, 1
	s_load_dwordx2 s[6:7], s[0:1], 0x20
	s_cbranch_scc1 .LBB53_5
; %bb.4:
	s_ashr_i32 s3, s2, 31
	s_lshl_b64 s[8:9], s[2:3], 2
	s_add_u32 s4, s4, s8
	s_addc_u32 s5, s5, s9
	s_load_dword s34, s[4:5], 0x0
	s_waitcnt lgkmcnt(0)
	s_ashr_i32 s35, s34, 31
	s_cmp_eq_u64 s[6:7], s[34:35]
	s_cbranch_scc0 .LBB53_6
	s_branch .LBB53_298
.LBB53_5:
	s_mov_b32 s34, s2
	s_ashr_i32 s35, s34, 31
	s_waitcnt lgkmcnt(0)
	s_cmp_eq_u64 s[6:7], s[34:35]
	s_cbranch_scc1 .LBB53_298
.LBB53_6:
	s_load_dwordx16 s[4:19], s[0:1], 0x88
	s_load_dwordx2 s[38:39], s[0:1], 0x8
	s_mov_b32 s3, 0
	v_writelane_b32 v95, s3, 2
	v_writelane_b32 v95, s3, 3
	s_waitcnt lgkmcnt(0)
	s_cmp_eq_u64 s[10:11], 0
	s_cbranch_scc1 .LBB53_8
; %bb.7:
	s_ashr_i32 s29, s28, 31
	s_lshl_b64 s[20:21], s[28:29], 2
	s_add_u32 s10, s10, s20
	s_addc_u32 s11, s11, s21
	s_load_dword s3, s[10:11], 0x0
	s_waitcnt lgkmcnt(0)
	v_writelane_b32 v95, s3, 3
.LBB53_8:
	s_cmp_eq_u64 s[16:17], 0
	s_cbranch_scc1 .LBB53_10
; %bb.9:
	s_ashr_i32 s29, s28, 31
	s_lshl_b64 s[10:11], s[28:29], 2
	s_add_u32 s10, s16, s10
	s_addc_u32 s11, s17, s11
	s_load_dword s3, s[10:11], 0x0
	s_waitcnt lgkmcnt(0)
	v_writelane_b32 v95, s3, 2
.LBB53_10:
	s_cmp_lt_i32 s38, 1
	s_cbranch_scc1 .LBB53_298
; %bb.11:
	v_mbcnt_lo_u32_b32 v1, -1, 0
	v_mbcnt_hi_u32_b32 v20, -1, v1
	v_lshrrev_b32_e32 v1, 5, v20
	s_sub_i32 s3, 0, s33
	v_and_b32_e32 v1, 2, v1
	s_mul_i32 s3, s3, s24
	v_add_u32_e32 v1, v1, v20
	s_mul_hi_u32 s3, s24, s3
	v_add_u32_e32 v2, 64, v20
	v_lshl_add_u32 v1, v1, 1, 0
	s_load_dwordx8 s[40:47], s[0:1], 0x2c
	s_load_dwordx2 s[10:11], s[0:1], 0x7c
	s_load_dwordx4 s[20:23], s[0:1], 0x6c
	s_load_dwordx8 s[48:55], s[0:1], 0x4c
	s_load_dwordx2 s[30:31], s[0:1], 0xd8
	s_add_i32 s3, s24, s3
	s_load_dwordx4 s[24:27], s[0:1], 0xc8
	s_load_dword s87, s[0:1], 0x84
	scratch_store_dword off, v1, off        ; 4-byte Folded Spill
	scratch_store_dword off, v2, off offset:180 ; 4-byte Folded Spill
	v_lshrrev_b32_e32 v1, 5, v2
	v_and_b32_e32 v1, 6, v1
	v_add_lshl_u32 v1, v1, v20, 1
	v_or_b32_e32 v3, 0x80, v20
	v_add_u32_e32 v2, 0, v1
	scratch_store_dword off, v2, off offset:8 ; 4-byte Folded Spill
	scratch_store_dword off, v3, off offset:184 ; 4-byte Folded Spill
	v_lshrrev_b32_e32 v2, 5, v3
	s_abs_i32 s16, s28
	v_and_b32_e32 v2, 6, v2
	s_mul_hi_u32 s3, s16, s3
	s_load_dword s17, s[0:1], 0x28
	s_ashr_i32 s0, s28, 31
	s_ashr_i32 s1, s36, 31
	v_add_lshl_u32 v2, v2, v20, 1
	s_xor_b32 s0, s0, s1
	s_mul_i32 s1, s3, s33
	v_add_u32_e32 v4, 0xc0, v20
	v_add_u32_e32 v3, 0, v2
	s_sub_i32 s1, s16, s1
	scratch_store_dword off, v3, off offset:12 ; 4-byte Folded Spill
	scratch_store_dword off, v4, off offset:188 ; 4-byte Folded Spill
	v_lshrrev_b32_e32 v3, 5, v4
	s_add_i32 s16, s3, 1
	s_sub_i32 s29, s1, s33
	v_and_b32_e32 v3, 14, v3
	s_cmp_ge_u32 s1, s33
	v_add_lshl_u32 v3, v3, v20, 1
	s_cselect_b32 s3, s16, s3
	v_or_b32_e32 v5, 0x100, v20
	v_add_u32_e32 v4, 0, v3
	s_cselect_b32 s1, s29, s1
	s_add_i32 s16, s3, 1
	scratch_store_dword off, v4, off offset:16 ; 4-byte Folded Spill
	scratch_store_dword off, v5, off offset:192 ; 4-byte Folded Spill
	v_lshrrev_b32_e32 v4, 5, v5
	s_cmp_ge_u32 s1, s33
	v_and_b32_e32 v4, 10, v4
	s_cselect_b32 s1, s16, s3
	v_add_lshl_u32 v4, v4, v20, 1
	s_xor_b32 s1, s1, s0
	s_waitcnt lgkmcnt(0)
	s_mul_i32 s88, s50, s2
	s_mov_b32 s89, 0
	v_add_u32_e32 v6, 0x140, v20
	v_add_u32_e32 v5, 0, v4
	s_sub_i32 s3, s1, s0
	s_lshl_b64 s[0:1], s[88:89], 1
	scratch_store_dword off, v5, off offset:20 ; 4-byte Folded Spill
	scratch_store_dword off, v6, off offset:196 ; 4-byte Folded Spill
	v_lshrrev_b32_e32 v5, 5, v6
	s_add_u32 s12, s12, s0
	s_mul_i32 s88, s51, s28
	v_and_b32_e32 v5, 14, v5
	s_addc_u32 s13, s13, s1
	s_lshl_b64 s[0:1], s[88:89], 1
	v_add_lshl_u32 v5, v5, v20, 1
	s_add_u32 s36, s12, s0
	s_mul_i32 s88, s52, s2
	v_or_b32_e32 v7, 0x180, v20
	v_add_u32_e32 v6, 0, v5
	s_addc_u32 s37, s13, s1
	s_lshl_b64 s[0:1], s[88:89], 1
	scratch_store_dword off, v6, off offset:24 ; 4-byte Folded Spill
	scratch_store_dword off, v7, off offset:200 ; 4-byte Folded Spill
	v_lshrrev_b32_e32 v6, 5, v7
	s_add_u32 s12, s14, s0
	s_mul_i32 s88, s53, s28
	v_and_b32_e32 v6, 14, v6
	s_addc_u32 s13, s15, s1
	s_lshl_b64 s[0:1], s[88:89], 1
	v_add_lshl_u32 v6, v6, v20, 1
	s_add_u32 s0, s12, s0
	v_add_u32_e32 v8, 0x1c0, v20
	v_add_u32_e32 v7, 0, v6
	s_addc_u32 s1, s13, s1
	scratch_store_dword off, v7, off offset:28 ; 4-byte Folded Spill
	scratch_store_dword off, v8, off offset:204 ; 4-byte Folded Spill
	v_lshrrev_b32_e32 v7, 5, v8
	v_writelane_b32 v95, s0, 4
	s_mul_i32 s88, s40, s28
	v_and_b32_e32 v7, 30, v7
	v_writelane_b32 v95, s1, 5
	s_lshl_b64 s[0:1], s[88:89], 2
	v_add_lshl_u32 v7, v7, v20, 1
	s_add_u32 s0, s4, s0
	v_or_b32_e32 v9, 0x200, v20
	v_add_u32_e32 v8, 0, v7
	v_writelane_b32 v95, s0, 6
	s_addc_u32 s0, s5, s1
	s_mul_i32 s88, s42, s2
	scratch_store_dword off, v8, off offset:32 ; 4-byte Folded Spill
	scratch_store_dword off, v9, off offset:208 ; 4-byte Folded Spill
	v_lshrrev_b32_e32 v8, 5, v9
	v_writelane_b32 v95, s0, 7
	s_lshl_b64 s[0:1], s[88:89], 1
	v_and_b32_e32 v8, 18, v8
	s_add_u32 s4, s6, s0
	s_mul_i32 s88, s3, s45
	v_add_lshl_u32 v8, v8, v20, 1
	s_addc_u32 s5, s7, s1
	s_lshl_b64 s[0:1], s[88:89], 1
	v_add_u32_e32 v10, 0x240, v20
	v_add_u32_e32 v9, 0, v8
	s_add_u32 s0, s4, s0
	scratch_store_dword off, v9, off offset:36 ; 4-byte Folded Spill
	scratch_store_dword off, v10, off offset:212 ; 4-byte Folded Spill
	v_lshrrev_b32_e32 v9, 5, v10
	s_addc_u32 s1, s5, s1
	v_and_b32_e32 v9, 22, v9
	v_writelane_b32 v95, s0, 8
	v_add_lshl_u32 v9, v9, v20, 1
	v_or_b32_e32 v11, 0x280, v20
	v_writelane_b32 v95, s1, 9
	v_add_u32_e32 v10, 0, v9
	v_writelane_b32 v95, s40, 10
	scratch_store_dword off, v10, off offset:40 ; 4-byte Folded Spill
	scratch_store_dword off, v11, off offset:216 ; 4-byte Folded Spill
	v_lshrrev_b32_e32 v10, 5, v11
	v_writelane_b32 v95, s41, 11
	v_and_b32_e32 v10, 22, v10
	v_writelane_b32 v95, s42, 12
	s_mul_i32 s88, s46, s2
	v_add_lshl_u32 v10, v10, v20, 1
	v_writelane_b32 v95, s43, 13
	s_lshl_b64 s[0:1], s[88:89], 1
	v_add_u32_e32 v12, 0x2c0, v20
	v_add_u32_e32 v11, 0, v10
	v_writelane_b32 v95, s44, 14
	s_add_u32 s4, s8, s0
	s_mul_i32 s88, s3, s49
	scratch_store_dword off, v11, off offset:44 ; 4-byte Folded Spill
	scratch_store_dword off, v12, off offset:220 ; 4-byte Folded Spill
	v_lshrrev_b32_e32 v11, 5, v12
	v_writelane_b32 v95, s45, 15
	s_addc_u32 s5, s9, s1
	s_lshl_b64 s[0:1], s[88:89], 1
	v_and_b32_e32 v11, 30, v11
	v_writelane_b32 v95, s46, 16
	s_add_u32 s0, s4, s0
	v_add_lshl_u32 v11, v11, v20, 1
	v_writelane_b32 v95, s47, 17
	s_addc_u32 s1, s5, s1
	v_or_b32_e32 v13, 0x300, v20
	v_add_u32_e32 v12, 0, v11
	v_writelane_b32 v95, s0, 18
	s_mul_i32 s88, s34, s10
	scratch_store_dword off, v12, off offset:48 ; 4-byte Folded Spill
	scratch_store_dword off, v13, off offset:224 ; 4-byte Folded Spill
	v_lshrrev_b32_e32 v12, 5, v13
	v_writelane_b32 v95, s1, 19
	s_lshl_b64 s[0:1], s[88:89], 2
	v_and_b32_e32 v12, 26, v12
	s_add_u32 s3, s24, s0
	s_mul_i32 s88, s11, s28
	v_add_lshl_u32 v12, v12, v20, 1
	s_addc_u32 s4, s25, s1
	s_lshl_b64 s[0:1], s[88:89], 2
	v_add_u32_e32 v14, 0x340, v20
	v_add_u32_e32 v13, 0, v12
	s_add_u32 s0, s3, s0
	scratch_store_dword off, v13, off offset:52 ; 4-byte Folded Spill
	scratch_store_dword off, v14, off offset:228 ; 4-byte Folded Spill
	v_lshrrev_b32_e32 v13, 5, v14
	v_writelane_b32 v95, s0, 20
	s_addc_u32 s0, s4, s1
	v_and_b32_e32 v13, 30, v13
	v_writelane_b32 v95, s0, 21
	s_add_i32 s0, s38, 0x7ff
	v_add_lshl_u32 v13, v13, v20, 1
	s_lshr_b32 s1, s0, 11
	v_or_b32_e32 v15, 0x380, v20
	v_add_u32_e32 v14, 0, v13
	scratch_store_dword off, v14, off offset:56 ; 4-byte Folded Spill
	scratch_store_dword off, v15, off offset:232 ; 4-byte Folded Spill
	v_lshrrev_b32_e32 v14, 5, v15
	s_bitcmp1_b32 s17, 0
	v_and_b32_e32 v14, 30, v14
	s_cselect_b64 s[6:7], -1, 0
	s_cmp_gt_i32 s39, 0
	v_add_lshl_u32 v14, v14, v20, 1
	s_cselect_b64 s[4:5], -1, 0
	s_add_i32 s0, 0, 0x840
	v_add_u32_e32 v15, 0, v14
	v_add_u32_e32 v1, s0, v1
	;; [unrolled: 1-line block ×3, first 2 shown]
	scratch_store_dword off, v15, off offset:60 ; 4-byte Folded Spill
	scratch_store_dword off, v16, off offset:236 ; 4-byte Folded Spill
	;; [unrolled: 1-line block ×3, first 2 shown]
	v_add_u32_e32 v1, s0, v2
	scratch_store_dword off, v1, off offset:100 ; 4-byte Folded Spill
	v_add_u32_e32 v1, s0, v3
	scratch_store_dword off, v1, off offset:104 ; 4-byte Folded Spill
	;; [unrolled: 2-line block ×7, first 2 shown]
	v_add_u32_e32 v1, s0, v9
	v_lshrrev_b32_e32 v15, 5, v16
	scratch_store_dword off, v1, off offset:128 ; 4-byte Folded Spill
	v_add_u32_e32 v1, s0, v10
	v_and_b32_e32 v15, 62, v15
	scratch_store_dword off, v1, off offset:132 ; 4-byte Folded Spill
	v_add_u32_e32 v1, s0, v11
	v_add_lshl_u32 v15, v15, v20, 1
	scratch_store_dword off, v1, off offset:136 ; 4-byte Folded Spill
	v_add_u32_e32 v1, s0, v12
	v_add_u32_e32 v16, 0, v15
	v_lshrrev_b32_e32 v18, 1, v20
	scratch_store_dword off, v1, off offset:140 ; 4-byte Folded Spill
	v_add_u32_e32 v1, s0, v13
	scratch_store_dword off, v16, off offset:64 ; 4-byte Folded Spill
	v_lshlrev_b32_e32 v16, 4, v20
	v_and_b32_e32 v18, 62, v18
	v_writelane_b32 v95, s4, 22
	scratch_store_dword off, v1, off offset:144 ; 4-byte Folded Spill
	v_add_u32_e32 v1, s0, v14
	v_add_lshl_u32 v16, v18, v16, 1
	v_writelane_b32 v95, s5, 23
	scratch_store_dword off, v1, off offset:148 ; 4-byte Folded Spill
	v_add_u32_e32 v1, s0, v15
	scratch_store_dword off, v1, off offset:152 ; 4-byte Folded Spill
	v_add_u32_e32 v1, s0, v16
	v_writelane_b32 v95, s38, 24
	s_and_b32 s0, s38, 0x3ff
	s_cmp_eq_u32 s0, 0
	v_writelane_b32 v95, s39, 25
	s_cselect_b64 s[4:5], -1, 0
	scratch_store_dword off, v1, off offset:156 ; 4-byte Folded Spill
	v_writelane_b32 v95, s4, 26
	v_and_b32_e32 v1, 15, v20
	s_mul_i32 s88, s20, s2
	v_writelane_b32 v95, s5, 27
	v_cmp_ne_u32_e64 s[4:5], 0, v1
	s_add_i32 s0, s1, -1
	v_cmp_lt_u32_e64 s[84:85], 3, v1
	v_writelane_b32 v95, s4, 28
	v_and_b32_e32 v2, 64, v20
	v_lshlrev_b32_e32 v19, 4, v0
	v_writelane_b32 v95, s5, 29
	v_writelane_b32 v95, s1, 30
	s_lshl_b64 s[4:5], s[88:89], 1
	v_writelane_b32 v95, s0, 31
	s_add_u32 s0, s18, s4
	s_addc_u32 s1, s19, s5
	v_cmp_lt_u32_e64 s[4:5], 1, v1
	s_mul_i32 s88, s21, s28
	s_lshl_b64 s[16:17], s[88:89], 1
	v_writelane_b32 v95, s4, 32
	s_add_u32 s18, s0, s16
	s_mul_i32 s88, s54, s2
	v_writelane_b32 v95, s5, 33
	v_cmp_lt_u32_e64 s[4:5], 7, v1
	v_and_b32_e32 v1, 16, v20
	s_addc_u32 s19, s1, s17
	v_writelane_b32 v95, s4, 34
	s_lshl_b64 s[16:17], s[88:89], 1
	s_add_u32 s0, s26, s16
	v_writelane_b32 v95, s5, 35
	v_cmp_ne_u32_e64 s[4:5], 0, v1
	v_add_u32_e32 v1, -1, v20
	v_cmp_lt_i32_e32 vcc, v1, v2
	v_writelane_b32 v95, s4, 36
	v_cmp_gt_u32_e64 s[14:15], 64, v0
	v_cndmask_b32_e32 v1, v1, v20, vcc
	v_writelane_b32 v95, s5, 37
	v_cmp_eq_u32_e64 s[4:5], 63, v0
	v_lshlrev_b32_e32 v1, 2, v1
	s_addc_u32 s1, s27, s17
	v_cmp_eq_u32_e64 s[16:17], 0, v0
	v_mov_b32_e32 v0, v20
	scratch_store_dwordx2 off, v[0:1], off offset:172 ; 8-byte Folded Spill
	v_or_b32_e32 v0, 1, v19
	scratch_store_dword off, v0, off offset:268 ; 4-byte Folded Spill
	v_or_b32_e32 v0, 2, v19
	scratch_store_dword off, v0, off offset:272 ; 4-byte Folded Spill
	;; [unrolled: 2-line block ×5, first 2 shown]
	v_or_b32_e32 v0, 6, v19
	v_writelane_b32 v95, s4, 38
	scratch_store_dword off, v0, off offset:288 ; 4-byte Folded Spill
                                        ; implicit-def: $vgpr0
	v_add_u32_e32 v18, 0, v16
	v_writelane_b32 v95, s5, 39
	v_or_b32_e32 v0, 7, v19
	v_writelane_b32 v95, s48, 40
	s_mul_i32 s88, s55, s28
	scratch_store_dword off, v0, off offset:292 ; 4-byte Folded Spill
	v_or_b32_e32 v0, 8, v19
	v_writelane_b32 v95, s49, 41
	s_lshl_b64 s[20:21], s[88:89], 1
	scratch_store_dword off, v0, off offset:296 ; 4-byte Folded Spill
	v_or_b32_e32 v0, 9, v19
	v_writelane_b32 v95, s50, 42
	s_add_u32 s20, s0, s20
	s_mul_i32 s88, s22, s2
	scratch_store_dword off, v0, off offset:300 ; 4-byte Folded Spill
	v_or_b32_e32 v0, 10, v19
	v_writelane_b32 v95, s51, 43
	s_addc_u32 s21, s1, s21
	s_lshl_b64 s[2:3], s[88:89], 1
	scratch_store_dword off, v0, off offset:304 ; 4-byte Folded Spill
	v_or_b32_e32 v0, 11, v19
	v_writelane_b32 v95, s52, 44
	s_add_u32 s0, s30, s2
	s_mul_i32 s88, s23, s28
	scratch_store_dword off, v0, off offset:308 ; 4-byte Folded Spill
	v_or_b32_e32 v0, 12, v19
	v_writelane_b32 v95, s53, 45
	s_addc_u32 s1, s31, s3
	s_lshl_b64 s[2:3], s[88:89], 1
	scratch_store_dword off, v0, off offset:312 ; 4-byte Folded Spill
	v_or_b32_e32 v0, 13, v19
	v_writelane_b32 v95, s54, 46
	s_add_u32 s2, s0, s2
	scratch_store_dword off, v0, off offset:316 ; 4-byte Folded Spill
	v_or_b32_e32 v0, 14, v19
	v_mov_b32_e32 v17, 0
	scratch_store_dword off, v18, off offset:4 ; 4-byte Folded Spill
	scratch_store_dword off, v1, off offset:160 ; 4-byte Folded Spill
	v_lshlrev_b32_e32 v16, 1, v20
	v_writelane_b32 v95, s55, 47
	s_addc_u32 s3, s1, s3
	s_add_i32 s0, 0, 0x1088
	scratch_store_dword off, v0, off offset:320 ; 4-byte Folded Spill
	scratch_store_dword off, v19, off offset:264 ; 4-byte Folded Spill
	v_or_b32_e32 v0, 15, v19
	v_writelane_b32 v95, s0, 48
	scratch_store_dword off, v0, off offset:324 ; 4-byte Folded Spill
	v_lshl_add_u64 v[0:1], s[18:19], 0, v[16:17]
	scratch_store_dwordx2 off, v[0:1], off offset:240 ; 8-byte Folded Spill
	v_lshl_add_u64 v[0:1], s[20:21], 0, v[16:17]
	v_writelane_b32 v95, s87, 49
	scratch_store_dwordx2 off, v[0:1], off offset:248 ; 8-byte Folded Spill
	v_lshl_add_u64 v[0:1], s[2:3], 0, v[16:17]
	v_writelane_b32 v95, s6, 50
	v_cmp_lt_u32_e64 s[12:13], 31, v20
	s_mov_b32 s4, 0x41a00000
	s_mov_b32 s5, 0x3fb8aa3b
	s_mov_b32 s8, 0xc2ce8ed0
	s_mov_b32 s9, 0x42b17218
	s_mov_b32 s10, 0x7f800000
	s_mov_b32 s11, 0x3f2aaaab
	s_mov_b32 s33, 0x3f317218
	s_mov_b32 s54, 0x33800000
	s_mov_b32 s91, 0xc2fc0000
	s_mov_b32 s1, 0
	v_mov_b32_e32 v39, 0x7f800000
	v_mov_b32_e32 v20, 0x42800000
	;; [unrolled: 1-line block ×3, first 2 shown]
	scratch_store_dwordx2 off, v[0:1], off offset:256 ; 8-byte Folded Spill
	v_mov_b32_e32 v0, 0x3f317218
	v_writelane_b32 v95, s7, 51
	scratch_store_dwordx2 off, v[0:1], off offset:164 ; 8-byte Folded Spill
	s_branch .LBB53_13
.LBB53_12:                              ;   in Loop: Header=BB53_13 Depth=1
	s_or_b64 exec, exec, s[2:3]
	v_readlane_b32 s0, v95, 4
	v_readlane_b32 s1, v95, 5
	s_add_u32 s0, s0, 0x800
	s_addc_u32 s1, s1, 0
	v_writelane_b32 v95, s0, 4
	s_nop 1
	v_writelane_b32 v95, s1, 5
	s_nop 0
	v_readlane_b32 s36, v95, 55
	v_readlane_b32 s37, v95, 56
	s_add_u32 s36, s36, 0x800
	s_addc_u32 s37, s37, 0
	v_readlane_b32 s0, v95, 8
	v_readlane_b32 s1, v95, 9
	s_add_u32 s0, s0, 0x800
	s_addc_u32 s1, s1, 0
	v_writelane_b32 v95, s0, 8
	s_nop 1
	v_writelane_b32 v95, s1, 9
	s_nop 0
	v_readlane_b32 s0, v95, 18
	v_readlane_b32 s1, v95, 19
	s_add_u32 s0, s0, 0x800
	s_addc_u32 s1, s1, 0
	v_writelane_b32 v95, s0, 18
	s_nop 1
	v_writelane_b32 v95, s1, 19
	s_nop 0
	v_readlane_b32 s1, v95, 52
	s_add_i32 s1, s1, 1
	v_readlane_b32 s0, v95, 30
	s_cmp_lg_u32 s1, s0
	s_cbranch_scc0 .LBB53_298
.LBB53_13:                              ; =>This Loop Header: Depth=1
                                        ;     Child Loop BB53_110 Depth 2
	s_waitcnt lgkmcnt(0)
	; wave barrier
	s_waitcnt vmcnt(63) expcnt(7) lgkmcnt(15)
	scratch_load_dwordx2 v[0:1], off, off offset:172 ; 8-byte Folded Reload
	v_writelane_b32 v95, s1, 52
	s_lshl_b32 s18, s1, 10
	v_readlane_b32 s0, v95, 24
	s_mov_b32 s2, s18
	v_readlane_b32 s1, v95, 25
	v_writelane_b32 v95, s2, 53
	s_sub_i32 s82, s0, s18
	s_waitcnt vmcnt(0) lgkmcnt(0)
	v_mov_b32_e32 v2, v0
	v_writelane_b32 v95, s3, 54
	v_lshlrev_b32_e32 v16, 1, v2
	v_writelane_b32 v95, s36, 55
	v_cmp_gt_u32_e64 s[18:19], s82, v2
	v_mov_b32_e32 v2, 0
	v_writelane_b32 v95, s37, 56
	v_lshl_add_u64 v[0:1], s[36:37], 0, v[16:17]
	s_and_saveexec_b64 s[2:3], s[18:19]
	s_cbranch_execz .LBB53_15
; %bb.14:                               ;   in Loop: Header=BB53_13 Depth=1
	global_load_ushort v2, v[0:1], off
.LBB53_15:                              ;   in Loop: Header=BB53_13 Depth=1
	s_or_b64 exec, exec, s[2:3]
	scratch_load_dword v3, off, off offset:180 ; 4-byte Folded Reload
	v_mov_b32_e32 v4, 0
	s_waitcnt vmcnt(0)
	v_cmp_gt_u32_e64 s[20:21], s82, v3
	v_mov_b32_e32 v3, 0
	s_and_saveexec_b64 s[2:3], s[20:21]
	s_cbranch_execz .LBB53_17
; %bb.16:                               ;   in Loop: Header=BB53_13 Depth=1
	global_load_ushort v4, v[0:1], off offset:128
.LBB53_17:                              ;   in Loop: Header=BB53_13 Depth=1
	s_or_b64 exec, exec, s[2:3]
	scratch_load_dword v5, off, off offset:184 ; 4-byte Folded Reload
	s_waitcnt vmcnt(0)
	v_cmp_gt_u32_e64 s[22:23], s82, v5
	s_and_saveexec_b64 s[2:3], s[22:23]
	s_cbranch_execz .LBB53_19
; %bb.18:                               ;   in Loop: Header=BB53_13 Depth=1
	global_load_ushort v3, v[0:1], off offset:256
.LBB53_19:                              ;   in Loop: Header=BB53_13 Depth=1
	s_or_b64 exec, exec, s[2:3]
	scratch_load_dword v5, off, off offset:188 ; 4-byte Folded Reload
	v_mov_b32_e32 v6, 0
	s_waitcnt vmcnt(0)
	v_cmp_gt_u32_e64 s[24:25], s82, v5
	v_mov_b32_e32 v5, 0
	s_and_saveexec_b64 s[2:3], s[24:25]
	s_cbranch_execz .LBB53_21
; %bb.20:                               ;   in Loop: Header=BB53_13 Depth=1
	global_load_ushort v6, v[0:1], off offset:384
.LBB53_21:                              ;   in Loop: Header=BB53_13 Depth=1
	s_or_b64 exec, exec, s[2:3]
	scratch_load_dword v7, off, off offset:192 ; 4-byte Folded Reload
	s_waitcnt vmcnt(0)
	v_cmp_gt_u32_e64 s[26:27], s82, v7
	s_and_saveexec_b64 s[2:3], s[26:27]
	s_cbranch_execz .LBB53_23
; %bb.22:                               ;   in Loop: Header=BB53_13 Depth=1
	global_load_ushort v5, v[0:1], off offset:512
.LBB53_23:                              ;   in Loop: Header=BB53_13 Depth=1
	;; [unrolled: 20-line block ×4, first 2 shown]
	s_or_b64 exec, exec, s[2:3]
	scratch_load_dword v10, off, off offset:212 ; 4-byte Folded Reload
	v_mov_b32_e32 v12, 0
	v_mov_b32_e32 v13, 0
	s_waitcnt vmcnt(0)
	v_cmp_gt_u32_e64 s[38:39], s82, v10
	s_and_saveexec_b64 s[2:3], s[38:39]
	s_cbranch_execz .LBB53_33
; %bb.32:                               ;   in Loop: Header=BB53_13 Depth=1
	global_load_ushort v13, v[0:1], off offset:1152
.LBB53_33:                              ;   in Loop: Header=BB53_13 Depth=1
	s_or_b64 exec, exec, s[2:3]
	scratch_load_dword v10, off, off offset:216 ; 4-byte Folded Reload
	s_waitcnt vmcnt(0)
	v_cmp_gt_u32_e64 s[40:41], s82, v10
	s_and_saveexec_b64 s[2:3], s[40:41]
	s_cbranch_execz .LBB53_35
; %bb.34:                               ;   in Loop: Header=BB53_13 Depth=1
	global_load_ushort v12, v[0:1], off offset:1280
.LBB53_35:                              ;   in Loop: Header=BB53_13 Depth=1
	s_or_b64 exec, exec, s[2:3]
	scratch_load_dword v10, off, off offset:220 ; 4-byte Folded Reload
	v_mov_b32_e32 v14, 0
	v_mov_b32_e32 v15, 0
	s_waitcnt vmcnt(0)
	v_cmp_gt_u32_e64 s[42:43], s82, v10
	s_and_saveexec_b64 s[2:3], s[42:43]
	s_cbranch_execz .LBB53_37
; %bb.36:                               ;   in Loop: Header=BB53_13 Depth=1
	global_load_ushort v15, v[0:1], off offset:1408
.LBB53_37:                              ;   in Loop: Header=BB53_13 Depth=1
	s_or_b64 exec, exec, s[2:3]
	scratch_load_dword v10, off, off offset:224 ; 4-byte Folded Reload
	s_waitcnt vmcnt(0)
	v_cmp_gt_u32_e64 s[44:45], s82, v10
	s_and_saveexec_b64 s[2:3], s[44:45]
	s_cbranch_execz .LBB53_39
; %bb.38:                               ;   in Loop: Header=BB53_13 Depth=1
	global_load_ushort v14, v[0:1], off offset:1536
.LBB53_39:                              ;   in Loop: Header=BB53_13 Depth=1
	;; [unrolled: 20-line block ×3, first 2 shown]
	s_or_b64 exec, exec, s[2:3]
	scratch_load_dword v10, off, off offset:236 ; 4-byte Folded Reload
	v_mov_b32_e32 v22, 0
	s_waitcnt vmcnt(0)
	v_cmp_gt_u32_e64 s[50:51], s82, v10
	v_mov_b32_e32 v10, 0
	s_and_saveexec_b64 s[2:3], s[50:51]
	s_cbranch_execz .LBB53_45
; %bb.44:                               ;   in Loop: Header=BB53_13 Depth=1
	global_load_ushort v22, v[0:1], off offset:1920
.LBB53_45:                              ;   in Loop: Header=BB53_13 Depth=1
	s_or_b64 exec, exec, s[2:3]
	scratch_load_dword v0, off, off         ; 4-byte Folded Reload
	v_readlane_b32 s0, v95, 4
	v_readlane_b32 s1, v95, 5
	s_waitcnt vmcnt(0)
	ds_write_b16 v0, v2
	scratch_load_dword v0, off, off offset:8 ; 4-byte Folded Reload
	s_waitcnt vmcnt(0)
	ds_write_b16 v0, v4 offset:128
	scratch_load_dword v0, off, off offset:12 ; 4-byte Folded Reload
	s_waitcnt vmcnt(0)
	ds_write_b16 v0, v3 offset:256
	;; [unrolled: 3-line block ×8, first 2 shown]
	scratch_load_dword v0, off, off offset:40 ; 4-byte Folded Reload
	v_lshl_add_u64 v[8:9], s[0:1], 0, v[16:17]
	s_waitcnt vmcnt(0)
	ds_write_b16 v0, v13 offset:1152
	scratch_load_dword v0, off, off offset:44 ; 4-byte Folded Reload
	s_waitcnt vmcnt(0)
	ds_write_b16 v0, v12 offset:1280
	scratch_load_dword v0, off, off offset:48 ; 4-byte Folded Reload
	;; [unrolled: 3-line block ×6, first 2 shown]
	s_waitcnt vmcnt(0)
	ds_write_b16 v0, v22 offset:1920
	; wave barrier
	scratch_load_dword v4, off, off offset:4 ; 4-byte Folded Reload
	s_waitcnt vmcnt(0)
	ds_read_b128 v[0:3], v4
	ds_read_b128 v[4:7], v4 offset:16
	s_waitcnt lgkmcnt(0)
	; wave barrier
	s_waitcnt lgkmcnt(0)
	s_and_saveexec_b64 s[2:3], s[18:19]
	s_cbranch_execz .LBB53_47
; %bb.46:                               ;   in Loop: Header=BB53_13 Depth=1
	global_load_ushort v10, v[8:9], off
.LBB53_47:                              ;   in Loop: Header=BB53_13 Depth=1
	s_or_b64 exec, exec, s[2:3]
	v_mov_b32_e32 v11, 0
	v_mov_b32_e32 v12, 0
	s_and_saveexec_b64 s[2:3], s[20:21]
	s_cbranch_execz .LBB53_49
; %bb.48:                               ;   in Loop: Header=BB53_13 Depth=1
	global_load_ushort v12, v[8:9], off offset:128
.LBB53_49:                              ;   in Loop: Header=BB53_13 Depth=1
	s_or_b64 exec, exec, s[2:3]
	s_and_saveexec_b64 s[2:3], s[22:23]
	s_cbranch_execz .LBB53_51
; %bb.50:                               ;   in Loop: Header=BB53_13 Depth=1
	global_load_ushort v11, v[8:9], off offset:256
.LBB53_51:                              ;   in Loop: Header=BB53_13 Depth=1
	s_or_b64 exec, exec, s[2:3]
	v_mov_b32_e32 v13, 0
	v_mov_b32_e32 v14, 0
	s_and_saveexec_b64 s[2:3], s[24:25]
	s_cbranch_execz .LBB53_53
; %bb.52:                               ;   in Loop: Header=BB53_13 Depth=1
	global_load_ushort v14, v[8:9], off offset:384
.LBB53_53:                              ;   in Loop: Header=BB53_13 Depth=1
	s_or_b64 exec, exec, s[2:3]
	s_and_saveexec_b64 s[2:3], s[26:27]
	s_cbranch_execz .LBB53_55
; %bb.54:                               ;   in Loop: Header=BB53_13 Depth=1
	global_load_ushort v13, v[8:9], off offset:512
.LBB53_55:                              ;   in Loop: Header=BB53_13 Depth=1
	;; [unrolled: 14-line block ×6, first 2 shown]
	s_or_b64 exec, exec, s[2:3]
	v_mov_b32_e32 v27, 0
	v_mov_b32_e32 v28, 0
	s_and_saveexec_b64 s[2:3], s[46:47]
	s_cbranch_execnz .LBB53_267
; %bb.72:                               ;   in Loop: Header=BB53_13 Depth=1
	s_or_b64 exec, exec, s[2:3]
	s_and_saveexec_b64 s[2:3], s[48:49]
	s_cbranch_execnz .LBB53_268
.LBB53_73:                              ;   in Loop: Header=BB53_13 Depth=1
	s_or_b64 exec, exec, s[2:3]
	v_mov_b32_e32 v29, 0
	s_and_saveexec_b64 s[2:3], s[50:51]
	s_cbranch_execz .LBB53_75
.LBB53_74:                              ;   in Loop: Header=BB53_13 Depth=1
	global_load_ushort v29, v[8:9], off offset:1920
.LBB53_75:                              ;   in Loop: Header=BB53_13 Depth=1
	s_or_b64 exec, exec, s[2:3]
	scratch_load_dword v8, off, off         ; 4-byte Folded Reload
	v_readlane_b32 s0, v95, 2
	s_waitcnt vmcnt(0)
	ds_write_b16 v8, v10
	scratch_load_dword v8, off, off offset:8 ; 4-byte Folded Reload
	s_waitcnt vmcnt(0)
	ds_write_b16 v8, v12 offset:128
	scratch_load_dword v8, off, off offset:12 ; 4-byte Folded Reload
	s_waitcnt vmcnt(0)
	ds_write_b16 v8, v11 offset:256
	;; [unrolled: 3-line block ×15, first 2 shown]
	; wave barrier
	scratch_load_dword v8, off, off offset:4 ; 4-byte Folded Reload
	s_waitcnt vmcnt(0)
	ds_read_b128 v[12:15], v8
	ds_read_b128 v[8:11], v8 offset:16
	s_waitcnt lgkmcnt(1)
	v_lshlrev_b32_e32 v18, 16, v12
	v_add_f32_e32 v23, s0, v18
	v_cmp_ge_f32_e32 vcc, s4, v23
	s_and_b64 s[2:3], s[6:7], vcc
	s_and_saveexec_b64 s[52:53], s[2:3]
	s_cbranch_execz .LBB53_77
; %bb.76:                               ;   in Loop: Header=BB53_13 Depth=1
	v_mul_f32_e32 v18, 0x3fb8aa3b, v23
	v_rndne_f32_e32 v19, v18
	v_sub_f32_e32 v22, v18, v19
	v_fma_f32 v18, v23, s5, -v18
	v_fmac_f32_e32 v18, 0x32a5705f, v23
	v_add_f32_e32 v18, v22, v18
	v_cvt_i32_f32_e32 v19, v19
	v_exp_f32_e32 v18, v18
	v_cmp_ngt_f32_e32 vcc, s8, v23
	v_ldexp_f32 v18, v18, v19
	s_nop 0
	v_cndmask_b32_e32 v18, 0, v18, vcc
	v_cmp_nlt_f32_e32 vcc, s9, v23
	s_nop 1
	v_cndmask_b32_e32 v36, v39, v18, vcc
	v_add_f32_e32 v22, 1.0, v36
	v_add_f32_e32 v18, -1.0, v22
	v_sub_f32_e32 v19, v18, v22
	v_add_f32_e32 v19, 1.0, v19
	v_sub_f32_e32 v18, v36, v18
	v_add_f32_e32 v23, v18, v19
	v_frexp_mant_f32_e32 v24, v22
	v_cvt_f64_f32_e32 v[18:19], v22
	v_frexp_exp_i32_f64_e32 v18, v[18:19]
	v_cmp_gt_f32_e32 vcc, s11, v24
	v_cmp_gt_f32_e64 s[2:3], s54, v36
	s_nop 0
	v_subbrev_co_u32_e32 v28, vcc, 0, v18, vcc
	v_sub_u32_e32 v18, 0, v28
	v_ldexp_f32 v19, v22, v18
	v_add_f32_e32 v22, -1.0, v19
	v_add_f32_e32 v24, 1.0, v19
	v_ldexp_f32 v18, v23, v18
	v_add_f32_e32 v23, 1.0, v22
	v_add_f32_e32 v25, -1.0, v24
	v_sub_f32_e32 v23, v19, v23
	v_sub_f32_e32 v19, v19, v25
	v_add_f32_e32 v23, v18, v23
	v_add_f32_e32 v18, v18, v19
	v_add_f32_e32 v29, v24, v18
	v_rcp_f32_e32 v31, v29
	v_sub_f32_e32 v19, v24, v29
	v_add_f32_e32 v30, v18, v19
	v_add_f32_e32 v19, v22, v23
	v_mul_f32_e32 v33, v19, v31
	v_sub_f32_e32 v18, v22, v19
	v_mul_f32_e32 v22, v29, v33
	v_fma_f32 v24, v33, v29, -v22
	v_fmac_f32_e32 v24, v33, v30
	v_add_f32_e32 v32, v23, v18
	v_add_f32_e32 v18, v22, v24
	v_sub_f32_e32 v23, v19, v18
	v_pk_add_f32 v[26:27], v[18:19], v[22:23] neg_lo:[0,1] neg_hi:[0,1]
	v_mov_b32_e32 v25, v18
	v_pk_add_f32 v[18:19], v[26:27], v[24:25] neg_lo:[0,1] neg_hi:[0,1]
	v_cmp_eq_f32_e32 vcc, s10, v36
	v_add_f32_e32 v19, v32, v19
	v_add_f32_e32 v18, v18, v19
	;; [unrolled: 1-line block ×3, first 2 shown]
	v_mul_f32_e32 v32, v31, v19
	v_mul_f32_e32 v22, v29, v32
	v_fma_f32 v24, v32, v29, -v22
	v_fmac_f32_e32 v24, v32, v30
	v_sub_f32_e32 v23, v23, v19
	v_add_f32_e32 v29, v18, v23
	v_add_f32_e32 v18, v22, v24
	v_sub_f32_e32 v23, v19, v18
	v_pk_add_f32 v[26:27], v[18:19], v[22:23] neg_lo:[0,1] neg_hi:[0,1]
	v_mov_b32_e32 v25, v18
	v_pk_add_f32 v[18:19], v[26:27], v[24:25] neg_lo:[0,1] neg_hi:[0,1]
	scratch_load_dwordx2 v[26:27], off, off offset:164 ; 8-byte Folded Reload
	v_add_f32_e32 v19, v29, v19
	v_add_f32_e32 v18, v18, v19
	;; [unrolled: 1-line block ×4, first 2 shown]
	v_sub_f32_e32 v22, v19, v33
	v_mul_f32_e32 v18, v31, v18
	v_sub_f32_e32 v22, v32, v22
	v_add_f32_e32 v22, v22, v18
	v_add_f32_e32 v24, v19, v22
	v_mul_f32_e32 v25, v24, v24
	v_mov_b32_e32 v18, 0x3ecc95a3
	v_fmamk_f32 v18, v25, 0x3e9b6dac, v18
	v_fmaak_f32 v31, v25, v18, 0x3f2aaada
	v_cvt_f32_i32_e32 v18, v28
	v_sub_f32_e32 v19, v24, v19
	v_sub_f32_e32 v19, v22, v19
	v_ldexp_f32 v23, v24, 1
	s_or_b64 vcc, s[2:3], vcc
	s_waitcnt vmcnt(0)
	v_mov_b32_e32 v30, v26
	v_ldexp_f32 v26, v19, 1
	v_mul_f32_e32 v19, v24, v25
	v_mov_b32_e32 v22, v30
	v_pk_mul_f32 v[24:25], v[18:19], v[30:31]
	scratch_store_dwordx2 off, v[22:23], off offset:164 ; 8-byte Folded Spill
	v_fma_f32 v22, v18, s33, -v24
	v_fmac_f32_e32 v22, 0xb102e308, v18
	v_pk_add_f32 v[18:19], v[24:25], v[22:23]
	s_nop 0
	v_sub_f32_e32 v23, v19, v23
	v_sub_f32_e32 v23, v25, v23
	v_add_f32_e32 v27, v26, v23
	v_mov_b32_e32 v26, v24
	v_pk_add_f32 v[24:25], v[18:19], v[24:25] neg_lo:[0,1] neg_hi:[0,1]
	v_pk_add_f32 v[28:29], v[18:19], v[26:27]
	v_mov_b32_e32 v23, v18
	v_mov_b32_e32 v25, v29
	v_pk_add_f32 v[30:31], v[22:23], v[24:25] neg_lo:[0,1] neg_hi:[0,1]
	v_pk_add_f32 v[22:23], v[22:23], v[24:25]
	v_mov_b32_e32 v26, v27
	v_mov_b32_e32 v24, v23
	v_pk_add_f32 v[32:33], v[24:25], v[18:19] neg_lo:[0,1] neg_hi:[0,1]
	v_mov_b32_e32 v22, v29
	v_mov_b32_e32 v25, v32
	v_pk_add_f32 v[34:35], v[28:29], v[24:25] neg_lo:[0,1] neg_hi:[0,1]
	v_mov_b32_e32 v28, v19
	v_mov_b32_e32 v29, v32
	;; [unrolled: 1-line block ×3, first 2 shown]
	v_pk_add_f32 v[22:23], v[22:23], v[28:29] neg_lo:[0,1] neg_hi:[0,1]
	v_mov_b32_e32 v27, v18
	v_pk_add_f32 v[18:19], v[26:27], v[22:23] neg_lo:[0,1] neg_hi:[0,1]
	v_mov_b32_e32 v34, v30
	v_pk_add_f32 v[22:23], v[34:35], v[18:19]
	s_nop 0
	v_mov_b32_e32 v26, v23
	v_pk_add_f32 v[26:27], v[22:23], v[26:27]
	s_nop 0
	v_pk_add_f32 v[24:25], v[24:25], v[26:27]
	v_mov_b32_e32 v19, v26
	v_mov_b32_e32 v23, v24
	v_pk_add_f32 v[28:29], v[22:23], v[30:31] neg_lo:[0,1] neg_hi:[0,1]
	s_nop 0
	v_sub_f32_e32 v22, v22, v28
	v_pk_add_f32 v[18:19], v[18:19], v[28:29] neg_lo:[0,1] neg_hi:[0,1]
	v_sub_f32_e32 v22, v30, v22
	v_add_f32_e32 v18, v18, v22
	v_add_f32_e32 v18, v18, v19
	;; [unrolled: 1-line block ×3, first 2 shown]
	v_cndmask_b32_e32 v23, v18, v36, vcc
.LBB53_77:                              ;   in Loop: Header=BB53_13 Depth=1
	s_or_b64 exec, exec, s[52:53]
	v_and_b32_e32 v12, 0xffff0000, v12
	v_readlane_b32 s0, v95, 2
	s_nop 1
	v_add_f32_e32 v24, s0, v12
	v_cmp_ge_f32_e32 vcc, s4, v24
	s_and_b64 s[2:3], s[6:7], vcc
	s_and_saveexec_b64 s[52:53], s[2:3]
	s_cbranch_execz .LBB53_79
; %bb.78:                               ;   in Loop: Header=BB53_13 Depth=1
	v_mul_f32_e32 v12, 0x3fb8aa3b, v24
	v_rndne_f32_e32 v18, v12
	v_sub_f32_e32 v19, v12, v18
	v_fma_f32 v12, v24, s5, -v12
	v_fmac_f32_e32 v12, 0x32a5705f, v24
	v_add_f32_e32 v12, v19, v12
	v_cvt_i32_f32_e32 v18, v18
	v_exp_f32_e32 v12, v12
	v_cmp_ngt_f32_e32 vcc, s8, v24
	v_ldexp_f32 v12, v12, v18
	s_nop 0
	v_cndmask_b32_e32 v12, 0, v12, vcc
	v_cmp_nlt_f32_e32 vcc, s9, v24
	s_nop 1
	v_cndmask_b32_e32 v36, v39, v12, vcc
	v_add_f32_e32 v12, 1.0, v36
	v_add_f32_e32 v18, -1.0, v12
	v_sub_f32_e32 v19, v18, v12
	v_add_f32_e32 v19, 1.0, v19
	v_sub_f32_e32 v18, v36, v18
	v_add_f32_e32 v22, v18, v19
	v_frexp_mant_f32_e32 v24, v12
	v_cvt_f64_f32_e32 v[18:19], v12
	v_frexp_exp_i32_f64_e32 v18, v[18:19]
	v_cmp_gt_f32_e32 vcc, s11, v24
	v_cmp_gt_f32_e64 s[2:3], s54, v36
	s_nop 0
	v_subbrev_co_u32_e32 v30, vcc, 0, v18, vcc
	v_sub_u32_e32 v18, 0, v30
	v_ldexp_f32 v12, v12, v18
	v_ldexp_f32 v18, v22, v18
	v_add_f32_e32 v22, -1.0, v12
	v_add_f32_e32 v19, 1.0, v22
	v_sub_f32_e32 v19, v12, v19
	v_add_f32_e32 v24, v18, v19
	v_add_f32_e32 v19, 1.0, v12
	v_add_f32_e32 v25, -1.0, v19
	v_sub_f32_e32 v12, v12, v25
	v_add_f32_e32 v12, v18, v12
	v_add_f32_e32 v31, v19, v12
	v_rcp_f32_e32 v32, v31
	v_sub_f32_e32 v18, v19, v31
	v_add_f32_e32 v19, v22, v24
	v_add_f32_e32 v12, v12, v18
	v_sub_f32_e32 v18, v22, v19
	v_mul_f32_e32 v33, v19, v32
	v_add_f32_e32 v22, v24, v18
	v_mul_f32_e32 v24, v31, v33
	v_fma_f32 v26, v33, v31, -v24
	v_fmac_f32_e32 v26, v33, v12
	v_add_f32_e32 v18, v24, v26
	v_sub_f32_e32 v25, v19, v18
	v_pk_add_f32 v[28:29], v[18:19], v[24:25] neg_lo:[0,1] neg_hi:[0,1]
	v_mov_b32_e32 v27, v18
	v_pk_add_f32 v[18:19], v[28:29], v[26:27] neg_lo:[0,1] neg_hi:[0,1]
	v_cmp_eq_f32_e32 vcc, s10, v36
	v_add_f32_e32 v19, v22, v19
	v_add_f32_e32 v18, v18, v19
	;; [unrolled: 1-line block ×3, first 2 shown]
	v_mul_f32_e32 v22, v32, v19
	v_mul_f32_e32 v24, v31, v22
	v_fma_f32 v26, v22, v31, -v24
	v_fmac_f32_e32 v26, v22, v12
	v_sub_f32_e32 v12, v25, v19
	v_add_f32_e32 v12, v18, v12
	v_add_f32_e32 v18, v24, v26
	v_sub_f32_e32 v25, v19, v18
	v_pk_add_f32 v[28:29], v[18:19], v[24:25] neg_lo:[0,1] neg_hi:[0,1]
	v_mov_b32_e32 v27, v18
	v_pk_add_f32 v[18:19], v[28:29], v[26:27] neg_lo:[0,1] neg_hi:[0,1]
	scratch_load_dwordx2 v[26:27], off, off offset:164 ; 8-byte Folded Reload
	v_add_f32_e32 v12, v12, v19
	v_add_f32_e32 v12, v18, v12
	;; [unrolled: 1-line block ×4, first 2 shown]
	v_sub_f32_e32 v18, v19, v33
	v_mul_f32_e32 v12, v32, v12
	v_sub_f32_e32 v18, v22, v18
	v_add_f32_e32 v12, v18, v12
	v_add_f32_e32 v22, v19, v12
	v_mul_f32_e32 v24, v22, v22
	v_mov_b32_e32 v18, 0x3ecc95a3
	v_fmamk_f32 v18, v24, 0x3e9b6dac, v18
	s_waitcnt vmcnt(0)
	v_fmaak_f32 v27, v24, v18, 0x3f2aaada
	v_cvt_f32_i32_e32 v18, v30
	v_sub_f32_e32 v19, v22, v19
	v_sub_f32_e32 v12, v12, v19
	v_mul_f32_e32 v19, v22, v24
	v_ldexp_f32 v25, v22, 1
	v_ldexp_f32 v12, v12, 1
	s_or_b64 vcc, s[2:3], vcc
	v_mov_b32_e32 v22, v26
	v_pk_mul_f32 v[26:27], v[18:19], v[26:27]
	scratch_store_dwordx2 off, v[22:23], off offset:164 ; 8-byte Folded Spill
	v_fma_f32 v24, v18, s33, -v26
	v_fmac_f32_e32 v24, 0xb102e308, v18
	v_pk_add_f32 v[18:19], v[26:27], v[24:25]
	v_mov_b32_e32 v28, v26
	v_sub_f32_e32 v22, v19, v25
	v_sub_f32_e32 v22, v27, v22
	v_add_f32_e32 v29, v12, v22
	v_pk_add_f32 v[26:27], v[18:19], v[26:27] neg_lo:[0,1] neg_hi:[0,1]
	v_pk_add_f32 v[30:31], v[18:19], v[28:29]
	v_mov_b32_e32 v25, v18
	v_mov_b32_e32 v27, v31
	v_pk_add_f32 v[32:33], v[24:25], v[26:27] neg_lo:[0,1] neg_hi:[0,1]
	v_pk_add_f32 v[24:25], v[24:25], v[26:27]
	s_nop 0
	v_mov_b32_e32 v12, v25
	v_pk_add_f32 v[26:27], v[12:13], v[18:19] neg_lo:[0,1] neg_hi:[0,1]
	v_mov_b32_e32 v24, v31
	v_mov_b32_e32 v27, v26
	v_pk_add_f32 v[34:35], v[30:31], v[26:27] neg_lo:[0,1] neg_hi:[0,1]
	v_mov_b32_e32 v30, v19
	v_mov_b32_e32 v31, v26
	;; [unrolled: 1-line block ×3, first 2 shown]
	v_pk_add_f32 v[24:25], v[24:25], v[30:31] neg_lo:[0,1] neg_hi:[0,1]
	v_mov_b32_e32 v26, v29
	v_mov_b32_e32 v27, v18
	v_pk_add_f32 v[18:19], v[26:27], v[24:25] neg_lo:[0,1] neg_hi:[0,1]
	v_mov_b32_e32 v34, v32
	v_pk_add_f32 v[24:25], v[34:35], v[18:19]
	s_nop 0
	v_mov_b32_e32 v22, v25
	v_pk_add_f32 v[26:27], v[24:25], v[22:23]
	s_nop 0
	v_pk_add_f32 v[28:29], v[12:13], v[26:27]
	v_mov_b32_e32 v19, v26
	v_mov_b32_e32 v25, v28
	v_pk_add_f32 v[30:31], v[24:25], v[32:33] neg_lo:[0,1] neg_hi:[0,1]
	s_nop 0
	v_sub_f32_e32 v12, v24, v30
	v_pk_add_f32 v[18:19], v[18:19], v[30:31] neg_lo:[0,1] neg_hi:[0,1]
	v_sub_f32_e32 v12, v32, v12
	v_add_f32_e32 v12, v18, v12
	v_add_f32_e32 v12, v12, v19
	;; [unrolled: 1-line block ×3, first 2 shown]
	v_cndmask_b32_e32 v24, v12, v36, vcc
.LBB53_79:                              ;   in Loop: Header=BB53_13 Depth=1
	s_or_b64 exec, exec, s[52:53]
	v_lshlrev_b32_e32 v12, 16, v13
	v_readlane_b32 s0, v95, 2
	s_nop 1
	v_add_f32_e32 v25, s0, v12
	v_cmp_ge_f32_e32 vcc, s4, v25
	s_and_b64 s[2:3], s[6:7], vcc
	s_and_saveexec_b64 s[52:53], s[2:3]
	s_cbranch_execz .LBB53_81
; %bb.80:                               ;   in Loop: Header=BB53_13 Depth=1
	v_mul_f32_e32 v12, 0x3fb8aa3b, v25
	v_rndne_f32_e32 v18, v12
	v_sub_f32_e32 v19, v12, v18
	v_fma_f32 v12, v25, s5, -v12
	v_fmac_f32_e32 v12, 0x32a5705f, v25
	v_add_f32_e32 v12, v19, v12
	v_cvt_i32_f32_e32 v18, v18
	v_exp_f32_e32 v12, v12
	v_cmp_ngt_f32_e32 vcc, s8, v25
	v_ldexp_f32 v12, v12, v18
	s_nop 0
	v_cndmask_b32_e32 v12, 0, v12, vcc
	v_cmp_nlt_f32_e32 vcc, s9, v25
	s_nop 1
	v_cndmask_b32_e32 v38, v39, v12, vcc
	v_add_f32_e32 v12, 1.0, v38
	v_add_f32_e32 v18, -1.0, v12
	v_sub_f32_e32 v19, v18, v12
	v_add_f32_e32 v19, 1.0, v19
	v_sub_f32_e32 v18, v38, v18
	v_add_f32_e32 v22, v18, v19
	v_frexp_mant_f32_e32 v25, v12
	v_cvt_f64_f32_e32 v[18:19], v12
	v_frexp_exp_i32_f64_e32 v18, v[18:19]
	v_cmp_gt_f32_e32 vcc, s11, v25
	v_cmp_gt_f32_e64 s[2:3], s54, v38
	s_nop 0
	v_subbrev_co_u32_e32 v25, vcc, 0, v18, vcc
	v_sub_u32_e32 v18, 0, v25
	v_ldexp_f32 v12, v12, v18
	v_ldexp_f32 v18, v22, v18
	v_add_f32_e32 v22, -1.0, v12
	v_add_f32_e32 v19, 1.0, v22
	v_sub_f32_e32 v19, v12, v19
	v_add_f32_e32 v26, v18, v19
	v_add_f32_e32 v19, 1.0, v12
	v_add_f32_e32 v27, -1.0, v19
	v_sub_f32_e32 v12, v12, v27
	v_add_f32_e32 v12, v18, v12
	v_add_f32_e32 v32, v19, v12
	v_rcp_f32_e32 v33, v32
	v_sub_f32_e32 v18, v19, v32
	v_add_f32_e32 v19, v22, v26
	v_add_f32_e32 v12, v12, v18
	v_sub_f32_e32 v18, v22, v19
	v_mul_f32_e32 v34, v19, v33
	v_add_f32_e32 v22, v26, v18
	v_mul_f32_e32 v26, v32, v34
	v_fma_f32 v28, v34, v32, -v26
	v_fmac_f32_e32 v28, v34, v12
	v_add_f32_e32 v18, v26, v28
	v_sub_f32_e32 v27, v19, v18
	v_pk_add_f32 v[30:31], v[18:19], v[26:27] neg_lo:[0,1] neg_hi:[0,1]
	v_mov_b32_e32 v29, v18
	v_pk_add_f32 v[18:19], v[30:31], v[28:29] neg_lo:[0,1] neg_hi:[0,1]
	v_cmp_eq_f32_e32 vcc, s10, v38
	v_add_f32_e32 v19, v22, v19
	v_add_f32_e32 v18, v18, v19
	v_add_f32_e32 v19, v27, v18
	v_mul_f32_e32 v22, v33, v19
	v_mul_f32_e32 v26, v32, v22
	v_fma_f32 v28, v22, v32, -v26
	v_fmac_f32_e32 v28, v22, v12
	v_sub_f32_e32 v12, v27, v19
	v_add_f32_e32 v12, v18, v12
	v_add_f32_e32 v18, v26, v28
	v_sub_f32_e32 v27, v19, v18
	v_pk_add_f32 v[30:31], v[18:19], v[26:27] neg_lo:[0,1] neg_hi:[0,1]
	v_mov_b32_e32 v29, v18
	v_pk_add_f32 v[18:19], v[30:31], v[28:29] neg_lo:[0,1] neg_hi:[0,1]
	scratch_load_dwordx2 v[28:29], off, off offset:164 ; 8-byte Folded Reload
	v_add_f32_e32 v12, v12, v19
	v_add_f32_e32 v12, v18, v12
	;; [unrolled: 1-line block ×4, first 2 shown]
	v_sub_f32_e32 v18, v19, v34
	v_mul_f32_e32 v12, v33, v12
	v_sub_f32_e32 v18, v22, v18
	v_add_f32_e32 v12, v18, v12
	v_add_f32_e32 v22, v19, v12
	v_mul_f32_e32 v26, v22, v22
	v_mov_b32_e32 v18, 0x3ecc95a3
	v_fmamk_f32 v18, v26, 0x3e9b6dac, v18
	s_waitcnt vmcnt(0)
	v_fmaak_f32 v29, v26, v18, 0x3f2aaada
	v_cvt_f32_i32_e32 v18, v25
	v_sub_f32_e32 v19, v22, v19
	v_sub_f32_e32 v12, v12, v19
	v_mul_f32_e32 v19, v22, v26
	v_ldexp_f32 v27, v22, 1
	v_ldexp_f32 v12, v12, 1
	s_or_b64 vcc, s[2:3], vcc
	v_mov_b32_e32 v22, v28
	v_pk_mul_f32 v[28:29], v[18:19], v[28:29]
	scratch_store_dwordx2 off, v[22:23], off offset:164 ; 8-byte Folded Spill
	v_fma_f32 v26, v18, s33, -v28
	v_fmac_f32_e32 v26, 0xb102e308, v18
	v_pk_add_f32 v[18:19], v[28:29], v[26:27]
	v_mov_b32_e32 v30, v28
	v_sub_f32_e32 v22, v19, v27
	v_sub_f32_e32 v22, v29, v22
	v_add_f32_e32 v31, v12, v22
	v_pk_add_f32 v[28:29], v[18:19], v[28:29] neg_lo:[0,1] neg_hi:[0,1]
	v_pk_add_f32 v[32:33], v[18:19], v[30:31]
	v_mov_b32_e32 v27, v18
	v_mov_b32_e32 v29, v33
	v_pk_add_f32 v[34:35], v[26:27], v[28:29] neg_lo:[0,1] neg_hi:[0,1]
	v_pk_add_f32 v[26:27], v[26:27], v[28:29]
	s_nop 0
	v_mov_b32_e32 v12, v27
	v_pk_add_f32 v[28:29], v[12:13], v[18:19] neg_lo:[0,1] neg_hi:[0,1]
	v_mov_b32_e32 v26, v33
	v_mov_b32_e32 v25, v28
	v_pk_add_f32 v[36:37], v[32:33], v[24:25] neg_lo:[0,1] neg_hi:[0,1]
	v_mov_b32_e32 v32, v19
	v_mov_b32_e32 v33, v28
	;; [unrolled: 1-line block ×3, first 2 shown]
	v_pk_add_f32 v[26:27], v[26:27], v[32:33] neg_lo:[0,1] neg_hi:[0,1]
	v_mov_b32_e32 v28, v31
	v_mov_b32_e32 v29, v18
	v_pk_add_f32 v[18:19], v[28:29], v[26:27] neg_lo:[0,1] neg_hi:[0,1]
	v_mov_b32_e32 v36, v34
	v_pk_add_f32 v[26:27], v[36:37], v[18:19]
	s_nop 0
	v_mov_b32_e32 v22, v27
	v_pk_add_f32 v[28:29], v[26:27], v[22:23]
	s_nop 0
	v_pk_add_f32 v[30:31], v[12:13], v[28:29]
	v_mov_b32_e32 v19, v28
	v_mov_b32_e32 v27, v30
	v_pk_add_f32 v[32:33], v[26:27], v[34:35] neg_lo:[0,1] neg_hi:[0,1]
	s_nop 0
	v_sub_f32_e32 v12, v26, v32
	v_pk_add_f32 v[18:19], v[18:19], v[32:33] neg_lo:[0,1] neg_hi:[0,1]
	v_sub_f32_e32 v12, v34, v12
	v_add_f32_e32 v12, v18, v12
	v_add_f32_e32 v12, v12, v19
	;; [unrolled: 1-line block ×3, first 2 shown]
	v_cndmask_b32_e32 v25, v12, v38, vcc
.LBB53_81:                              ;   in Loop: Header=BB53_13 Depth=1
	s_or_b64 exec, exec, s[52:53]
	v_and_b32_e32 v12, 0xffff0000, v13
	v_readlane_b32 s0, v95, 2
	s_nop 1
	v_add_f32_e32 v18, s0, v12
	v_cmp_ge_f32_e32 vcc, s4, v18
	s_and_b64 s[2:3], s[6:7], vcc
	s_and_saveexec_b64 s[52:53], s[2:3]
	s_cbranch_execz .LBB53_83
; %bb.82:                               ;   in Loop: Header=BB53_13 Depth=1
	v_mul_f32_e32 v12, 0x3fb8aa3b, v18
	v_rndne_f32_e32 v13, v12
	v_sub_f32_e32 v19, v12, v13
	v_fma_f32 v12, v18, s5, -v12
	v_fmac_f32_e32 v12, 0x32a5705f, v18
	v_add_f32_e32 v12, v19, v12
	v_cvt_i32_f32_e32 v13, v13
	v_exp_f32_e32 v12, v12
	v_cmp_ngt_f32_e32 vcc, s8, v18
	v_ldexp_f32 v12, v12, v13
	s_nop 0
	v_cndmask_b32_e32 v12, 0, v12, vcc
	v_cmp_nlt_f32_e32 vcc, s9, v18
	s_nop 1
	v_cndmask_b32_e32 v36, v39, v12, vcc
	v_add_f32_e32 v18, 1.0, v36
	v_add_f32_e32 v12, -1.0, v18
	v_sub_f32_e32 v13, v12, v18
	v_add_f32_e32 v13, 1.0, v13
	v_sub_f32_e32 v12, v36, v12
	v_add_f32_e32 v19, v12, v13
	v_frexp_mant_f32_e32 v22, v18
	v_cvt_f64_f32_e32 v[12:13], v18
	v_frexp_exp_i32_f64_e32 v12, v[12:13]
	v_cmp_gt_f32_e32 vcc, s11, v22
	v_cmp_gt_f32_e64 s[2:3], s54, v36
	s_nop 0
	v_subbrev_co_u32_e32 v22, vcc, 0, v12, vcc
	v_sub_u32_e32 v12, 0, v22
	v_ldexp_f32 v13, v18, v12
	v_add_f32_e32 v18, -1.0, v13
	v_add_f32_e32 v26, 1.0, v13
	v_ldexp_f32 v12, v19, v12
	v_add_f32_e32 v19, 1.0, v18
	v_add_f32_e32 v27, -1.0, v26
	v_sub_f32_e32 v19, v13, v19
	v_sub_f32_e32 v13, v13, v27
	v_add_f32_e32 v19, v12, v19
	v_add_f32_e32 v12, v12, v13
	;; [unrolled: 1-line block ×3, first 2 shown]
	v_rcp_f32_e32 v32, v30
	v_sub_f32_e32 v13, v26, v30
	v_add_f32_e32 v31, v12, v13
	v_add_f32_e32 v13, v18, v19
	v_mul_f32_e32 v34, v13, v32
	v_sub_f32_e32 v12, v18, v13
	v_mul_f32_e32 v18, v30, v34
	v_fma_f32 v26, v34, v30, -v18
	v_fmac_f32_e32 v26, v34, v31
	v_add_f32_e32 v33, v19, v12
	v_add_f32_e32 v12, v18, v26
	v_sub_f32_e32 v19, v13, v12
	v_pk_add_f32 v[28:29], v[12:13], v[18:19] neg_lo:[0,1] neg_hi:[0,1]
	v_mov_b32_e32 v27, v12
	v_pk_add_f32 v[12:13], v[28:29], v[26:27] neg_lo:[0,1] neg_hi:[0,1]
	v_cmp_eq_f32_e32 vcc, s10, v36
	v_add_f32_e32 v13, v33, v13
	v_add_f32_e32 v12, v12, v13
	;; [unrolled: 1-line block ×3, first 2 shown]
	v_mul_f32_e32 v33, v32, v13
	v_mul_f32_e32 v18, v30, v33
	v_fma_f32 v26, v33, v30, -v18
	v_fmac_f32_e32 v26, v33, v31
	v_sub_f32_e32 v19, v19, v13
	v_add_f32_e32 v30, v12, v19
	v_add_f32_e32 v12, v18, v26
	v_sub_f32_e32 v19, v13, v12
	v_pk_add_f32 v[28:29], v[12:13], v[18:19] neg_lo:[0,1] neg_hi:[0,1]
	v_mov_b32_e32 v27, v12
	v_pk_add_f32 v[12:13], v[28:29], v[26:27] neg_lo:[0,1] neg_hi:[0,1]
	scratch_load_dwordx2 v[28:29], off, off offset:164 ; 8-byte Folded Reload
	v_add_f32_e32 v13, v30, v13
	v_add_f32_e32 v12, v12, v13
	;; [unrolled: 1-line block ×4, first 2 shown]
	v_sub_f32_e32 v18, v13, v34
	v_mul_f32_e32 v12, v32, v12
	v_sub_f32_e32 v18, v33, v18
	v_add_f32_e32 v18, v18, v12
	v_add_f32_e32 v26, v13, v18
	v_mul_f32_e32 v27, v26, v26
	v_mov_b32_e32 v12, 0x3ecc95a3
	v_fmamk_f32 v12, v27, 0x3e9b6dac, v12
	s_waitcnt vmcnt(0)
	v_fmaak_f32 v29, v27, v12, 0x3f2aaada
	v_cvt_f32_i32_e32 v12, v22
	v_sub_f32_e32 v13, v26, v13
	v_sub_f32_e32 v13, v18, v13
	v_ldexp_f32 v22, v13, 1
	v_mul_f32_e32 v13, v26, v27
	v_ldexp_f32 v19, v26, 1
	s_or_b64 vcc, s[2:3], vcc
	v_mov_b32_e32 v18, v28
	v_pk_mul_f32 v[26:27], v[12:13], v[28:29]
	scratch_store_dwordx2 off, v[18:19], off offset:164 ; 8-byte Folded Spill
	v_fma_f32 v18, v12, s33, -v26
	v_fmac_f32_e32 v18, 0xb102e308, v12
	v_pk_add_f32 v[12:13], v[26:27], v[18:19]
	v_mov_b32_e32 v28, v26
	v_sub_f32_e32 v19, v13, v19
	v_sub_f32_e32 v19, v27, v19
	v_add_f32_e32 v29, v22, v19
	v_pk_add_f32 v[26:27], v[12:13], v[26:27] neg_lo:[0,1] neg_hi:[0,1]
	v_pk_add_f32 v[30:31], v[12:13], v[28:29]
	v_mov_b32_e32 v19, v12
	v_mov_b32_e32 v27, v31
	v_pk_add_f32 v[32:33], v[18:19], v[26:27] neg_lo:[0,1] neg_hi:[0,1]
	v_pk_add_f32 v[18:19], v[18:19], v[26:27]
	s_nop 0
	v_mov_b32_e32 v22, v19
	v_pk_add_f32 v[26:27], v[22:23], v[12:13] neg_lo:[0,1] neg_hi:[0,1]
	v_mov_b32_e32 v18, v31
	v_mov_b32_e32 v27, v26
	v_pk_add_f32 v[34:35], v[30:31], v[26:27] neg_lo:[0,1] neg_hi:[0,1]
	v_mov_b32_e32 v30, v13
	v_mov_b32_e32 v31, v26
	;; [unrolled: 1-line block ×3, first 2 shown]
	v_pk_add_f32 v[18:19], v[18:19], v[30:31] neg_lo:[0,1] neg_hi:[0,1]
	v_mov_b32_e32 v26, v29
	v_mov_b32_e32 v27, v12
	v_pk_add_f32 v[12:13], v[26:27], v[18:19] neg_lo:[0,1] neg_hi:[0,1]
	v_mov_b32_e32 v34, v32
	v_pk_add_f32 v[18:19], v[34:35], v[12:13]
	s_nop 0
	v_mov_b32_e32 v26, v19
	v_pk_add_f32 v[26:27], v[18:19], v[26:27]
	s_nop 0
	v_pk_add_f32 v[28:29], v[22:23], v[26:27]
	v_mov_b32_e32 v13, v26
	v_mov_b32_e32 v19, v28
	v_pk_add_f32 v[30:31], v[18:19], v[32:33] neg_lo:[0,1] neg_hi:[0,1]
	s_nop 0
	v_sub_f32_e32 v18, v18, v30
	v_pk_add_f32 v[12:13], v[12:13], v[30:31] neg_lo:[0,1] neg_hi:[0,1]
	v_sub_f32_e32 v18, v32, v18
	v_add_f32_e32 v12, v12, v18
	v_add_f32_e32 v12, v12, v13
	;; [unrolled: 1-line block ×3, first 2 shown]
	v_cndmask_b32_e32 v18, v12, v36, vcc
.LBB53_83:                              ;   in Loop: Header=BB53_13 Depth=1
	s_or_b64 exec, exec, s[52:53]
	v_lshlrev_b32_e32 v12, 16, v14
	v_readlane_b32 s0, v95, 2
	s_nop 1
	v_add_f32_e32 v74, s0, v12
	v_cmp_ge_f32_e32 vcc, s4, v74
	s_and_b64 s[2:3], s[6:7], vcc
	s_and_saveexec_b64 s[52:53], s[2:3]
	s_cbranch_execz .LBB53_85
; %bb.84:                               ;   in Loop: Header=BB53_13 Depth=1
	v_mul_f32_e32 v12, 0x3fb8aa3b, v74
	v_rndne_f32_e32 v13, v12
	v_sub_f32_e32 v19, v12, v13
	v_fma_f32 v12, v74, s5, -v12
	v_fmac_f32_e32 v12, 0x32a5705f, v74
	v_add_f32_e32 v12, v19, v12
	v_cvt_i32_f32_e32 v13, v13
	v_exp_f32_e32 v12, v12
	v_cmp_ngt_f32_e32 vcc, s8, v74
	v_ldexp_f32 v12, v12, v13
	s_nop 0
	v_cndmask_b32_e32 v12, 0, v12, vcc
	v_cmp_nlt_f32_e32 vcc, s9, v74
	s_nop 1
	v_cndmask_b32_e32 v38, v39, v12, vcc
	v_add_f32_e32 v19, 1.0, v38
	v_add_f32_e32 v12, -1.0, v19
	v_sub_f32_e32 v13, v12, v19
	v_add_f32_e32 v13, 1.0, v13
	v_sub_f32_e32 v12, v38, v12
	v_add_f32_e32 v22, v12, v13
	v_frexp_mant_f32_e32 v26, v19
	v_cvt_f64_f32_e32 v[12:13], v19
	v_frexp_exp_i32_f64_e32 v12, v[12:13]
	v_cmp_gt_f32_e32 vcc, s11, v26
	v_cmp_gt_f32_e64 s[2:3], s54, v38
	s_nop 0
	v_subbrev_co_u32_e32 v32, vcc, 0, v12, vcc
	v_sub_u32_e32 v12, 0, v32
	v_ldexp_f32 v13, v19, v12
	v_add_f32_e32 v19, -1.0, v13
	v_add_f32_e32 v26, 1.0, v13
	v_ldexp_f32 v12, v22, v12
	v_add_f32_e32 v22, 1.0, v19
	v_add_f32_e32 v27, -1.0, v26
	v_sub_f32_e32 v22, v13, v22
	v_sub_f32_e32 v13, v13, v27
	v_add_f32_e32 v22, v12, v22
	v_add_f32_e32 v12, v12, v13
	;; [unrolled: 1-line block ×3, first 2 shown]
	v_rcp_f32_e32 v35, v33
	v_sub_f32_e32 v13, v26, v33
	v_add_f32_e32 v34, v12, v13
	v_add_f32_e32 v13, v19, v22
	v_sub_f32_e32 v12, v19, v13
	v_add_f32_e32 v19, v22, v12
	v_mul_f32_e32 v22, v13, v35
	v_mul_f32_e32 v26, v33, v22
	v_fma_f32 v28, v22, v33, -v26
	v_fmac_f32_e32 v28, v22, v34
	v_add_f32_e32 v12, v26, v28
	v_sub_f32_e32 v27, v13, v12
	v_pk_add_f32 v[30:31], v[12:13], v[26:27] neg_lo:[0,1] neg_hi:[0,1]
	v_mov_b32_e32 v29, v12
	v_pk_add_f32 v[12:13], v[30:31], v[28:29] neg_lo:[0,1] neg_hi:[0,1]
	v_cmp_eq_f32_e32 vcc, s10, v38
	v_add_f32_e32 v13, v19, v13
	v_add_f32_e32 v12, v12, v13
	;; [unrolled: 1-line block ×3, first 2 shown]
	v_mul_f32_e32 v19, v35, v13
	v_mul_f32_e32 v26, v33, v19
	v_fma_f32 v28, v19, v33, -v26
	v_fmac_f32_e32 v28, v19, v34
	v_sub_f32_e32 v27, v27, v13
	v_add_f32_e32 v33, v12, v27
	v_add_f32_e32 v12, v26, v28
	v_sub_f32_e32 v27, v13, v12
	v_pk_add_f32 v[30:31], v[12:13], v[26:27] neg_lo:[0,1] neg_hi:[0,1]
	v_mov_b32_e32 v29, v12
	v_pk_add_f32 v[12:13], v[30:31], v[28:29] neg_lo:[0,1] neg_hi:[0,1]
	scratch_load_dwordx2 v[28:29], off, off offset:164 ; 8-byte Folded Reload
	v_add_f32_e32 v13, v33, v13
	v_add_f32_e32 v12, v12, v13
	;; [unrolled: 1-line block ×4, first 2 shown]
	v_sub_f32_e32 v22, v13, v22
	v_mul_f32_e32 v12, v35, v12
	v_sub_f32_e32 v19, v19, v22
	v_add_f32_e32 v19, v19, v12
	v_add_f32_e32 v22, v13, v19
	v_mul_f32_e32 v26, v22, v22
	v_mov_b32_e32 v12, 0x3ecc95a3
	v_fmamk_f32 v12, v26, 0x3e9b6dac, v12
	s_waitcnt vmcnt(0)
	v_fmaak_f32 v29, v26, v12, 0x3f2aaada
	v_cvt_f32_i32_e32 v12, v32
	v_sub_f32_e32 v13, v22, v13
	v_sub_f32_e32 v13, v19, v13
	v_ldexp_f32 v19, v13, 1
	v_mul_f32_e32 v13, v22, v26
	v_ldexp_f32 v27, v22, 1
	s_or_b64 vcc, s[2:3], vcc
	v_mov_b32_e32 v22, v28
	v_pk_mul_f32 v[28:29], v[12:13], v[28:29]
	scratch_store_dwordx2 off, v[22:23], off offset:164 ; 8-byte Folded Spill
	v_fma_f32 v26, v12, s33, -v28
	v_fmac_f32_e32 v26, 0xb102e308, v12
	v_pk_add_f32 v[12:13], v[28:29], v[26:27]
	v_mov_b32_e32 v30, v28
	v_sub_f32_e32 v22, v13, v27
	v_sub_f32_e32 v22, v29, v22
	v_add_f32_e32 v31, v19, v22
	v_pk_add_f32 v[28:29], v[12:13], v[28:29] neg_lo:[0,1] neg_hi:[0,1]
	v_pk_add_f32 v[32:33], v[12:13], v[30:31]
	v_mov_b32_e32 v27, v12
	v_mov_b32_e32 v29, v33
	v_pk_add_f32 v[34:35], v[26:27], v[28:29] neg_lo:[0,1] neg_hi:[0,1]
	v_pk_add_f32 v[26:27], v[26:27], v[28:29]
	s_nop 0
	v_mov_b32_e32 v22, v27
	v_pk_add_f32 v[28:29], v[22:23], v[12:13] neg_lo:[0,1] neg_hi:[0,1]
	v_mov_b32_e32 v26, v33
	v_mov_b32_e32 v19, v28
	v_pk_add_f32 v[36:37], v[32:33], v[18:19] neg_lo:[0,1] neg_hi:[0,1]
	v_mov_b32_e32 v32, v13
	v_mov_b32_e32 v33, v28
	v_mov_b32_e32 v35, v27
	v_pk_add_f32 v[26:27], v[26:27], v[32:33] neg_lo:[0,1] neg_hi:[0,1]
	v_mov_b32_e32 v28, v31
	v_mov_b32_e32 v29, v12
	v_pk_add_f32 v[12:13], v[28:29], v[26:27] neg_lo:[0,1] neg_hi:[0,1]
	v_mov_b32_e32 v36, v34
	v_pk_add_f32 v[26:27], v[36:37], v[12:13]
	s_nop 0
	v_mov_b32_e32 v28, v27
	v_pk_add_f32 v[28:29], v[26:27], v[28:29]
	s_nop 0
	v_pk_add_f32 v[30:31], v[22:23], v[28:29]
	v_mov_b32_e32 v13, v28
	v_mov_b32_e32 v27, v30
	v_pk_add_f32 v[32:33], v[26:27], v[34:35] neg_lo:[0,1] neg_hi:[0,1]
	s_nop 0
	v_sub_f32_e32 v19, v26, v32
	v_pk_add_f32 v[12:13], v[12:13], v[32:33] neg_lo:[0,1] neg_hi:[0,1]
	v_sub_f32_e32 v19, v34, v19
	v_add_f32_e32 v12, v12, v19
	v_add_f32_e32 v12, v12, v13
	;; [unrolled: 1-line block ×3, first 2 shown]
	v_cndmask_b32_e32 v74, v12, v38, vcc
.LBB53_85:                              ;   in Loop: Header=BB53_13 Depth=1
	s_or_b64 exec, exec, s[52:53]
	v_and_b32_e32 v12, 0xffff0000, v14
	v_readlane_b32 s0, v95, 2
	s_nop 1
	v_add_f32_e32 v92, s0, v12
	v_cmp_ge_f32_e32 vcc, s4, v92
	s_and_b64 s[2:3], s[6:7], vcc
	s_and_saveexec_b64 s[52:53], s[2:3]
	s_cbranch_execz .LBB53_87
; %bb.86:                               ;   in Loop: Header=BB53_13 Depth=1
	v_mul_f32_e32 v12, 0x3fb8aa3b, v92
	v_rndne_f32_e32 v13, v12
	v_sub_f32_e32 v14, v12, v13
	v_fma_f32 v12, v92, s5, -v12
	v_fmac_f32_e32 v12, 0x32a5705f, v92
	v_add_f32_e32 v12, v14, v12
	v_cvt_i32_f32_e32 v13, v13
	v_exp_f32_e32 v12, v12
	v_cmp_ngt_f32_e32 vcc, s8, v92
	v_ldexp_f32 v12, v12, v13
	s_nop 0
	v_cndmask_b32_e32 v12, 0, v12, vcc
	v_cmp_nlt_f32_e32 vcc, s9, v92
	s_nop 1
	v_cndmask_b32_e32 v38, v39, v12, vcc
	v_add_f32_e32 v14, 1.0, v38
	v_add_f32_e32 v12, -1.0, v14
	v_sub_f32_e32 v13, v12, v14
	v_add_f32_e32 v13, 1.0, v13
	v_sub_f32_e32 v12, v38, v12
	v_add_f32_e32 v19, v12, v13
	v_frexp_mant_f32_e32 v22, v14
	v_cvt_f64_f32_e32 v[12:13], v14
	v_frexp_exp_i32_f64_e32 v12, v[12:13]
	v_cmp_gt_f32_e32 vcc, s11, v22
	v_cmp_gt_f32_e64 s[2:3], s54, v38
	s_nop 0
	v_subbrev_co_u32_e32 v22, vcc, 0, v12, vcc
	v_sub_u32_e32 v12, 0, v22
	v_ldexp_f32 v13, v14, v12
	v_add_f32_e32 v14, -1.0, v13
	v_add_f32_e32 v26, 1.0, v13
	v_ldexp_f32 v12, v19, v12
	v_add_f32_e32 v19, 1.0, v14
	v_add_f32_e32 v27, -1.0, v26
	v_sub_f32_e32 v19, v13, v19
	v_sub_f32_e32 v13, v13, v27
	v_add_f32_e32 v19, v12, v19
	v_add_f32_e32 v12, v12, v13
	;; [unrolled: 1-line block ×3, first 2 shown]
	v_rcp_f32_e32 v34, v32
	v_sub_f32_e32 v13, v26, v32
	v_add_f32_e32 v33, v12, v13
	v_add_f32_e32 v13, v14, v19
	v_sub_f32_e32 v12, v14, v13
	v_add_f32_e32 v14, v19, v12
	v_mul_f32_e32 v19, v13, v34
	v_mul_f32_e32 v26, v32, v19
	v_fma_f32 v28, v19, v32, -v26
	v_fmac_f32_e32 v28, v19, v33
	v_add_f32_e32 v12, v26, v28
	v_sub_f32_e32 v27, v13, v12
	v_pk_add_f32 v[30:31], v[12:13], v[26:27] neg_lo:[0,1] neg_hi:[0,1]
	v_mov_b32_e32 v29, v12
	v_pk_add_f32 v[12:13], v[30:31], v[28:29] neg_lo:[0,1] neg_hi:[0,1]
	v_cmp_eq_f32_e32 vcc, s10, v38
	v_add_f32_e32 v13, v14, v13
	v_add_f32_e32 v12, v12, v13
	v_add_f32_e32 v13, v27, v12
	v_mul_f32_e32 v14, v34, v13
	v_mul_f32_e32 v26, v32, v14
	v_fma_f32 v28, v14, v32, -v26
	v_fmac_f32_e32 v28, v14, v33
	v_sub_f32_e32 v27, v27, v13
	v_add_f32_e32 v32, v12, v27
	v_add_f32_e32 v12, v26, v28
	v_sub_f32_e32 v27, v13, v12
	v_pk_add_f32 v[30:31], v[12:13], v[26:27] neg_lo:[0,1] neg_hi:[0,1]
	v_mov_b32_e32 v29, v12
	v_pk_add_f32 v[12:13], v[30:31], v[28:29] neg_lo:[0,1] neg_hi:[0,1]
	scratch_load_dwordx2 v[28:29], off, off offset:164 ; 8-byte Folded Reload
	v_add_f32_e32 v13, v32, v13
	v_add_f32_e32 v12, v12, v13
	;; [unrolled: 1-line block ×4, first 2 shown]
	v_sub_f32_e32 v19, v13, v19
	v_mul_f32_e32 v12, v34, v12
	v_sub_f32_e32 v14, v14, v19
	v_add_f32_e32 v14, v14, v12
	v_add_f32_e32 v19, v13, v14
	v_mul_f32_e32 v26, v19, v19
	v_mov_b32_e32 v12, 0x3ecc95a3
	v_fmamk_f32 v12, v26, 0x3e9b6dac, v12
	s_waitcnt vmcnt(0)
	v_fmaak_f32 v29, v26, v12, 0x3f2aaada
	v_cvt_f32_i32_e32 v12, v22
	v_sub_f32_e32 v13, v19, v13
	v_sub_f32_e32 v13, v14, v13
	v_ldexp_f32 v14, v13, 1
	v_mul_f32_e32 v13, v19, v26
	v_ldexp_f32 v27, v19, 1
	s_or_b64 vcc, s[2:3], vcc
	v_mov_b32_e32 v22, v28
	v_pk_mul_f32 v[28:29], v[12:13], v[28:29]
	scratch_store_dwordx2 off, v[22:23], off offset:164 ; 8-byte Folded Spill
	v_fma_f32 v26, v12, s33, -v28
	v_fmac_f32_e32 v26, 0xb102e308, v12
	v_pk_add_f32 v[12:13], v[28:29], v[26:27]
	v_mov_b32_e32 v30, v28
	v_sub_f32_e32 v19, v13, v27
	v_sub_f32_e32 v19, v29, v19
	v_add_f32_e32 v31, v14, v19
	v_pk_add_f32 v[28:29], v[12:13], v[28:29] neg_lo:[0,1] neg_hi:[0,1]
	v_pk_add_f32 v[32:33], v[12:13], v[30:31]
	v_mov_b32_e32 v27, v12
	v_mov_b32_e32 v29, v33
	v_pk_add_f32 v[34:35], v[26:27], v[28:29] neg_lo:[0,1] neg_hi:[0,1]
	v_pk_add_f32 v[26:27], v[26:27], v[28:29]
	s_nop 0
	v_mov_b32_e32 v14, v27
	v_pk_add_f32 v[28:29], v[14:15], v[12:13] neg_lo:[0,1] neg_hi:[0,1]
	v_mov_b32_e32 v26, v33
	v_mov_b32_e32 v19, v28
	v_pk_add_f32 v[36:37], v[32:33], v[18:19] neg_lo:[0,1] neg_hi:[0,1]
	v_mov_b32_e32 v32, v13
	v_mov_b32_e32 v33, v28
	;; [unrolled: 1-line block ×3, first 2 shown]
	v_pk_add_f32 v[26:27], v[26:27], v[32:33] neg_lo:[0,1] neg_hi:[0,1]
	v_mov_b32_e32 v28, v31
	v_mov_b32_e32 v29, v12
	v_pk_add_f32 v[12:13], v[28:29], v[26:27] neg_lo:[0,1] neg_hi:[0,1]
	v_mov_b32_e32 v36, v34
	v_pk_add_f32 v[26:27], v[36:37], v[12:13]
	s_nop 0
	v_mov_b32_e32 v22, v27
	v_pk_add_f32 v[28:29], v[26:27], v[22:23]
	s_nop 0
	v_pk_add_f32 v[30:31], v[14:15], v[28:29]
	v_mov_b32_e32 v13, v28
	v_mov_b32_e32 v27, v30
	v_pk_add_f32 v[32:33], v[26:27], v[34:35] neg_lo:[0,1] neg_hi:[0,1]
	s_nop 0
	v_sub_f32_e32 v14, v26, v32
	v_pk_add_f32 v[12:13], v[12:13], v[32:33] neg_lo:[0,1] neg_hi:[0,1]
	v_sub_f32_e32 v14, v34, v14
	v_add_f32_e32 v12, v12, v14
	v_add_f32_e32 v12, v12, v13
	;; [unrolled: 1-line block ×3, first 2 shown]
	v_cndmask_b32_e32 v92, v12, v38, vcc
.LBB53_87:                              ;   in Loop: Header=BB53_13 Depth=1
	s_or_b64 exec, exec, s[52:53]
	v_lshlrev_b32_e32 v12, 16, v15
	v_readlane_b32 s0, v95, 2
	s_nop 1
	v_add_f32_e32 v93, s0, v12
	v_cmp_ge_f32_e32 vcc, s4, v93
	s_and_b64 s[2:3], s[6:7], vcc
	s_and_saveexec_b64 s[52:53], s[2:3]
	s_cbranch_execz .LBB53_89
; %bb.88:                               ;   in Loop: Header=BB53_13 Depth=1
	v_mul_f32_e32 v12, 0x3fb8aa3b, v93
	v_rndne_f32_e32 v13, v12
	v_sub_f32_e32 v14, v12, v13
	v_fma_f32 v12, v93, s5, -v12
	v_fmac_f32_e32 v12, 0x32a5705f, v93
	v_add_f32_e32 v12, v14, v12
	v_cvt_i32_f32_e32 v13, v13
	v_exp_f32_e32 v12, v12
	v_cmp_ngt_f32_e32 vcc, s8, v93
	v_ldexp_f32 v12, v12, v13
	s_nop 0
	v_cndmask_b32_e32 v12, 0, v12, vcc
	v_cmp_nlt_f32_e32 vcc, s9, v93
	s_nop 1
	v_cndmask_b32_e32 v38, v39, v12, vcc
	v_add_f32_e32 v14, 1.0, v38
	v_add_f32_e32 v12, -1.0, v14
	v_sub_f32_e32 v13, v12, v14
	v_add_f32_e32 v13, 1.0, v13
	v_sub_f32_e32 v12, v38, v12
	v_add_f32_e32 v19, v12, v13
	v_frexp_mant_f32_e32 v22, v14
	v_cvt_f64_f32_e32 v[12:13], v14
	v_frexp_exp_i32_f64_e32 v12, v[12:13]
	v_cmp_gt_f32_e32 vcc, s11, v22
	v_cmp_gt_f32_e64 s[2:3], s54, v38
	s_nop 0
	v_subbrev_co_u32_e32 v22, vcc, 0, v12, vcc
	v_sub_u32_e32 v12, 0, v22
	v_ldexp_f32 v13, v14, v12
	v_add_f32_e32 v14, -1.0, v13
	v_add_f32_e32 v26, 1.0, v13
	v_ldexp_f32 v12, v19, v12
	v_add_f32_e32 v19, 1.0, v14
	v_add_f32_e32 v27, -1.0, v26
	v_sub_f32_e32 v19, v13, v19
	v_sub_f32_e32 v13, v13, v27
	v_add_f32_e32 v19, v12, v19
	v_add_f32_e32 v12, v12, v13
	;; [unrolled: 1-line block ×3, first 2 shown]
	v_rcp_f32_e32 v34, v32
	v_sub_f32_e32 v13, v26, v32
	v_add_f32_e32 v33, v12, v13
	v_add_f32_e32 v13, v14, v19
	v_sub_f32_e32 v12, v14, v13
	v_add_f32_e32 v14, v19, v12
	v_mul_f32_e32 v19, v13, v34
	v_mul_f32_e32 v26, v32, v19
	v_fma_f32 v28, v19, v32, -v26
	v_fmac_f32_e32 v28, v19, v33
	v_add_f32_e32 v12, v26, v28
	v_sub_f32_e32 v27, v13, v12
	v_pk_add_f32 v[30:31], v[12:13], v[26:27] neg_lo:[0,1] neg_hi:[0,1]
	v_mov_b32_e32 v29, v12
	v_pk_add_f32 v[12:13], v[30:31], v[28:29] neg_lo:[0,1] neg_hi:[0,1]
	v_cmp_eq_f32_e32 vcc, s10, v38
	v_add_f32_e32 v13, v14, v13
	v_add_f32_e32 v12, v12, v13
	;; [unrolled: 1-line block ×3, first 2 shown]
	v_mul_f32_e32 v14, v34, v13
	v_mul_f32_e32 v26, v32, v14
	v_fma_f32 v28, v14, v32, -v26
	v_fmac_f32_e32 v28, v14, v33
	v_sub_f32_e32 v27, v27, v13
	v_add_f32_e32 v32, v12, v27
	v_add_f32_e32 v12, v26, v28
	v_sub_f32_e32 v27, v13, v12
	v_pk_add_f32 v[30:31], v[12:13], v[26:27] neg_lo:[0,1] neg_hi:[0,1]
	v_mov_b32_e32 v29, v12
	v_pk_add_f32 v[12:13], v[30:31], v[28:29] neg_lo:[0,1] neg_hi:[0,1]
	scratch_load_dwordx2 v[28:29], off, off offset:164 ; 8-byte Folded Reload
	v_add_f32_e32 v13, v32, v13
	v_add_f32_e32 v12, v12, v13
	;; [unrolled: 1-line block ×4, first 2 shown]
	v_sub_f32_e32 v19, v13, v19
	v_mul_f32_e32 v12, v34, v12
	v_sub_f32_e32 v14, v14, v19
	v_add_f32_e32 v14, v14, v12
	v_add_f32_e32 v19, v13, v14
	v_mul_f32_e32 v26, v19, v19
	v_mov_b32_e32 v12, 0x3ecc95a3
	v_fmamk_f32 v12, v26, 0x3e9b6dac, v12
	s_waitcnt vmcnt(0)
	v_fmaak_f32 v29, v26, v12, 0x3f2aaada
	v_cvt_f32_i32_e32 v12, v22
	v_sub_f32_e32 v13, v19, v13
	v_sub_f32_e32 v13, v14, v13
	v_ldexp_f32 v14, v13, 1
	v_mul_f32_e32 v13, v19, v26
	v_ldexp_f32 v27, v19, 1
	s_or_b64 vcc, s[2:3], vcc
	v_mov_b32_e32 v22, v28
	v_pk_mul_f32 v[28:29], v[12:13], v[28:29]
	scratch_store_dwordx2 off, v[22:23], off offset:164 ; 8-byte Folded Spill
	v_fma_f32 v26, v12, s33, -v28
	v_fmac_f32_e32 v26, 0xb102e308, v12
	v_pk_add_f32 v[12:13], v[28:29], v[26:27]
	v_mov_b32_e32 v30, v28
	v_sub_f32_e32 v19, v13, v27
	v_sub_f32_e32 v19, v29, v19
	v_add_f32_e32 v31, v14, v19
	v_pk_add_f32 v[28:29], v[12:13], v[28:29] neg_lo:[0,1] neg_hi:[0,1]
	v_pk_add_f32 v[32:33], v[12:13], v[30:31]
	v_mov_b32_e32 v27, v12
	v_mov_b32_e32 v29, v33
	v_pk_add_f32 v[34:35], v[26:27], v[28:29] neg_lo:[0,1] neg_hi:[0,1]
	v_pk_add_f32 v[26:27], v[26:27], v[28:29]
	s_nop 0
	v_mov_b32_e32 v14, v27
	v_pk_add_f32 v[28:29], v[14:15], v[12:13] neg_lo:[0,1] neg_hi:[0,1]
	v_mov_b32_e32 v26, v33
	v_mov_b32_e32 v19, v28
	v_pk_add_f32 v[36:37], v[32:33], v[18:19] neg_lo:[0,1] neg_hi:[0,1]
	v_mov_b32_e32 v32, v13
	v_mov_b32_e32 v33, v28
	;; [unrolled: 1-line block ×3, first 2 shown]
	v_pk_add_f32 v[26:27], v[26:27], v[32:33] neg_lo:[0,1] neg_hi:[0,1]
	v_mov_b32_e32 v28, v31
	v_mov_b32_e32 v29, v12
	v_pk_add_f32 v[12:13], v[28:29], v[26:27] neg_lo:[0,1] neg_hi:[0,1]
	v_mov_b32_e32 v36, v34
	v_pk_add_f32 v[26:27], v[36:37], v[12:13]
	s_nop 0
	v_mov_b32_e32 v22, v27
	v_pk_add_f32 v[28:29], v[26:27], v[22:23]
	s_nop 0
	v_pk_add_f32 v[30:31], v[14:15], v[28:29]
	v_mov_b32_e32 v13, v28
	v_mov_b32_e32 v27, v30
	v_pk_add_f32 v[32:33], v[26:27], v[34:35] neg_lo:[0,1] neg_hi:[0,1]
	s_nop 0
	v_sub_f32_e32 v14, v26, v32
	v_pk_add_f32 v[12:13], v[12:13], v[32:33] neg_lo:[0,1] neg_hi:[0,1]
	v_sub_f32_e32 v14, v34, v14
	v_add_f32_e32 v12, v12, v14
	v_add_f32_e32 v12, v12, v13
	v_add_f32_e32 v12, v30, v12
	v_cndmask_b32_e32 v93, v12, v38, vcc
.LBB53_89:                              ;   in Loop: Header=BB53_13 Depth=1
	s_or_b64 exec, exec, s[52:53]
	v_and_b32_e32 v12, 0xffff0000, v15
	v_readlane_b32 s0, v95, 2
	s_nop 1
	v_add_f32_e32 v94, s0, v12
	v_cmp_ge_f32_e32 vcc, s4, v94
	s_and_b64 s[2:3], s[6:7], vcc
	s_and_saveexec_b64 s[52:53], s[2:3]
	s_cbranch_execz .LBB53_91
; %bb.90:                               ;   in Loop: Header=BB53_13 Depth=1
	v_mul_f32_e32 v12, 0x3fb8aa3b, v94
	v_rndne_f32_e32 v13, v12
	v_sub_f32_e32 v14, v12, v13
	v_fma_f32 v12, v94, s5, -v12
	v_fmac_f32_e32 v12, 0x32a5705f, v94
	v_add_f32_e32 v12, v14, v12
	v_cvt_i32_f32_e32 v13, v13
	v_exp_f32_e32 v12, v12
	v_cmp_ngt_f32_e32 vcc, s8, v94
	v_ldexp_f32 v12, v12, v13
	s_nop 0
	v_cndmask_b32_e32 v12, 0, v12, vcc
	v_cmp_nlt_f32_e32 vcc, s9, v94
	s_nop 1
	v_cndmask_b32_e32 v36, v39, v12, vcc
	v_add_f32_e32 v14, 1.0, v36
	v_add_f32_e32 v12, -1.0, v14
	v_sub_f32_e32 v13, v12, v14
	v_add_f32_e32 v13, 1.0, v13
	v_sub_f32_e32 v12, v36, v12
	v_add_f32_e32 v15, v12, v13
	v_frexp_mant_f32_e32 v19, v14
	v_cvt_f64_f32_e32 v[12:13], v14
	v_frexp_exp_i32_f64_e32 v12, v[12:13]
	v_cmp_gt_f32_e32 vcc, s11, v19
	v_cmp_gt_f32_e64 s[2:3], s54, v36
	s_nop 0
	v_subbrev_co_u32_e32 v19, vcc, 0, v12, vcc
	v_sub_u32_e32 v12, 0, v19
	v_ldexp_f32 v13, v14, v12
	v_add_f32_e32 v14, -1.0, v13
	v_add_f32_e32 v22, 1.0, v13
	v_ldexp_f32 v12, v15, v12
	v_add_f32_e32 v15, 1.0, v14
	v_add_f32_e32 v26, -1.0, v22
	v_sub_f32_e32 v15, v13, v15
	v_sub_f32_e32 v13, v13, v26
	v_add_f32_e32 v15, v12, v15
	v_add_f32_e32 v12, v12, v13
	;; [unrolled: 1-line block ×3, first 2 shown]
	v_rcp_f32_e32 v31, v30
	v_sub_f32_e32 v13, v22, v30
	v_add_f32_e32 v22, v12, v13
	v_add_f32_e32 v13, v14, v15
	v_mul_f32_e32 v33, v13, v31
	v_sub_f32_e32 v12, v14, v13
	v_mul_f32_e32 v14, v30, v33
	v_fma_f32 v26, v33, v30, -v14
	v_fmac_f32_e32 v26, v33, v22
	v_add_f32_e32 v32, v15, v12
	v_add_f32_e32 v12, v14, v26
	v_sub_f32_e32 v15, v13, v12
	v_pk_add_f32 v[28:29], v[12:13], v[14:15] neg_lo:[0,1] neg_hi:[0,1]
	v_mov_b32_e32 v27, v12
	v_pk_add_f32 v[12:13], v[28:29], v[26:27] neg_lo:[0,1] neg_hi:[0,1]
	v_cmp_eq_f32_e32 vcc, s10, v36
	v_add_f32_e32 v13, v32, v13
	v_add_f32_e32 v12, v12, v13
	v_add_f32_e32 v13, v15, v12
	v_mul_f32_e32 v32, v31, v13
	v_mul_f32_e32 v14, v30, v32
	v_fma_f32 v26, v32, v30, -v14
	v_fmac_f32_e32 v26, v32, v22
	v_sub_f32_e32 v15, v15, v13
	v_add_f32_e32 v22, v12, v15
	v_add_f32_e32 v12, v14, v26
	v_sub_f32_e32 v15, v13, v12
	v_pk_add_f32 v[28:29], v[12:13], v[14:15] neg_lo:[0,1] neg_hi:[0,1]
	v_mov_b32_e32 v27, v12
	v_pk_add_f32 v[12:13], v[28:29], v[26:27] neg_lo:[0,1] neg_hi:[0,1]
	scratch_load_dwordx2 v[28:29], off, off offset:164 ; 8-byte Folded Reload
	v_add_f32_e32 v13, v22, v13
	v_add_f32_e32 v12, v12, v13
	v_add_f32_e32 v13, v33, v32
	v_add_f32_e32 v12, v15, v12
	v_sub_f32_e32 v14, v13, v33
	v_mul_f32_e32 v12, v31, v12
	v_sub_f32_e32 v14, v32, v14
	v_add_f32_e32 v14, v14, v12
	v_add_f32_e32 v22, v13, v14
	v_mul_f32_e32 v26, v22, v22
	v_mov_b32_e32 v12, 0x3ecc95a3
	v_fmamk_f32 v12, v26, 0x3e9b6dac, v12
	s_waitcnt vmcnt(0)
	v_fmaak_f32 v29, v26, v12, 0x3f2aaada
	v_cvt_f32_i32_e32 v12, v19
	v_sub_f32_e32 v13, v22, v13
	v_sub_f32_e32 v13, v14, v13
	v_ldexp_f32 v19, v13, 1
	v_mul_f32_e32 v13, v22, v26
	v_ldexp_f32 v15, v22, 1
	s_or_b64 vcc, s[2:3], vcc
	v_mov_b32_e32 v14, v28
	v_pk_mul_f32 v[26:27], v[12:13], v[28:29]
	scratch_store_dwordx2 off, v[14:15], off offset:164 ; 8-byte Folded Spill
	v_fma_f32 v14, v12, s33, -v26
	v_fmac_f32_e32 v14, 0xb102e308, v12
	v_pk_add_f32 v[12:13], v[26:27], v[14:15]
	v_mov_b32_e32 v28, v26
	v_sub_f32_e32 v15, v13, v15
	v_sub_f32_e32 v15, v27, v15
	v_add_f32_e32 v29, v19, v15
	v_pk_add_f32 v[26:27], v[12:13], v[26:27] neg_lo:[0,1] neg_hi:[0,1]
	v_pk_add_f32 v[30:31], v[12:13], v[28:29]
	v_mov_b32_e32 v15, v12
	v_mov_b32_e32 v27, v31
	v_pk_add_f32 v[32:33], v[14:15], v[26:27] neg_lo:[0,1] neg_hi:[0,1]
	v_pk_add_f32 v[14:15], v[14:15], v[26:27]
	s_nop 0
	v_mov_b32_e32 v22, v15
	v_pk_add_f32 v[26:27], v[22:23], v[12:13] neg_lo:[0,1] neg_hi:[0,1]
	v_mov_b32_e32 v14, v31
	v_mov_b32_e32 v19, v26
	v_pk_add_f32 v[34:35], v[30:31], v[18:19] neg_lo:[0,1] neg_hi:[0,1]
	v_mov_b32_e32 v30, v13
	v_mov_b32_e32 v31, v26
	;; [unrolled: 1-line block ×3, first 2 shown]
	v_pk_add_f32 v[14:15], v[14:15], v[30:31] neg_lo:[0,1] neg_hi:[0,1]
	v_mov_b32_e32 v26, v29
	v_mov_b32_e32 v27, v12
	v_pk_add_f32 v[12:13], v[26:27], v[14:15] neg_lo:[0,1] neg_hi:[0,1]
	v_mov_b32_e32 v34, v32
	v_pk_add_f32 v[14:15], v[34:35], v[12:13]
	s_nop 0
	v_mov_b32_e32 v26, v15
	v_pk_add_f32 v[26:27], v[14:15], v[26:27]
	s_nop 0
	v_pk_add_f32 v[28:29], v[22:23], v[26:27]
	v_mov_b32_e32 v13, v26
	v_mov_b32_e32 v15, v28
	v_pk_add_f32 v[30:31], v[14:15], v[32:33] neg_lo:[0,1] neg_hi:[0,1]
	s_nop 0
	v_sub_f32_e32 v14, v14, v30
	v_pk_add_f32 v[12:13], v[12:13], v[30:31] neg_lo:[0,1] neg_hi:[0,1]
	v_sub_f32_e32 v14, v32, v14
	v_add_f32_e32 v12, v12, v14
	v_add_f32_e32 v12, v12, v13
	;; [unrolled: 1-line block ×3, first 2 shown]
	v_cndmask_b32_e32 v94, v12, v36, vcc
.LBB53_91:                              ;   in Loop: Header=BB53_13 Depth=1
	s_or_b64 exec, exec, s[52:53]
	s_waitcnt lgkmcnt(0)
	v_lshlrev_b32_e32 v12, 16, v8
	v_readlane_b32 s0, v95, 2
	s_nop 1
	v_add_f32_e32 v60, s0, v12
	v_cmp_ge_f32_e32 vcc, s4, v60
	s_and_b64 s[2:3], s[6:7], vcc
	s_and_saveexec_b64 s[52:53], s[2:3]
	s_cbranch_execz .LBB53_93
; %bb.92:                               ;   in Loop: Header=BB53_13 Depth=1
	v_mul_f32_e32 v12, 0x3fb8aa3b, v60
	v_rndne_f32_e32 v13, v12
	v_sub_f32_e32 v14, v12, v13
	v_fma_f32 v12, v60, s5, -v12
	v_fmac_f32_e32 v12, 0x32a5705f, v60
	v_add_f32_e32 v12, v14, v12
	v_cvt_i32_f32_e32 v13, v13
	v_exp_f32_e32 v12, v12
	v_cmp_ngt_f32_e32 vcc, s8, v60
	v_ldexp_f32 v12, v12, v13
	s_nop 0
	v_cndmask_b32_e32 v12, 0, v12, vcc
	v_cmp_nlt_f32_e32 vcc, s9, v60
	s_nop 1
	v_cndmask_b32_e32 v36, v39, v12, vcc
	v_add_f32_e32 v14, 1.0, v36
	v_add_f32_e32 v12, -1.0, v14
	v_sub_f32_e32 v13, v12, v14
	v_add_f32_e32 v13, 1.0, v13
	v_sub_f32_e32 v12, v36, v12
	v_add_f32_e32 v15, v12, v13
	v_frexp_mant_f32_e32 v19, v14
	v_cvt_f64_f32_e32 v[12:13], v14
	v_frexp_exp_i32_f64_e32 v12, v[12:13]
	v_cmp_gt_f32_e32 vcc, s11, v19
	v_cmp_gt_f32_e64 s[2:3], s54, v36
	s_nop 0
	v_subbrev_co_u32_e32 v19, vcc, 0, v12, vcc
	v_sub_u32_e32 v12, 0, v19
	v_ldexp_f32 v13, v14, v12
	v_add_f32_e32 v14, -1.0, v13
	v_add_f32_e32 v22, 1.0, v13
	v_ldexp_f32 v12, v15, v12
	v_add_f32_e32 v15, 1.0, v14
	v_add_f32_e32 v26, -1.0, v22
	v_sub_f32_e32 v15, v13, v15
	v_sub_f32_e32 v13, v13, v26
	v_add_f32_e32 v15, v12, v15
	v_add_f32_e32 v12, v12, v13
	;; [unrolled: 1-line block ×3, first 2 shown]
	v_rcp_f32_e32 v31, v30
	v_sub_f32_e32 v13, v22, v30
	v_add_f32_e32 v22, v12, v13
	v_add_f32_e32 v13, v14, v15
	v_mul_f32_e32 v33, v13, v31
	v_sub_f32_e32 v12, v14, v13
	v_mul_f32_e32 v14, v30, v33
	v_fma_f32 v26, v33, v30, -v14
	v_fmac_f32_e32 v26, v33, v22
	v_add_f32_e32 v32, v15, v12
	v_add_f32_e32 v12, v14, v26
	v_sub_f32_e32 v15, v13, v12
	v_pk_add_f32 v[28:29], v[12:13], v[14:15] neg_lo:[0,1] neg_hi:[0,1]
	v_mov_b32_e32 v27, v12
	v_pk_add_f32 v[12:13], v[28:29], v[26:27] neg_lo:[0,1] neg_hi:[0,1]
	v_cmp_eq_f32_e32 vcc, s10, v36
	v_add_f32_e32 v13, v32, v13
	v_add_f32_e32 v12, v12, v13
	v_add_f32_e32 v13, v15, v12
	v_mul_f32_e32 v32, v31, v13
	v_mul_f32_e32 v14, v30, v32
	v_fma_f32 v26, v32, v30, -v14
	v_fmac_f32_e32 v26, v32, v22
	v_sub_f32_e32 v15, v15, v13
	v_add_f32_e32 v22, v12, v15
	v_add_f32_e32 v12, v14, v26
	v_sub_f32_e32 v15, v13, v12
	v_pk_add_f32 v[28:29], v[12:13], v[14:15] neg_lo:[0,1] neg_hi:[0,1]
	v_mov_b32_e32 v27, v12
	v_pk_add_f32 v[12:13], v[28:29], v[26:27] neg_lo:[0,1] neg_hi:[0,1]
	scratch_load_dwordx2 v[28:29], off, off offset:164 ; 8-byte Folded Reload
	v_add_f32_e32 v13, v22, v13
	v_add_f32_e32 v12, v12, v13
	;; [unrolled: 1-line block ×4, first 2 shown]
	v_sub_f32_e32 v14, v13, v33
	v_mul_f32_e32 v12, v31, v12
	v_sub_f32_e32 v14, v32, v14
	v_add_f32_e32 v14, v14, v12
	v_add_f32_e32 v22, v13, v14
	v_mul_f32_e32 v26, v22, v22
	v_mov_b32_e32 v12, 0x3ecc95a3
	v_fmamk_f32 v12, v26, 0x3e9b6dac, v12
	s_waitcnt vmcnt(0)
	v_fmaak_f32 v29, v26, v12, 0x3f2aaada
	v_cvt_f32_i32_e32 v12, v19
	v_sub_f32_e32 v13, v22, v13
	v_sub_f32_e32 v13, v14, v13
	v_ldexp_f32 v19, v13, 1
	v_mul_f32_e32 v13, v22, v26
	v_ldexp_f32 v15, v22, 1
	s_or_b64 vcc, s[2:3], vcc
	v_mov_b32_e32 v14, v28
	v_pk_mul_f32 v[26:27], v[12:13], v[28:29]
	scratch_store_dwordx2 off, v[14:15], off offset:164 ; 8-byte Folded Spill
	v_fma_f32 v14, v12, s33, -v26
	v_fmac_f32_e32 v14, 0xb102e308, v12
	v_pk_add_f32 v[12:13], v[26:27], v[14:15]
	v_mov_b32_e32 v28, v26
	v_sub_f32_e32 v15, v13, v15
	v_sub_f32_e32 v15, v27, v15
	v_add_f32_e32 v29, v19, v15
	v_pk_add_f32 v[26:27], v[12:13], v[26:27] neg_lo:[0,1] neg_hi:[0,1]
	v_pk_add_f32 v[30:31], v[12:13], v[28:29]
	v_mov_b32_e32 v15, v12
	v_mov_b32_e32 v27, v31
	v_pk_add_f32 v[32:33], v[14:15], v[26:27] neg_lo:[0,1] neg_hi:[0,1]
	v_pk_add_f32 v[14:15], v[14:15], v[26:27]
	s_nop 0
	v_mov_b32_e32 v22, v15
	v_pk_add_f32 v[26:27], v[22:23], v[12:13] neg_lo:[0,1] neg_hi:[0,1]
	v_mov_b32_e32 v14, v31
	v_mov_b32_e32 v19, v26
	v_pk_add_f32 v[34:35], v[30:31], v[18:19] neg_lo:[0,1] neg_hi:[0,1]
	v_mov_b32_e32 v30, v13
	v_mov_b32_e32 v31, v26
	;; [unrolled: 1-line block ×3, first 2 shown]
	v_pk_add_f32 v[14:15], v[14:15], v[30:31] neg_lo:[0,1] neg_hi:[0,1]
	v_mov_b32_e32 v26, v29
	v_mov_b32_e32 v27, v12
	v_pk_add_f32 v[12:13], v[26:27], v[14:15] neg_lo:[0,1] neg_hi:[0,1]
	v_mov_b32_e32 v34, v32
	v_pk_add_f32 v[14:15], v[34:35], v[12:13]
	s_nop 0
	v_mov_b32_e32 v26, v15
	v_pk_add_f32 v[26:27], v[14:15], v[26:27]
	s_nop 0
	v_pk_add_f32 v[28:29], v[22:23], v[26:27]
	v_mov_b32_e32 v13, v26
	v_mov_b32_e32 v15, v28
	v_pk_add_f32 v[30:31], v[14:15], v[32:33] neg_lo:[0,1] neg_hi:[0,1]
	s_nop 0
	v_sub_f32_e32 v14, v14, v30
	v_pk_add_f32 v[12:13], v[12:13], v[30:31] neg_lo:[0,1] neg_hi:[0,1]
	v_sub_f32_e32 v14, v32, v14
	v_add_f32_e32 v12, v12, v14
	v_add_f32_e32 v12, v12, v13
	;; [unrolled: 1-line block ×3, first 2 shown]
	v_cndmask_b32_e32 v60, v12, v36, vcc
.LBB53_93:                              ;   in Loop: Header=BB53_13 Depth=1
	s_or_b64 exec, exec, s[52:53]
	v_and_b32_e32 v8, 0xffff0000, v8
	v_readlane_b32 s0, v95, 2
	s_nop 1
	v_add_f32_e32 v61, s0, v8
	v_cmp_ge_f32_e32 vcc, s4, v61
	s_and_b64 s[2:3], s[6:7], vcc
	s_and_saveexec_b64 s[52:53], s[2:3]
	s_cbranch_execz .LBB53_95
; %bb.94:                               ;   in Loop: Header=BB53_13 Depth=1
	v_mul_f32_e32 v8, 0x3fb8aa3b, v61
	v_rndne_f32_e32 v12, v8
	v_sub_f32_e32 v13, v8, v12
	v_fma_f32 v8, v61, s5, -v8
	v_fmac_f32_e32 v8, 0x32a5705f, v61
	v_add_f32_e32 v8, v13, v8
	v_cvt_i32_f32_e32 v12, v12
	v_exp_f32_e32 v8, v8
	v_cmp_ngt_f32_e32 vcc, s8, v61
	v_ldexp_f32 v8, v8, v12
	s_nop 0
	v_cndmask_b32_e32 v8, 0, v8, vcc
	v_cmp_nlt_f32_e32 vcc, s9, v61
	s_nop 1
	v_cndmask_b32_e32 v36, v39, v8, vcc
	v_add_f32_e32 v8, 1.0, v36
	v_add_f32_e32 v12, -1.0, v8
	v_sub_f32_e32 v13, v12, v8
	v_add_f32_e32 v13, 1.0, v13
	v_sub_f32_e32 v12, v36, v12
	v_add_f32_e32 v14, v12, v13
	v_frexp_mant_f32_e32 v15, v8
	v_cvt_f64_f32_e32 v[12:13], v8
	v_frexp_exp_i32_f64_e32 v12, v[12:13]
	v_cmp_gt_f32_e32 vcc, s11, v15
	v_cmp_gt_f32_e64 s[2:3], s54, v36
	s_nop 0
	v_subbrev_co_u32_e32 v19, vcc, 0, v12, vcc
	v_sub_u32_e32 v12, 0, v19
	v_ldexp_f32 v8, v8, v12
	v_ldexp_f32 v12, v14, v12
	v_add_f32_e32 v14, -1.0, v8
	v_add_f32_e32 v13, 1.0, v14
	v_sub_f32_e32 v13, v8, v13
	v_add_f32_e32 v15, v12, v13
	v_add_f32_e32 v13, 1.0, v8
	v_add_f32_e32 v22, -1.0, v13
	v_sub_f32_e32 v8, v8, v22
	v_add_f32_e32 v8, v12, v8
	v_add_f32_e32 v22, v13, v8
	v_rcp_f32_e32 v30, v22
	v_sub_f32_e32 v12, v13, v22
	v_add_f32_e32 v13, v14, v15
	v_add_f32_e32 v8, v8, v12
	v_mul_f32_e32 v32, v13, v30
	v_sub_f32_e32 v12, v14, v13
	v_mul_f32_e32 v14, v22, v32
	v_fma_f32 v26, v32, v22, -v14
	v_fmac_f32_e32 v26, v32, v8
	v_add_f32_e32 v31, v15, v12
	v_add_f32_e32 v12, v14, v26
	v_sub_f32_e32 v15, v13, v12
	v_pk_add_f32 v[28:29], v[12:13], v[14:15] neg_lo:[0,1] neg_hi:[0,1]
	v_mov_b32_e32 v27, v12
	v_pk_add_f32 v[12:13], v[28:29], v[26:27] neg_lo:[0,1] neg_hi:[0,1]
	v_cmp_eq_f32_e32 vcc, s10, v36
	v_add_f32_e32 v13, v31, v13
	v_add_f32_e32 v12, v12, v13
	v_add_f32_e32 v13, v15, v12
	v_mul_f32_e32 v31, v30, v13
	v_mul_f32_e32 v14, v22, v31
	v_fma_f32 v26, v31, v22, -v14
	v_fmac_f32_e32 v26, v31, v8
	v_sub_f32_e32 v8, v15, v13
	v_add_f32_e32 v8, v12, v8
	v_add_f32_e32 v12, v14, v26
	v_sub_f32_e32 v15, v13, v12
	v_pk_add_f32 v[28:29], v[12:13], v[14:15] neg_lo:[0,1] neg_hi:[0,1]
	v_mov_b32_e32 v27, v12
	v_pk_add_f32 v[12:13], v[28:29], v[26:27] neg_lo:[0,1] neg_hi:[0,1]
	scratch_load_dwordx2 v[26:27], off, off offset:164 ; 8-byte Folded Reload
	v_add_f32_e32 v8, v8, v13
	v_add_f32_e32 v8, v12, v8
	v_add_f32_e32 v13, v32, v31
	v_add_f32_e32 v8, v15, v8
	v_sub_f32_e32 v12, v13, v32
	v_mul_f32_e32 v8, v30, v8
	v_sub_f32_e32 v12, v31, v12
	v_add_f32_e32 v8, v12, v8
	v_add_f32_e32 v14, v13, v8
	v_mul_f32_e32 v22, v14, v14
	v_mov_b32_e32 v12, 0x3ecc95a3
	v_fmamk_f32 v12, v22, 0x3e9b6dac, v12
	s_waitcnt vmcnt(0)
	v_fmaak_f32 v27, v22, v12, 0x3f2aaada
	v_cvt_f32_i32_e32 v12, v19
	v_sub_f32_e32 v13, v14, v13
	v_sub_f32_e32 v8, v8, v13
	v_mul_f32_e32 v13, v14, v22
	v_ldexp_f32 v15, v14, 1
	v_ldexp_f32 v8, v8, 1
	s_or_b64 vcc, s[2:3], vcc
	v_mov_b32_e32 v14, v26
	v_pk_mul_f32 v[26:27], v[12:13], v[26:27]
	scratch_store_dwordx2 off, v[14:15], off offset:164 ; 8-byte Folded Spill
	v_fma_f32 v14, v12, s33, -v26
	v_fmac_f32_e32 v14, 0xb102e308, v12
	v_pk_add_f32 v[12:13], v[26:27], v[14:15]
	v_mov_b32_e32 v28, v26
	v_sub_f32_e32 v15, v13, v15
	v_sub_f32_e32 v15, v27, v15
	v_add_f32_e32 v29, v8, v15
	v_pk_add_f32 v[26:27], v[12:13], v[26:27] neg_lo:[0,1] neg_hi:[0,1]
	v_pk_add_f32 v[30:31], v[12:13], v[28:29]
	v_mov_b32_e32 v15, v12
	v_mov_b32_e32 v27, v31
	v_pk_add_f32 v[32:33], v[14:15], v[26:27] neg_lo:[0,1] neg_hi:[0,1]
	v_pk_add_f32 v[14:15], v[14:15], v[26:27]
	s_nop 0
	v_mov_b32_e32 v8, v15
	v_pk_add_f32 v[26:27], v[8:9], v[12:13] neg_lo:[0,1] neg_hi:[0,1]
	v_mov_b32_e32 v14, v31
	v_mov_b32_e32 v19, v26
	v_pk_add_f32 v[34:35], v[30:31], v[18:19] neg_lo:[0,1] neg_hi:[0,1]
	v_mov_b32_e32 v30, v13
	v_mov_b32_e32 v31, v26
	;; [unrolled: 1-line block ×3, first 2 shown]
	v_pk_add_f32 v[14:15], v[14:15], v[30:31] neg_lo:[0,1] neg_hi:[0,1]
	v_mov_b32_e32 v26, v29
	v_mov_b32_e32 v27, v12
	v_pk_add_f32 v[12:13], v[26:27], v[14:15] neg_lo:[0,1] neg_hi:[0,1]
	v_mov_b32_e32 v34, v32
	v_pk_add_f32 v[14:15], v[34:35], v[12:13]
	s_nop 0
	v_mov_b32_e32 v22, v15
	v_pk_add_f32 v[26:27], v[14:15], v[22:23]
	s_nop 0
	v_pk_add_f32 v[28:29], v[8:9], v[26:27]
	v_mov_b32_e32 v13, v26
	v_mov_b32_e32 v15, v28
	v_pk_add_f32 v[30:31], v[14:15], v[32:33] neg_lo:[0,1] neg_hi:[0,1]
	s_nop 0
	v_sub_f32_e32 v8, v14, v30
	v_pk_add_f32 v[12:13], v[12:13], v[30:31] neg_lo:[0,1] neg_hi:[0,1]
	v_sub_f32_e32 v8, v32, v8
	v_add_f32_e32 v8, v12, v8
	v_add_f32_e32 v8, v8, v13
	;; [unrolled: 1-line block ×3, first 2 shown]
	v_cndmask_b32_e32 v61, v8, v36, vcc
.LBB53_95:                              ;   in Loop: Header=BB53_13 Depth=1
	s_or_b64 exec, exec, s[52:53]
	v_lshlrev_b32_e32 v8, 16, v9
	v_readlane_b32 s0, v95, 2
	s_nop 1
	v_add_f32_e32 v62, s0, v8
	v_cmp_ge_f32_e32 vcc, s4, v62
	s_and_b64 s[2:3], s[6:7], vcc
	s_and_saveexec_b64 s[52:53], s[2:3]
	s_cbranch_execz .LBB53_97
; %bb.96:                               ;   in Loop: Header=BB53_13 Depth=1
	v_mul_f32_e32 v8, 0x3fb8aa3b, v62
	v_rndne_f32_e32 v12, v8
	v_sub_f32_e32 v13, v8, v12
	v_fma_f32 v8, v62, s5, -v8
	v_fmac_f32_e32 v8, 0x32a5705f, v62
	v_add_f32_e32 v8, v13, v8
	v_cvt_i32_f32_e32 v12, v12
	v_exp_f32_e32 v8, v8
	v_cmp_ngt_f32_e32 vcc, s8, v62
	v_ldexp_f32 v8, v8, v12
	s_nop 0
	v_cndmask_b32_e32 v8, 0, v8, vcc
	v_cmp_nlt_f32_e32 vcc, s9, v62
	s_nop 1
	v_cndmask_b32_e32 v36, v39, v8, vcc
	v_add_f32_e32 v8, 1.0, v36
	v_add_f32_e32 v12, -1.0, v8
	v_sub_f32_e32 v13, v12, v8
	v_add_f32_e32 v13, 1.0, v13
	v_sub_f32_e32 v12, v36, v12
	v_add_f32_e32 v14, v12, v13
	v_frexp_mant_f32_e32 v15, v8
	v_cvt_f64_f32_e32 v[12:13], v8
	v_frexp_exp_i32_f64_e32 v12, v[12:13]
	v_cmp_gt_f32_e32 vcc, s11, v15
	v_cmp_gt_f32_e64 s[2:3], s54, v36
	s_nop 0
	v_subbrev_co_u32_e32 v19, vcc, 0, v12, vcc
	v_sub_u32_e32 v12, 0, v19
	v_ldexp_f32 v8, v8, v12
	v_ldexp_f32 v12, v14, v12
	v_add_f32_e32 v14, -1.0, v8
	v_add_f32_e32 v13, 1.0, v14
	v_sub_f32_e32 v13, v8, v13
	v_add_f32_e32 v15, v12, v13
	v_add_f32_e32 v13, 1.0, v8
	v_add_f32_e32 v22, -1.0, v13
	v_sub_f32_e32 v8, v8, v22
	v_add_f32_e32 v8, v12, v8
	v_add_f32_e32 v22, v13, v8
	v_rcp_f32_e32 v30, v22
	v_sub_f32_e32 v12, v13, v22
	v_add_f32_e32 v13, v14, v15
	v_add_f32_e32 v8, v8, v12
	v_mul_f32_e32 v32, v13, v30
	v_sub_f32_e32 v12, v14, v13
	v_mul_f32_e32 v14, v22, v32
	v_fma_f32 v26, v32, v22, -v14
	v_fmac_f32_e32 v26, v32, v8
	v_add_f32_e32 v31, v15, v12
	v_add_f32_e32 v12, v14, v26
	v_sub_f32_e32 v15, v13, v12
	v_pk_add_f32 v[28:29], v[12:13], v[14:15] neg_lo:[0,1] neg_hi:[0,1]
	v_mov_b32_e32 v27, v12
	v_pk_add_f32 v[12:13], v[28:29], v[26:27] neg_lo:[0,1] neg_hi:[0,1]
	v_cmp_eq_f32_e32 vcc, s10, v36
	v_add_f32_e32 v13, v31, v13
	v_add_f32_e32 v12, v12, v13
	;; [unrolled: 1-line block ×3, first 2 shown]
	v_mul_f32_e32 v31, v30, v13
	v_mul_f32_e32 v14, v22, v31
	v_fma_f32 v26, v31, v22, -v14
	v_fmac_f32_e32 v26, v31, v8
	v_sub_f32_e32 v8, v15, v13
	v_add_f32_e32 v8, v12, v8
	v_add_f32_e32 v12, v14, v26
	v_sub_f32_e32 v15, v13, v12
	v_pk_add_f32 v[28:29], v[12:13], v[14:15] neg_lo:[0,1] neg_hi:[0,1]
	v_mov_b32_e32 v27, v12
	v_pk_add_f32 v[12:13], v[28:29], v[26:27] neg_lo:[0,1] neg_hi:[0,1]
	scratch_load_dwordx2 v[26:27], off, off offset:164 ; 8-byte Folded Reload
	v_add_f32_e32 v8, v8, v13
	v_add_f32_e32 v8, v12, v8
	;; [unrolled: 1-line block ×4, first 2 shown]
	v_sub_f32_e32 v12, v13, v32
	v_mul_f32_e32 v8, v30, v8
	v_sub_f32_e32 v12, v31, v12
	v_add_f32_e32 v8, v12, v8
	v_add_f32_e32 v14, v13, v8
	v_mul_f32_e32 v22, v14, v14
	v_mov_b32_e32 v12, 0x3ecc95a3
	v_fmamk_f32 v12, v22, 0x3e9b6dac, v12
	s_waitcnt vmcnt(0)
	v_fmaak_f32 v27, v22, v12, 0x3f2aaada
	v_cvt_f32_i32_e32 v12, v19
	v_sub_f32_e32 v13, v14, v13
	v_sub_f32_e32 v8, v8, v13
	v_mul_f32_e32 v13, v14, v22
	v_ldexp_f32 v15, v14, 1
	v_ldexp_f32 v8, v8, 1
	s_or_b64 vcc, s[2:3], vcc
	v_mov_b32_e32 v14, v26
	v_pk_mul_f32 v[26:27], v[12:13], v[26:27]
	scratch_store_dwordx2 off, v[14:15], off offset:164 ; 8-byte Folded Spill
	v_fma_f32 v14, v12, s33, -v26
	v_fmac_f32_e32 v14, 0xb102e308, v12
	v_pk_add_f32 v[12:13], v[26:27], v[14:15]
	v_mov_b32_e32 v28, v26
	v_sub_f32_e32 v15, v13, v15
	v_sub_f32_e32 v15, v27, v15
	v_add_f32_e32 v29, v8, v15
	v_pk_add_f32 v[26:27], v[12:13], v[26:27] neg_lo:[0,1] neg_hi:[0,1]
	v_pk_add_f32 v[30:31], v[12:13], v[28:29]
	v_mov_b32_e32 v15, v12
	v_mov_b32_e32 v27, v31
	v_pk_add_f32 v[32:33], v[14:15], v[26:27] neg_lo:[0,1] neg_hi:[0,1]
	v_pk_add_f32 v[14:15], v[14:15], v[26:27]
	s_nop 0
	v_mov_b32_e32 v8, v15
	v_pk_add_f32 v[26:27], v[8:9], v[12:13] neg_lo:[0,1] neg_hi:[0,1]
	v_mov_b32_e32 v14, v31
	v_mov_b32_e32 v19, v26
	v_pk_add_f32 v[34:35], v[30:31], v[18:19] neg_lo:[0,1] neg_hi:[0,1]
	v_mov_b32_e32 v30, v13
	v_mov_b32_e32 v31, v26
	;; [unrolled: 1-line block ×3, first 2 shown]
	v_pk_add_f32 v[14:15], v[14:15], v[30:31] neg_lo:[0,1] neg_hi:[0,1]
	v_mov_b32_e32 v26, v29
	v_mov_b32_e32 v27, v12
	v_pk_add_f32 v[12:13], v[26:27], v[14:15] neg_lo:[0,1] neg_hi:[0,1]
	v_mov_b32_e32 v34, v32
	v_pk_add_f32 v[14:15], v[34:35], v[12:13]
	s_nop 0
	v_mov_b32_e32 v22, v15
	v_pk_add_f32 v[26:27], v[14:15], v[22:23]
	s_nop 0
	v_pk_add_f32 v[28:29], v[8:9], v[26:27]
	v_mov_b32_e32 v13, v26
	v_mov_b32_e32 v15, v28
	v_pk_add_f32 v[30:31], v[14:15], v[32:33] neg_lo:[0,1] neg_hi:[0,1]
	s_nop 0
	v_sub_f32_e32 v8, v14, v30
	v_pk_add_f32 v[12:13], v[12:13], v[30:31] neg_lo:[0,1] neg_hi:[0,1]
	v_sub_f32_e32 v8, v32, v8
	v_add_f32_e32 v8, v12, v8
	v_add_f32_e32 v8, v8, v13
	;; [unrolled: 1-line block ×3, first 2 shown]
	v_cndmask_b32_e32 v62, v8, v36, vcc
.LBB53_97:                              ;   in Loop: Header=BB53_13 Depth=1
	s_or_b64 exec, exec, s[52:53]
	v_and_b32_e32 v8, 0xffff0000, v9
	v_readlane_b32 s0, v95, 2
	s_nop 1
	v_add_f32_e32 v63, s0, v8
	v_cmp_ge_f32_e32 vcc, s4, v63
	s_and_b64 s[2:3], s[6:7], vcc
	s_and_saveexec_b64 s[52:53], s[2:3]
	s_cbranch_execz .LBB53_99
; %bb.98:                               ;   in Loop: Header=BB53_13 Depth=1
	v_mul_f32_e32 v8, 0x3fb8aa3b, v63
	v_rndne_f32_e32 v9, v8
	v_sub_f32_e32 v12, v8, v9
	v_fma_f32 v8, v63, s5, -v8
	v_fmac_f32_e32 v8, 0x32a5705f, v63
	v_add_f32_e32 v8, v12, v8
	v_cvt_i32_f32_e32 v9, v9
	v_exp_f32_e32 v8, v8
	v_cmp_ngt_f32_e32 vcc, s8, v63
	v_ldexp_f32 v8, v8, v9
	s_nop 0
	v_cndmask_b32_e32 v8, 0, v8, vcc
	v_cmp_nlt_f32_e32 vcc, s9, v63
	s_nop 1
	v_cndmask_b32_e32 v19, v39, v8, vcc
	v_add_f32_e32 v12, 1.0, v19
	v_add_f32_e32 v8, -1.0, v12
	v_sub_f32_e32 v9, v8, v12
	v_add_f32_e32 v9, 1.0, v9
	v_sub_f32_e32 v8, v19, v8
	v_add_f32_e32 v13, v8, v9
	v_frexp_mant_f32_e32 v14, v12
	v_cvt_f64_f32_e32 v[8:9], v12
	v_frexp_exp_i32_f64_e32 v8, v[8:9]
	v_cmp_gt_f32_e32 vcc, s11, v14
	v_cmp_gt_f32_e64 s[2:3], s54, v19
	s_nop 0
	v_subbrev_co_u32_e32 v22, vcc, 0, v8, vcc
	v_sub_u32_e32 v8, 0, v22
	v_ldexp_f32 v9, v12, v8
	v_add_f32_e32 v12, -1.0, v9
	v_add_f32_e32 v14, 1.0, v9
	v_ldexp_f32 v8, v13, v8
	v_add_f32_e32 v13, 1.0, v12
	v_add_f32_e32 v15, -1.0, v14
	v_sub_f32_e32 v13, v9, v13
	v_sub_f32_e32 v9, v9, v15
	v_add_f32_e32 v13, v8, v13
	v_add_f32_e32 v8, v8, v9
	;; [unrolled: 1-line block ×3, first 2 shown]
	v_rcp_f32_e32 v30, v28
	v_sub_f32_e32 v9, v14, v28
	v_add_f32_e32 v29, v8, v9
	v_add_f32_e32 v9, v12, v13
	v_mul_f32_e32 v32, v9, v30
	v_sub_f32_e32 v8, v12, v9
	v_mul_f32_e32 v12, v28, v32
	v_fma_f32 v14, v32, v28, -v12
	v_fmac_f32_e32 v14, v32, v29
	v_add_f32_e32 v31, v13, v8
	v_add_f32_e32 v8, v12, v14
	v_sub_f32_e32 v13, v9, v8
	v_pk_add_f32 v[26:27], v[8:9], v[12:13] neg_lo:[0,1] neg_hi:[0,1]
	v_mov_b32_e32 v15, v8
	v_pk_add_f32 v[8:9], v[26:27], v[14:15] neg_lo:[0,1] neg_hi:[0,1]
	v_cmp_eq_f32_e32 vcc, s10, v19
	v_add_f32_e32 v9, v31, v9
	v_add_f32_e32 v8, v8, v9
	;; [unrolled: 1-line block ×3, first 2 shown]
	v_mul_f32_e32 v31, v30, v9
	v_mul_f32_e32 v12, v28, v31
	v_fma_f32 v14, v31, v28, -v12
	v_fmac_f32_e32 v14, v31, v29
	v_sub_f32_e32 v13, v13, v9
	v_add_f32_e32 v28, v8, v13
	v_add_f32_e32 v8, v12, v14
	v_sub_f32_e32 v13, v9, v8
	v_pk_add_f32 v[26:27], v[8:9], v[12:13] neg_lo:[0,1] neg_hi:[0,1]
	v_mov_b32_e32 v15, v8
	v_pk_add_f32 v[8:9], v[26:27], v[14:15] neg_lo:[0,1] neg_hi:[0,1]
	scratch_load_dwordx2 v[26:27], off, off offset:164 ; 8-byte Folded Reload
	v_add_f32_e32 v9, v28, v9
	v_add_f32_e32 v8, v8, v9
	;; [unrolled: 1-line block ×4, first 2 shown]
	v_sub_f32_e32 v12, v9, v32
	v_mul_f32_e32 v8, v30, v8
	v_sub_f32_e32 v12, v31, v12
	v_add_f32_e32 v12, v12, v8
	v_add_f32_e32 v14, v9, v12
	v_mul_f32_e32 v15, v14, v14
	v_mov_b32_e32 v8, 0x3ecc95a3
	v_fmamk_f32 v8, v15, 0x3e9b6dac, v8
	s_waitcnt vmcnt(0)
	v_fmaak_f32 v27, v15, v8, 0x3f2aaada
	v_cvt_f32_i32_e32 v8, v22
	v_sub_f32_e32 v9, v14, v9
	v_sub_f32_e32 v9, v12, v9
	v_ldexp_f32 v22, v9, 1
	v_mul_f32_e32 v9, v14, v15
	v_ldexp_f32 v13, v14, 1
	s_or_b64 vcc, s[2:3], vcc
	v_mov_b32_e32 v12, v26
	v_pk_mul_f32 v[14:15], v[8:9], v[26:27]
	scratch_store_dwordx2 off, v[12:13], off offset:164 ; 8-byte Folded Spill
	v_fma_f32 v12, v8, s33, -v14
	v_fmac_f32_e32 v12, 0xb102e308, v8
	v_pk_add_f32 v[8:9], v[14:15], v[12:13]
	v_mov_b32_e32 v26, v14
	v_sub_f32_e32 v13, v9, v13
	v_sub_f32_e32 v13, v15, v13
	v_add_f32_e32 v27, v22, v13
	v_pk_add_f32 v[14:15], v[8:9], v[14:15] neg_lo:[0,1] neg_hi:[0,1]
	v_pk_add_f32 v[28:29], v[8:9], v[26:27]
	v_mov_b32_e32 v13, v8
	v_mov_b32_e32 v15, v29
	v_pk_add_f32 v[30:31], v[12:13], v[14:15] neg_lo:[0,1] neg_hi:[0,1]
	v_pk_add_f32 v[12:13], v[12:13], v[14:15]
	v_mov_b32_e32 v26, v27
	v_mov_b32_e32 v14, v13
	v_pk_add_f32 v[32:33], v[14:15], v[8:9] neg_lo:[0,1] neg_hi:[0,1]
	v_mov_b32_e32 v12, v29
	v_mov_b32_e32 v15, v32
	v_pk_add_f32 v[34:35], v[28:29], v[14:15] neg_lo:[0,1] neg_hi:[0,1]
	v_mov_b32_e32 v28, v9
	v_mov_b32_e32 v29, v32
	;; [unrolled: 1-line block ×3, first 2 shown]
	v_pk_add_f32 v[12:13], v[12:13], v[28:29] neg_lo:[0,1] neg_hi:[0,1]
	v_mov_b32_e32 v27, v8
	v_pk_add_f32 v[8:9], v[26:27], v[12:13] neg_lo:[0,1] neg_hi:[0,1]
	v_mov_b32_e32 v34, v30
	v_pk_add_f32 v[12:13], v[34:35], v[8:9]
	s_nop 0
	v_mov_b32_e32 v22, v13
	v_pk_add_f32 v[26:27], v[12:13], v[22:23]
	s_nop 0
	v_pk_add_f32 v[14:15], v[14:15], v[26:27]
	v_mov_b32_e32 v9, v26
	v_mov_b32_e32 v13, v14
	v_pk_add_f32 v[28:29], v[12:13], v[30:31] neg_lo:[0,1] neg_hi:[0,1]
	s_nop 0
	v_sub_f32_e32 v12, v12, v28
	v_pk_add_f32 v[8:9], v[8:9], v[28:29] neg_lo:[0,1] neg_hi:[0,1]
	v_sub_f32_e32 v12, v30, v12
	v_add_f32_e32 v8, v8, v12
	v_add_f32_e32 v8, v8, v9
	;; [unrolled: 1-line block ×3, first 2 shown]
	v_cndmask_b32_e32 v63, v8, v19, vcc
.LBB53_99:                              ;   in Loop: Header=BB53_13 Depth=1
	s_or_b64 exec, exec, s[52:53]
	v_lshlrev_b32_e32 v8, 16, v10
	v_readlane_b32 s0, v95, 2
	s_nop 1
	v_add_f32_e32 v64, s0, v8
	v_cmp_ge_f32_e32 vcc, s4, v64
	s_and_b64 s[2:3], s[6:7], vcc
	s_and_saveexec_b64 s[52:53], s[2:3]
	s_cbranch_execz .LBB53_101
; %bb.100:                              ;   in Loop: Header=BB53_13 Depth=1
	v_mul_f32_e32 v8, 0x3fb8aa3b, v64
	v_rndne_f32_e32 v9, v8
	v_sub_f32_e32 v12, v8, v9
	v_fma_f32 v8, v64, s5, -v8
	v_fmac_f32_e32 v8, 0x32a5705f, v64
	v_add_f32_e32 v8, v12, v8
	v_cvt_i32_f32_e32 v9, v9
	v_exp_f32_e32 v8, v8
	v_cmp_ngt_f32_e32 vcc, s8, v64
	v_ldexp_f32 v8, v8, v9
	s_nop 0
	v_cndmask_b32_e32 v8, 0, v8, vcc
	v_cmp_nlt_f32_e32 vcc, s9, v64
	s_nop 1
	v_cndmask_b32_e32 v19, v39, v8, vcc
	v_add_f32_e32 v12, 1.0, v19
	v_add_f32_e32 v8, -1.0, v12
	v_sub_f32_e32 v9, v8, v12
	v_add_f32_e32 v9, 1.0, v9
	v_sub_f32_e32 v8, v19, v8
	v_add_f32_e32 v13, v8, v9
	v_frexp_mant_f32_e32 v14, v12
	v_cvt_f64_f32_e32 v[8:9], v12
	v_frexp_exp_i32_f64_e32 v8, v[8:9]
	v_cmp_gt_f32_e32 vcc, s11, v14
	v_cmp_gt_f32_e64 s[2:3], s54, v19
	s_nop 0
	v_subbrev_co_u32_e32 v22, vcc, 0, v8, vcc
	v_sub_u32_e32 v8, 0, v22
	v_ldexp_f32 v9, v12, v8
	v_add_f32_e32 v12, -1.0, v9
	v_add_f32_e32 v14, 1.0, v9
	v_ldexp_f32 v8, v13, v8
	v_add_f32_e32 v13, 1.0, v12
	v_add_f32_e32 v15, -1.0, v14
	v_sub_f32_e32 v13, v9, v13
	v_sub_f32_e32 v9, v9, v15
	v_add_f32_e32 v13, v8, v13
	v_add_f32_e32 v8, v8, v9
	;; [unrolled: 1-line block ×3, first 2 shown]
	v_rcp_f32_e32 v30, v28
	v_sub_f32_e32 v9, v14, v28
	v_add_f32_e32 v29, v8, v9
	v_add_f32_e32 v9, v12, v13
	v_mul_f32_e32 v32, v9, v30
	v_sub_f32_e32 v8, v12, v9
	v_mul_f32_e32 v12, v28, v32
	v_fma_f32 v14, v32, v28, -v12
	v_fmac_f32_e32 v14, v32, v29
	v_add_f32_e32 v31, v13, v8
	v_add_f32_e32 v8, v12, v14
	v_sub_f32_e32 v13, v9, v8
	v_pk_add_f32 v[26:27], v[8:9], v[12:13] neg_lo:[0,1] neg_hi:[0,1]
	v_mov_b32_e32 v15, v8
	v_pk_add_f32 v[8:9], v[26:27], v[14:15] neg_lo:[0,1] neg_hi:[0,1]
	v_cmp_eq_f32_e32 vcc, s10, v19
	v_add_f32_e32 v9, v31, v9
	v_add_f32_e32 v8, v8, v9
	;; [unrolled: 1-line block ×3, first 2 shown]
	v_mul_f32_e32 v31, v30, v9
	v_mul_f32_e32 v12, v28, v31
	v_fma_f32 v14, v31, v28, -v12
	v_fmac_f32_e32 v14, v31, v29
	v_sub_f32_e32 v13, v13, v9
	v_add_f32_e32 v28, v8, v13
	v_add_f32_e32 v8, v12, v14
	v_sub_f32_e32 v13, v9, v8
	v_pk_add_f32 v[26:27], v[8:9], v[12:13] neg_lo:[0,1] neg_hi:[0,1]
	v_mov_b32_e32 v15, v8
	v_pk_add_f32 v[8:9], v[26:27], v[14:15] neg_lo:[0,1] neg_hi:[0,1]
	scratch_load_dwordx2 v[26:27], off, off offset:164 ; 8-byte Folded Reload
	v_add_f32_e32 v9, v28, v9
	v_add_f32_e32 v8, v8, v9
	;; [unrolled: 1-line block ×4, first 2 shown]
	v_sub_f32_e32 v12, v9, v32
	v_mul_f32_e32 v8, v30, v8
	v_sub_f32_e32 v12, v31, v12
	v_add_f32_e32 v12, v12, v8
	v_add_f32_e32 v14, v9, v12
	v_mul_f32_e32 v15, v14, v14
	v_mov_b32_e32 v8, 0x3ecc95a3
	v_fmamk_f32 v8, v15, 0x3e9b6dac, v8
	s_waitcnt vmcnt(0)
	v_fmaak_f32 v27, v15, v8, 0x3f2aaada
	v_cvt_f32_i32_e32 v8, v22
	v_sub_f32_e32 v9, v14, v9
	v_sub_f32_e32 v9, v12, v9
	v_ldexp_f32 v22, v9, 1
	v_mul_f32_e32 v9, v14, v15
	v_ldexp_f32 v13, v14, 1
	s_or_b64 vcc, s[2:3], vcc
	v_mov_b32_e32 v12, v26
	v_pk_mul_f32 v[14:15], v[8:9], v[26:27]
	scratch_store_dwordx2 off, v[12:13], off offset:164 ; 8-byte Folded Spill
	v_fma_f32 v12, v8, s33, -v14
	v_fmac_f32_e32 v12, 0xb102e308, v8
	v_pk_add_f32 v[8:9], v[14:15], v[12:13]
	v_mov_b32_e32 v26, v14
	v_sub_f32_e32 v13, v9, v13
	v_sub_f32_e32 v13, v15, v13
	v_add_f32_e32 v27, v22, v13
	v_pk_add_f32 v[14:15], v[8:9], v[14:15] neg_lo:[0,1] neg_hi:[0,1]
	v_pk_add_f32 v[28:29], v[8:9], v[26:27]
	v_mov_b32_e32 v13, v8
	v_mov_b32_e32 v15, v29
	v_pk_add_f32 v[30:31], v[12:13], v[14:15] neg_lo:[0,1] neg_hi:[0,1]
	v_pk_add_f32 v[12:13], v[12:13], v[14:15]
	v_mov_b32_e32 v26, v27
	v_mov_b32_e32 v14, v13
	v_pk_add_f32 v[32:33], v[14:15], v[8:9] neg_lo:[0,1] neg_hi:[0,1]
	v_mov_b32_e32 v12, v29
	v_mov_b32_e32 v15, v32
	v_pk_add_f32 v[34:35], v[28:29], v[14:15] neg_lo:[0,1] neg_hi:[0,1]
	v_mov_b32_e32 v28, v9
	v_mov_b32_e32 v29, v32
	;; [unrolled: 1-line block ×3, first 2 shown]
	v_pk_add_f32 v[12:13], v[12:13], v[28:29] neg_lo:[0,1] neg_hi:[0,1]
	v_mov_b32_e32 v27, v8
	v_pk_add_f32 v[8:9], v[26:27], v[12:13] neg_lo:[0,1] neg_hi:[0,1]
	v_mov_b32_e32 v34, v30
	v_pk_add_f32 v[12:13], v[34:35], v[8:9]
	s_nop 0
	v_mov_b32_e32 v22, v13
	v_pk_add_f32 v[26:27], v[12:13], v[22:23]
	s_nop 0
	v_pk_add_f32 v[14:15], v[14:15], v[26:27]
	v_mov_b32_e32 v9, v26
	v_mov_b32_e32 v13, v14
	v_pk_add_f32 v[28:29], v[12:13], v[30:31] neg_lo:[0,1] neg_hi:[0,1]
	s_nop 0
	v_sub_f32_e32 v12, v12, v28
	v_pk_add_f32 v[8:9], v[8:9], v[28:29] neg_lo:[0,1] neg_hi:[0,1]
	v_sub_f32_e32 v12, v30, v12
	v_add_f32_e32 v8, v8, v12
	v_add_f32_e32 v8, v8, v9
	;; [unrolled: 1-line block ×3, first 2 shown]
	v_cndmask_b32_e32 v64, v8, v19, vcc
.LBB53_101:                             ;   in Loop: Header=BB53_13 Depth=1
	s_or_b64 exec, exec, s[52:53]
	v_and_b32_e32 v8, 0xffff0000, v10
	v_readlane_b32 s0, v95, 2
	s_nop 1
	v_add_f32_e32 v65, s0, v8
	v_cmp_ge_f32_e32 vcc, s4, v65
	s_and_b64 s[2:3], s[6:7], vcc
	s_and_saveexec_b64 s[52:53], s[2:3]
	s_cbranch_execz .LBB53_103
; %bb.102:                              ;   in Loop: Header=BB53_13 Depth=1
	v_mul_f32_e32 v8, 0x3fb8aa3b, v65
	v_rndne_f32_e32 v9, v8
	v_sub_f32_e32 v10, v8, v9
	v_fma_f32 v8, v65, s5, -v8
	v_fmac_f32_e32 v8, 0x32a5705f, v65
	v_add_f32_e32 v8, v10, v8
	v_cvt_i32_f32_e32 v9, v9
	v_exp_f32_e32 v8, v8
	v_cmp_ngt_f32_e32 vcc, s8, v65
	v_ldexp_f32 v8, v8, v9
	s_nop 0
	v_cndmask_b32_e32 v8, 0, v8, vcc
	v_cmp_nlt_f32_e32 vcc, s9, v65
	s_nop 1
	v_cndmask_b32_e32 v19, v39, v8, vcc
	v_add_f32_e32 v10, 1.0, v19
	v_add_f32_e32 v8, -1.0, v10
	v_sub_f32_e32 v9, v8, v10
	v_add_f32_e32 v9, 1.0, v9
	v_sub_f32_e32 v8, v19, v8
	v_add_f32_e32 v12, v8, v9
	v_frexp_mant_f32_e32 v13, v10
	v_cvt_f64_f32_e32 v[8:9], v10
	v_frexp_exp_i32_f64_e32 v8, v[8:9]
	v_cmp_gt_f32_e32 vcc, s11, v13
	v_cmp_gt_f32_e64 s[2:3], s54, v19
	s_nop 0
	v_subbrev_co_u32_e32 v22, vcc, 0, v8, vcc
	v_sub_u32_e32 v8, 0, v22
	v_ldexp_f32 v9, v10, v8
	v_add_f32_e32 v10, -1.0, v9
	v_add_f32_e32 v13, 1.0, v9
	v_ldexp_f32 v8, v12, v8
	v_add_f32_e32 v12, 1.0, v10
	v_add_f32_e32 v14, -1.0, v13
	v_sub_f32_e32 v12, v9, v12
	v_sub_f32_e32 v9, v9, v14
	v_add_f32_e32 v12, v8, v12
	v_add_f32_e32 v8, v8, v9
	;; [unrolled: 1-line block ×3, first 2 shown]
	v_rcp_f32_e32 v30, v28
	v_sub_f32_e32 v9, v13, v28
	v_add_f32_e32 v29, v8, v9
	v_add_f32_e32 v9, v10, v12
	v_sub_f32_e32 v8, v10, v9
	v_mul_f32_e32 v31, v9, v30
	v_add_f32_e32 v10, v12, v8
	v_mul_f32_e32 v12, v28, v31
	v_fma_f32 v14, v31, v28, -v12
	v_fmac_f32_e32 v14, v31, v29
	v_add_f32_e32 v8, v12, v14
	v_sub_f32_e32 v13, v9, v8
	v_pk_add_f32 v[26:27], v[8:9], v[12:13] neg_lo:[0,1] neg_hi:[0,1]
	v_mov_b32_e32 v15, v8
	v_pk_add_f32 v[8:9], v[26:27], v[14:15] neg_lo:[0,1] neg_hi:[0,1]
	v_cmp_eq_f32_e32 vcc, s10, v19
	v_add_f32_e32 v9, v10, v9
	v_add_f32_e32 v8, v8, v9
	v_add_f32_e32 v9, v13, v8
	v_mul_f32_e32 v10, v30, v9
	v_mul_f32_e32 v12, v28, v10
	v_fma_f32 v14, v10, v28, -v12
	v_fmac_f32_e32 v14, v10, v29
	v_sub_f32_e32 v13, v13, v9
	v_add_f32_e32 v28, v8, v13
	v_add_f32_e32 v8, v12, v14
	v_sub_f32_e32 v13, v9, v8
	v_pk_add_f32 v[26:27], v[8:9], v[12:13] neg_lo:[0,1] neg_hi:[0,1]
	v_mov_b32_e32 v15, v8
	v_pk_add_f32 v[8:9], v[26:27], v[14:15] neg_lo:[0,1] neg_hi:[0,1]
	scratch_load_dwordx2 v[26:27], off, off offset:164 ; 8-byte Folded Reload
	v_add_f32_e32 v9, v28, v9
	v_add_f32_e32 v8, v8, v9
	;; [unrolled: 1-line block ×4, first 2 shown]
	v_sub_f32_e32 v12, v9, v31
	v_mul_f32_e32 v8, v30, v8
	v_sub_f32_e32 v10, v10, v12
	v_add_f32_e32 v10, v10, v8
	v_add_f32_e32 v12, v9, v10
	v_mul_f32_e32 v14, v12, v12
	v_mov_b32_e32 v8, 0x3ecc95a3
	v_fmamk_f32 v8, v14, 0x3e9b6dac, v8
	s_waitcnt vmcnt(0)
	v_fmaak_f32 v27, v14, v8, 0x3f2aaada
	v_cvt_f32_i32_e32 v8, v22
	v_sub_f32_e32 v9, v12, v9
	v_sub_f32_e32 v9, v10, v9
	v_ldexp_f32 v10, v9, 1
	v_mul_f32_e32 v9, v12, v14
	v_ldexp_f32 v13, v12, 1
	s_or_b64 vcc, s[2:3], vcc
	v_mov_b32_e32 v12, v26
	v_pk_mul_f32 v[14:15], v[8:9], v[26:27]
	scratch_store_dwordx2 off, v[12:13], off offset:164 ; 8-byte Folded Spill
	v_fma_f32 v12, v8, s33, -v14
	v_fmac_f32_e32 v12, 0xb102e308, v8
	v_pk_add_f32 v[8:9], v[14:15], v[12:13]
	v_mov_b32_e32 v26, v14
	v_sub_f32_e32 v13, v9, v13
	v_sub_f32_e32 v13, v15, v13
	v_add_f32_e32 v27, v10, v13
	v_pk_add_f32 v[14:15], v[8:9], v[14:15] neg_lo:[0,1] neg_hi:[0,1]
	v_pk_add_f32 v[28:29], v[8:9], v[26:27]
	v_mov_b32_e32 v13, v8
	v_mov_b32_e32 v15, v29
	v_pk_add_f32 v[30:31], v[12:13], v[14:15] neg_lo:[0,1] neg_hi:[0,1]
	v_pk_add_f32 v[12:13], v[12:13], v[14:15]
	s_nop 0
	v_mov_b32_e32 v10, v13
	v_pk_add_f32 v[14:15], v[10:11], v[8:9] neg_lo:[0,1] neg_hi:[0,1]
	v_mov_b32_e32 v12, v29
	v_mov_b32_e32 v15, v14
	v_pk_add_f32 v[32:33], v[28:29], v[14:15] neg_lo:[0,1] neg_hi:[0,1]
	v_mov_b32_e32 v28, v9
	v_mov_b32_e32 v29, v14
	v_mov_b32_e32 v31, v13
	v_pk_add_f32 v[12:13], v[12:13], v[28:29] neg_lo:[0,1] neg_hi:[0,1]
	v_mov_b32_e32 v14, v27
	v_mov_b32_e32 v15, v8
	v_pk_add_f32 v[8:9], v[14:15], v[12:13] neg_lo:[0,1] neg_hi:[0,1]
	v_mov_b32_e32 v32, v30
	v_pk_add_f32 v[12:13], v[32:33], v[8:9]
	s_nop 0
	v_mov_b32_e32 v14, v13
	v_pk_add_f32 v[14:15], v[12:13], v[14:15]
	s_nop 0
	v_pk_add_f32 v[26:27], v[10:11], v[14:15]
	v_mov_b32_e32 v9, v14
	v_mov_b32_e32 v13, v26
	v_pk_add_f32 v[28:29], v[12:13], v[30:31] neg_lo:[0,1] neg_hi:[0,1]
	s_nop 0
	v_sub_f32_e32 v10, v12, v28
	v_pk_add_f32 v[8:9], v[8:9], v[28:29] neg_lo:[0,1] neg_hi:[0,1]
	v_sub_f32_e32 v10, v30, v10
	v_add_f32_e32 v8, v8, v10
	v_add_f32_e32 v8, v8, v9
	;; [unrolled: 1-line block ×3, first 2 shown]
	v_cndmask_b32_e32 v65, v8, v19, vcc
.LBB53_103:                             ;   in Loop: Header=BB53_13 Depth=1
	s_or_b64 exec, exec, s[52:53]
	v_lshlrev_b32_e32 v8, 16, v11
	v_readlane_b32 s0, v95, 2
	s_nop 1
	v_add_f32_e32 v66, s0, v8
	v_cmp_ge_f32_e32 vcc, s4, v66
	s_and_b64 s[2:3], s[6:7], vcc
	s_and_saveexec_b64 s[52:53], s[2:3]
	s_cbranch_execz .LBB53_105
; %bb.104:                              ;   in Loop: Header=BB53_13 Depth=1
	v_mul_f32_e32 v8, 0x3fb8aa3b, v66
	v_rndne_f32_e32 v9, v8
	v_sub_f32_e32 v10, v8, v9
	v_fma_f32 v8, v66, s5, -v8
	v_fmac_f32_e32 v8, 0x32a5705f, v66
	v_add_f32_e32 v8, v10, v8
	v_cvt_i32_f32_e32 v9, v9
	v_exp_f32_e32 v8, v8
	v_cmp_ngt_f32_e32 vcc, s8, v66
	v_ldexp_f32 v8, v8, v9
	s_nop 0
	v_cndmask_b32_e32 v8, 0, v8, vcc
	v_cmp_nlt_f32_e32 vcc, s9, v66
	s_nop 1
	v_cndmask_b32_e32 v19, v39, v8, vcc
	v_add_f32_e32 v10, 1.0, v19
	v_add_f32_e32 v8, -1.0, v10
	v_sub_f32_e32 v9, v8, v10
	v_add_f32_e32 v9, 1.0, v9
	v_sub_f32_e32 v8, v19, v8
	v_add_f32_e32 v12, v8, v9
	v_frexp_mant_f32_e32 v13, v10
	v_cvt_f64_f32_e32 v[8:9], v10
	v_frexp_exp_i32_f64_e32 v8, v[8:9]
	v_cmp_gt_f32_e32 vcc, s11, v13
	v_cmp_gt_f32_e64 s[2:3], s54, v19
	s_nop 0
	v_subbrev_co_u32_e32 v22, vcc, 0, v8, vcc
	v_sub_u32_e32 v8, 0, v22
	v_ldexp_f32 v9, v10, v8
	v_add_f32_e32 v10, -1.0, v9
	v_add_f32_e32 v13, 1.0, v9
	v_ldexp_f32 v8, v12, v8
	v_add_f32_e32 v12, 1.0, v10
	v_add_f32_e32 v14, -1.0, v13
	v_sub_f32_e32 v12, v9, v12
	v_sub_f32_e32 v9, v9, v14
	v_add_f32_e32 v12, v8, v12
	v_add_f32_e32 v8, v8, v9
	;; [unrolled: 1-line block ×3, first 2 shown]
	v_rcp_f32_e32 v30, v28
	v_sub_f32_e32 v9, v13, v28
	v_add_f32_e32 v29, v8, v9
	v_add_f32_e32 v9, v10, v12
	v_sub_f32_e32 v8, v10, v9
	v_mul_f32_e32 v31, v9, v30
	v_add_f32_e32 v10, v12, v8
	v_mul_f32_e32 v12, v28, v31
	v_fma_f32 v14, v31, v28, -v12
	v_fmac_f32_e32 v14, v31, v29
	v_add_f32_e32 v8, v12, v14
	v_sub_f32_e32 v13, v9, v8
	v_pk_add_f32 v[26:27], v[8:9], v[12:13] neg_lo:[0,1] neg_hi:[0,1]
	v_mov_b32_e32 v15, v8
	v_pk_add_f32 v[8:9], v[26:27], v[14:15] neg_lo:[0,1] neg_hi:[0,1]
	v_cmp_eq_f32_e32 vcc, s10, v19
	v_add_f32_e32 v9, v10, v9
	v_add_f32_e32 v8, v8, v9
	;; [unrolled: 1-line block ×3, first 2 shown]
	v_mul_f32_e32 v10, v30, v9
	v_mul_f32_e32 v12, v28, v10
	v_fma_f32 v14, v10, v28, -v12
	v_fmac_f32_e32 v14, v10, v29
	v_sub_f32_e32 v13, v13, v9
	v_add_f32_e32 v28, v8, v13
	v_add_f32_e32 v8, v12, v14
	v_sub_f32_e32 v13, v9, v8
	v_pk_add_f32 v[26:27], v[8:9], v[12:13] neg_lo:[0,1] neg_hi:[0,1]
	v_mov_b32_e32 v15, v8
	v_pk_add_f32 v[8:9], v[26:27], v[14:15] neg_lo:[0,1] neg_hi:[0,1]
	scratch_load_dwordx2 v[26:27], off, off offset:164 ; 8-byte Folded Reload
	v_add_f32_e32 v9, v28, v9
	v_add_f32_e32 v8, v8, v9
	;; [unrolled: 1-line block ×4, first 2 shown]
	v_sub_f32_e32 v12, v9, v31
	v_mul_f32_e32 v8, v30, v8
	v_sub_f32_e32 v10, v10, v12
	v_add_f32_e32 v10, v10, v8
	v_add_f32_e32 v12, v9, v10
	v_mul_f32_e32 v14, v12, v12
	v_mov_b32_e32 v8, 0x3ecc95a3
	v_fmamk_f32 v8, v14, 0x3e9b6dac, v8
	s_waitcnt vmcnt(0)
	v_fmaak_f32 v27, v14, v8, 0x3f2aaada
	v_cvt_f32_i32_e32 v8, v22
	v_sub_f32_e32 v9, v12, v9
	v_sub_f32_e32 v9, v10, v9
	v_ldexp_f32 v10, v9, 1
	v_mul_f32_e32 v9, v12, v14
	v_ldexp_f32 v13, v12, 1
	s_or_b64 vcc, s[2:3], vcc
	v_mov_b32_e32 v12, v26
	v_pk_mul_f32 v[14:15], v[8:9], v[26:27]
	scratch_store_dwordx2 off, v[12:13], off offset:164 ; 8-byte Folded Spill
	v_fma_f32 v12, v8, s33, -v14
	v_fmac_f32_e32 v12, 0xb102e308, v8
	v_pk_add_f32 v[8:9], v[14:15], v[12:13]
	v_mov_b32_e32 v26, v14
	v_sub_f32_e32 v13, v9, v13
	v_sub_f32_e32 v13, v15, v13
	v_add_f32_e32 v27, v10, v13
	v_pk_add_f32 v[14:15], v[8:9], v[14:15] neg_lo:[0,1] neg_hi:[0,1]
	v_pk_add_f32 v[28:29], v[8:9], v[26:27]
	v_mov_b32_e32 v13, v8
	v_mov_b32_e32 v15, v29
	v_pk_add_f32 v[30:31], v[12:13], v[14:15] neg_lo:[0,1] neg_hi:[0,1]
	v_pk_add_f32 v[12:13], v[12:13], v[14:15]
	s_nop 0
	v_mov_b32_e32 v10, v13
	v_pk_add_f32 v[14:15], v[10:11], v[8:9] neg_lo:[0,1] neg_hi:[0,1]
	v_mov_b32_e32 v12, v29
	v_mov_b32_e32 v15, v14
	v_pk_add_f32 v[32:33], v[28:29], v[14:15] neg_lo:[0,1] neg_hi:[0,1]
	v_mov_b32_e32 v28, v9
	v_mov_b32_e32 v29, v14
	;; [unrolled: 1-line block ×3, first 2 shown]
	v_pk_add_f32 v[12:13], v[12:13], v[28:29] neg_lo:[0,1] neg_hi:[0,1]
	v_mov_b32_e32 v14, v27
	v_mov_b32_e32 v15, v8
	v_pk_add_f32 v[8:9], v[14:15], v[12:13] neg_lo:[0,1] neg_hi:[0,1]
	v_mov_b32_e32 v32, v30
	v_pk_add_f32 v[12:13], v[32:33], v[8:9]
	s_nop 0
	v_mov_b32_e32 v14, v13
	v_pk_add_f32 v[14:15], v[12:13], v[14:15]
	s_nop 0
	v_pk_add_f32 v[26:27], v[10:11], v[14:15]
	v_mov_b32_e32 v9, v14
	v_mov_b32_e32 v13, v26
	v_pk_add_f32 v[28:29], v[12:13], v[30:31] neg_lo:[0,1] neg_hi:[0,1]
	s_nop 0
	v_sub_f32_e32 v10, v12, v28
	v_pk_add_f32 v[8:9], v[8:9], v[28:29] neg_lo:[0,1] neg_hi:[0,1]
	v_sub_f32_e32 v10, v30, v10
	v_add_f32_e32 v8, v8, v10
	v_add_f32_e32 v8, v8, v9
	;; [unrolled: 1-line block ×3, first 2 shown]
	v_cndmask_b32_e32 v66, v8, v19, vcc
.LBB53_105:                             ;   in Loop: Header=BB53_13 Depth=1
	s_or_b64 exec, exec, s[52:53]
	v_and_b32_e32 v8, 0xffff0000, v11
	v_readlane_b32 s0, v95, 2
	s_nop 1
	v_add_f32_e32 v27, s0, v8
	v_cmp_ge_f32_e32 vcc, s4, v27
	s_and_b64 s[2:3], s[6:7], vcc
	s_and_saveexec_b64 s[52:53], s[2:3]
	s_cbranch_execz .LBB53_107
; %bb.106:                              ;   in Loop: Header=BB53_13 Depth=1
	v_mul_f32_e32 v8, 0x3fb8aa3b, v27
	v_rndne_f32_e32 v9, v8
	v_sub_f32_e32 v10, v8, v9
	v_fma_f32 v8, v27, s5, -v8
	v_fmac_f32_e32 v8, 0x32a5705f, v27
	v_add_f32_e32 v8, v10, v8
	v_cvt_i32_f32_e32 v9, v9
	v_exp_f32_e32 v8, v8
	v_cmp_ngt_f32_e32 vcc, s8, v27
	v_ldexp_f32 v8, v8, v9
	s_nop 0
	v_cndmask_b32_e32 v8, 0, v8, vcc
	v_cmp_nlt_f32_e32 vcc, s9, v27
	s_nop 1
	v_cndmask_b32_e32 v19, v39, v8, vcc
	v_add_f32_e32 v10, 1.0, v19
	v_add_f32_e32 v8, -1.0, v10
	v_sub_f32_e32 v9, v8, v10
	v_add_f32_e32 v9, 1.0, v9
	v_sub_f32_e32 v8, v19, v8
	v_add_f32_e32 v11, v8, v9
	v_frexp_mant_f32_e32 v12, v10
	v_cvt_f64_f32_e32 v[8:9], v10
	v_frexp_exp_i32_f64_e32 v8, v[8:9]
	v_cmp_gt_f32_e32 vcc, s11, v12
	v_cmp_gt_f32_e64 s[2:3], s54, v19
	s_nop 0
	v_subbrev_co_u32_e32 v22, vcc, 0, v8, vcc
	v_sub_u32_e32 v8, 0, v22
	v_ldexp_f32 v9, v10, v8
	v_add_f32_e32 v10, -1.0, v9
	v_add_f32_e32 v12, 1.0, v9
	v_ldexp_f32 v8, v11, v8
	v_add_f32_e32 v11, 1.0, v10
	v_add_f32_e32 v13, -1.0, v12
	v_sub_f32_e32 v11, v9, v11
	v_sub_f32_e32 v9, v9, v13
	v_add_f32_e32 v11, v8, v11
	v_add_f32_e32 v8, v8, v9
	;; [unrolled: 1-line block ×3, first 2 shown]
	v_rcp_f32_e32 v28, v26
	v_sub_f32_e32 v9, v12, v26
	v_add_f32_e32 v27, v8, v9
	v_add_f32_e32 v9, v10, v11
	v_mul_f32_e32 v30, v9, v28
	v_sub_f32_e32 v8, v10, v9
	v_mul_f32_e32 v10, v26, v30
	v_fma_f32 v12, v30, v26, -v10
	v_fmac_f32_e32 v12, v30, v27
	v_add_f32_e32 v29, v11, v8
	v_add_f32_e32 v8, v10, v12
	v_sub_f32_e32 v11, v9, v8
	v_pk_add_f32 v[14:15], v[8:9], v[10:11] neg_lo:[0,1] neg_hi:[0,1]
	v_mov_b32_e32 v13, v8
	v_pk_add_f32 v[8:9], v[14:15], v[12:13] neg_lo:[0,1] neg_hi:[0,1]
	v_cmp_eq_f32_e32 vcc, s10, v19
	v_add_f32_e32 v9, v29, v9
	v_add_f32_e32 v8, v8, v9
	;; [unrolled: 1-line block ×3, first 2 shown]
	v_mul_f32_e32 v29, v28, v9
	v_mul_f32_e32 v10, v26, v29
	v_fma_f32 v12, v29, v26, -v10
	v_fmac_f32_e32 v12, v29, v27
	v_sub_f32_e32 v11, v11, v9
	v_add_f32_e32 v26, v8, v11
	v_add_f32_e32 v8, v10, v12
	v_sub_f32_e32 v11, v9, v8
	v_pk_add_f32 v[14:15], v[8:9], v[10:11] neg_lo:[0,1] neg_hi:[0,1]
	v_mov_b32_e32 v13, v8
	v_pk_add_f32 v[8:9], v[14:15], v[12:13] neg_lo:[0,1] neg_hi:[0,1]
	scratch_load_dwordx2 v[14:15], off, off offset:164 ; 8-byte Folded Reload
	v_add_f32_e32 v9, v26, v9
	v_add_f32_e32 v8, v8, v9
	;; [unrolled: 1-line block ×4, first 2 shown]
	v_sub_f32_e32 v10, v9, v30
	v_mul_f32_e32 v8, v28, v8
	v_sub_f32_e32 v10, v29, v10
	v_add_f32_e32 v10, v10, v8
	v_add_f32_e32 v12, v9, v10
	v_mul_f32_e32 v13, v12, v12
	v_mov_b32_e32 v8, 0x3ecc95a3
	v_fmamk_f32 v8, v13, 0x3e9b6dac, v8
	v_fmaak_f32 v27, v13, v8, 0x3f2aaada
	v_cvt_f32_i32_e32 v8, v22
	v_sub_f32_e32 v9, v12, v9
	v_sub_f32_e32 v9, v10, v9
	v_ldexp_f32 v11, v12, 1
	s_or_b64 vcc, s[2:3], vcc
	s_waitcnt vmcnt(0)
	v_mov_b32_e32 v26, v14
	v_ldexp_f32 v14, v9, 1
	v_mul_f32_e32 v9, v12, v13
	v_mov_b32_e32 v10, v26
	v_pk_mul_f32 v[12:13], v[8:9], v[26:27]
	scratch_store_dwordx2 off, v[10:11], off offset:164 ; 8-byte Folded Spill
	v_fma_f32 v10, v8, s33, -v12
	v_fmac_f32_e32 v10, 0xb102e308, v8
	v_pk_add_f32 v[8:9], v[12:13], v[10:11]
	s_nop 0
	v_sub_f32_e32 v11, v9, v11
	v_sub_f32_e32 v11, v13, v11
	v_add_f32_e32 v15, v14, v11
	v_mov_b32_e32 v14, v12
	v_pk_add_f32 v[12:13], v[8:9], v[12:13] neg_lo:[0,1] neg_hi:[0,1]
	v_pk_add_f32 v[26:27], v[8:9], v[14:15]
	v_mov_b32_e32 v11, v8
	v_mov_b32_e32 v13, v27
	v_pk_add_f32 v[28:29], v[10:11], v[12:13] neg_lo:[0,1] neg_hi:[0,1]
	v_pk_add_f32 v[10:11], v[10:11], v[12:13]
	v_mov_b32_e32 v14, v15
	v_mov_b32_e32 v12, v11
	v_pk_add_f32 v[30:31], v[12:13], v[8:9] neg_lo:[0,1] neg_hi:[0,1]
	v_mov_b32_e32 v10, v27
	v_mov_b32_e32 v13, v30
	v_pk_add_f32 v[32:33], v[26:27], v[12:13] neg_lo:[0,1] neg_hi:[0,1]
	v_mov_b32_e32 v26, v9
	v_mov_b32_e32 v27, v30
	;; [unrolled: 1-line block ×3, first 2 shown]
	v_pk_add_f32 v[10:11], v[10:11], v[26:27] neg_lo:[0,1] neg_hi:[0,1]
	v_mov_b32_e32 v15, v8
	v_pk_add_f32 v[8:9], v[14:15], v[10:11] neg_lo:[0,1] neg_hi:[0,1]
	v_mov_b32_e32 v32, v28
	v_pk_add_f32 v[10:11], v[32:33], v[8:9]
	s_nop 0
	v_mov_b32_e32 v14, v11
	v_pk_add_f32 v[14:15], v[10:11], v[14:15]
	s_nop 0
	v_pk_add_f32 v[12:13], v[12:13], v[14:15]
	v_mov_b32_e32 v9, v14
	v_mov_b32_e32 v11, v12
	v_pk_add_f32 v[26:27], v[10:11], v[28:29] neg_lo:[0,1] neg_hi:[0,1]
	s_nop 0
	v_sub_f32_e32 v10, v10, v26
	v_pk_add_f32 v[8:9], v[8:9], v[26:27] neg_lo:[0,1] neg_hi:[0,1]
	v_sub_f32_e32 v10, v28, v10
	v_add_f32_e32 v8, v8, v10
	v_add_f32_e32 v8, v8, v9
	;; [unrolled: 1-line block ×3, first 2 shown]
	v_cndmask_b32_e32 v27, v8, v19, vcc
.LBB53_107:                             ;   in Loop: Header=BB53_13 Depth=1
	s_or_b64 exec, exec, s[52:53]
	v_lshlrev_b32_e32 v8, 16, v7
	v_readlane_b32 s0, v95, 3
	v_and_b32_e32 v13, 0xffff0000, v7
	v_and_b32_e32 v7, 0xffff0000, v6
	v_lshlrev_b32_e32 v6, 16, v6
	v_and_b32_e32 v9, 0xffff0000, v5
	v_lshlrev_b32_e32 v5, 16, v5
	;; [unrolled: 2-line block ×7, first 2 shown]
	v_mul_f32_e32 v28, s0, v8
	v_mul_f32_e32 v31, s0, v7
	;; [unrolled: 1-line block ×16, first 2 shown]
	v_readlane_b32 s0, v95, 22
	v_readlane_b32 s1, v95, 23
	s_and_b64 vcc, exec, s[0:1]
	s_waitcnt lgkmcnt(0)
	; wave barrier
	s_cbranch_vccz .LBB53_200
; %bb.108:                              ;   in Loop: Header=BB53_13 Depth=1
	v_mul_f32_e32 v83, v23, v0
	scratch_load_dword v0, off, off offset:264 ; 4-byte Folded Reload
	v_readlane_b32 s0, v95, 8
	v_readlane_b32 s1, v95, 9
	v_mul_f32_e32 v6, v64, v6
	v_mul_f32_e32 v5, v62, v5
	v_lshl_add_u64 v[44:45], s[0:1], 0, v[16:17]
	v_readlane_b32 s0, v95, 18
	v_readlane_b32 s1, v95, 19
	s_mov_b32 s88, 0
	v_mul_f32_e32 v13, v27, v13
	v_lshl_add_u64 v[46:47], s[0:1], 0, v[16:17]
	v_readlane_b32 s1, v95, 52
	s_cmp_lg_u32 s1, 0
	v_readlane_b32 s0, v95, 31
	s_cselect_b64 s[2:3], -1, 0
	s_cmp_eq_u32 s1, s0
	v_readlane_b32 s0, v95, 26
	v_readlane_b32 s1, v95, 27
	s_cselect_b64 s[94:95], -1, 0
	v_mul_f32_e32 v8, v66, v8
	v_mul_f32_e32 v7, v65, v7
	scratch_store_dword off, v6, off offset:80 ; 4-byte Folded Spill
	v_mul_f32_e32 v6, v63, v9
	scratch_store_dword off, v5, off offset:88 ; 4-byte Folded Spill
	v_mul_f32_e32 v5, v61, v10
	v_mul_f32_e32 v19, v60, v4
	;; [unrolled: 1-line block ×9, first 2 shown]
	s_mov_b32 s98, s88
	s_mov_b32 s96, s88
	s_mov_b32 s86, s88
	v_readlane_b32 s90, v95, 48
	scratch_store_dword off, v13, off offset:68 ; 4-byte Folded Spill
	scratch_store_dword off, v8, off offset:72 ; 4-byte Folded Spill
	;; [unrolled: 1-line block ×5, first 2 shown]
	s_waitcnt vmcnt(7)
	v_cmp_gt_u32_e32 vcc, s82, v0
	scratch_load_dword v0, off, off offset:268 ; 4-byte Folded Reload
	s_or_b64 s[52:53], s[0:1], vcc
	s_waitcnt vmcnt(0)
	v_cmp_gt_u32_e32 vcc, s82, v0
	scratch_load_dword v0, off, off offset:272 ; 4-byte Folded Reload
	s_or_b64 s[54:55], s[0:1], vcc
	;; [unrolled: 4-line block ×15, first 2 shown]
	s_waitcnt vmcnt(0)
	v_cmp_gt_u32_e32 vcc, s82, v0
	s_or_b64 s[82:83], s[0:1], vcc
	v_readlane_b32 s0, v95, 24
	v_readlane_b32 s1, v95, 25
	s_mov_b32 s33, s1
	s_branch .LBB53_110
.LBB53_109:                             ;   in Loop: Header=BB53_110 Depth=2
	s_or_b64 exec, exec, s[92:93]
	v_mul_f32_e32 v48, v84, v70
	v_fma_f32 v49, v84, v71, v8
	v_cndmask_b32_e64 v8, v49, v8, s[16:17]
	v_cndmask_b32_e64 v48, v48, v84, s[16:17]
	s_waitcnt lgkmcnt(0)
	v_fmac_f32_e32 v8, v58, v48
	v_fmac_f32_e32 v9, v8, v85
	;; [unrolled: 1-line block ×12, first 2 shown]
	v_readlane_b32 s4, v95, 40
	v_fmac_f32_e32 v14, v55, v67
	v_readlane_b32 s5, v95, 41
	v_readlane_b32 s6, v95, 42
	;; [unrolled: 1-line block ×7, first 2 shown]
	v_fmac_f32_e32 v15, v14, v16
	s_add_i32 s96, s96, s4
	v_readlane_b32 s4, v95, 10
	v_fmac_f32_e32 v56, v15, v68
	v_readlane_b32 s5, v95, 11
	v_readlane_b32 s8, v95, 14
	v_fmac_f32_e32 v57, v56, v69
	v_and_b32_e32 v49, 0xffff0000, v4
	v_and_b32_e32 v59, 0xffff0000, v5
	v_lshlrev_b32_e32 v48, 16, v4
	v_lshlrev_b32_e32 v58, 16, v5
	v_and_b32_e32 v5, 0xffff0000, v6
	v_and_b32_e32 v69, 0xffff0000, v7
	v_lshlrev_b32_e32 v4, 16, v6
	v_lshlrev_b32_e32 v68, 16, v7
	;; [unrolled: 4-line block ×4, first 2 shown]
	s_add_i32 s90, s90, 8
	s_add_i32 s33, s33, -1
	s_add_i32 s86, s86, s87
	s_add_i32 s98, s98, s8
	;; [unrolled: 1-line block ×3, first 2 shown]
	v_pk_fma_f32 v[40:41], v[10:11], v[58:59], v[40:41]
	v_pk_fma_f32 v[42:43], v[8:9], v[48:49], v[42:43]
	;; [unrolled: 1-line block ×7, first 2 shown]
	s_cmp_eq_u32 s33, 0
	v_pk_fma_f32 v[30:31], v[14:15], v[0:1], v[30:31]
	v_readlane_b32 s6, v95, 12
	v_readlane_b32 s7, v95, 13
	;; [unrolled: 1-line block ×5, first 2 shown]
	s_cbranch_scc1 .LBB53_199
.LBB53_110:                             ;   Parent Loop BB53_13 Depth=1
                                        ; =>  This Inner Loop Header: Depth=2
	s_lshl_b64 s[92:93], s[88:89], 2
	v_readlane_b32 s0, v95, 6
	s_add_u32 s92, s0, s92
	v_readlane_b32 s0, v95, 7
	s_addc_u32 s93, s0, s93
	global_load_dword v50, v17, s[92:93]
	s_mov_b32 s99, s89
	v_lshl_add_u64 v[0:1], s[98:99], 1, v[44:45]
	v_mov_b32_e32 v2, 0
	v_mov_b32_e32 v3, 0
	s_and_saveexec_b64 s[92:93], s[18:19]
	s_cbranch_execz .LBB53_112
; %bb.111:                              ;   in Loop: Header=BB53_110 Depth=2
	global_load_ushort v3, v[0:1], off
.LBB53_112:                             ;   in Loop: Header=BB53_110 Depth=2
	s_or_b64 exec, exec, s[92:93]
	s_and_saveexec_b64 s[92:93], s[20:21]
	s_cbranch_execz .LBB53_114
; %bb.113:                              ;   in Loop: Header=BB53_110 Depth=2
	global_load_ushort v2, v[0:1], off offset:128
.LBB53_114:                             ;   in Loop: Header=BB53_110 Depth=2
	s_or_b64 exec, exec, s[92:93]
	v_mov_b32_e32 v4, 0
	v_mov_b32_e32 v5, 0
	s_and_saveexec_b64 s[92:93], s[22:23]
	s_cbranch_execz .LBB53_116
; %bb.115:                              ;   in Loop: Header=BB53_110 Depth=2
	global_load_ushort v5, v[0:1], off offset:256
.LBB53_116:                             ;   in Loop: Header=BB53_110 Depth=2
	s_or_b64 exec, exec, s[92:93]
	s_and_saveexec_b64 s[92:93], s[24:25]
	s_cbranch_execz .LBB53_118
; %bb.117:                              ;   in Loop: Header=BB53_110 Depth=2
	global_load_ushort v4, v[0:1], off offset:384
.LBB53_118:                             ;   in Loop: Header=BB53_110 Depth=2
	s_or_b64 exec, exec, s[92:93]
	v_mov_b32_e32 v6, 0
	v_mov_b32_e32 v7, 0
	s_and_saveexec_b64 s[92:93], s[26:27]
	s_cbranch_execz .LBB53_120
; %bb.119:                              ;   in Loop: Header=BB53_110 Depth=2
	global_load_ushort v7, v[0:1], off offset:512
.LBB53_120:                             ;   in Loop: Header=BB53_110 Depth=2
	;; [unrolled: 14-line block ×7, first 2 shown]
	s_or_b64 exec, exec, s[92:93]
	s_and_saveexec_b64 s[92:93], s[50:51]
	s_cbranch_execz .LBB53_142
; %bb.141:                              ;   in Loop: Header=BB53_110 Depth=2
	global_load_ushort v16, v[0:1], off offset:1920
.LBB53_142:                             ;   in Loop: Header=BB53_110 Depth=2
	s_or_b64 exec, exec, s[92:93]
	scratch_load_dword v0, off, off         ; 4-byte Folded Reload
	s_mov_b32 s97, s89
	s_waitcnt vmcnt(0)
	ds_write_b16 v0, v3
	scratch_load_dword v0, off, off offset:8 ; 4-byte Folded Reload
	v_mov_b32_e32 v3, 0
	s_waitcnt vmcnt(0)
	ds_write_b16 v0, v2 offset:128
	scratch_load_dword v0, off, off offset:12 ; 4-byte Folded Reload
	v_mov_b32_e32 v2, 0
	s_waitcnt vmcnt(0)
	ds_write_b16 v0, v5 offset:256
	scratch_load_dword v0, off, off offset:16 ; 4-byte Folded Reload
	s_waitcnt vmcnt(0)
	ds_write_b16 v0, v4 offset:384
	scratch_load_dword v0, off, off offset:20 ; 4-byte Folded Reload
	;; [unrolled: 3-line block ×13, first 2 shown]
	s_waitcnt vmcnt(0)
	ds_write_b16 v0, v16 offset:1920
	; wave barrier
	scratch_load_dword v0, off, off offset:4 ; 4-byte Folded Reload
	s_waitcnt vmcnt(0)
	ds_read_b128 v[12:15], v0
	ds_read_b128 v[8:11], v0 offset:16
	v_lshl_add_u64 v[0:1], s[96:97], 1, v[46:47]
	s_and_saveexec_b64 s[92:93], s[18:19]
	s_cbranch_execz .LBB53_144
; %bb.143:                              ;   in Loop: Header=BB53_110 Depth=2
	global_load_ushort v3, v[0:1], off
.LBB53_144:                             ;   in Loop: Header=BB53_110 Depth=2
	s_or_b64 exec, exec, s[92:93]
	s_and_saveexec_b64 s[92:93], s[20:21]
	s_cbranch_execz .LBB53_146
; %bb.145:                              ;   in Loop: Header=BB53_110 Depth=2
	global_load_ushort v2, v[0:1], off offset:128
.LBB53_146:                             ;   in Loop: Header=BB53_110 Depth=2
	s_or_b64 exec, exec, s[92:93]
	v_mov_b32_e32 v4, 0
	v_mov_b32_e32 v5, 0
	s_and_saveexec_b64 s[92:93], s[22:23]
	s_cbranch_execz .LBB53_148
; %bb.147:                              ;   in Loop: Header=BB53_110 Depth=2
	global_load_ushort v5, v[0:1], off offset:256
.LBB53_148:                             ;   in Loop: Header=BB53_110 Depth=2
	s_or_b64 exec, exec, s[92:93]
	s_and_saveexec_b64 s[92:93], s[24:25]
	s_cbranch_execz .LBB53_150
; %bb.149:                              ;   in Loop: Header=BB53_110 Depth=2
	global_load_ushort v4, v[0:1], off offset:384
.LBB53_150:                             ;   in Loop: Header=BB53_110 Depth=2
	s_or_b64 exec, exec, s[92:93]
	v_mov_b32_e32 v6, 0
	v_mov_b32_e32 v7, 0
	s_and_saveexec_b64 s[92:93], s[26:27]
	s_cbranch_execz .LBB53_152
; %bb.151:                              ;   in Loop: Header=BB53_110 Depth=2
	global_load_ushort v7, v[0:1], off offset:512
.LBB53_152:                             ;   in Loop: Header=BB53_110 Depth=2
	;; [unrolled: 14-line block ×7, first 2 shown]
	s_or_b64 exec, exec, s[92:93]
	s_and_saveexec_b64 s[92:93], s[50:51]
	s_cbranch_execz .LBB53_174
; %bb.173:                              ;   in Loop: Header=BB53_110 Depth=2
	global_load_ushort v54, v[0:1], off offset:1920
.LBB53_174:                             ;   in Loop: Header=BB53_110 Depth=2
	s_or_b64 exec, exec, s[92:93]
	scratch_load_dword v0, off, off         ; 4-byte Folded Reload
	s_andn2_b64 vcc, exec, s[2:3]
	s_waitcnt vmcnt(0)
	ds_write_b16 v0, v3 offset:2112
	scratch_load_dword v0, off, off offset:96 ; 4-byte Folded Reload
	s_waitcnt vmcnt(0)
	ds_write_b16 v0, v2 offset:128
	scratch_load_dword v0, off, off offset:100 ; 4-byte Folded Reload
	s_waitcnt vmcnt(0)
	ds_write_b16 v0, v5 offset:256
	scratch_load_dword v0, off, off offset:104 ; 4-byte Folded Reload
	s_waitcnt vmcnt(0)
	ds_write_b16 v0, v4 offset:384
	scratch_load_dword v0, off, off offset:108 ; 4-byte Folded Reload
	s_waitcnt vmcnt(0)
	ds_write_b16 v0, v7 offset:512
	scratch_load_dword v0, off, off offset:112 ; 4-byte Folded Reload
	s_waitcnt vmcnt(0)
	ds_write_b16 v0, v6 offset:640
	scratch_load_dword v0, off, off offset:116 ; 4-byte Folded Reload
	s_waitcnt vmcnt(0)
	ds_write_b16 v0, v22 offset:768
	scratch_load_dword v0, off, off offset:120 ; 4-byte Folded Reload
	s_waitcnt vmcnt(0)
	ds_write_b16 v0, v16 offset:896
	scratch_load_dword v0, off, off offset:124 ; 4-byte Folded Reload
	s_waitcnt vmcnt(0)
	ds_write_b16 v0, v48 offset:1024
	scratch_load_dword v0, off, off offset:128 ; 4-byte Folded Reload
	s_waitcnt vmcnt(0)
	ds_write_b16 v0, v26 offset:1152
	scratch_load_dword v0, off, off offset:132 ; 4-byte Folded Reload
	s_waitcnt vmcnt(0)
	ds_write_b16 v0, v51 offset:1280
	scratch_load_dword v0, off, off offset:136 ; 4-byte Folded Reload
	s_waitcnt vmcnt(0)
	ds_write_b16 v0, v49 offset:1408
	scratch_load_dword v0, off, off offset:140 ; 4-byte Folded Reload
	s_waitcnt vmcnt(0)
	ds_write_b16 v0, v53 offset:1536
	scratch_load_dword v0, off, off offset:144 ; 4-byte Folded Reload
	s_waitcnt vmcnt(0)
	ds_write_b16 v0, v52 offset:1664
	scratch_load_dword v0, off, off offset:148 ; 4-byte Folded Reload
	s_waitcnt vmcnt(0)
	ds_write_b16 v0, v55 offset:1792
	scratch_load_dword v0, off, off offset:152 ; 4-byte Folded Reload
	s_waitcnt vmcnt(0)
	ds_write_b16 v0, v54 offset:1920
	; wave barrier
	scratch_load_dword v0, off, off offset:4 ; 4-byte Folded Reload
	s_waitcnt vmcnt(0)
	ds_read_b128 v[4:7], v0 offset:2112
	scratch_load_dword v0, off, off offset:156 ; 4-byte Folded Reload
	s_waitcnt vmcnt(0)
	ds_read_b128 v[0:3], v0 offset:16
	s_cbranch_vccnz .LBB53_176
; %bb.175:                              ;   in Loop: Header=BB53_110 Depth=2
	v_mov_b32_e32 v16, s90
	ds_read_b64 v[48:49], v16
	s_cbranch_execz .LBB53_177
	s_branch .LBB53_180
.LBB53_176:                             ;   in Loop: Header=BB53_110 Depth=2
                                        ; implicit-def: $vgpr49
.LBB53_177:                             ;   in Loop: Header=BB53_110 Depth=2
	v_readlane_b32 s0, v95, 0
	v_readlane_b32 s1, v95, 1
	s_andn2_b64 vcc, exec, s[0:1]
	s_waitcnt lgkmcnt(0)
	v_mov_b32_e32 v49, 0
	s_cbranch_vccnz .LBB53_179
; %bb.178:                              ;   in Loop: Header=BB53_110 Depth=2
	s_mov_b32 s87, s89
	s_lshl_b64 s[92:93], s[86:87], 2
	v_readlane_b32 s0, v95, 20
	s_add_u32 s92, s0, s92
	v_readlane_b32 s0, v95, 21
	s_addc_u32 s93, s0, s93
	global_load_dword v49, v17, s[92:93]
	v_readlane_b32 s87, v95, 49
.LBB53_179:                             ;   in Loop: Header=BB53_110 Depth=2
	v_mov_b32_e32 v48, 1.0
.LBB53_180:                             ;   in Loop: Header=BB53_110 Depth=2
	v_mul_f32_e32 v56, 0x3fb8aa3b, v50
	s_waitcnt lgkmcnt(14)
	v_lshlrev_b32_e32 v52, 16, v8
	v_and_b32_e32 v53, 0xffff0000, v8
	v_mul_f32_e32 v8, v56, v23
	v_cmp_gt_f32_e32 vcc, s91, v8
	v_lshlrev_b32_e32 v58, 16, v10
	v_and_b32_e32 v59, 0xffff0000, v10
	v_cndmask_b32_e32 v8, 0, v20, vcc
	v_mul_f32_e32 v10, v56, v24
	v_lshlrev_b32_e32 v54, 16, v9
	v_and_b32_e32 v55, 0xffff0000, v9
	v_fmac_f32_e32 v8, v56, v23
	v_cndmask_b32_e32 v9, 1.0, v21, vcc
	v_cmp_gt_f32_e32 vcc, s91, v10
	v_exp_f32_e32 v8, v8
	v_lshlrev_b32_e32 v68, 16, v11
	v_cndmask_b32_e32 v10, 0, v20, vcc
	v_fmac_f32_e32 v10, v56, v24
	v_exp_f32_e32 v10, v10
	v_and_b32_e32 v57, 0xffff0000, v11
	v_mul_f32_e32 v9, v8, v9
	v_mul_f32_e32 v11, v56, v25
	v_lshlrev_b32_e32 v16, 16, v12
	v_and_b32_e32 v12, 0xffff0000, v12
	v_cndmask_b32_e64 v84, 1.0, v9, s[52:53]
	v_cndmask_b32_e32 v9, 1.0, v21, vcc
	v_cmp_gt_f32_e32 vcc, s91, v11
	v_mul_f32_e32 v10, v10, v9
	v_mul_f32_e32 v9, v82, v12
	v_cndmask_b32_e32 v11, 0, v20, vcc
	v_mul_f32_e32 v12, v56, v18
	v_fmac_f32_e32 v11, v56, v25
	v_cndmask_b32_e64 v85, 1.0, v10, s[54:55]
	v_cndmask_b32_e32 v10, 1.0, v21, vcc
	v_cmp_gt_f32_e32 vcc, s91, v12
	v_exp_f32_e32 v11, v11
	v_lshlrev_b32_e32 v22, 16, v13
	v_cndmask_b32_e32 v12, 0, v20, vcc
	v_fmac_f32_e32 v12, v56, v18
	v_exp_f32_e32 v12, v12
	v_mul_f32_e32 v11, v11, v10
	v_and_b32_e32 v13, 0xffff0000, v13
	v_cndmask_b32_e64 v86, 1.0, v11, s[56:57]
	v_cndmask_b32_e32 v11, 1.0, v21, vcc
	v_mul_f32_e32 v12, v12, v11
	v_mul_f32_e32 v11, v80, v13
	;; [unrolled: 1-line block ×3, first 2 shown]
	v_cmp_gt_f32_e32 vcc, s91, v13
	v_mul_f32_e32 v8, v83, v16
	v_mul_f32_e32 v16, v56, v92
	v_cndmask_b32_e32 v13, 0, v20, vcc
	v_fmac_f32_e32 v13, v56, v74
	v_cndmask_b32_e64 v87, 1.0, v12, s[58:59]
	v_cndmask_b32_e32 v12, 1.0, v21, vcc
	v_cmp_gt_f32_e32 vcc, s91, v16
	v_exp_f32_e32 v13, v13
	v_lshlrev_b32_e32 v26, 16, v14
	v_cndmask_b32_e32 v16, 0, v20, vcc
	v_fmac_f32_e32 v16, v56, v92
	v_exp_f32_e32 v16, v16
	v_mul_f32_e32 v13, v13, v12
	v_and_b32_e32 v14, 0xffff0000, v14
	v_cndmask_b32_e64 v88, 1.0, v13, s[60:61]
	v_cndmask_b32_e32 v13, 1.0, v21, vcc
	v_mul_f32_e32 v16, v16, v13
	v_mul_f32_e32 v13, v78, v14
	;; [unrolled: 1-line block ×3, first 2 shown]
	v_cmp_gt_f32_e32 vcc, s91, v14
	v_lshlrev_b32_e32 v51, 16, v15
	v_and_b32_e32 v15, 0xffff0000, v15
	v_cndmask_b32_e32 v14, 0, v20, vcc
	v_fmac_f32_e32 v14, v56, v93
	v_exp_f32_e32 v14, v14
	v_cndmask_b32_e64 v89, 1.0, v16, s[62:63]
	v_cndmask_b32_e32 v16, 1.0, v21, vcc
	v_mul_f32_e32 v15, v76, v15
	v_mul_f32_e32 v14, v14, v16
	;; [unrolled: 1-line block ×3, first 2 shown]
	v_cndmask_b32_e64 v51, 0, v15, s[66:67]
	v_mul_f32_e32 v15, v19, v52
	v_cndmask_b32_e64 v52, 0, v15, s[68:69]
	scratch_load_dword v15, off, off offset:92 ; 4-byte Folded Reload
	v_mul_f32_e32 v10, v81, v22
	v_mul_f32_e32 v22, v56, v94
	v_cmp_gt_f32_e32 vcc, s91, v22
	v_cndmask_b32_e64 v50, 0, v16, s[64:65]
	v_mul_f32_e32 v16, v56, v60
	v_cndmask_b32_e32 v22, 0, v20, vcc
	v_fmac_f32_e32 v22, v56, v94
	v_cndmask_b32_e64 v90, 1.0, v14, s[64:65]
	v_cndmask_b32_e32 v14, 1.0, v21, vcc
	v_cmp_gt_f32_e32 vcc, s91, v16
	v_exp_f32_e32 v22, v22
	v_mul_f32_e32 v12, v79, v26
	v_cndmask_b32_e32 v16, 0, v20, vcc
	v_fmac_f32_e32 v16, v56, v60
	v_exp_f32_e32 v16, v16
	v_mul_f32_e32 v14, v22, v14
	v_cndmask_b32_e64 v22, 1.0, v14, s[66:67]
	v_cndmask_b32_e32 v14, 1.0, v21, vcc
	v_mul_f32_e32 v14, v16, v14
	v_mul_f32_e32 v16, v56, v61
	v_cmp_gt_f32_e32 vcc, s91, v16
	v_cndmask_b32_e64 v73, 1.0, v14, s[68:69]
	v_cndmask_b32_e64 v8, 0, v8, s[52:53]
	v_cndmask_b32_e32 v16, 0, v20, vcc
	v_fmac_f32_e32 v16, v56, v61
	v_exp_f32_e32 v16, v16
	v_cndmask_b32_e32 v14, 1.0, v21, vcc
	v_cndmask_b32_e64 v9, 0, v9, s[54:55]
	v_cndmask_b32_e64 v10, 0, v10, s[56:57]
	v_mul_f32_e32 v14, v16, v14
	v_mul_f32_e32 v16, v56, v62
	v_cmp_gt_f32_e32 vcc, s91, v16
	v_cndmask_b32_e64 v75, 1.0, v14, s[70:71]
	v_cndmask_b32_e64 v11, 0, v11, s[58:59]
	v_cndmask_b32_e32 v16, 0, v20, vcc
	v_fmac_f32_e32 v16, v56, v62
	v_exp_f32_e32 v16, v16
	v_cndmask_b32_e32 v14, 1.0, v21, vcc
	v_cndmask_b32_e64 v12, 0, v12, s[60:61]
	v_cndmask_b32_e64 v13, 0, v13, s[62:63]
	v_mul_f32_e32 v14, v16, v14
	v_mul_f32_e32 v16, v56, v63
	v_cmp_gt_f32_e32 vcc, s91, v16
	v_cndmask_b32_e64 v26, 1.0, v14, s[72:73]
	v_readlane_b32 s0, v95, 28
	v_cndmask_b32_e32 v16, 0, v20, vcc
	v_fmac_f32_e32 v16, v56, v63
	v_exp_f32_e32 v16, v16
	v_cndmask_b32_e32 v14, 1.0, v21, vcc
	v_readlane_b32 s1, v95, 29
	v_mul_f32_e32 v14, v16, v14
	v_mul_f32_e32 v16, v56, v64
	v_cmp_gt_f32_e32 vcc, s91, v16
	v_cndmask_b32_e64 v91, 1.0, v14, s[74:75]
	s_waitcnt vmcnt(0)
	v_mul_f32_e32 v15, v15, v53
	v_cndmask_b32_e64 v53, 0, v15, s[70:71]
	scratch_load_dword v15, off, off offset:88 ; 4-byte Folded Reload
	v_cndmask_b32_e32 v16, 0, v20, vcc
	v_fmac_f32_e32 v16, v56, v64
	v_exp_f32_e32 v16, v16
	v_cndmask_b32_e32 v14, 1.0, v21, vcc
	s_waitcnt vmcnt(0)
	v_mul_f32_e32 v15, v15, v54
	v_cndmask_b32_e64 v54, 0, v15, s[72:73]
	scratch_load_dword v15, off, off offset:84 ; 4-byte Folded Reload
	s_waitcnt vmcnt(0)
	v_mul_f32_e32 v15, v15, v55
	v_cndmask_b32_e64 v55, 0, v15, s[74:75]
	v_mul_f32_e32 v15, v16, v14
	v_mul_f32_e32 v16, v56, v65
	scratch_load_dword v14, off, off offset:80 ; 4-byte Folded Reload
	v_cmp_gt_f32_e32 vcc, s91, v16
	v_cndmask_b32_e64 v67, 1.0, v15, s[76:77]
	s_nop 0
	v_cndmask_b32_e32 v16, 0, v20, vcc
	v_fmac_f32_e32 v16, v56, v65
	v_exp_f32_e32 v16, v16
	v_cndmask_b32_e32 v15, 1.0, v21, vcc
	v_mul_f32_e32 v16, v16, v15
	scratch_load_dword v15, off, off offset:76 ; 4-byte Folded Reload
	v_cndmask_b32_e64 v16, 1.0, v16, s[78:79]
	s_waitcnt vmcnt(1)
	v_mul_f32_e32 v14, v14, v58
	v_mul_f32_e32 v58, v56, v66
	v_cmp_gt_f32_e32 vcc, s91, v58
	v_cndmask_b32_e64 v14, 0, v14, s[76:77]
	s_waitcnt vmcnt(0)
	v_mul_f32_e32 v15, v15, v59
	v_cndmask_b32_e32 v58, 0, v20, vcc
	v_fmac_f32_e32 v58, v56, v66
	v_exp_f32_e32 v58, v58
	v_cndmask_b32_e32 v59, 1.0, v21, vcc
	v_cndmask_b32_e64 v15, 0, v15, s[78:79]
	v_mul_f32_e32 v58, v58, v59
	scratch_load_dword v59, off, off offset:72 ; 4-byte Folded Reload
	s_waitcnt vmcnt(0)
	v_mul_f32_e32 v59, v59, v68
	v_mul_f32_e32 v68, v56, v27
	v_cmp_gt_f32_e32 vcc, s91, v68
	s_nop 1
	v_cndmask_b32_e32 v68, 0, v20, vcc
	v_fmac_f32_e32 v68, v56, v27
	v_cndmask_b32_e64 v56, 0, v59, s[80:81]
	scratch_load_dword v59, off, off offset:68 ; 4-byte Folded Reload
	v_exp_f32_e32 v69, v68
	v_cndmask_b32_e64 v68, 1.0, v58, s[80:81]
	v_cndmask_b32_e32 v58, 1.0, v21, vcc
	v_mul_f32_e32 v58, v69, v58
	v_cndmask_b32_e64 v69, 1.0, v58, s[82:83]
	v_mul_f32_e32 v58, v85, v84
	v_mul_f32_e32 v58, v58, v86
	v_mul_f32_e32 v58, v58, v87
	v_mul_f32_e32 v58, v58, v88
	v_mul_f32_e32 v58, v58, v89
	v_mul_f32_e32 v58, v58, v90
	v_mul_f32_e32 v58, v58, v22
	v_mul_f32_e32 v58, v58, v73
	v_mul_f32_e32 v58, v58, v75
	v_mul_f32_e32 v58, v58, v26
	v_mul_f32_e32 v58, v58, v91
	v_mul_f32_e32 v58, v58, v67
	v_mul_f32_e32 v58, v58, v16
	v_mul_f32_e32 v58, v58, v68
	v_mul_f32_e32 v58, v58, v69
	s_waitcnt vmcnt(0)
	v_mul_f32_e32 v57, v59, v57
	v_fma_f32 v59, v85, v8, v9
	v_fma_f32 v59, v59, v86, v10
	;; [unrolled: 1-line block ×13, first 2 shown]
	v_cndmask_b32_e64 v57, 0, v57, s[82:83]
	v_fma_f32 v59, v59, v68, v56
	v_fma_f32 v72, v59, v69, v57
	v_mov_b32_dpp v71, v58 row_shr:1 row_mask:0xf bank_mask:0xf
	s_nop 0
	v_mov_b32_dpp v70, v72 row_shr:1 row_mask:0xf bank_mask:0xf
	s_and_saveexec_b64 s[92:93], s[0:1]
; %bb.181:                              ;   in Loop: Header=BB53_110 Depth=2
	v_mul_f32_e32 v71, v58, v71
	v_fmac_f32_e32 v72, v58, v70
	v_mov_b32_e32 v58, v71
; %bb.182:                              ;   in Loop: Header=BB53_110 Depth=2
	s_or_b64 exec, exec, s[92:93]
	v_readlane_b32 s0, v95, 32
	v_mov_b32_dpp v70, v58 row_shr:2 row_mask:0xf bank_mask:0xf
	v_mov_b32_dpp v71, v72 row_shr:2 row_mask:0xf bank_mask:0xf
	v_readlane_b32 s1, v95, 33
	s_and_saveexec_b64 s[92:93], s[0:1]
; %bb.183:                              ;   in Loop: Header=BB53_110 Depth=2
	v_fmac_f32_e32 v72, v58, v71
	v_mul_f32_e32 v58, v58, v70
; %bb.184:                              ;   in Loop: Header=BB53_110 Depth=2
	s_or_b64 exec, exec, s[92:93]
	s_nop 0
	v_mov_b32_dpp v70, v58 row_shr:4 row_mask:0xf bank_mask:0xf
	v_mov_b32_dpp v71, v72 row_shr:4 row_mask:0xf bank_mask:0xf
	s_and_saveexec_b64 s[92:93], s[84:85]
; %bb.185:                              ;   in Loop: Header=BB53_110 Depth=2
	v_fmac_f32_e32 v72, v58, v71
	v_mul_f32_e32 v58, v58, v70
; %bb.186:                              ;   in Loop: Header=BB53_110 Depth=2
	s_or_b64 exec, exec, s[92:93]
	v_readlane_b32 s0, v95, 34
	v_mov_b32_dpp v70, v58 row_shr:8 row_mask:0xf bank_mask:0xf
	v_mov_b32_dpp v71, v72 row_shr:8 row_mask:0xf bank_mask:0xf
	v_readlane_b32 s1, v95, 35
	s_and_saveexec_b64 s[92:93], s[0:1]
; %bb.187:                              ;   in Loop: Header=BB53_110 Depth=2
	v_fmac_f32_e32 v72, v58, v71
	v_mul_f32_e32 v58, v58, v70
; %bb.188:                              ;   in Loop: Header=BB53_110 Depth=2
	s_or_b64 exec, exec, s[92:93]
	v_readlane_b32 s0, v95, 36
	v_mov_b32_dpp v70, v58 row_bcast:15 row_mask:0xf bank_mask:0xf
	v_mov_b32_dpp v71, v72 row_bcast:15 row_mask:0xf bank_mask:0xf
	v_readlane_b32 s1, v95, 37
	s_and_saveexec_b64 s[92:93], s[0:1]
; %bb.189:                              ;   in Loop: Header=BB53_110 Depth=2
	v_fmac_f32_e32 v72, v58, v71
	v_mul_f32_e32 v58, v58, v70
; %bb.190:                              ;   in Loop: Header=BB53_110 Depth=2
	s_or_b64 exec, exec, s[92:93]
	s_nop 0
	v_mov_b32_dpp v70, v58 row_bcast:31 row_mask:0xf bank_mask:0xf
	v_mov_b32_dpp v71, v72 row_bcast:31 row_mask:0xf bank_mask:0xf
	v_mov_b32_e32 v59, v72
	v_mul_f32_e32 v70, v58, v70
	v_fmac_f32_e32 v59, v58, v71
	v_readlane_b32 s0, v95, 38
	v_cndmask_b32_e64 v58, v58, v70, s[12:13]
	v_cndmask_b32_e64 v59, v72, v59, s[12:13]
	v_readlane_b32 s1, v95, 39
	s_and_saveexec_b64 s[92:93], s[0:1]
	s_cbranch_execz .LBB53_192
; %bb.191:                              ;   in Loop: Header=BB53_110 Depth=2
	ds_write_b64 v17, v[58:59] offset:4224
.LBB53_192:                             ;   in Loop: Header=BB53_110 Depth=2
	s_or_b64 exec, exec, s[92:93]
	scratch_load_dword v71, off, off offset:160 ; 4-byte Folded Reload
	s_waitcnt lgkmcnt(0)
	; wave barrier
	s_waitcnt vmcnt(0) lgkmcnt(0)
	ds_bpermute_b32 v70, v71, v58
	ds_bpermute_b32 v71, v71, v59
	v_mov_b32_e32 v59, v49
	s_and_saveexec_b64 s[92:93], s[14:15]
	s_cbranch_execz .LBB53_196
; %bb.193:                              ;   in Loop: Header=BB53_110 Depth=2
	ds_read_b64 v[58:59], v17 offset:4224
	s_and_saveexec_b64 vcc, s[16:17]
	s_cbranch_execz .LBB53_195
; %bb.194:                              ;   in Loop: Header=BB53_110 Depth=2
	ds_write_b64 v17, v[48:49] offset:4224
.LBB53_195:                             ;   in Loop: Header=BB53_110 Depth=2
	s_or_b64 exec, exec, vcc
	s_waitcnt lgkmcnt(0)
	v_fmac_f32_e32 v59, v49, v58
	v_mul_f32_e32 v48, v48, v58
	v_mov_b32_e32 v49, v59
.LBB53_196:                             ;   in Loop: Header=BB53_110 Depth=2
	s_or_b64 exec, exec, s[92:93]
	s_waitcnt lgkmcnt(0)
	; wave barrier
	s_waitcnt lgkmcnt(0)
	ds_read_b32 v58, v17 offset:4228
	s_and_saveexec_b64 s[92:93], s[16:17]
	s_cbranch_execz .LBB53_109
; %bb.197:                              ;   in Loop: Header=BB53_110 Depth=2
	v_mov_b32_e32 v72, s90
	s_andn2_b64 vcc, exec, s[94:95]
	ds_write_b64 v72, v[48:49]
	s_cbranch_vccnz .LBB53_109
; %bb.198:                              ;   in Loop: Header=BB53_110 Depth=2
	s_mov_b32 s87, s89
	s_lshl_b64 s[0:1], s[86:87], 2
	v_readlane_b32 s4, v95, 20
	s_add_u32 s0, s4, s0
	v_readlane_b32 s4, v95, 21
	v_readlane_b32 s87, v95, 49
	s_addc_u32 s1, s4, s1
	global_store_dword v17, v59, s[0:1]
	s_branch .LBB53_109
.LBB53_199:                             ;   in Loop: Header=BB53_13 Depth=1
	v_readlane_b32 s6, v95, 50
	v_readlane_b32 s7, v95, 51
	s_mov_b32 s4, 0x41a00000
	s_mov_b32 s5, 0x3fb8aa3b
	;; [unrolled: 1-line block ×8, first 2 shown]
.LBB53_200:                             ;   in Loop: Header=BB53_13 Depth=1
	s_waitcnt lgkmcnt(0)
	; wave barrier
	scratch_load_dword v9, off, off offset:4 ; 4-byte Folded Reload
	v_bfe_u32 v0, v42, 16, 1
	s_movk_i32 s0, 0x7fff
	v_bfe_u32 v1, v43, 16, 1
	v_add3_u32 v0, v42, v0, s0
	v_bfe_u32 v2, v40, 16, 1
	v_add3_u32 v1, v43, v1, s0
	v_lshrrev_b32_e32 v0, 16, v0
	v_cmp_o_f32_e32 vcc, v42, v42
	v_mov_b32_e32 v10, 0x7fc0
	v_bfe_u32 v3, v41, 16, 1
	v_add3_u32 v2, v40, v2, s0
	v_lshrrev_b32_e32 v1, 16, v1
	v_cndmask_b32_e32 v0, v10, v0, vcc
	v_cmp_o_f32_e32 vcc, v43, v43
	v_add3_u32 v3, v41, v3, s0
	v_lshrrev_b32_e32 v2, 16, v2
	v_cndmask_b32_e32 v4, v10, v1, vcc
	v_cmp_o_f32_e32 vcc, v40, v40
	v_lshrrev_b32_e32 v3, 16, v3
	v_bfe_u32 v6, v36, 16, 1
	v_cndmask_b32_e32 v1, v10, v2, vcc
	v_cmp_o_f32_e32 vcc, v41, v41
	v_bfe_u32 v2, v38, 16, 1
	v_add3_u32 v2, v38, v2, s0
	v_cndmask_b32_e32 v5, v10, v3, vcc
	v_bfe_u32 v3, v39, 16, 1
	v_add3_u32 v3, v39, v3, s0
	v_lshrrev_b32_e32 v2, 16, v2
	v_cmp_o_f32_e32 vcc, v38, v38
	v_bfe_u32 v7, v37, 16, 1
	v_add3_u32 v6, v36, v6, s0
	v_lshrrev_b32_e32 v3, 16, v3
	v_cndmask_b32_e32 v2, v10, v2, vcc
	v_cmp_o_f32_e32 vcc, v39, v39
	v_add3_u32 v7, v37, v7, s0
	v_lshrrev_b32_e32 v6, 16, v6
	v_cndmask_b32_e32 v8, v10, v3, vcc
	v_cmp_o_f32_e32 vcc, v36, v36
	v_lshrrev_b32_e32 v7, 16, v7
	s_mov_b32 s1, 0x5040100
	v_cndmask_b32_e32 v3, v10, v6, vcc
	v_cmp_o_f32_e32 vcc, v37, v37
	v_perm_b32 v2, v8, v2, s1
	v_perm_b32 v1, v5, v1, s1
	v_cndmask_b32_e32 v6, v10, v7, vcc
	v_perm_b32 v3, v6, v3, s1
	v_perm_b32 v0, v4, v0, s1
	v_cmp_o_f32_e32 vcc, v34, v34
	v_bfe_u32 v6, v28, 16, 1
	v_bfe_u32 v7, v29, 16, 1
	v_add3_u32 v6, v28, v6, s0
	v_add3_u32 v7, v29, v7, s0
	v_lshrrev_b32_e32 v6, 16, v6
	v_lshrrev_b32_e32 v7, 16, v7
	v_readlane_b32 s2, v95, 53
	v_readlane_b32 s3, v95, 54
	s_mov_b32 s3, s89
	s_mov_b64 s[56:57], s[2:3]
	s_waitcnt vmcnt(0)
	ds_write_b128 v9, v[0:3]
	v_bfe_u32 v0, v34, 16, 1
	v_bfe_u32 v1, v35, 16, 1
	v_add3_u32 v0, v34, v0, s0
	v_bfe_u32 v2, v32, 16, 1
	v_add3_u32 v1, v35, v1, s0
	v_lshrrev_b32_e32 v0, 16, v0
	v_bfe_u32 v3, v33, 16, 1
	v_add3_u32 v2, v32, v2, s0
	v_lshrrev_b32_e32 v1, 16, v1
	v_cndmask_b32_e32 v0, v10, v0, vcc
	v_cmp_o_f32_e32 vcc, v35, v35
	v_add3_u32 v3, v33, v3, s0
	v_lshrrev_b32_e32 v2, 16, v2
	v_cndmask_b32_e32 v4, v10, v1, vcc
	v_cmp_o_f32_e32 vcc, v32, v32
	v_lshrrev_b32_e32 v3, 16, v3
	v_perm_b32 v0, v4, v0, s1
	v_cndmask_b32_e32 v1, v10, v2, vcc
	v_cmp_o_f32_e32 vcc, v33, v33
	v_bfe_u32 v2, v30, 16, 1
	v_add3_u32 v2, v30, v2, s0
	v_cndmask_b32_e32 v5, v10, v3, vcc
	v_bfe_u32 v3, v31, 16, 1
	v_add3_u32 v3, v31, v3, s0
	v_lshrrev_b32_e32 v2, 16, v2
	v_cmp_o_f32_e32 vcc, v30, v30
	v_lshrrev_b32_e32 v3, 16, v3
	v_perm_b32 v1, v5, v1, s1
	v_cndmask_b32_e32 v2, v10, v2, vcc
	v_cmp_o_f32_e32 vcc, v31, v31
	s_nop 1
	v_cndmask_b32_e32 v8, v10, v3, vcc
	v_cmp_o_f32_e32 vcc, v28, v28
	v_perm_b32 v2, v8, v2, s1
	s_nop 0
	v_cndmask_b32_e32 v3, v10, v6, vcc
	v_cmp_o_f32_e32 vcc, v29, v29
	s_nop 1
	v_cndmask_b32_e32 v6, v10, v7, vcc
	v_perm_b32 v3, v6, v3, s1
	ds_write_b128 v9, v[0:3] offset:16
	; wave barrier
	scratch_load_dword v0, off, off offset:8 ; 4-byte Folded Reload
	s_waitcnt vmcnt(0)
	ds_read_u16 v16, v0 offset:128
	scratch_load_dword v0, off, off offset:12 ; 4-byte Folded Reload
	s_waitcnt vmcnt(0)
	ds_read_u16 v15, v0 offset:256
	;; [unrolled: 3-line block ×15, first 2 shown]
	scratch_load_dwordx2 v[0:1], off, off offset:240 ; 8-byte Folded Reload
	s_waitcnt vmcnt(0)
	v_lshl_add_u64 v[0:1], s[2:3], 1, v[0:1]
	s_and_saveexec_b64 s[2:3], s[18:19]
	s_cbranch_execnz .LBB53_269
; %bb.201:                              ;   in Loop: Header=BB53_13 Depth=1
	s_or_b64 exec, exec, s[2:3]
	s_and_saveexec_b64 s[2:3], s[20:21]
	s_cbranch_execnz .LBB53_270
.LBB53_202:                             ;   in Loop: Header=BB53_13 Depth=1
	s_or_b64 exec, exec, s[2:3]
	s_and_saveexec_b64 s[2:3], s[22:23]
	s_cbranch_execnz .LBB53_271
.LBB53_203:                             ;   in Loop: Header=BB53_13 Depth=1
	s_or_b64 exec, exec, s[2:3]
	s_and_saveexec_b64 s[2:3], s[24:25]
	s_cbranch_execnz .LBB53_272
.LBB53_204:                             ;   in Loop: Header=BB53_13 Depth=1
	s_or_b64 exec, exec, s[2:3]
	s_and_saveexec_b64 s[2:3], s[26:27]
	s_cbranch_execnz .LBB53_273
.LBB53_205:                             ;   in Loop: Header=BB53_13 Depth=1
	s_or_b64 exec, exec, s[2:3]
	s_and_saveexec_b64 s[2:3], s[28:29]
	s_cbranch_execnz .LBB53_274
.LBB53_206:                             ;   in Loop: Header=BB53_13 Depth=1
	s_or_b64 exec, exec, s[2:3]
	s_and_saveexec_b64 s[2:3], s[30:31]
	s_cbranch_execnz .LBB53_275
.LBB53_207:                             ;   in Loop: Header=BB53_13 Depth=1
	s_or_b64 exec, exec, s[2:3]
	s_and_saveexec_b64 s[2:3], s[34:35]
	s_cbranch_execnz .LBB53_276
.LBB53_208:                             ;   in Loop: Header=BB53_13 Depth=1
	s_or_b64 exec, exec, s[2:3]
	s_and_saveexec_b64 s[2:3], s[36:37]
	s_cbranch_execnz .LBB53_277
.LBB53_209:                             ;   in Loop: Header=BB53_13 Depth=1
	s_or_b64 exec, exec, s[2:3]
	s_and_saveexec_b64 s[2:3], s[38:39]
	s_cbranch_execnz .LBB53_278
.LBB53_210:                             ;   in Loop: Header=BB53_13 Depth=1
	s_or_b64 exec, exec, s[2:3]
	s_and_saveexec_b64 s[2:3], s[40:41]
	s_cbranch_execnz .LBB53_279
.LBB53_211:                             ;   in Loop: Header=BB53_13 Depth=1
	s_or_b64 exec, exec, s[2:3]
	s_and_saveexec_b64 s[2:3], s[42:43]
	s_cbranch_execnz .LBB53_280
.LBB53_212:                             ;   in Loop: Header=BB53_13 Depth=1
	s_or_b64 exec, exec, s[2:3]
	s_and_saveexec_b64 s[2:3], s[44:45]
	s_cbranch_execnz .LBB53_281
.LBB53_213:                             ;   in Loop: Header=BB53_13 Depth=1
	s_or_b64 exec, exec, s[2:3]
	s_and_saveexec_b64 s[2:3], s[46:47]
	s_cbranch_execnz .LBB53_282
.LBB53_214:                             ;   in Loop: Header=BB53_13 Depth=1
	s_or_b64 exec, exec, s[2:3]
	s_and_saveexec_b64 s[2:3], s[48:49]
	s_cbranch_execnz .LBB53_283
.LBB53_215:                             ;   in Loop: Header=BB53_13 Depth=1
	s_or_b64 exec, exec, s[2:3]
	s_and_saveexec_b64 s[2:3], s[50:51]
	s_cbranch_execz .LBB53_217
.LBB53_216:                             ;   in Loop: Header=BB53_13 Depth=1
	s_waitcnt lgkmcnt(0)
	global_store_short v[0:1], v2, off offset:1920
.LBB53_217:                             ;   in Loop: Header=BB53_13 Depth=1
	s_or_b64 exec, exec, s[2:3]
	s_waitcnt lgkmcnt(0)
	; wave barrier
	s_waitcnt lgkmcnt(0)
	scratch_load_dwordx2 v[0:1], off, off offset:248 ; 8-byte Folded Reload
	v_mov_b32_e32 v2, 0
	v_mov_b32_e32 v3, 0
	s_waitcnt vmcnt(0)
	v_lshl_add_u64 v[0:1], s[56:57], 1, v[0:1]
	s_and_saveexec_b64 s[2:3], s[18:19]
	s_cbranch_execz .LBB53_219
; %bb.218:                              ;   in Loop: Header=BB53_13 Depth=1
	global_load_ushort v3, v[0:1], off
.LBB53_219:                             ;   in Loop: Header=BB53_13 Depth=1
	s_or_b64 exec, exec, s[2:3]
	s_and_saveexec_b64 s[2:3], s[20:21]
	s_cbranch_execz .LBB53_221
; %bb.220:                              ;   in Loop: Header=BB53_13 Depth=1
	global_load_ushort v2, v[0:1], off offset:128
.LBB53_221:                             ;   in Loop: Header=BB53_13 Depth=1
	s_or_b64 exec, exec, s[2:3]
	v_mov_b32_e32 v4, 0
	v_mov_b32_e32 v5, 0
	s_and_saveexec_b64 s[2:3], s[22:23]
	s_cbranch_execz .LBB53_223
; %bb.222:                              ;   in Loop: Header=BB53_13 Depth=1
	global_load_ushort v5, v[0:1], off offset:256
.LBB53_223:                             ;   in Loop: Header=BB53_13 Depth=1
	s_or_b64 exec, exec, s[2:3]
	s_and_saveexec_b64 s[2:3], s[24:25]
	s_cbranch_execz .LBB53_225
; %bb.224:                              ;   in Loop: Header=BB53_13 Depth=1
	global_load_ushort v4, v[0:1], off offset:384
.LBB53_225:                             ;   in Loop: Header=BB53_13 Depth=1
	s_or_b64 exec, exec, s[2:3]
	v_mov_b32_e32 v6, 0
	v_mov_b32_e32 v7, 0
	s_and_saveexec_b64 s[2:3], s[26:27]
	s_cbranch_execz .LBB53_227
; %bb.226:                              ;   in Loop: Header=BB53_13 Depth=1
	global_load_ushort v7, v[0:1], off offset:512
.LBB53_227:                             ;   in Loop: Header=BB53_13 Depth=1
	;; [unrolled: 14-line block ×7, first 2 shown]
	s_or_b64 exec, exec, s[2:3]
	s_and_saveexec_b64 s[2:3], s[50:51]
	s_cbranch_execz .LBB53_249
; %bb.248:                              ;   in Loop: Header=BB53_13 Depth=1
	global_load_ushort v16, v[0:1], off offset:1920
.LBB53_249:                             ;   in Loop: Header=BB53_13 Depth=1
	s_or_b64 exec, exec, s[2:3]
	scratch_load_dword v0, off, off         ; 4-byte Folded Reload
	scratch_load_dword v44, off, off offset:8 ; 4-byte Folded Reload
	scratch_load_dword v45, off, off offset:12 ; 4-byte Folded Reload
	;; [unrolled: 1-line block ×15, first 2 shown]
	s_mov_b32 s1, 0xbfb8aa3b
	s_mov_b32 s52, 0x42ce8ed0
	;; [unrolled: 1-line block ×3, first 2 shown]
	v_mov_b32_e32 v26, 0x7f800000
	s_waitcnt vmcnt(15)
	ds_write_b16 v0, v3
	s_waitcnt vmcnt(14)
	ds_write_b16 v44, v2 offset:128
	s_waitcnt vmcnt(13)
	ds_write_b16 v45, v5 offset:256
	;; [unrolled: 2-line block ×15, first 2 shown]
	; wave barrier
	scratch_load_dword v59, off, off offset:4 ; 4-byte Folded Reload
	s_waitcnt vmcnt(0)
	ds_read_b128 v[4:7], v59
	ds_read_b128 v[0:3], v59 offset:16
	s_waitcnt lgkmcnt(0)
	; wave barrier
	s_waitcnt lgkmcnt(0)
	v_and_b32_e32 v13, 0xffff0000, v5
	v_and_b32_e32 v11, 0xffff0000, v4
	v_lshlrev_b32_e32 v10, 16, v4
	v_mul_f32_e32 v4, 0xbfb8aa3b, v13
	v_lshlrev_b32_e32 v12, 16, v5
	v_fma_f32 v5, v13, s1, -v4
	v_rndne_f32_e32 v8, v4
	v_fmac_f32_e32 v5, 0xb2a5705f, v13
	v_sub_f32_e32 v4, v4, v8
	v_add_f32_e32 v4, v4, v5
	v_exp_f32_e32 v4, v4
	v_cvt_i32_f32_e32 v5, v8
	v_cmp_nlt_f32_e32 vcc, s52, v13
	v_ldexp_f32 v4, v4, v5
	s_nop 0
	v_cndmask_b32_e32 v4, 0, v4, vcc
	v_cmp_ngt_f32_e32 vcc, s53, v13
	s_nop 1
	v_cndmask_b32_e32 v9, v26, v4, vcc
	v_mul_f32_e32 v4, 0xbfb8aa3b, v11
	v_fma_f32 v5, v11, s1, -v4
	v_rndne_f32_e32 v8, v4
	v_fmac_f32_e32 v5, 0xb2a5705f, v11
	v_sub_f32_e32 v4, v4, v8
	v_add_f32_e32 v4, v4, v5
	v_exp_f32_e32 v4, v4
	v_cvt_i32_f32_e32 v5, v8
	v_cmp_nlt_f32_e32 vcc, s52, v11
	v_ldexp_f32 v4, v4, v5
	s_nop 0
	v_cndmask_b32_e32 v4, 0, v4, vcc
	v_cmp_ngt_f32_e32 vcc, s53, v11
	s_nop 1
	v_cndmask_b32_e32 v5, v26, v4, vcc
	v_mul_f32_e32 v4, 0xbfb8aa3b, v12
	v_rndne_f32_e32 v8, v4
	v_sub_f32_e32 v14, v4, v8
	v_fma_f32 v4, v12, s1, -v4
	v_fmac_f32_e32 v4, 0xb2a5705f, v12
	v_add_f32_e32 v4, v14, v4
	v_exp_f32_e32 v4, v4
	v_cvt_i32_f32_e32 v8, v8
	v_cmp_nlt_f32_e32 vcc, s52, v12
	v_ldexp_f32 v4, v4, v8
	s_nop 0
	v_cndmask_b32_e32 v4, 0, v4, vcc
	v_cmp_ngt_f32_e32 vcc, s53, v12
	s_nop 1
	v_cndmask_b32_e32 v8, v26, v4, vcc
	v_mul_f32_e32 v4, 0xbfb8aa3b, v10
	v_rndne_f32_e32 v14, v4
	v_sub_f32_e32 v15, v4, v14
	v_fma_f32 v4, v10, s1, -v4
	v_fmac_f32_e32 v4, 0xb2a5705f, v10
	v_add_f32_e32 v4, v15, v4
	v_exp_f32_e32 v4, v4
	v_cvt_i32_f32_e32 v14, v14
	v_pk_add_f32 v[8:9], v[8:9], 1.0 op_sel_hi:[1,0]
	v_cmp_nlt_f32_e32 vcc, s52, v10
	v_ldexp_f32 v4, v4, v14
	v_div_scale_f32 v14, s[2:3], v9, v9, v13
	v_rcp_f32_e32 v15, v14
	v_cndmask_b32_e32 v4, 0, v4, vcc
	v_cmp_ngt_f32_e32 vcc, s53, v10
	v_fma_f32 v16, -v14, v15, 1.0
	s_nop 0
	v_cndmask_b32_e32 v4, v26, v4, vcc
	v_fmac_f32_e32 v15, v16, v15
	v_div_scale_f32 v16, vcc, v13, v9, v13
	v_mul_f32_e32 v18, v16, v15
	v_fma_f32 v19, -v14, v18, v16
	v_fmac_f32_e32 v18, v19, v15
	v_fma_f32 v14, -v14, v18, v16
	v_div_fmas_f32 v14, v14, v15, v18
	v_div_fixup_f32 v9, v14, v9, v13
	v_div_scale_f32 v13, s[2:3], v8, v8, v12
	v_rcp_f32_e32 v14, v13
	v_pk_add_f32 v[4:5], v[4:5], 1.0 op_sel_hi:[1,0]
	v_fma_f32 v15, -v13, v14, 1.0
	v_fmac_f32_e32 v14, v15, v14
	v_div_scale_f32 v15, vcc, v12, v8, v12
	v_mul_f32_e32 v16, v15, v14
	v_fma_f32 v18, -v13, v16, v15
	v_fmac_f32_e32 v16, v18, v14
	v_fma_f32 v13, -v13, v16, v15
	v_div_fmas_f32 v13, v13, v14, v16
	v_div_fixup_f32 v8, v13, v8, v12
	v_div_scale_f32 v12, s[2:3], v5, v5, v11
	v_rcp_f32_e32 v13, v12
	s_nop 0
	v_fma_f32 v14, -v12, v13, 1.0
	v_fmac_f32_e32 v13, v14, v13
	v_div_scale_f32 v14, vcc, v11, v5, v11
	v_mul_f32_e32 v15, v14, v13
	v_fma_f32 v16, -v12, v15, v14
	v_fmac_f32_e32 v15, v16, v13
	v_fma_f32 v12, -v12, v15, v14
	v_div_fmas_f32 v12, v12, v13, v15
	v_div_fixup_f32 v5, v12, v5, v11
	v_div_scale_f32 v11, s[2:3], v4, v4, v10
	v_rcp_f32_e32 v12, v11
	s_nop 0
	v_fma_f32 v13, -v11, v12, 1.0
	v_fmac_f32_e32 v12, v13, v12
	v_div_scale_f32 v13, vcc, v10, v4, v10
	v_mul_f32_e32 v14, v13, v12
	v_fma_f32 v15, -v11, v14, v13
	v_fmac_f32_e32 v14, v15, v12
	v_fma_f32 v11, -v11, v14, v13
	v_div_fmas_f32 v11, v11, v12, v14
	v_div_fixup_f32 v4, v11, v4, v10
	v_pk_mul_f32 v[4:5], v[42:43], v[4:5]
	v_pk_mul_f32 v[10:11], v[40:41], v[8:9]
	v_bfe_u32 v8, v4, 16, 1
	v_bfe_u32 v9, v5, 16, 1
	v_add3_u32 v8, v4, v8, s0
	v_bfe_u32 v12, v10, 16, 1
	v_add3_u32 v9, v5, v9, s0
	v_lshrrev_b32_e32 v8, 16, v8
	v_cmp_o_f32_e32 vcc, v4, v4
	v_mov_b32_e32 v40, 0x7fc0
	v_bfe_u32 v13, v11, 16, 1
	v_add3_u32 v12, v10, v12, s0
	v_lshrrev_b32_e32 v9, 16, v9
	v_cndmask_b32_e32 v8, v40, v8, vcc
	v_cmp_o_f32_e32 vcc, v5, v5
	v_add3_u32 v13, v11, v13, s0
	v_lshrrev_b32_e32 v12, 16, v12
	v_cndmask_b32_e32 v9, v40, v9, vcc
	v_cmp_o_f32_e32 vcc, v10, v10
	v_and_b32_e32 v15, 0xffff0000, v7
	v_lshrrev_b32_e32 v13, 16, v13
	v_cndmask_b32_e32 v10, v40, v12, vcc
	v_cmp_o_f32_e32 vcc, v11, v11
	v_mul_f32_e32 v4, 0xbfb8aa3b, v15
	v_lshlrev_b32_e32 v12, 16, v6
	v_cndmask_b32_e32 v11, v40, v13, vcc
	v_and_b32_e32 v13, 0xffff0000, v6
	v_fma_f32 v5, v15, s1, -v4
	v_rndne_f32_e32 v6, v4
	v_fmac_f32_e32 v5, 0xb2a5705f, v15
	v_sub_f32_e32 v4, v4, v6
	v_add_f32_e32 v4, v4, v5
	v_exp_f32_e32 v4, v4
	v_cvt_i32_f32_e32 v5, v6
	v_cmp_nlt_f32_e32 vcc, s52, v15
	v_lshlrev_b32_e32 v14, 16, v7
	v_ldexp_f32 v4, v4, v5
	v_cndmask_b32_e32 v4, 0, v4, vcc
	v_cmp_ngt_f32_e32 vcc, s53, v15
	s_nop 1
	v_cndmask_b32_e32 v7, v26, v4, vcc
	v_mul_f32_e32 v4, 0xbfb8aa3b, v13
	v_fma_f32 v5, v13, s1, -v4
	v_rndne_f32_e32 v6, v4
	v_fmac_f32_e32 v5, 0xb2a5705f, v13
	v_sub_f32_e32 v4, v4, v6
	v_add_f32_e32 v4, v4, v5
	v_exp_f32_e32 v4, v4
	v_cvt_i32_f32_e32 v5, v6
	v_cmp_nlt_f32_e32 vcc, s52, v13
	v_ldexp_f32 v4, v4, v5
	s_nop 0
	v_cndmask_b32_e32 v4, 0, v4, vcc
	v_cmp_ngt_f32_e32 vcc, s53, v13
	s_nop 1
	v_cndmask_b32_e32 v5, v26, v4, vcc
	v_mul_f32_e32 v4, 0xbfb8aa3b, v14
	v_rndne_f32_e32 v6, v4
	v_sub_f32_e32 v16, v4, v6
	v_fma_f32 v4, v14, s1, -v4
	v_fmac_f32_e32 v4, 0xb2a5705f, v14
	v_add_f32_e32 v4, v16, v4
	v_exp_f32_e32 v4, v4
	v_cvt_i32_f32_e32 v6, v6
	v_cmp_nlt_f32_e32 vcc, s52, v14
	v_ldexp_f32 v4, v4, v6
	s_nop 0
	v_cndmask_b32_e32 v4, 0, v4, vcc
	v_cmp_ngt_f32_e32 vcc, s53, v14
	s_nop 1
	v_cndmask_b32_e32 v6, v26, v4, vcc
	v_mul_f32_e32 v4, 0xbfb8aa3b, v12
	v_rndne_f32_e32 v16, v4
	v_sub_f32_e32 v18, v4, v16
	v_fma_f32 v4, v12, s1, -v4
	v_fmac_f32_e32 v4, 0xb2a5705f, v12
	v_add_f32_e32 v4, v18, v4
	v_exp_f32_e32 v4, v4
	v_cvt_i32_f32_e32 v16, v16
	v_pk_add_f32 v[6:7], v[6:7], 1.0 op_sel_hi:[1,0]
	v_cmp_nlt_f32_e32 vcc, s52, v12
	v_ldexp_f32 v4, v4, v16
	v_div_scale_f32 v16, s[2:3], v7, v7, v15
	v_rcp_f32_e32 v18, v16
	v_cndmask_b32_e32 v4, 0, v4, vcc
	v_cmp_ngt_f32_e32 vcc, s53, v12
	v_fma_f32 v19, -v16, v18, 1.0
	s_nop 0
	v_cndmask_b32_e32 v4, v26, v4, vcc
	v_fmac_f32_e32 v18, v19, v18
	v_div_scale_f32 v19, vcc, v15, v7, v15
	v_mul_f32_e32 v22, v19, v18
	v_fma_f32 v23, -v16, v22, v19
	v_fmac_f32_e32 v22, v23, v18
	v_fma_f32 v16, -v16, v22, v19
	v_div_fmas_f32 v16, v16, v18, v22
	v_div_fixup_f32 v7, v16, v7, v15
	v_div_scale_f32 v15, s[2:3], v6, v6, v14
	v_rcp_f32_e32 v16, v15
	v_pk_add_f32 v[4:5], v[4:5], 1.0 op_sel_hi:[1,0]
	v_fma_f32 v18, -v15, v16, 1.0
	v_fmac_f32_e32 v16, v18, v16
	v_div_scale_f32 v18, vcc, v14, v6, v14
	v_mul_f32_e32 v19, v18, v16
	v_fma_f32 v22, -v15, v19, v18
	v_fmac_f32_e32 v19, v22, v16
	v_fma_f32 v15, -v15, v19, v18
	v_div_fmas_f32 v15, v15, v16, v19
	v_div_fixup_f32 v6, v15, v6, v14
	v_div_scale_f32 v14, s[2:3], v5, v5, v13
	v_rcp_f32_e32 v15, v14
	s_nop 0
	v_fma_f32 v16, -v14, v15, 1.0
	v_fmac_f32_e32 v15, v16, v15
	v_div_scale_f32 v16, vcc, v13, v5, v13
	v_mul_f32_e32 v18, v16, v15
	v_fma_f32 v19, -v14, v18, v16
	v_fmac_f32_e32 v18, v19, v15
	v_fma_f32 v14, -v14, v18, v16
	v_div_fmas_f32 v14, v14, v15, v18
	v_div_fixup_f32 v5, v14, v5, v13
	v_div_scale_f32 v13, s[2:3], v4, v4, v12
	v_rcp_f32_e32 v14, v13
	s_nop 0
	v_fma_f32 v15, -v13, v14, 1.0
	v_fmac_f32_e32 v14, v15, v14
	v_div_scale_f32 v15, vcc, v12, v4, v12
	v_mul_f32_e32 v16, v15, v14
	v_fma_f32 v18, -v13, v16, v15
	v_fmac_f32_e32 v16, v18, v14
	v_fma_f32 v13, -v13, v16, v15
	v_div_fmas_f32 v13, v13, v14, v16
	v_div_fixup_f32 v4, v13, v4, v12
	v_pk_mul_f32 v[4:5], v[38:39], v[4:5]
	v_pk_mul_f32 v[12:13], v[36:37], v[6:7]
	v_bfe_u32 v6, v4, 16, 1
	v_bfe_u32 v7, v5, 16, 1
	v_add3_u32 v6, v4, v6, s0
	v_bfe_u32 v14, v12, 16, 1
	v_add3_u32 v7, v5, v7, s0
	v_lshrrev_b32_e32 v6, 16, v6
	v_cmp_o_f32_e32 vcc, v4, v4
	v_bfe_u32 v15, v13, 16, 1
	v_add3_u32 v14, v12, v14, s0
	v_lshrrev_b32_e32 v7, 16, v7
	v_cndmask_b32_e32 v6, v40, v6, vcc
	v_cmp_o_f32_e32 vcc, v5, v5
	v_add3_u32 v15, v13, v15, s0
	v_lshrrev_b32_e32 v14, 16, v14
	v_cndmask_b32_e32 v7, v40, v7, vcc
	v_cmp_o_f32_e32 vcc, v12, v12
	v_lshrrev_b32_e32 v15, 16, v15
	v_and_b32_e32 v18, 0xffff0000, v1
	v_cndmask_b32_e32 v12, v40, v14, vcc
	v_cmp_o_f32_e32 vcc, v13, v13
	v_lshlrev_b32_e32 v14, 16, v0
	v_lshlrev_b32_e32 v16, 16, v1
	v_cndmask_b32_e32 v13, v40, v15, vcc
	v_and_b32_e32 v15, 0xffff0000, v0
	v_mul_f32_e32 v0, 0xbfb8aa3b, v18
	v_fma_f32 v1, v18, s1, -v0
	v_rndne_f32_e32 v4, v0
	v_fmac_f32_e32 v1, 0xb2a5705f, v18
	v_sub_f32_e32 v0, v0, v4
	v_add_f32_e32 v0, v0, v1
	v_exp_f32_e32 v0, v0
	v_cvt_i32_f32_e32 v1, v4
	v_cmp_nlt_f32_e32 vcc, s52, v18
	v_ldexp_f32 v0, v0, v1
	s_nop 0
	v_cndmask_b32_e32 v0, 0, v0, vcc
	v_cmp_ngt_f32_e32 vcc, s53, v18
	s_nop 1
	v_cndmask_b32_e32 v5, v26, v0, vcc
	v_mul_f32_e32 v0, 0xbfb8aa3b, v15
	v_fma_f32 v1, v15, s1, -v0
	v_rndne_f32_e32 v4, v0
	v_fmac_f32_e32 v1, 0xb2a5705f, v15
	v_sub_f32_e32 v0, v0, v4
	v_add_f32_e32 v0, v0, v1
	v_exp_f32_e32 v0, v0
	v_cvt_i32_f32_e32 v1, v4
	v_cmp_nlt_f32_e32 vcc, s52, v15
	v_ldexp_f32 v0, v0, v1
	s_nop 0
	v_cndmask_b32_e32 v0, 0, v0, vcc
	v_cmp_ngt_f32_e32 vcc, s53, v15
	s_nop 1
	v_cndmask_b32_e32 v1, v26, v0, vcc
	v_mul_f32_e32 v0, 0xbfb8aa3b, v16
	v_rndne_f32_e32 v4, v0
	v_sub_f32_e32 v19, v0, v4
	v_fma_f32 v0, v16, s1, -v0
	v_fmac_f32_e32 v0, 0xb2a5705f, v16
	v_add_f32_e32 v0, v19, v0
	v_exp_f32_e32 v0, v0
	v_cvt_i32_f32_e32 v4, v4
	v_cmp_nlt_f32_e32 vcc, s52, v16
	v_ldexp_f32 v0, v0, v4
	s_nop 0
	v_cndmask_b32_e32 v0, 0, v0, vcc
	v_cmp_ngt_f32_e32 vcc, s53, v16
	s_nop 1
	v_cndmask_b32_e32 v4, v26, v0, vcc
	v_mul_f32_e32 v0, 0xbfb8aa3b, v14
	v_rndne_f32_e32 v19, v0
	v_sub_f32_e32 v22, v0, v19
	v_fma_f32 v0, v14, s1, -v0
	v_fmac_f32_e32 v0, 0xb2a5705f, v14
	v_add_f32_e32 v0, v22, v0
	v_exp_f32_e32 v0, v0
	v_cvt_i32_f32_e32 v19, v19
	v_pk_add_f32 v[4:5], v[4:5], 1.0 op_sel_hi:[1,0]
	v_cmp_nlt_f32_e32 vcc, s52, v14
	v_ldexp_f32 v0, v0, v19
	v_div_scale_f32 v19, s[2:3], v5, v5, v18
	v_rcp_f32_e32 v22, v19
	v_cndmask_b32_e32 v0, 0, v0, vcc
	v_cmp_ngt_f32_e32 vcc, s53, v14
	v_fma_f32 v23, -v19, v22, 1.0
	s_nop 0
	v_cndmask_b32_e32 v0, v26, v0, vcc
	v_fmac_f32_e32 v22, v23, v22
	v_div_scale_f32 v23, vcc, v18, v5, v18
	v_mul_f32_e32 v24, v23, v22
	v_fma_f32 v25, -v19, v24, v23
	v_fmac_f32_e32 v24, v25, v22
	v_fma_f32 v19, -v19, v24, v23
	v_div_fmas_f32 v19, v19, v22, v24
	v_div_fixup_f32 v5, v19, v5, v18
	v_div_scale_f32 v18, s[2:3], v4, v4, v16
	v_rcp_f32_e32 v19, v18
	v_pk_add_f32 v[0:1], v[0:1], 1.0 op_sel_hi:[1,0]
	v_fma_f32 v22, -v18, v19, 1.0
	v_fmac_f32_e32 v19, v22, v19
	v_div_scale_f32 v22, vcc, v16, v4, v16
	v_mul_f32_e32 v23, v22, v19
	v_fma_f32 v24, -v18, v23, v22
	v_fmac_f32_e32 v23, v24, v19
	v_fma_f32 v18, -v18, v23, v22
	v_div_fmas_f32 v18, v18, v19, v23
	v_div_fixup_f32 v4, v18, v4, v16
	v_div_scale_f32 v16, s[2:3], v1, v1, v15
	v_rcp_f32_e32 v18, v16
	s_nop 0
	v_fma_f32 v19, -v16, v18, 1.0
	v_fmac_f32_e32 v18, v19, v18
	v_div_scale_f32 v19, vcc, v15, v1, v15
	v_mul_f32_e32 v22, v19, v18
	v_fma_f32 v23, -v16, v22, v19
	v_fmac_f32_e32 v22, v23, v18
	v_fma_f32 v16, -v16, v22, v19
	v_div_fmas_f32 v16, v16, v18, v22
	v_div_fixup_f32 v1, v16, v1, v15
	v_div_scale_f32 v15, s[2:3], v0, v0, v14
	v_rcp_f32_e32 v16, v15
	s_nop 0
	v_fma_f32 v18, -v15, v16, 1.0
	v_fmac_f32_e32 v16, v18, v16
	v_div_scale_f32 v18, vcc, v14, v0, v14
	v_mul_f32_e32 v19, v18, v16
	v_fma_f32 v22, -v15, v19, v18
	v_fmac_f32_e32 v19, v22, v16
	v_fma_f32 v15, -v15, v19, v18
	v_div_fmas_f32 v15, v15, v16, v19
	v_div_fixup_f32 v0, v15, v0, v14
	v_pk_mul_f32 v[0:1], v[34:35], v[0:1]
	v_pk_mul_f32 v[14:15], v[32:33], v[4:5]
	v_bfe_u32 v4, v0, 16, 1
	v_bfe_u32 v5, v1, 16, 1
	v_add3_u32 v4, v0, v4, s0
	v_bfe_u32 v16, v14, 16, 1
	v_add3_u32 v5, v1, v5, s0
	v_lshrrev_b32_e32 v4, 16, v4
	v_cmp_o_f32_e32 vcc, v0, v0
	v_bfe_u32 v18, v15, 16, 1
	v_add3_u32 v16, v14, v16, s0
	v_lshrrev_b32_e32 v5, 16, v5
	v_cndmask_b32_e32 v4, v40, v4, vcc
	v_cmp_o_f32_e32 vcc, v1, v1
	v_add3_u32 v18, v15, v18, s0
	v_lshrrev_b32_e32 v16, 16, v16
	v_cndmask_b32_e32 v5, v40, v5, vcc
	v_cmp_o_f32_e32 vcc, v14, v14
	v_and_b32_e32 v22, 0xffff0000, v3
	v_lshrrev_b32_e32 v18, 16, v18
	v_cndmask_b32_e32 v14, v40, v16, vcc
	v_cmp_o_f32_e32 vcc, v15, v15
	v_mul_f32_e32 v0, 0xbfb8aa3b, v22
	v_lshlrev_b32_e32 v16, 16, v2
	v_cndmask_b32_e32 v15, v40, v18, vcc
	v_and_b32_e32 v18, 0xffff0000, v2
	v_fma_f32 v1, v22, s1, -v0
	v_rndne_f32_e32 v2, v0
	v_fmac_f32_e32 v1, 0xb2a5705f, v22
	v_sub_f32_e32 v0, v0, v2
	v_add_f32_e32 v0, v0, v1
	v_exp_f32_e32 v0, v0
	v_cvt_i32_f32_e32 v1, v2
	v_cmp_nlt_f32_e32 vcc, s52, v22
	v_lshlrev_b32_e32 v19, 16, v3
	v_ldexp_f32 v0, v0, v1
	v_cndmask_b32_e32 v0, 0, v0, vcc
	v_cmp_ngt_f32_e32 vcc, s53, v22
	s_nop 1
	v_cndmask_b32_e32 v3, v26, v0, vcc
	v_mul_f32_e32 v0, 0xbfb8aa3b, v18
	v_fma_f32 v1, v18, s1, -v0
	v_rndne_f32_e32 v2, v0
	v_fmac_f32_e32 v1, 0xb2a5705f, v18
	v_sub_f32_e32 v0, v0, v2
	v_add_f32_e32 v0, v0, v1
	v_exp_f32_e32 v0, v0
	v_cvt_i32_f32_e32 v1, v2
	v_cmp_nlt_f32_e32 vcc, s52, v18
	v_ldexp_f32 v0, v0, v1
	s_nop 0
	v_cndmask_b32_e32 v0, 0, v0, vcc
	v_cmp_ngt_f32_e32 vcc, s53, v18
	s_nop 1
	v_cndmask_b32_e32 v1, v26, v0, vcc
	v_mul_f32_e32 v0, 0xbfb8aa3b, v19
	v_rndne_f32_e32 v2, v0
	v_sub_f32_e32 v23, v0, v2
	v_fma_f32 v0, v19, s1, -v0
	v_fmac_f32_e32 v0, 0xb2a5705f, v19
	v_add_f32_e32 v0, v23, v0
	v_exp_f32_e32 v0, v0
	v_cvt_i32_f32_e32 v2, v2
	v_cmp_nlt_f32_e32 vcc, s52, v19
	v_ldexp_f32 v0, v0, v2
	s_nop 0
	v_cndmask_b32_e32 v0, 0, v0, vcc
	v_cmp_ngt_f32_e32 vcc, s53, v19
	s_nop 1
	v_cndmask_b32_e32 v2, v26, v0, vcc
	v_mul_f32_e32 v0, 0xbfb8aa3b, v16
	v_rndne_f32_e32 v23, v0
	v_sub_f32_e32 v24, v0, v23
	v_fma_f32 v0, v16, s1, -v0
	v_fmac_f32_e32 v0, 0xb2a5705f, v16
	v_add_f32_e32 v0, v24, v0
	v_exp_f32_e32 v0, v0
	v_cvt_i32_f32_e32 v23, v23
	v_pk_add_f32 v[2:3], v[2:3], 1.0 op_sel_hi:[1,0]
	v_cmp_nlt_f32_e32 vcc, s52, v16
	v_ldexp_f32 v0, v0, v23
	v_div_scale_f32 v23, s[2:3], v3, v3, v22
	v_rcp_f32_e32 v24, v23
	v_cndmask_b32_e32 v0, 0, v0, vcc
	v_cmp_ngt_f32_e32 vcc, s53, v16
	v_fma_f32 v25, -v23, v24, 1.0
	s_nop 0
	v_cndmask_b32_e32 v0, v26, v0, vcc
	v_fmac_f32_e32 v24, v25, v24
	v_div_scale_f32 v25, vcc, v22, v3, v22
	v_mul_f32_e32 v26, v25, v24
	v_fma_f32 v27, -v23, v26, v25
	v_fmac_f32_e32 v26, v27, v24
	v_fma_f32 v23, -v23, v26, v25
	v_div_fmas_f32 v23, v23, v24, v26
	v_div_fixup_f32 v3, v23, v3, v22
	v_div_scale_f32 v22, s[2:3], v2, v2, v19
	v_rcp_f32_e32 v23, v22
	v_pk_add_f32 v[0:1], v[0:1], 1.0 op_sel_hi:[1,0]
	v_fma_f32 v24, -v22, v23, 1.0
	v_fmac_f32_e32 v23, v24, v23
	v_div_scale_f32 v24, vcc, v19, v2, v19
	v_mul_f32_e32 v25, v24, v23
	v_fma_f32 v26, -v22, v25, v24
	v_fmac_f32_e32 v25, v26, v23
	v_fma_f32 v22, -v22, v25, v24
	v_div_fmas_f32 v22, v22, v23, v25
	v_div_fixup_f32 v2, v22, v2, v19
	v_div_scale_f32 v19, s[2:3], v1, v1, v18
	v_rcp_f32_e32 v22, v19
	v_pk_mul_f32 v[2:3], v[28:29], v[2:3]
	v_fma_f32 v23, -v19, v22, 1.0
	v_fmac_f32_e32 v22, v23, v22
	v_div_scale_f32 v23, vcc, v18, v1, v18
	v_mul_f32_e32 v24, v23, v22
	v_fma_f32 v25, -v19, v24, v23
	v_fmac_f32_e32 v24, v25, v22
	v_fma_f32 v19, -v19, v24, v23
	v_div_fmas_f32 v19, v19, v22, v24
	v_div_fixup_f32 v1, v19, v1, v18
	v_div_scale_f32 v18, s[2:3], v0, v0, v16
	v_rcp_f32_e32 v19, v18
	s_nop 0
	v_fma_f32 v22, -v18, v19, 1.0
	v_fmac_f32_e32 v19, v22, v19
	v_div_scale_f32 v22, vcc, v16, v0, v16
	v_mul_f32_e32 v23, v22, v19
	v_fma_f32 v24, -v18, v23, v22
	v_fmac_f32_e32 v23, v24, v19
	v_fma_f32 v18, -v18, v23, v22
	v_div_fmas_f32 v18, v18, v19, v23
	v_div_fixup_f32 v0, v18, v0, v16
	v_pk_mul_f32 v[0:1], v[30:31], v[0:1]
	v_bfe_u32 v19, v2, 16, 1
	v_bfe_u32 v16, v0, 16, 1
	;; [unrolled: 1-line block ×3, first 2 shown]
	v_add3_u32 v16, v0, v16, s0
	v_add3_u32 v18, v1, v18, s0
	v_lshrrev_b32_e32 v16, 16, v16
	v_cmp_o_f32_e32 vcc, v0, v0
	v_bfe_u32 v22, v3, 16, 1
	v_add3_u32 v19, v2, v19, s0
	v_lshrrev_b32_e32 v18, 16, v18
	v_cndmask_b32_e32 v16, v40, v16, vcc
	v_cmp_o_f32_e32 vcc, v1, v1
	v_add3_u32 v22, v3, v22, s0
	v_lshrrev_b32_e32 v19, 16, v19
	v_cndmask_b32_e32 v18, v40, v18, vcc
	v_cmp_o_f32_e32 vcc, v2, v2
	v_lshrrev_b32_e32 v22, 16, v22
	s_mov_b32 s0, 0x5040100
	v_cndmask_b32_e32 v19, v40, v19, vcc
	v_cmp_o_f32_e32 vcc, v3, v3
	v_perm_b32 v3, v13, v12, s0
	v_perm_b32 v2, v7, v6, s0
	v_cndmask_b32_e32 v22, v40, v22, vcc
	v_perm_b32 v1, v11, v10, s0
	v_perm_b32 v0, v9, v8, s0
	ds_write_b128 v59, v[0:3]
	v_perm_b32 v3, v22, v19, s0
	v_perm_b32 v2, v18, v16, s0
	;; [unrolled: 1-line block ×4, first 2 shown]
	ds_write_b128 v59, v[0:3] offset:16
	; wave barrier
	ds_read_u16 v16, v44 offset:128
	ds_read_u16 v15, v45 offset:256
	;; [unrolled: 1-line block ×15, first 2 shown]
	scratch_load_dwordx2 v[0:1], off, off offset:256 ; 8-byte Folded Reload
	s_waitcnt vmcnt(0)
	v_lshl_add_u64 v[0:1], s[56:57], 1, v[0:1]
	s_and_saveexec_b64 s[2:3], s[18:19]
	s_cbranch_execz .LBB53_251
; %bb.250:                              ;   in Loop: Header=BB53_13 Depth=1
	scratch_load_dword v18, off, off        ; 4-byte Folded Reload
	s_waitcnt vmcnt(0)
	ds_read_u16 v18, v18
	s_waitcnt lgkmcnt(0)
	global_store_short v[0:1], v18, off
.LBB53_251:                             ;   in Loop: Header=BB53_13 Depth=1
	s_or_b64 exec, exec, s[2:3]
	s_and_saveexec_b64 s[2:3], s[20:21]
	s_cbranch_execz .LBB53_253
; %bb.252:                              ;   in Loop: Header=BB53_13 Depth=1
	s_waitcnt lgkmcnt(14)
	global_store_short v[0:1], v16, off offset:128
.LBB53_253:                             ;   in Loop: Header=BB53_13 Depth=1
	s_or_b64 exec, exec, s[2:3]
	s_mov_b64 s[2:3], exec
	s_and_b64 s[0:1], s[2:3], s[22:23]
	v_mov_b32_e32 v39, 0x7f800000
	s_mov_b64 exec, s[0:1]
	s_cbranch_execnz .LBB53_284
; %bb.254:                              ;   in Loop: Header=BB53_13 Depth=1
	s_or_b64 exec, exec, s[2:3]
	s_and_saveexec_b64 s[2:3], s[24:25]
	s_cbranch_execnz .LBB53_285
.LBB53_255:                             ;   in Loop: Header=BB53_13 Depth=1
	s_or_b64 exec, exec, s[2:3]
	s_and_saveexec_b64 s[2:3], s[26:27]
	s_cbranch_execnz .LBB53_286
.LBB53_256:                             ;   in Loop: Header=BB53_13 Depth=1
	s_or_b64 exec, exec, s[2:3]
	s_and_saveexec_b64 s[2:3], s[28:29]
	s_cbranch_execnz .LBB53_287
.LBB53_257:                             ;   in Loop: Header=BB53_13 Depth=1
	s_or_b64 exec, exec, s[2:3]
	s_and_saveexec_b64 s[2:3], s[30:31]
	s_cbranch_execnz .LBB53_288
.LBB53_258:                             ;   in Loop: Header=BB53_13 Depth=1
	s_or_b64 exec, exec, s[2:3]
	s_and_saveexec_b64 s[2:3], s[34:35]
	s_cbranch_execnz .LBB53_289
.LBB53_259:                             ;   in Loop: Header=BB53_13 Depth=1
	s_or_b64 exec, exec, s[2:3]
	s_and_saveexec_b64 s[2:3], s[36:37]
	s_cbranch_execnz .LBB53_290
.LBB53_260:                             ;   in Loop: Header=BB53_13 Depth=1
	s_or_b64 exec, exec, s[2:3]
	s_and_saveexec_b64 s[2:3], s[38:39]
	s_cbranch_execnz .LBB53_291
.LBB53_261:                             ;   in Loop: Header=BB53_13 Depth=1
	s_or_b64 exec, exec, s[2:3]
	s_and_saveexec_b64 s[2:3], s[40:41]
	s_cbranch_execnz .LBB53_292
.LBB53_262:                             ;   in Loop: Header=BB53_13 Depth=1
	s_or_b64 exec, exec, s[2:3]
	s_and_saveexec_b64 s[2:3], s[42:43]
	s_cbranch_execnz .LBB53_293
.LBB53_263:                             ;   in Loop: Header=BB53_13 Depth=1
	s_or_b64 exec, exec, s[2:3]
	s_and_saveexec_b64 s[2:3], s[44:45]
	s_cbranch_execnz .LBB53_294
.LBB53_264:                             ;   in Loop: Header=BB53_13 Depth=1
	s_or_b64 exec, exec, s[2:3]
	s_and_saveexec_b64 s[2:3], s[46:47]
	s_cbranch_execnz .LBB53_295
.LBB53_265:                             ;   in Loop: Header=BB53_13 Depth=1
	s_or_b64 exec, exec, s[2:3]
	s_and_saveexec_b64 s[2:3], s[48:49]
	s_cbranch_execnz .LBB53_296
.LBB53_266:                             ;   in Loop: Header=BB53_13 Depth=1
	s_or_b64 exec, exec, s[2:3]
	s_and_saveexec_b64 s[2:3], s[50:51]
	s_cbranch_execz .LBB53_12
	s_branch .LBB53_297
.LBB53_267:                             ;   in Loop: Header=BB53_13 Depth=1
	global_load_ushort v28, v[8:9], off offset:1664
	s_or_b64 exec, exec, s[2:3]
	s_and_saveexec_b64 s[2:3], s[48:49]
	s_cbranch_execz .LBB53_73
.LBB53_268:                             ;   in Loop: Header=BB53_13 Depth=1
	global_load_ushort v27, v[8:9], off offset:1792
	s_or_b64 exec, exec, s[2:3]
	v_mov_b32_e32 v29, 0
	s_and_saveexec_b64 s[2:3], s[50:51]
	s_cbranch_execnz .LBB53_74
	s_branch .LBB53_75
.LBB53_269:                             ;   in Loop: Header=BB53_13 Depth=1
	scratch_load_dword v18, off, off        ; 4-byte Folded Reload
	s_waitcnt vmcnt(0)
	ds_read_u16 v18, v18
	s_waitcnt lgkmcnt(0)
	global_store_short v[0:1], v18, off
	s_or_b64 exec, exec, s[2:3]
	s_and_saveexec_b64 s[2:3], s[20:21]
	s_cbranch_execz .LBB53_202
.LBB53_270:                             ;   in Loop: Header=BB53_13 Depth=1
	s_waitcnt lgkmcnt(14)
	global_store_short v[0:1], v16, off offset:128
	s_or_b64 exec, exec, s[2:3]
	s_and_saveexec_b64 s[2:3], s[22:23]
	s_cbranch_execz .LBB53_203
.LBB53_271:                             ;   in Loop: Header=BB53_13 Depth=1
	s_waitcnt lgkmcnt(13)
	global_store_short v[0:1], v15, off offset:256
	s_or_b64 exec, exec, s[2:3]
	s_and_saveexec_b64 s[2:3], s[24:25]
	s_cbranch_execz .LBB53_204
.LBB53_272:                             ;   in Loop: Header=BB53_13 Depth=1
	s_waitcnt lgkmcnt(12)
	global_store_short v[0:1], v14, off offset:384
	s_or_b64 exec, exec, s[2:3]
	s_and_saveexec_b64 s[2:3], s[26:27]
	s_cbranch_execz .LBB53_205
.LBB53_273:                             ;   in Loop: Header=BB53_13 Depth=1
	s_waitcnt lgkmcnt(11)
	global_store_short v[0:1], v13, off offset:512
	s_or_b64 exec, exec, s[2:3]
	s_and_saveexec_b64 s[2:3], s[28:29]
	s_cbranch_execz .LBB53_206
.LBB53_274:                             ;   in Loop: Header=BB53_13 Depth=1
	s_waitcnt lgkmcnt(10)
	global_store_short v[0:1], v12, off offset:640
	s_or_b64 exec, exec, s[2:3]
	s_and_saveexec_b64 s[2:3], s[30:31]
	s_cbranch_execz .LBB53_207
.LBB53_275:                             ;   in Loop: Header=BB53_13 Depth=1
	s_waitcnt lgkmcnt(9)
	global_store_short v[0:1], v11, off offset:768
	s_or_b64 exec, exec, s[2:3]
	s_and_saveexec_b64 s[2:3], s[34:35]
	s_cbranch_execz .LBB53_208
.LBB53_276:                             ;   in Loop: Header=BB53_13 Depth=1
	s_waitcnt lgkmcnt(8)
	global_store_short v[0:1], v10, off offset:896
	s_or_b64 exec, exec, s[2:3]
	s_and_saveexec_b64 s[2:3], s[36:37]
	s_cbranch_execz .LBB53_209
.LBB53_277:                             ;   in Loop: Header=BB53_13 Depth=1
	s_waitcnt lgkmcnt(7)
	global_store_short v[0:1], v9, off offset:1024
	s_or_b64 exec, exec, s[2:3]
	s_and_saveexec_b64 s[2:3], s[38:39]
	s_cbranch_execz .LBB53_210
.LBB53_278:                             ;   in Loop: Header=BB53_13 Depth=1
	s_waitcnt lgkmcnt(6)
	global_store_short v[0:1], v8, off offset:1152
	s_or_b64 exec, exec, s[2:3]
	s_and_saveexec_b64 s[2:3], s[40:41]
	s_cbranch_execz .LBB53_211
.LBB53_279:                             ;   in Loop: Header=BB53_13 Depth=1
	s_waitcnt lgkmcnt(5)
	global_store_short v[0:1], v7, off offset:1280
	s_or_b64 exec, exec, s[2:3]
	s_and_saveexec_b64 s[2:3], s[42:43]
	s_cbranch_execz .LBB53_212
.LBB53_280:                             ;   in Loop: Header=BB53_13 Depth=1
	s_waitcnt lgkmcnt(4)
	global_store_short v[0:1], v6, off offset:1408
	s_or_b64 exec, exec, s[2:3]
	s_and_saveexec_b64 s[2:3], s[44:45]
	s_cbranch_execz .LBB53_213
.LBB53_281:                             ;   in Loop: Header=BB53_13 Depth=1
	s_waitcnt lgkmcnt(3)
	global_store_short v[0:1], v5, off offset:1536
	s_or_b64 exec, exec, s[2:3]
	s_and_saveexec_b64 s[2:3], s[46:47]
	s_cbranch_execz .LBB53_214
.LBB53_282:                             ;   in Loop: Header=BB53_13 Depth=1
	s_waitcnt lgkmcnt(2)
	global_store_short v[0:1], v4, off offset:1664
	s_or_b64 exec, exec, s[2:3]
	s_and_saveexec_b64 s[2:3], s[48:49]
	s_cbranch_execz .LBB53_215
.LBB53_283:                             ;   in Loop: Header=BB53_13 Depth=1
	s_waitcnt lgkmcnt(1)
	global_store_short v[0:1], v3, off offset:1792
	s_or_b64 exec, exec, s[2:3]
	s_and_saveexec_b64 s[2:3], s[50:51]
	s_cbranch_execnz .LBB53_216
	s_branch .LBB53_217
.LBB53_284:                             ;   in Loop: Header=BB53_13 Depth=1
	s_waitcnt lgkmcnt(13)
	global_store_short v[0:1], v15, off offset:256
	s_or_b64 exec, exec, s[2:3]
	s_and_saveexec_b64 s[2:3], s[24:25]
	s_cbranch_execz .LBB53_255
.LBB53_285:                             ;   in Loop: Header=BB53_13 Depth=1
	s_waitcnt lgkmcnt(12)
	global_store_short v[0:1], v14, off offset:384
	s_or_b64 exec, exec, s[2:3]
	s_and_saveexec_b64 s[2:3], s[26:27]
	s_cbranch_execz .LBB53_256
.LBB53_286:                             ;   in Loop: Header=BB53_13 Depth=1
	s_waitcnt lgkmcnt(11)
	global_store_short v[0:1], v13, off offset:512
	s_or_b64 exec, exec, s[2:3]
	s_and_saveexec_b64 s[2:3], s[28:29]
	s_cbranch_execz .LBB53_257
.LBB53_287:                             ;   in Loop: Header=BB53_13 Depth=1
	s_waitcnt lgkmcnt(10)
	global_store_short v[0:1], v12, off offset:640
	s_or_b64 exec, exec, s[2:3]
	s_and_saveexec_b64 s[2:3], s[30:31]
	s_cbranch_execz .LBB53_258
.LBB53_288:                             ;   in Loop: Header=BB53_13 Depth=1
	s_waitcnt lgkmcnt(9)
	global_store_short v[0:1], v11, off offset:768
	s_or_b64 exec, exec, s[2:3]
	s_and_saveexec_b64 s[2:3], s[34:35]
	s_cbranch_execz .LBB53_259
.LBB53_289:                             ;   in Loop: Header=BB53_13 Depth=1
	s_waitcnt lgkmcnt(8)
	global_store_short v[0:1], v10, off offset:896
	s_or_b64 exec, exec, s[2:3]
	s_and_saveexec_b64 s[2:3], s[36:37]
	s_cbranch_execz .LBB53_260
.LBB53_290:                             ;   in Loop: Header=BB53_13 Depth=1
	s_waitcnt lgkmcnt(7)
	global_store_short v[0:1], v9, off offset:1024
	s_or_b64 exec, exec, s[2:3]
	s_and_saveexec_b64 s[2:3], s[38:39]
	s_cbranch_execz .LBB53_261
.LBB53_291:                             ;   in Loop: Header=BB53_13 Depth=1
	s_waitcnt lgkmcnt(6)
	global_store_short v[0:1], v8, off offset:1152
	s_or_b64 exec, exec, s[2:3]
	s_and_saveexec_b64 s[2:3], s[40:41]
	s_cbranch_execz .LBB53_262
.LBB53_292:                             ;   in Loop: Header=BB53_13 Depth=1
	s_waitcnt lgkmcnt(5)
	global_store_short v[0:1], v7, off offset:1280
	s_or_b64 exec, exec, s[2:3]
	s_and_saveexec_b64 s[2:3], s[42:43]
	s_cbranch_execz .LBB53_263
.LBB53_293:                             ;   in Loop: Header=BB53_13 Depth=1
	s_waitcnt lgkmcnt(4)
	global_store_short v[0:1], v6, off offset:1408
	s_or_b64 exec, exec, s[2:3]
	s_and_saveexec_b64 s[2:3], s[44:45]
	s_cbranch_execz .LBB53_264
.LBB53_294:                             ;   in Loop: Header=BB53_13 Depth=1
	s_waitcnt lgkmcnt(3)
	global_store_short v[0:1], v5, off offset:1536
	s_or_b64 exec, exec, s[2:3]
	s_and_saveexec_b64 s[2:3], s[46:47]
	s_cbranch_execz .LBB53_265
.LBB53_295:                             ;   in Loop: Header=BB53_13 Depth=1
	s_waitcnt lgkmcnt(2)
	global_store_short v[0:1], v4, off offset:1664
	s_or_b64 exec, exec, s[2:3]
	s_and_saveexec_b64 s[2:3], s[48:49]
	s_cbranch_execz .LBB53_266
.LBB53_296:                             ;   in Loop: Header=BB53_13 Depth=1
	s_waitcnt lgkmcnt(1)
	global_store_short v[0:1], v3, off offset:1792
	s_or_b64 exec, exec, s[2:3]
	s_and_saveexec_b64 s[2:3], s[50:51]
	s_cbranch_execz .LBB53_12
.LBB53_297:                             ;   in Loop: Header=BB53_13 Depth=1
	s_waitcnt lgkmcnt(0)
	global_store_short v[0:1], v2, off offset:1920
	s_branch .LBB53_12
.LBB53_298:
	s_endpgm
	.section	.rodata,"a",@progbits
	.p2align	6, 0x0
	.amdhsa_kernel _Z25selective_scan_fwd_kernelI32Selective_Scan_fwd_kernel_traitsILi64ELi16ELi1ELb0ELb1ELb1ELb1ELb0EN3c108BFloat16EffEEv13SSMParamsBase
		.amdhsa_group_segment_fixed_size 0
		.amdhsa_private_segment_fixed_size 332
		.amdhsa_kernarg_size 248
		.amdhsa_user_sgpr_count 2
		.amdhsa_user_sgpr_dispatch_ptr 0
		.amdhsa_user_sgpr_queue_ptr 0
		.amdhsa_user_sgpr_kernarg_segment_ptr 1
		.amdhsa_user_sgpr_dispatch_id 0
		.amdhsa_user_sgpr_kernarg_preload_length 0
		.amdhsa_user_sgpr_kernarg_preload_offset 0
		.amdhsa_user_sgpr_private_segment_size 0
		.amdhsa_uses_dynamic_stack 0
		.amdhsa_enable_private_segment 1
		.amdhsa_system_sgpr_workgroup_id_x 1
		.amdhsa_system_sgpr_workgroup_id_y 1
		.amdhsa_system_sgpr_workgroup_id_z 0
		.amdhsa_system_sgpr_workgroup_info 0
		.amdhsa_system_vgpr_workitem_id 0
		.amdhsa_next_free_vgpr 96
		.amdhsa_next_free_sgpr 100
		.amdhsa_accum_offset 96
		.amdhsa_reserve_vcc 1
		.amdhsa_float_round_mode_32 0
		.amdhsa_float_round_mode_16_64 0
		.amdhsa_float_denorm_mode_32 3
		.amdhsa_float_denorm_mode_16_64 3
		.amdhsa_dx10_clamp 1
		.amdhsa_ieee_mode 1
		.amdhsa_fp16_overflow 0
		.amdhsa_tg_split 0
		.amdhsa_exception_fp_ieee_invalid_op 0
		.amdhsa_exception_fp_denorm_src 0
		.amdhsa_exception_fp_ieee_div_zero 0
		.amdhsa_exception_fp_ieee_overflow 0
		.amdhsa_exception_fp_ieee_underflow 0
		.amdhsa_exception_fp_ieee_inexact 0
		.amdhsa_exception_int_div_zero 0
	.end_amdhsa_kernel
	.section	.text._Z25selective_scan_fwd_kernelI32Selective_Scan_fwd_kernel_traitsILi64ELi16ELi1ELb0ELb1ELb1ELb1ELb0EN3c108BFloat16EffEEv13SSMParamsBase,"axG",@progbits,_Z25selective_scan_fwd_kernelI32Selective_Scan_fwd_kernel_traitsILi64ELi16ELi1ELb0ELb1ELb1ELb1ELb0EN3c108BFloat16EffEEv13SSMParamsBase,comdat
.Lfunc_end53:
	.size	_Z25selective_scan_fwd_kernelI32Selective_Scan_fwd_kernel_traitsILi64ELi16ELi1ELb0ELb1ELb1ELb1ELb0EN3c108BFloat16EffEEv13SSMParamsBase, .Lfunc_end53-_Z25selective_scan_fwd_kernelI32Selective_Scan_fwd_kernel_traitsILi64ELi16ELi1ELb0ELb1ELb1ELb1ELb0EN3c108BFloat16EffEEv13SSMParamsBase
                                        ; -- End function
	.section	.AMDGPU.csdata,"",@progbits
; Kernel info:
; codeLenInByte = 27496
; NumSgprs: 106
; NumVgprs: 96
; NumAgprs: 0
; TotalNumVgprs: 96
; ScratchSize: 332
; MemoryBound: 0
; FloatMode: 240
; IeeeMode: 1
; LDSByteSize: 0 bytes/workgroup (compile time only)
; SGPRBlocks: 13
; VGPRBlocks: 11
; NumSGPRsForWavesPerEU: 106
; NumVGPRsForWavesPerEU: 96
; AccumOffset: 96
; Occupancy: 5
; WaveLimiterHint : 0
; COMPUTE_PGM_RSRC2:SCRATCH_EN: 1
; COMPUTE_PGM_RSRC2:USER_SGPR: 2
; COMPUTE_PGM_RSRC2:TRAP_HANDLER: 0
; COMPUTE_PGM_RSRC2:TGID_X_EN: 1
; COMPUTE_PGM_RSRC2:TGID_Y_EN: 1
; COMPUTE_PGM_RSRC2:TGID_Z_EN: 0
; COMPUTE_PGM_RSRC2:TIDIG_COMP_CNT: 0
; COMPUTE_PGM_RSRC3_GFX90A:ACCUM_OFFSET: 23
; COMPUTE_PGM_RSRC3_GFX90A:TG_SPLIT: 0
	.section	.text._Z25selective_scan_fwd_kernelI32Selective_Scan_fwd_kernel_traitsILi64ELi16ELi1ELb0ELb1ELb1ELb0ELb1EN3c108BFloat16EffEEv13SSMParamsBase,"axG",@progbits,_Z25selective_scan_fwd_kernelI32Selective_Scan_fwd_kernel_traitsILi64ELi16ELi1ELb0ELb1ELb1ELb0ELb1EN3c108BFloat16EffEEv13SSMParamsBase,comdat
	.protected	_Z25selective_scan_fwd_kernelI32Selective_Scan_fwd_kernel_traitsILi64ELi16ELi1ELb0ELb1ELb1ELb0ELb1EN3c108BFloat16EffEEv13SSMParamsBase ; -- Begin function _Z25selective_scan_fwd_kernelI32Selective_Scan_fwd_kernel_traitsILi64ELi16ELi1ELb0ELb1ELb1ELb0ELb1EN3c108BFloat16EffEEv13SSMParamsBase
	.globl	_Z25selective_scan_fwd_kernelI32Selective_Scan_fwd_kernel_traitsILi64ELi16ELi1ELb0ELb1ELb1ELb0ELb1EN3c108BFloat16EffEEv13SSMParamsBase
	.p2align	8
	.type	_Z25selective_scan_fwd_kernelI32Selective_Scan_fwd_kernel_traitsILi64ELi16ELi1ELb0ELb1ELb1ELb0ELb1EN3c108BFloat16EffEEv13SSMParamsBase,@function
_Z25selective_scan_fwd_kernelI32Selective_Scan_fwd_kernel_traitsILi64ELi16ELi1ELb0ELb1ELb1ELb0ELb1EN3c108BFloat16EffEEv13SSMParamsBase: ; @_Z25selective_scan_fwd_kernelI32Selective_Scan_fwd_kernel_traitsILi64ELi16ELi1ELb0ELb1ELb1ELb0ELb1EN3c108BFloat16EffEEv13SSMParamsBase
; %bb.0:
	s_load_dword s27, s[0:1], 0x18
	s_load_dwordx4 s[4:7], s[0:1], 0xe0
	s_load_dwordx2 s[10:11], s[0:1], 0xf0
	s_mov_b32 s20, s3
	s_ashr_i32 s3, s2, 31
	s_waitcnt lgkmcnt(0)
	s_abs_i32 s26, s27
	v_cvt_f32_u32_e32 v1, s26
	s_lshl_b64 s[8:9], s[2:3], 2
	s_add_u32 s24, s4, s8
	s_addc_u32 s25, s5, s9
	v_rcp_iflag_f32_e32 v1, v1
	s_cmp_eq_u64 s[10:11], 0
                                        ; implicit-def: $vgpr95 : SGPR spill to VGPR lane
	v_mul_f32_e32 v1, 0x4f7ffffe, v1
	v_cvt_u32_f32_e32 v1, v1
	s_nop 0
	v_readfirstlane_b32 s28, v1
	s_cbranch_scc1 .LBB54_2
; %bb.1:
	s_add_u32 s4, s10, s2
	s_addc_u32 s5, s11, s3
	v_mov_b32_e32 v1, 0
	global_load_ubyte v1, v1, s[4:5]
	s_waitcnt vmcnt(0)
	v_and_b32_e32 v1, 1, v1
	v_cmp_eq_u32_e64 s[4:5], 1, v1
	s_branch .LBB54_3
.LBB54_2:
	s_mov_b64 s[4:5], 0
.LBB54_3:
	s_nop 0
	v_writelane_b32 v95, s4, 0
	s_cmp_eq_u64 s[6:7], 0
	s_nop 0
	v_writelane_b32 v95, s5, 1
	s_load_dwordx2 s[4:5], s[0:1], 0x20
	s_cbranch_scc1 .LBB54_5
; %bb.4:
	s_add_u32 s2, s6, s8
	s_addc_u32 s3, s7, s9
	s_load_dword s2, s[2:3], 0x0
	s_waitcnt lgkmcnt(0)
	s_ashr_i32 s3, s2, 31
.LBB54_5:
	s_waitcnt lgkmcnt(0)
	s_cmp_eq_u64 s[4:5], s[2:3]
	s_cbranch_scc1 .LBB54_234
; %bb.6:
	s_load_dwordx16 s[4:19], s[0:1], 0x88
	s_load_dwordx2 s[22:23], s[24:25], 0x0
	s_mov_b32 s3, 0
	v_writelane_b32 v95, s3, 2
	v_writelane_b32 v95, s3, 3
	s_waitcnt lgkmcnt(0)
	s_cmp_eq_u64 s[10:11], 0
	s_cbranch_scc1 .LBB54_8
; %bb.7:
	s_ashr_i32 s21, s20, 31
	s_lshl_b64 s[24:25], s[20:21], 2
	s_add_u32 s10, s10, s24
	s_addc_u32 s11, s11, s25
	s_load_dword s3, s[10:11], 0x0
	s_waitcnt lgkmcnt(0)
	v_writelane_b32 v95, s3, 3
.LBB54_8:
	s_cmp_eq_u64 s[16:17], 0
	s_cbranch_scc1 .LBB54_10
; %bb.9:
	s_ashr_i32 s21, s20, 31
	s_lshl_b64 s[10:11], s[20:21], 2
	s_add_u32 s10, s16, s10
	s_addc_u32 s11, s17, s11
	s_load_dword s3, s[10:11], 0x0
	s_waitcnt lgkmcnt(0)
	v_writelane_b32 v95, s3, 2
.LBB54_10:
	s_sub_i32 s29, s23, s22
	s_cmp_lt_i32 s29, 1
	s_cbranch_scc1 .LBB54_234
; %bb.11:
	v_mbcnt_lo_u32_b32 v1, -1, 0
	v_mbcnt_hi_u32_b32 v20, -1, v1
	s_sub_i32 s3, 0, s26
	v_lshrrev_b32_e32 v1, 5, v20
	s_mul_i32 s3, s3, s28
	v_and_b32_e32 v1, 2, v1
	s_mul_hi_u32 s3, s28, s3
	v_add_u32_e32 v1, v1, v20
	s_abs_i32 s21, s20
	s_add_i32 s28, s28, s3
	v_add_u32_e32 v2, 64, v20
	v_lshl_add_u32 v1, v1, 1, 0
	s_load_dwordx8 s[36:43], s[0:1], 0x2c
	s_load_dwordx2 s[10:11], s[0:1], 0x5c
	s_load_dwordx4 s[44:47], s[0:1], 0x4c
	s_load_dwordx4 s[48:51], s[0:1], 0x7c
	s_load_dwordx2 s[24:25], s[0:1], 0x6c
	s_load_dwordx2 s[16:17], s[0:1], 0xc8
	s_mul_hi_u32 s3, s21, s28
	s_load_dword s28, s[0:1], 0xc
	s_load_dword s23, s[0:1], 0x28
	scratch_store_dword off, v1, off offset:4 ; 4-byte Folded Spill
	scratch_store_dword off, v2, off offset:180 ; 4-byte Folded Spill
	v_lshrrev_b32_e32 v1, 5, v2
	s_ashr_i32 s0, s20, 31
	s_ashr_i32 s1, s27, 31
	v_and_b32_e32 v1, 6, v1
	s_xor_b32 s0, s0, s1
	s_mul_i32 s1, s3, s26
	v_add_lshl_u32 v1, v1, v20, 1
	s_sub_i32 s1, s21, s1
	v_or_b32_e32 v3, 0x80, v20
	v_add_u32_e32 v2, 0, v1
	s_add_i32 s21, s3, 1
	s_sub_i32 s27, s1, s26
	scratch_store_dword off, v2, off offset:8 ; 4-byte Folded Spill
	scratch_store_dword off, v3, off offset:184 ; 4-byte Folded Spill
	v_lshrrev_b32_e32 v2, 5, v3
	s_cmp_ge_u32 s1, s26
	v_and_b32_e32 v2, 6, v2
	s_cselect_b32 s3, s21, s3
	v_add_lshl_u32 v2, v2, v20, 1
	s_cselect_b32 s1, s27, s1
	s_add_i32 s21, s3, 1
	v_add_u32_e32 v4, 0xc0, v20
	v_add_u32_e32 v3, 0, v2
	s_cmp_ge_u32 s1, s26
	scratch_store_dword off, v3, off offset:12 ; 4-byte Folded Spill
	scratch_store_dword off, v4, off offset:188 ; 4-byte Folded Spill
	v_lshrrev_b32_e32 v3, 5, v4
	s_cselect_b32 s1, s21, s3
	v_and_b32_e32 v3, 14, v3
	s_xor_b32 s1, s1, s0
	s_waitcnt lgkmcnt(0)
	s_mul_i32 s92, s22, s46
	s_mov_b32 s93, 0
	v_add_lshl_u32 v3, v3, v20, 1
	s_sub_i32 s3, s1, s0
	s_lshl_b64 s[0:1], s[92:93], 1
	v_or_b32_e32 v5, 0x100, v20
	v_add_u32_e32 v4, 0, v3
	s_add_u32 s12, s12, s0
	s_mul_i32 s92, s47, s20
	scratch_store_dword off, v4, off offset:16 ; 4-byte Folded Spill
	scratch_store_dword off, v5, off offset:192 ; 4-byte Folded Spill
	v_lshrrev_b32_e32 v4, 5, v5
	s_addc_u32 s13, s13, s1
	s_lshl_b64 s[0:1], s[92:93], 1
	v_and_b32_e32 v4, 10, v4
	s_add_u32 s26, s12, s0
	s_mul_i32 s92, s22, s10
	v_add_lshl_u32 v4, v4, v20, 1
	s_addc_u32 s27, s13, s1
	s_lshl_b64 s[0:1], s[92:93], 1
	v_add_u32_e32 v6, 0x140, v20
	v_add_u32_e32 v5, 0, v4
	s_add_u32 s10, s14, s0
	s_mul_i32 s92, s11, s20
	scratch_store_dword off, v5, off offset:20 ; 4-byte Folded Spill
	scratch_store_dword off, v6, off offset:196 ; 4-byte Folded Spill
	v_lshrrev_b32_e32 v5, 5, v6
	s_addc_u32 s12, s15, s1
	s_lshl_b64 s[0:1], s[92:93], 1
	v_and_b32_e32 v5, 14, v5
	s_add_u32 s0, s10, s0
	v_add_lshl_u32 v5, v5, v20, 1
	s_addc_u32 s1, s12, s1
	v_or_b32_e32 v7, 0x180, v20
	v_add_u32_e32 v6, 0, v5
	v_writelane_b32 v95, s0, 4
	s_mul_i32 s92, s36, s20
	scratch_store_dword off, v6, off offset:24 ; 4-byte Folded Spill
	scratch_store_dword off, v7, off offset:200 ; 4-byte Folded Spill
	v_lshrrev_b32_e32 v6, 5, v7
	v_writelane_b32 v95, s1, 5
	s_lshl_b64 s[0:1], s[92:93], 2
	v_and_b32_e32 v6, 14, v6
	s_add_u32 s99, s4, s0
	v_add_lshl_u32 v6, v6, v20, 1
	s_addc_u32 s0, s5, s1
	s_mul_i32 s92, s22, s38
	v_add_u32_e32 v8, 0x1c0, v20
	v_add_u32_e32 v7, 0, v6
	v_writelane_b32 v95, s0, 6
	s_lshl_b64 s[0:1], s[92:93], 1
	scratch_store_dword off, v7, off offset:28 ; 4-byte Folded Spill
	scratch_store_dword off, v8, off offset:204 ; 4-byte Folded Spill
	v_lshrrev_b32_e32 v7, 5, v8
	s_add_u32 s4, s6, s0
	s_mul_i32 s92, s3, s41
	v_and_b32_e32 v7, 30, v7
	s_addc_u32 s5, s7, s1
	s_lshl_b64 s[0:1], s[92:93], 1
	v_add_lshl_u32 v7, v7, v20, 1
	s_add_u32 s0, s4, s0
	v_or_b32_e32 v9, 0x200, v20
	v_add_u32_e32 v8, 0, v7
	s_addc_u32 s1, s5, s1
	scratch_store_dword off, v8, off offset:32 ; 4-byte Folded Spill
	scratch_store_dword off, v9, off offset:208 ; 4-byte Folded Spill
	v_lshrrev_b32_e32 v8, 5, v9
	v_writelane_b32 v95, s0, 7
	v_and_b32_e32 v8, 18, v8
	v_add_lshl_u32 v8, v8, v20, 1
	v_writelane_b32 v95, s1, 8
	v_writelane_b32 v95, s36, 9
	v_add_u32_e32 v10, 0x240, v20
	v_add_u32_e32 v9, 0, v8
	v_writelane_b32 v95, s37, 10
	scratch_store_dword off, v9, off offset:36 ; 4-byte Folded Spill
	scratch_store_dword off, v10, off offset:212 ; 4-byte Folded Spill
	v_lshrrev_b32_e32 v9, 5, v10
	v_writelane_b32 v95, s38, 11
	v_and_b32_e32 v9, 22, v9
	v_writelane_b32 v95, s39, 12
	v_add_lshl_u32 v9, v9, v20, 1
	v_writelane_b32 v95, s40, 13
	v_or_b32_e32 v11, 0x280, v20
	v_add_u32_e32 v10, 0, v9
	v_writelane_b32 v95, s41, 14
	scratch_store_dword off, v10, off offset:40 ; 4-byte Folded Spill
	scratch_store_dword off, v11, off offset:216 ; 4-byte Folded Spill
	v_lshrrev_b32_e32 v10, 5, v11
	v_writelane_b32 v95, s42, 15
	s_mul_i32 s92, s22, s42
	v_and_b32_e32 v10, 22, v10
	v_writelane_b32 v95, s43, 16
	s_lshl_b64 s[0:1], s[92:93], 1
	v_add_lshl_u32 v10, v10, v20, 1
	s_add_u32 s4, s8, s0
	v_writelane_b32 v95, s44, 17
	s_mul_i32 s92, s3, s45
	v_add_u32_e32 v12, 0x2c0, v20
	v_add_u32_e32 v11, 0, v10
	s_addc_u32 s5, s9, s1
	v_writelane_b32 v95, s45, 18
	s_lshl_b64 s[0:1], s[92:93], 1
	scratch_store_dword off, v11, off offset:44 ; 4-byte Folded Spill
	scratch_store_dword off, v12, off offset:220 ; 4-byte Folded Spill
	v_lshrrev_b32_e32 v11, 5, v12
	v_writelane_b32 v95, s46, 19
	s_add_u32 s0, s4, s0
	v_and_b32_e32 v11, 30, v11
	v_writelane_b32 v95, s47, 20
	s_addc_u32 s1, s5, s1
	v_add_lshl_u32 v11, v11, v20, 1
	v_writelane_b32 v95, s0, 21
	v_or_b32_e32 v13, 0x300, v20
	v_add_u32_e32 v12, 0, v11
	v_writelane_b32 v95, s1, 22
	s_mul_i32 s92, s2, s48
	scratch_store_dword off, v12, off offset:48 ; 4-byte Folded Spill
	scratch_store_dword off, v13, off offset:224 ; 4-byte Folded Spill
	v_lshrrev_b32_e32 v12, 5, v13
	s_lshl_b64 s[0:1], s[92:93], 2
	v_writelane_b32 v95, s48, 23
	v_and_b32_e32 v12, 26, v12
	s_add_u32 s2, s16, s0
	v_writelane_b32 v95, s49, 24
	s_mul_i32 s92, s49, s20
	v_add_lshl_u32 v12, v12, v20, 1
	s_addc_u32 s3, s17, s1
	v_writelane_b32 v95, s50, 25
	s_lshl_b64 s[0:1], s[92:93], 2
	v_add_u32_e32 v14, 0x340, v20
	v_add_u32_e32 v13, 0, v12
	v_writelane_b32 v95, s51, 26
	s_add_u32 s0, s2, s0
	scratch_store_dword off, v13, off offset:52 ; 4-byte Folded Spill
	scratch_store_dword off, v14, off offset:228 ; 4-byte Folded Spill
	v_lshrrev_b32_e32 v13, 5, v14
	v_writelane_b32 v95, s0, 27
	s_addc_u32 s0, s3, s1
	v_and_b32_e32 v13, 30, v13
	v_writelane_b32 v95, s0, 28
	s_add_i32 s0, s29, 0x7ff
	v_add_lshl_u32 v13, v13, v20, 1
	s_lshr_b32 s1, s0, 11
	v_or_b32_e32 v15, 0x380, v20
	v_add_u32_e32 v14, 0, v13
	scratch_store_dword off, v14, off offset:56 ; 4-byte Folded Spill
	scratch_store_dword off, v15, off offset:232 ; 4-byte Folded Spill
	v_lshrrev_b32_e32 v14, 5, v15
	s_bitcmp1_b32 s23, 0
	v_and_b32_e32 v14, 30, v14
	s_cselect_b64 s[4:5], -1, 0
	s_cmp_gt_i32 s28, 0
	v_add_lshl_u32 v14, v14, v20, 1
	s_cselect_b64 s[2:3], -1, 0
	s_add_i32 s0, 0, 0x840
	v_add_u32_e32 v15, 0, v14
	v_add_u32_e32 v1, s0, v1
	;; [unrolled: 1-line block ×3, first 2 shown]
	scratch_store_dword off, v15, off offset:60 ; 4-byte Folded Spill
	scratch_store_dword off, v16, off offset:236 ; 4-byte Folded Spill
	;; [unrolled: 1-line block ×3, first 2 shown]
	v_add_u32_e32 v1, s0, v2
	scratch_store_dword off, v1, off offset:100 ; 4-byte Folded Spill
	v_add_u32_e32 v1, s0, v3
	scratch_store_dword off, v1, off offset:104 ; 4-byte Folded Spill
	;; [unrolled: 2-line block ×7, first 2 shown]
	v_add_u32_e32 v1, s0, v9
	v_lshrrev_b32_e32 v15, 5, v16
	scratch_store_dword off, v1, off offset:128 ; 4-byte Folded Spill
	v_add_u32_e32 v1, s0, v10
	v_and_b32_e32 v15, 62, v15
	scratch_store_dword off, v1, off offset:132 ; 4-byte Folded Spill
	v_add_u32_e32 v1, s0, v11
	v_add_lshl_u32 v15, v15, v20, 1
	scratch_store_dword off, v1, off offset:136 ; 4-byte Folded Spill
	v_add_u32_e32 v1, s0, v12
	v_add_u32_e32 v16, 0, v15
	v_lshrrev_b32_e32 v18, 1, v20
	scratch_store_dword off, v1, off offset:140 ; 4-byte Folded Spill
	v_add_u32_e32 v1, s0, v13
	scratch_store_dword off, v16, off offset:64 ; 4-byte Folded Spill
	v_lshlrev_b32_e32 v16, 4, v20
	v_and_b32_e32 v18, 62, v18
	scratch_store_dword off, v1, off offset:144 ; 4-byte Folded Spill
	v_add_u32_e32 v1, s0, v14
	v_add_lshl_u32 v16, v18, v16, 1
	v_writelane_b32 v95, s28, 29
	scratch_store_dword off, v1, off offset:148 ; 4-byte Folded Spill
	v_add_u32_e32 v1, s0, v15
	v_writelane_b32 v95, s2, 30
	scratch_store_dword off, v1, off offset:152 ; 4-byte Folded Spill
	v_add_u32_e32 v1, s0, v16
	s_and_b32 s0, s29, 0x3ff
	v_writelane_b32 v95, s3, 31
	s_cmp_eq_u32 s0, 0
	v_writelane_b32 v95, s29, 32
	s_cselect_b64 s[2:3], -1, 0
	scratch_store_dword off, v1, off offset:156 ; 4-byte Folded Spill
	v_writelane_b32 v95, s2, 33
	v_and_b32_e32 v1, 15, v20
	v_cmp_lt_u32_e64 s[6:7], 7, v1
	v_writelane_b32 v95, s3, 34
	v_cmp_ne_u32_e64 s[2:3], 0, v1
	s_add_i32 s0, s1, -1
	s_mul_i32 s92, s22, s24
	v_writelane_b32 v95, s2, 35
	v_and_b32_e32 v2, 64, v20
	v_lshlrev_b32_e32 v19, 4, v0
	v_writelane_b32 v95, s3, 36
	v_cmp_lt_u32_e64 s[2:3], 1, v1
	v_cmp_gt_u32_e64 s[14:15], 64, v0
	v_cmp_eq_u32_e64 s[16:17], 0, v0
	v_writelane_b32 v95, s2, 37
	v_add_u32_e32 v18, 0, v16
	v_mov_b32_e32 v17, 0
	v_writelane_b32 v95, s3, 38
	v_cmp_lt_u32_e64 s[2:3], 3, v1
	v_writelane_b32 v95, s6, 39
	v_and_b32_e32 v1, 16, v20
	scratch_store_dword off, v18, off       ; 4-byte Folded Spill
	v_writelane_b32 v95, s7, 40
	v_cmp_ne_u32_e64 s[6:7], 0, v1
	v_add_u32_e32 v1, -1, v20
	v_cmp_lt_i32_e32 vcc, v1, v2
	v_writelane_b32 v95, s6, 41
	v_lshlrev_b32_e32 v16, 1, v20
	v_cndmask_b32_e32 v1, v1, v20, vcc
	v_writelane_b32 v95, s7, 42
	v_writelane_b32 v95, s1, 43
	v_writelane_b32 v95, s0, 44
	s_lshl_b64 s[0:1], s[92:93], 1
	s_add_u32 s18, s18, s0
	s_addc_u32 s19, s19, s1
	v_cmp_eq_u32_e64 s[0:1], 63, v0
	v_lshlrev_b32_e32 v1, 2, v1
	v_mov_b32_e32 v0, v20
	scratch_store_dwordx2 off, v[0:1], off offset:172 ; 8-byte Folded Spill
	v_or_b32_e32 v0, 1, v19
	scratch_store_dword off, v0, off offset:252 ; 4-byte Folded Spill
	v_or_b32_e32 v0, 2, v19
	scratch_store_dword off, v0, off offset:256 ; 4-byte Folded Spill
	;; [unrolled: 2-line block ×6, first 2 shown]
                                        ; implicit-def: $vgpr0
	v_writelane_b32 v95, s0, 45
	v_or_b32_e32 v0, 7, v19
	scratch_store_dword off, v0, off offset:276 ; 4-byte Folded Spill
	v_or_b32_e32 v0, 8, v19
	s_mul_i32 s92, s25, s20
	scratch_store_dword off, v0, off offset:280 ; 4-byte Folded Spill
	v_or_b32_e32 v0, 9, v19
	v_writelane_b32 v95, s1, 46
	s_lshl_b64 s[0:1], s[92:93], 1
	scratch_store_dword off, v0, off offset:284 ; 4-byte Folded Spill
	v_or_b32_e32 v0, 10, v19
	s_add_u32 s0, s18, s0
	scratch_store_dword off, v0, off offset:288 ; 4-byte Folded Spill
	v_or_b32_e32 v0, 11, v19
	s_addc_u32 s1, s19, s1
	s_add_i32 s18, 0, 0x1088
	scratch_store_dword off, v0, off offset:292 ; 4-byte Folded Spill
	v_or_b32_e32 v0, 12, v19
	v_writelane_b32 v95, s18, 47
	scratch_store_dword off, v0, off offset:296 ; 4-byte Folded Spill
	v_or_b32_e32 v0, 13, v19
	scratch_store_dword off, v0, off offset:300 ; 4-byte Folded Spill
	v_or_b32_e32 v0, 14, v19
	v_writelane_b32 v95, s99, 48
	scratch_store_dword off, v1, off offset:160 ; 4-byte Folded Spill
	scratch_store_dword off, v0, off offset:304 ; 4-byte Folded Spill
	;; [unrolled: 1-line block ×3, first 2 shown]
	v_or_b32_e32 v0, 15, v19
	v_writelane_b32 v95, s4, 49
	v_cmp_lt_u32_e64 s[12:13], 31, v20
	s_mov_b32 s6, 0x41a00000
	s_mov_b32 s7, 0x3fb8aa3b
	;; [unrolled: 1-line block ×10, first 2 shown]
	scratch_store_dword off, v0, off offset:308 ; 4-byte Folded Spill
	v_mov_b32_e32 v40, 0x3ecc95a3
	v_mov_b32_e32 v41, 0x7f800000
	;; [unrolled: 1-line block ×4, first 2 shown]
	v_lshl_add_u64 v[0:1], s[0:1], 0, v[16:17]
	v_mov_b32_e32 v42, 0x3f317218
	v_writelane_b32 v95, s5, 50
	scratch_store_dwordx2 off, v[0:1], off offset:240 ; 8-byte Folded Spill
	s_branch .LBB54_13
.LBB54_12:                              ;   in Loop: Header=BB54_13 Depth=1
	s_or_b64 exec, exec, s[18:19]
	v_readlane_b32 s0, v95, 4
	v_readlane_b32 s1, v95, 5
	s_add_u32 s0, s0, 0x800
	s_addc_u32 s1, s1, 0
	v_writelane_b32 v95, s0, 4
	s_nop 1
	v_writelane_b32 v95, s1, 5
	s_nop 0
	v_readlane_b32 s26, v95, 54
	v_readlane_b32 s27, v95, 55
	s_add_u32 s26, s26, 0x800
	s_addc_u32 s27, s27, 0
	v_readlane_b32 s0, v95, 7
	v_readlane_b32 s1, v95, 8
	s_add_u32 s0, s0, 0x800
	s_addc_u32 s1, s1, 0
	v_writelane_b32 v95, s0, 7
	s_nop 1
	v_writelane_b32 v95, s1, 8
	s_nop 0
	v_readlane_b32 s0, v95, 21
	v_readlane_b32 s1, v95, 22
	s_add_u32 s0, s0, 0x800
	s_addc_u32 s1, s1, 0
	v_writelane_b32 v95, s0, 21
	s_nop 1
	v_writelane_b32 v95, s1, 22
	s_nop 0
	v_readlane_b32 s18, v95, 51
	s_add_i32 s18, s18, 1
	v_readlane_b32 s0, v95, 43
	s_cmp_eq_u32 s18, s0
	s_cbranch_scc1 .LBB54_234
.LBB54_13:                              ; =>This Loop Header: Depth=1
                                        ;     Child Loop BB54_110 Depth 2
	s_waitcnt lgkmcnt(0)
	; wave barrier
	s_waitcnt vmcnt(63) expcnt(7) lgkmcnt(15)
	scratch_load_dwordx2 v[0:1], off, off offset:172 ; 8-byte Folded Reload
	s_lshl_b32 s20, s18, 10
	v_writelane_b32 v95, s18, 51
	s_mov_b32 s18, s20
	v_readlane_b32 s0, v95, 32
	v_writelane_b32 v95, s18, 52
	s_sub_i32 s82, s0, s20
	s_waitcnt vmcnt(0) lgkmcnt(0)
	v_mov_b32_e32 v2, v0
	v_writelane_b32 v95, s19, 53
	v_lshlrev_b32_e32 v16, 1, v2
	v_writelane_b32 v95, s26, 54
	v_cmp_gt_u32_e64 s[18:19], s82, v2
	v_mov_b32_e32 v2, 0
	v_writelane_b32 v95, s27, 55
	v_lshl_add_u64 v[0:1], s[26:27], 0, v[16:17]
	s_and_saveexec_b64 s[20:21], s[18:19]
	s_cbranch_execz .LBB54_15
; %bb.14:                               ;   in Loop: Header=BB54_13 Depth=1
	global_load_ushort v2, v[0:1], off
.LBB54_15:                              ;   in Loop: Header=BB54_13 Depth=1
	s_or_b64 exec, exec, s[20:21]
	scratch_load_dword v3, off, off offset:180 ; 4-byte Folded Reload
	v_mov_b32_e32 v4, 0
	s_waitcnt vmcnt(0)
	v_cmp_gt_u32_e64 s[20:21], s82, v3
	v_mov_b32_e32 v3, 0
	s_and_saveexec_b64 s[22:23], s[20:21]
	s_cbranch_execz .LBB54_17
; %bb.16:                               ;   in Loop: Header=BB54_13 Depth=1
	global_load_ushort v4, v[0:1], off offset:128
.LBB54_17:                              ;   in Loop: Header=BB54_13 Depth=1
	s_or_b64 exec, exec, s[22:23]
	scratch_load_dword v5, off, off offset:184 ; 4-byte Folded Reload
	s_waitcnt vmcnt(0)
	v_cmp_gt_u32_e64 s[22:23], s82, v5
	s_and_saveexec_b64 s[24:25], s[22:23]
	s_cbranch_execz .LBB54_19
; %bb.18:                               ;   in Loop: Header=BB54_13 Depth=1
	global_load_ushort v3, v[0:1], off offset:256
.LBB54_19:                              ;   in Loop: Header=BB54_13 Depth=1
	s_or_b64 exec, exec, s[24:25]
	scratch_load_dword v5, off, off offset:188 ; 4-byte Folded Reload
	v_mov_b32_e32 v6, 0
	s_waitcnt vmcnt(0)
	v_cmp_gt_u32_e64 s[24:25], s82, v5
	v_mov_b32_e32 v5, 0
	s_and_saveexec_b64 s[26:27], s[24:25]
	s_cbranch_execz .LBB54_21
; %bb.20:                               ;   in Loop: Header=BB54_13 Depth=1
	global_load_ushort v6, v[0:1], off offset:384
.LBB54_21:                              ;   in Loop: Header=BB54_13 Depth=1
	s_or_b64 exec, exec, s[26:27]
	scratch_load_dword v7, off, off offset:192 ; 4-byte Folded Reload
	s_waitcnt vmcnt(0)
	v_cmp_gt_u32_e64 s[26:27], s82, v7
	s_and_saveexec_b64 s[28:29], s[26:27]
	s_cbranch_execz .LBB54_23
; %bb.22:                               ;   in Loop: Header=BB54_13 Depth=1
	global_load_ushort v5, v[0:1], off offset:512
.LBB54_23:                              ;   in Loop: Header=BB54_13 Depth=1
	;; [unrolled: 20-line block ×4, first 2 shown]
	s_or_b64 exec, exec, s[38:39]
	scratch_load_dword v10, off, off offset:212 ; 4-byte Folded Reload
	v_mov_b32_e32 v12, 0
	v_mov_b32_e32 v13, 0
	s_waitcnt vmcnt(0)
	v_cmp_gt_u32_e64 s[38:39], s82, v10
	s_and_saveexec_b64 s[40:41], s[38:39]
	s_cbranch_execz .LBB54_33
; %bb.32:                               ;   in Loop: Header=BB54_13 Depth=1
	global_load_ushort v13, v[0:1], off offset:1152
.LBB54_33:                              ;   in Loop: Header=BB54_13 Depth=1
	s_or_b64 exec, exec, s[40:41]
	scratch_load_dword v10, off, off offset:216 ; 4-byte Folded Reload
	s_waitcnt vmcnt(0)
	v_cmp_gt_u32_e64 s[40:41], s82, v10
	s_and_saveexec_b64 s[42:43], s[40:41]
	s_cbranch_execz .LBB54_35
; %bb.34:                               ;   in Loop: Header=BB54_13 Depth=1
	global_load_ushort v12, v[0:1], off offset:1280
.LBB54_35:                              ;   in Loop: Header=BB54_13 Depth=1
	s_or_b64 exec, exec, s[42:43]
	scratch_load_dword v10, off, off offset:220 ; 4-byte Folded Reload
	v_mov_b32_e32 v14, 0
	v_mov_b32_e32 v15, 0
	s_waitcnt vmcnt(0)
	v_cmp_gt_u32_e64 s[42:43], s82, v10
	s_and_saveexec_b64 s[44:45], s[42:43]
	s_cbranch_execz .LBB54_37
; %bb.36:                               ;   in Loop: Header=BB54_13 Depth=1
	global_load_ushort v15, v[0:1], off offset:1408
.LBB54_37:                              ;   in Loop: Header=BB54_13 Depth=1
	s_or_b64 exec, exec, s[44:45]
	scratch_load_dword v10, off, off offset:224 ; 4-byte Folded Reload
	s_waitcnt vmcnt(0)
	v_cmp_gt_u32_e64 s[44:45], s82, v10
	s_and_saveexec_b64 s[46:47], s[44:45]
	s_cbranch_execz .LBB54_39
; %bb.38:                               ;   in Loop: Header=BB54_13 Depth=1
	global_load_ushort v14, v[0:1], off offset:1536
.LBB54_39:                              ;   in Loop: Header=BB54_13 Depth=1
	;; [unrolled: 20-line block ×3, first 2 shown]
	s_or_b64 exec, exec, s[50:51]
	scratch_load_dword v10, off, off offset:236 ; 4-byte Folded Reload
	v_mov_b32_e32 v20, 0
	s_waitcnt vmcnt(0)
	v_cmp_gt_u32_e64 s[50:51], s82, v10
	v_mov_b32_e32 v10, 0
	s_and_saveexec_b64 s[52:53], s[50:51]
	s_cbranch_execz .LBB54_45
; %bb.44:                               ;   in Loop: Header=BB54_13 Depth=1
	global_load_ushort v20, v[0:1], off offset:1920
.LBB54_45:                              ;   in Loop: Header=BB54_13 Depth=1
	s_or_b64 exec, exec, s[52:53]
	scratch_load_dword v0, off, off offset:4 ; 4-byte Folded Reload
	v_readlane_b32 s0, v95, 4
	v_readlane_b32 s1, v95, 5
	s_waitcnt vmcnt(0)
	ds_write_b16 v0, v2
	scratch_load_dword v0, off, off offset:8 ; 4-byte Folded Reload
	s_waitcnt vmcnt(0)
	ds_write_b16 v0, v4 offset:128
	scratch_load_dword v0, off, off offset:12 ; 4-byte Folded Reload
	s_waitcnt vmcnt(0)
	ds_write_b16 v0, v3 offset:256
	;; [unrolled: 3-line block ×8, first 2 shown]
	scratch_load_dword v0, off, off offset:40 ; 4-byte Folded Reload
	v_lshl_add_u64 v[8:9], s[0:1], 0, v[16:17]
	s_waitcnt vmcnt(0)
	ds_write_b16 v0, v13 offset:1152
	scratch_load_dword v0, off, off offset:44 ; 4-byte Folded Reload
	s_waitcnt vmcnt(0)
	ds_write_b16 v0, v12 offset:1280
	scratch_load_dword v0, off, off offset:48 ; 4-byte Folded Reload
	;; [unrolled: 3-line block ×6, first 2 shown]
	s_waitcnt vmcnt(0)
	ds_write_b16 v0, v20 offset:1920
	; wave barrier
	scratch_load_dword v4, off, off         ; 4-byte Folded Reload
	s_waitcnt vmcnt(0)
	ds_read_b128 v[0:3], v4
	ds_read_b128 v[4:7], v4 offset:16
	s_waitcnt lgkmcnt(0)
	; wave barrier
	s_waitcnt lgkmcnt(0)
	s_and_saveexec_b64 s[52:53], s[18:19]
	s_cbranch_execz .LBB54_47
; %bb.46:                               ;   in Loop: Header=BB54_13 Depth=1
	global_load_ushort v10, v[8:9], off
.LBB54_47:                              ;   in Loop: Header=BB54_13 Depth=1
	s_or_b64 exec, exec, s[52:53]
	v_mov_b32_e32 v11, 0
	v_mov_b32_e32 v12, 0
	s_and_saveexec_b64 s[52:53], s[20:21]
	s_cbranch_execz .LBB54_49
; %bb.48:                               ;   in Loop: Header=BB54_13 Depth=1
	global_load_ushort v12, v[8:9], off offset:128
.LBB54_49:                              ;   in Loop: Header=BB54_13 Depth=1
	s_or_b64 exec, exec, s[52:53]
	s_and_saveexec_b64 s[52:53], s[22:23]
	s_cbranch_execz .LBB54_51
; %bb.50:                               ;   in Loop: Header=BB54_13 Depth=1
	global_load_ushort v11, v[8:9], off offset:256
.LBB54_51:                              ;   in Loop: Header=BB54_13 Depth=1
	s_or_b64 exec, exec, s[52:53]
	v_mov_b32_e32 v13, 0
	v_mov_b32_e32 v14, 0
	s_and_saveexec_b64 s[52:53], s[24:25]
	s_cbranch_execz .LBB54_53
; %bb.52:                               ;   in Loop: Header=BB54_13 Depth=1
	global_load_ushort v14, v[8:9], off offset:384
.LBB54_53:                              ;   in Loop: Header=BB54_13 Depth=1
	s_or_b64 exec, exec, s[52:53]
	s_and_saveexec_b64 s[52:53], s[26:27]
	s_cbranch_execz .LBB54_55
; %bb.54:                               ;   in Loop: Header=BB54_13 Depth=1
	global_load_ushort v13, v[8:9], off offset:512
.LBB54_55:                              ;   in Loop: Header=BB54_13 Depth=1
	;; [unrolled: 14-line block ×6, first 2 shown]
	s_or_b64 exec, exec, s[52:53]
	v_mov_b32_e32 v25, 0
	v_mov_b32_e32 v26, 0
	s_and_saveexec_b64 s[52:53], s[46:47]
	s_cbranch_execnz .LBB54_216
; %bb.72:                               ;   in Loop: Header=BB54_13 Depth=1
	s_or_b64 exec, exec, s[52:53]
	s_and_saveexec_b64 s[52:53], s[48:49]
	s_cbranch_execnz .LBB54_217
.LBB54_73:                              ;   in Loop: Header=BB54_13 Depth=1
	s_or_b64 exec, exec, s[52:53]
	v_mov_b32_e32 v27, 0
	s_and_saveexec_b64 s[52:53], s[50:51]
	s_cbranch_execz .LBB54_75
.LBB54_74:                              ;   in Loop: Header=BB54_13 Depth=1
	global_load_ushort v27, v[8:9], off offset:1920
.LBB54_75:                              ;   in Loop: Header=BB54_13 Depth=1
	s_or_b64 exec, exec, s[52:53]
	scratch_load_dword v8, off, off offset:4 ; 4-byte Folded Reload
	v_readlane_b32 s0, v95, 2
	s_waitcnt vmcnt(0)
	ds_write_b16 v8, v10
	scratch_load_dword v8, off, off offset:8 ; 4-byte Folded Reload
	s_waitcnt vmcnt(0)
	ds_write_b16 v8, v12 offset:128
	scratch_load_dword v8, off, off offset:12 ; 4-byte Folded Reload
	s_waitcnt vmcnt(0)
	ds_write_b16 v8, v11 offset:256
	;; [unrolled: 3-line block ×15, first 2 shown]
	; wave barrier
	scratch_load_dword v8, off, off         ; 4-byte Folded Reload
	s_waitcnt vmcnt(0)
	ds_read_b128 v[12:15], v8
	ds_read_b128 v[8:11], v8 offset:16
	s_waitcnt lgkmcnt(1)
	v_lshlrev_b32_e32 v18, 16, v12
	v_add_f32_e32 v19, s0, v18
	v_cmp_ge_f32_e32 vcc, s6, v19
	s_and_b64 s[0:1], s[4:5], vcc
	s_and_saveexec_b64 s[54:55], s[0:1]
	s_cbranch_execz .LBB54_77
; %bb.76:                               ;   in Loop: Header=BB54_13 Depth=1
	v_mul_f32_e32 v18, 0x3fb8aa3b, v19
	v_rndne_f32_e32 v20, v18
	v_sub_f32_e32 v21, v18, v20
	v_fma_f32 v18, v19, s7, -v18
	v_fmac_f32_e32 v18, 0x32a5705f, v19
	v_add_f32_e32 v18, v21, v18
	v_cvt_i32_f32_e32 v20, v20
	v_exp_f32_e32 v18, v18
	v_cmp_ngt_f32_e32 vcc, s8, v19
	v_ldexp_f32 v18, v18, v20
	s_nop 0
	v_cndmask_b32_e32 v18, 0, v18, vcc
	v_cmp_nlt_f32_e32 vcc, s9, v19
	s_nop 1
	v_cndmask_b32_e32 v34, v41, v18, vcc
	v_add_f32_e32 v20, 1.0, v34
	v_add_f32_e32 v18, -1.0, v20
	v_sub_f32_e32 v19, v18, v20
	v_add_f32_e32 v19, 1.0, v19
	v_sub_f32_e32 v18, v34, v18
	v_add_f32_e32 v21, v18, v19
	v_frexp_mant_f32_e32 v22, v20
	v_cvt_f64_f32_e32 v[18:19], v20
	v_frexp_exp_i32_f64_e32 v18, v[18:19]
	v_cmp_gt_f32_e32 vcc, s11, v22
	v_cmp_gt_f32_e64 s[52:53], s57, v34
	s_nop 0
	v_subbrev_co_u32_e32 v26, vcc, 0, v18, vcc
	v_sub_u32_e32 v18, 0, v26
	v_ldexp_f32 v19, v20, v18
	v_add_f32_e32 v20, -1.0, v19
	v_add_f32_e32 v22, 1.0, v19
	v_ldexp_f32 v18, v21, v18
	v_add_f32_e32 v21, 1.0, v20
	v_add_f32_e32 v23, -1.0, v22
	v_sub_f32_e32 v21, v19, v21
	v_sub_f32_e32 v19, v19, v23
	v_add_f32_e32 v21, v18, v21
	v_add_f32_e32 v18, v18, v19
	;; [unrolled: 1-line block ×3, first 2 shown]
	v_rcp_f32_e32 v29, v27
	v_sub_f32_e32 v19, v22, v27
	v_add_f32_e32 v28, v18, v19
	v_add_f32_e32 v19, v20, v21
	v_mul_f32_e32 v31, v19, v29
	v_sub_f32_e32 v18, v20, v19
	v_mul_f32_e32 v20, v27, v31
	v_fma_f32 v22, v31, v27, -v20
	v_fmac_f32_e32 v22, v31, v28
	v_add_f32_e32 v30, v21, v18
	v_add_f32_e32 v18, v20, v22
	v_sub_f32_e32 v21, v19, v18
	v_pk_add_f32 v[24:25], v[18:19], v[20:21] neg_lo:[0,1] neg_hi:[0,1]
	v_mov_b32_e32 v23, v18
	v_pk_add_f32 v[18:19], v[24:25], v[22:23] neg_lo:[0,1] neg_hi:[0,1]
	v_cmp_eq_f32_e32 vcc, s10, v34
	v_add_f32_e32 v19, v30, v19
	v_add_f32_e32 v18, v18, v19
	;; [unrolled: 1-line block ×3, first 2 shown]
	v_mul_f32_e32 v30, v29, v19
	v_mul_f32_e32 v20, v27, v30
	v_fma_f32 v22, v30, v27, -v20
	v_fmac_f32_e32 v22, v30, v28
	v_sub_f32_e32 v21, v21, v19
	v_add_f32_e32 v27, v18, v21
	v_add_f32_e32 v18, v20, v22
	v_sub_f32_e32 v21, v19, v18
	v_pk_add_f32 v[24:25], v[18:19], v[20:21] neg_lo:[0,1] neg_hi:[0,1]
	v_mov_b32_e32 v23, v18
	v_pk_add_f32 v[18:19], v[24:25], v[22:23] neg_lo:[0,1] neg_hi:[0,1]
	s_or_b64 vcc, s[52:53], vcc
	v_add_f32_e32 v19, v27, v19
	v_add_f32_e32 v18, v18, v19
	;; [unrolled: 1-line block ×4, first 2 shown]
	v_sub_f32_e32 v20, v19, v31
	v_mul_f32_e32 v18, v29, v18
	v_sub_f32_e32 v20, v30, v20
	v_add_f32_e32 v20, v20, v18
	v_add_f32_e32 v22, v19, v20
	v_mul_f32_e32 v23, v22, v22
	v_fmamk_f32 v18, v23, 0x3e9b6dac, v40
	v_fmaak_f32 v43, v23, v18, 0x3f2aaada
	v_cvt_f32_i32_e32 v18, v26
	v_sub_f32_e32 v19, v22, v19
	v_sub_f32_e32 v19, v20, v19
	v_ldexp_f32 v24, v19, 1
	v_mul_f32_e32 v19, v22, v23
	v_ldexp_f32 v21, v22, 1
	v_pk_mul_f32 v[22:23], v[18:19], v[42:43]
	s_nop 0
	v_fma_f32 v20, v18, s56, -v22
	v_fmac_f32_e32 v20, 0xb102e308, v18
	v_pk_add_f32 v[18:19], v[22:23], v[20:21]
	s_nop 0
	v_sub_f32_e32 v21, v19, v21
	v_sub_f32_e32 v21, v23, v21
	v_add_f32_e32 v25, v24, v21
	v_mov_b32_e32 v24, v22
	v_pk_add_f32 v[22:23], v[18:19], v[22:23] neg_lo:[0,1] neg_hi:[0,1]
	v_pk_add_f32 v[26:27], v[18:19], v[24:25]
	v_mov_b32_e32 v21, v18
	v_mov_b32_e32 v23, v27
	v_pk_add_f32 v[28:29], v[20:21], v[22:23] neg_lo:[0,1] neg_hi:[0,1]
	v_pk_add_f32 v[20:21], v[20:21], v[22:23]
	v_mov_b32_e32 v24, v25
	v_mov_b32_e32 v22, v21
	v_pk_add_f32 v[30:31], v[22:23], v[18:19] neg_lo:[0,1] neg_hi:[0,1]
	v_mov_b32_e32 v20, v27
	v_mov_b32_e32 v23, v30
	v_pk_add_f32 v[32:33], v[26:27], v[22:23] neg_lo:[0,1] neg_hi:[0,1]
	v_mov_b32_e32 v26, v19
	v_mov_b32_e32 v27, v30
	;; [unrolled: 1-line block ×3, first 2 shown]
	v_pk_add_f32 v[20:21], v[20:21], v[26:27] neg_lo:[0,1] neg_hi:[0,1]
	v_mov_b32_e32 v25, v18
	v_pk_add_f32 v[18:19], v[24:25], v[20:21] neg_lo:[0,1] neg_hi:[0,1]
	v_mov_b32_e32 v32, v28
	v_pk_add_f32 v[20:21], v[32:33], v[18:19]
	s_nop 0
	v_mov_b32_e32 v24, v21
	v_pk_add_f32 v[24:25], v[20:21], v[24:25]
	s_nop 0
	v_pk_add_f32 v[22:23], v[22:23], v[24:25]
	v_mov_b32_e32 v19, v24
	v_mov_b32_e32 v21, v22
	v_pk_add_f32 v[26:27], v[20:21], v[28:29] neg_lo:[0,1] neg_hi:[0,1]
	s_nop 0
	v_sub_f32_e32 v20, v20, v26
	v_pk_add_f32 v[18:19], v[18:19], v[26:27] neg_lo:[0,1] neg_hi:[0,1]
	v_sub_f32_e32 v20, v28, v20
	v_add_f32_e32 v18, v18, v20
	v_add_f32_e32 v18, v18, v19
	;; [unrolled: 1-line block ×3, first 2 shown]
	v_cndmask_b32_e32 v19, v18, v34, vcc
.LBB54_77:                              ;   in Loop: Header=BB54_13 Depth=1
	s_or_b64 exec, exec, s[54:55]
	v_and_b32_e32 v12, 0xffff0000, v12
	v_readlane_b32 s0, v95, 2
	s_nop 1
	v_add_f32_e32 v20, s0, v12
	v_cmp_ge_f32_e32 vcc, s6, v20
	s_and_b64 s[0:1], s[4:5], vcc
	s_and_saveexec_b64 s[54:55], s[0:1]
	s_cbranch_execz .LBB54_79
; %bb.78:                               ;   in Loop: Header=BB54_13 Depth=1
	v_mul_f32_e32 v12, 0x3fb8aa3b, v20
	v_rndne_f32_e32 v18, v12
	v_sub_f32_e32 v21, v12, v18
	v_fma_f32 v12, v20, s7, -v12
	v_fmac_f32_e32 v12, 0x32a5705f, v20
	v_add_f32_e32 v12, v21, v12
	v_cvt_i32_f32_e32 v18, v18
	v_exp_f32_e32 v12, v12
	v_cmp_ngt_f32_e32 vcc, s8, v20
	v_ldexp_f32 v12, v12, v18
	s_nop 0
	v_cndmask_b32_e32 v12, 0, v12, vcc
	v_cmp_nlt_f32_e32 vcc, s9, v20
	s_nop 1
	v_cndmask_b32_e32 v34, v41, v12, vcc
	v_add_f32_e32 v12, 1.0, v34
	v_add_f32_e32 v18, -1.0, v12
	v_sub_f32_e32 v20, v18, v12
	v_add_f32_e32 v20, 1.0, v20
	v_sub_f32_e32 v18, v34, v18
	v_add_f32_e32 v18, v18, v20
	v_frexp_mant_f32_e32 v22, v12
	v_cvt_f64_f32_e32 v[20:21], v12
	v_frexp_exp_i32_f64_e32 v20, v[20:21]
	v_cmp_gt_f32_e32 vcc, s11, v22
	v_cmp_gt_f32_e64 s[52:53], s57, v34
	s_nop 0
	v_subbrev_co_u32_e32 v28, vcc, 0, v20, vcc
	v_sub_u32_e32 v20, 0, v28
	v_ldexp_f32 v12, v12, v20
	v_ldexp_f32 v18, v18, v20
	v_add_f32_e32 v20, -1.0, v12
	v_add_f32_e32 v21, 1.0, v20
	v_sub_f32_e32 v21, v12, v21
	v_add_f32_e32 v22, v18, v21
	v_add_f32_e32 v21, 1.0, v12
	v_add_f32_e32 v23, -1.0, v21
	v_sub_f32_e32 v12, v12, v23
	v_add_f32_e32 v12, v18, v12
	v_add_f32_e32 v18, v21, v12
	v_rcp_f32_e32 v29, v18
	v_sub_f32_e32 v21, v21, v18
	v_add_f32_e32 v12, v12, v21
	v_add_f32_e32 v21, v20, v22
	v_sub_f32_e32 v20, v20, v21
	v_mul_f32_e32 v31, v21, v29
	v_add_f32_e32 v30, v22, v20
	v_mul_f32_e32 v22, v18, v31
	v_fma_f32 v24, v31, v18, -v22
	v_fmac_f32_e32 v24, v31, v12
	v_add_f32_e32 v20, v22, v24
	v_sub_f32_e32 v23, v21, v20
	v_pk_add_f32 v[26:27], v[20:21], v[22:23] neg_lo:[0,1] neg_hi:[0,1]
	v_mov_b32_e32 v25, v20
	v_pk_add_f32 v[20:21], v[26:27], v[24:25] neg_lo:[0,1] neg_hi:[0,1]
	v_cmp_eq_f32_e32 vcc, s10, v34
	v_add_f32_e32 v21, v30, v21
	v_add_f32_e32 v20, v20, v21
	;; [unrolled: 1-line block ×3, first 2 shown]
	v_mul_f32_e32 v30, v29, v21
	v_mul_f32_e32 v22, v18, v30
	v_fma_f32 v24, v30, v18, -v22
	v_fmac_f32_e32 v24, v30, v12
	v_sub_f32_e32 v12, v23, v21
	v_add_f32_e32 v12, v20, v12
	v_add_f32_e32 v20, v22, v24
	v_sub_f32_e32 v23, v21, v20
	v_pk_add_f32 v[26:27], v[20:21], v[22:23] neg_lo:[0,1] neg_hi:[0,1]
	v_mov_b32_e32 v25, v20
	v_pk_add_f32 v[20:21], v[26:27], v[24:25] neg_lo:[0,1] neg_hi:[0,1]
	v_add_f32_e32 v18, v31, v30
	v_add_f32_e32 v12, v12, v21
	;; [unrolled: 1-line block ×4, first 2 shown]
	v_sub_f32_e32 v20, v18, v31
	v_mul_f32_e32 v12, v29, v12
	v_sub_f32_e32 v20, v30, v20
	v_add_f32_e32 v12, v20, v12
	v_add_f32_e32 v21, v18, v12
	v_mul_f32_e32 v22, v21, v21
	v_fmamk_f32 v20, v22, 0x3e9b6dac, v40
	v_fmaak_f32 v43, v22, v20, 0x3f2aaada
	v_cvt_f32_i32_e32 v20, v28
	v_sub_f32_e32 v18, v21, v18
	v_ldexp_f32 v23, v21, 1
	v_mul_f32_e32 v21, v21, v22
	v_pk_mul_f32 v[24:25], v[20:21], v[42:43]
	v_sub_f32_e32 v12, v12, v18
	v_fma_f32 v22, v20, s56, -v24
	v_fmac_f32_e32 v22, 0xb102e308, v20
	v_pk_add_f32 v[20:21], v[24:25], v[22:23]
	v_ldexp_f32 v12, v12, 1
	v_sub_f32_e32 v18, v21, v23
	v_sub_f32_e32 v18, v25, v18
	v_add_f32_e32 v27, v12, v18
	v_mov_b32_e32 v26, v24
	v_pk_add_f32 v[24:25], v[20:21], v[24:25] neg_lo:[0,1] neg_hi:[0,1]
	v_pk_add_f32 v[28:29], v[20:21], v[26:27]
	v_mov_b32_e32 v23, v20
	v_mov_b32_e32 v25, v29
	v_pk_add_f32 v[30:31], v[22:23], v[24:25] neg_lo:[0,1] neg_hi:[0,1]
	v_pk_add_f32 v[22:23], v[22:23], v[24:25]
	s_or_b64 vcc, s[52:53], vcc
	v_mov_b32_e32 v12, v23
	v_pk_add_f32 v[24:25], v[12:13], v[20:21] neg_lo:[0,1] neg_hi:[0,1]
	v_mov_b32_e32 v22, v29
	v_mov_b32_e32 v25, v24
	v_pk_add_f32 v[32:33], v[28:29], v[24:25] neg_lo:[0,1] neg_hi:[0,1]
	v_mov_b32_e32 v28, v21
	v_mov_b32_e32 v29, v24
	;; [unrolled: 1-line block ×3, first 2 shown]
	v_pk_add_f32 v[22:23], v[22:23], v[28:29] neg_lo:[0,1] neg_hi:[0,1]
	v_mov_b32_e32 v24, v27
	v_mov_b32_e32 v25, v20
	v_pk_add_f32 v[20:21], v[24:25], v[22:23] neg_lo:[0,1] neg_hi:[0,1]
	v_mov_b32_e32 v32, v30
	v_pk_add_f32 v[22:23], v[32:33], v[20:21]
	s_nop 0
	v_mov_b32_e32 v18, v23
	v_pk_add_f32 v[24:25], v[22:23], v[18:19]
	s_nop 0
	v_pk_add_f32 v[26:27], v[12:13], v[24:25]
	v_mov_b32_e32 v21, v24
	v_mov_b32_e32 v23, v26
	v_pk_add_f32 v[28:29], v[22:23], v[30:31] neg_lo:[0,1] neg_hi:[0,1]
	s_nop 0
	v_sub_f32_e32 v12, v22, v28
	v_pk_add_f32 v[20:21], v[20:21], v[28:29] neg_lo:[0,1] neg_hi:[0,1]
	v_sub_f32_e32 v12, v30, v12
	v_add_f32_e32 v12, v20, v12
	v_add_f32_e32 v12, v12, v21
	;; [unrolled: 1-line block ×3, first 2 shown]
	v_cndmask_b32_e32 v20, v12, v34, vcc
.LBB54_79:                              ;   in Loop: Header=BB54_13 Depth=1
	s_or_b64 exec, exec, s[54:55]
	v_lshlrev_b32_e32 v12, 16, v13
	v_readlane_b32 s0, v95, 2
	s_nop 1
	v_add_f32_e32 v21, s0, v12
	v_cmp_ge_f32_e32 vcc, s6, v21
	s_and_b64 s[0:1], s[4:5], vcc
	s_and_saveexec_b64 s[54:55], s[0:1]
	s_cbranch_execz .LBB54_81
; %bb.80:                               ;   in Loop: Header=BB54_13 Depth=1
	v_mul_f32_e32 v12, 0x3fb8aa3b, v21
	v_rndne_f32_e32 v18, v12
	v_sub_f32_e32 v22, v12, v18
	v_fma_f32 v12, v21, s7, -v12
	v_fmac_f32_e32 v12, 0x32a5705f, v21
	v_add_f32_e32 v12, v22, v12
	v_cvt_i32_f32_e32 v18, v18
	v_exp_f32_e32 v12, v12
	v_cmp_ngt_f32_e32 vcc, s8, v21
	v_ldexp_f32 v12, v12, v18
	s_nop 0
	v_cndmask_b32_e32 v12, 0, v12, vcc
	v_cmp_nlt_f32_e32 vcc, s9, v21
	s_nop 1
	v_cndmask_b32_e32 v36, v41, v12, vcc
	v_add_f32_e32 v12, 1.0, v36
	v_add_f32_e32 v18, -1.0, v12
	v_sub_f32_e32 v21, v18, v12
	v_add_f32_e32 v21, 1.0, v21
	v_sub_f32_e32 v18, v36, v18
	v_add_f32_e32 v18, v18, v21
	v_frexp_mant_f32_e32 v21, v12
	v_cvt_f64_f32_e32 v[22:23], v12
	v_frexp_exp_i32_f64_e32 v22, v[22:23]
	v_cmp_gt_f32_e32 vcc, s11, v21
	v_cmp_gt_f32_e64 s[52:53], s57, v36
	s_nop 0
	v_subbrev_co_u32_e32 v21, vcc, 0, v22, vcc
	v_sub_u32_e32 v22, 0, v21
	v_ldexp_f32 v12, v12, v22
	v_ldexp_f32 v18, v18, v22
	v_add_f32_e32 v22, -1.0, v12
	v_add_f32_e32 v23, 1.0, v22
	v_sub_f32_e32 v23, v12, v23
	v_add_f32_e32 v24, v18, v23
	v_add_f32_e32 v23, 1.0, v12
	v_add_f32_e32 v25, -1.0, v23
	v_sub_f32_e32 v12, v12, v25
	v_add_f32_e32 v12, v18, v12
	v_add_f32_e32 v18, v23, v12
	v_rcp_f32_e32 v30, v18
	v_sub_f32_e32 v23, v23, v18
	v_add_f32_e32 v12, v12, v23
	v_add_f32_e32 v23, v22, v24
	v_sub_f32_e32 v22, v22, v23
	v_mul_f32_e32 v32, v23, v30
	v_add_f32_e32 v31, v24, v22
	v_mul_f32_e32 v24, v18, v32
	v_fma_f32 v26, v32, v18, -v24
	v_fmac_f32_e32 v26, v32, v12
	v_add_f32_e32 v22, v24, v26
	v_sub_f32_e32 v25, v23, v22
	v_pk_add_f32 v[28:29], v[22:23], v[24:25] neg_lo:[0,1] neg_hi:[0,1]
	v_mov_b32_e32 v27, v22
	v_pk_add_f32 v[22:23], v[28:29], v[26:27] neg_lo:[0,1] neg_hi:[0,1]
	v_cmp_eq_f32_e32 vcc, s10, v36
	v_add_f32_e32 v23, v31, v23
	v_add_f32_e32 v22, v22, v23
	v_add_f32_e32 v23, v25, v22
	v_mul_f32_e32 v31, v30, v23
	v_mul_f32_e32 v24, v18, v31
	v_fma_f32 v26, v31, v18, -v24
	v_fmac_f32_e32 v26, v31, v12
	v_sub_f32_e32 v12, v25, v23
	v_add_f32_e32 v12, v22, v12
	v_add_f32_e32 v22, v24, v26
	v_sub_f32_e32 v25, v23, v22
	v_pk_add_f32 v[28:29], v[22:23], v[24:25] neg_lo:[0,1] neg_hi:[0,1]
	v_mov_b32_e32 v27, v22
	v_pk_add_f32 v[22:23], v[28:29], v[26:27] neg_lo:[0,1] neg_hi:[0,1]
	v_add_f32_e32 v18, v32, v31
	v_add_f32_e32 v12, v12, v23
	;; [unrolled: 1-line block ×4, first 2 shown]
	v_sub_f32_e32 v22, v18, v32
	v_mul_f32_e32 v12, v30, v12
	v_sub_f32_e32 v22, v31, v22
	v_add_f32_e32 v12, v22, v12
	v_add_f32_e32 v23, v18, v12
	v_mul_f32_e32 v24, v23, v23
	v_fmamk_f32 v22, v24, 0x3e9b6dac, v40
	v_fmaak_f32 v43, v24, v22, 0x3f2aaada
	v_cvt_f32_i32_e32 v22, v21
	v_sub_f32_e32 v18, v23, v18
	v_ldexp_f32 v25, v23, 1
	v_mul_f32_e32 v23, v23, v24
	v_pk_mul_f32 v[26:27], v[22:23], v[42:43]
	v_sub_f32_e32 v12, v12, v18
	v_fma_f32 v24, v22, s56, -v26
	v_fmac_f32_e32 v24, 0xb102e308, v22
	v_pk_add_f32 v[22:23], v[26:27], v[24:25]
	v_ldexp_f32 v12, v12, 1
	v_sub_f32_e32 v18, v23, v25
	v_sub_f32_e32 v18, v27, v18
	v_add_f32_e32 v29, v12, v18
	v_mov_b32_e32 v28, v26
	v_pk_add_f32 v[26:27], v[22:23], v[26:27] neg_lo:[0,1] neg_hi:[0,1]
	v_pk_add_f32 v[30:31], v[22:23], v[28:29]
	v_mov_b32_e32 v25, v22
	v_mov_b32_e32 v27, v31
	v_pk_add_f32 v[32:33], v[24:25], v[26:27] neg_lo:[0,1] neg_hi:[0,1]
	v_pk_add_f32 v[24:25], v[24:25], v[26:27]
	s_or_b64 vcc, s[52:53], vcc
	v_mov_b32_e32 v12, v25
	v_pk_add_f32 v[26:27], v[12:13], v[22:23] neg_lo:[0,1] neg_hi:[0,1]
	v_mov_b32_e32 v24, v31
	v_mov_b32_e32 v21, v26
	v_pk_add_f32 v[34:35], v[30:31], v[20:21] neg_lo:[0,1] neg_hi:[0,1]
	v_mov_b32_e32 v30, v23
	v_mov_b32_e32 v31, v26
	;; [unrolled: 1-line block ×3, first 2 shown]
	v_pk_add_f32 v[24:25], v[24:25], v[30:31] neg_lo:[0,1] neg_hi:[0,1]
	v_mov_b32_e32 v26, v29
	v_mov_b32_e32 v27, v22
	v_pk_add_f32 v[22:23], v[26:27], v[24:25] neg_lo:[0,1] neg_hi:[0,1]
	v_mov_b32_e32 v34, v32
	v_pk_add_f32 v[24:25], v[34:35], v[22:23]
	s_nop 0
	v_mov_b32_e32 v18, v25
	v_pk_add_f32 v[26:27], v[24:25], v[18:19]
	s_nop 0
	v_pk_add_f32 v[28:29], v[12:13], v[26:27]
	v_mov_b32_e32 v23, v26
	v_mov_b32_e32 v25, v28
	v_pk_add_f32 v[30:31], v[24:25], v[32:33] neg_lo:[0,1] neg_hi:[0,1]
	s_nop 0
	v_sub_f32_e32 v12, v24, v30
	v_pk_add_f32 v[22:23], v[22:23], v[30:31] neg_lo:[0,1] neg_hi:[0,1]
	v_sub_f32_e32 v12, v32, v12
	v_add_f32_e32 v12, v22, v12
	v_add_f32_e32 v12, v12, v23
	;; [unrolled: 1-line block ×3, first 2 shown]
	v_cndmask_b32_e32 v21, v12, v36, vcc
.LBB54_81:                              ;   in Loop: Header=BB54_13 Depth=1
	s_or_b64 exec, exec, s[54:55]
	v_and_b32_e32 v12, 0xffff0000, v13
	v_readlane_b32 s0, v95, 2
	s_nop 1
	v_add_f32_e32 v18, s0, v12
	v_cmp_ge_f32_e32 vcc, s6, v18
	s_and_b64 s[0:1], s[4:5], vcc
	s_and_saveexec_b64 s[54:55], s[0:1]
	s_cbranch_execz .LBB54_83
; %bb.82:                               ;   in Loop: Header=BB54_13 Depth=1
	v_mul_f32_e32 v12, 0x3fb8aa3b, v18
	v_rndne_f32_e32 v13, v12
	v_sub_f32_e32 v22, v12, v13
	v_fma_f32 v12, v18, s7, -v12
	v_fmac_f32_e32 v12, 0x32a5705f, v18
	v_add_f32_e32 v12, v22, v12
	v_cvt_i32_f32_e32 v13, v13
	v_exp_f32_e32 v12, v12
	v_cmp_ngt_f32_e32 vcc, s8, v18
	v_ldexp_f32 v12, v12, v13
	s_nop 0
	v_cndmask_b32_e32 v12, 0, v12, vcc
	v_cmp_nlt_f32_e32 vcc, s9, v18
	s_nop 1
	v_cndmask_b32_e32 v34, v41, v12, vcc
	v_add_f32_e32 v18, 1.0, v34
	v_add_f32_e32 v12, -1.0, v18
	v_sub_f32_e32 v13, v12, v18
	v_add_f32_e32 v13, 1.0, v13
	v_sub_f32_e32 v12, v34, v12
	v_add_f32_e32 v22, v12, v13
	v_frexp_mant_f32_e32 v23, v18
	v_cvt_f64_f32_e32 v[12:13], v18
	v_frexp_exp_i32_f64_e32 v12, v[12:13]
	v_cmp_gt_f32_e32 vcc, s11, v23
	v_cmp_gt_f32_e64 s[52:53], s57, v34
	s_nop 0
	v_subbrev_co_u32_e32 v28, vcc, 0, v12, vcc
	v_sub_u32_e32 v12, 0, v28
	v_ldexp_f32 v13, v18, v12
	v_add_f32_e32 v18, -1.0, v13
	v_add_f32_e32 v23, 1.0, v13
	v_ldexp_f32 v12, v22, v12
	v_add_f32_e32 v22, 1.0, v18
	v_add_f32_e32 v24, -1.0, v23
	v_sub_f32_e32 v22, v13, v22
	v_sub_f32_e32 v13, v13, v24
	v_add_f32_e32 v22, v12, v22
	v_add_f32_e32 v12, v12, v13
	;; [unrolled: 1-line block ×3, first 2 shown]
	v_rcp_f32_e32 v31, v29
	v_sub_f32_e32 v13, v23, v29
	v_add_f32_e32 v30, v12, v13
	v_add_f32_e32 v13, v18, v22
	v_sub_f32_e32 v12, v18, v13
	v_mul_f32_e32 v32, v13, v31
	v_add_f32_e32 v18, v22, v12
	v_mul_f32_e32 v22, v29, v32
	v_fma_f32 v24, v32, v29, -v22
	v_fmac_f32_e32 v24, v32, v30
	v_add_f32_e32 v12, v22, v24
	v_sub_f32_e32 v23, v13, v12
	v_pk_add_f32 v[26:27], v[12:13], v[22:23] neg_lo:[0,1] neg_hi:[0,1]
	v_mov_b32_e32 v25, v12
	v_pk_add_f32 v[12:13], v[26:27], v[24:25] neg_lo:[0,1] neg_hi:[0,1]
	v_cmp_eq_f32_e32 vcc, s10, v34
	v_add_f32_e32 v13, v18, v13
	v_add_f32_e32 v12, v12, v13
	;; [unrolled: 1-line block ×3, first 2 shown]
	v_mul_f32_e32 v18, v31, v13
	v_mul_f32_e32 v22, v29, v18
	v_fma_f32 v24, v18, v29, -v22
	v_fmac_f32_e32 v24, v18, v30
	v_sub_f32_e32 v23, v23, v13
	v_add_f32_e32 v29, v12, v23
	v_add_f32_e32 v12, v22, v24
	v_sub_f32_e32 v23, v13, v12
	v_pk_add_f32 v[26:27], v[12:13], v[22:23] neg_lo:[0,1] neg_hi:[0,1]
	v_mov_b32_e32 v25, v12
	v_pk_add_f32 v[12:13], v[26:27], v[24:25] neg_lo:[0,1] neg_hi:[0,1]
	s_or_b64 vcc, s[52:53], vcc
	v_add_f32_e32 v13, v29, v13
	v_add_f32_e32 v12, v12, v13
	;; [unrolled: 1-line block ×4, first 2 shown]
	v_sub_f32_e32 v22, v13, v32
	v_mul_f32_e32 v12, v31, v12
	v_sub_f32_e32 v18, v18, v22
	v_add_f32_e32 v18, v18, v12
	v_add_f32_e32 v22, v13, v18
	v_mul_f32_e32 v24, v22, v22
	v_fmamk_f32 v12, v24, 0x3e9b6dac, v40
	v_fmaak_f32 v43, v24, v12, 0x3f2aaada
	v_cvt_f32_i32_e32 v12, v28
	v_sub_f32_e32 v13, v22, v13
	v_sub_f32_e32 v13, v18, v13
	v_ldexp_f32 v18, v13, 1
	v_mul_f32_e32 v13, v22, v24
	v_pk_mul_f32 v[24:25], v[12:13], v[42:43]
	v_ldexp_f32 v23, v22, 1
	v_fma_f32 v22, v12, s56, -v24
	v_fmac_f32_e32 v22, 0xb102e308, v12
	v_pk_add_f32 v[12:13], v[24:25], v[22:23]
	v_mov_b32_e32 v26, v24
	v_sub_f32_e32 v23, v13, v23
	v_sub_f32_e32 v23, v25, v23
	v_add_f32_e32 v27, v18, v23
	v_pk_add_f32 v[24:25], v[12:13], v[24:25] neg_lo:[0,1] neg_hi:[0,1]
	v_pk_add_f32 v[28:29], v[12:13], v[26:27]
	v_mov_b32_e32 v23, v12
	v_mov_b32_e32 v25, v29
	v_pk_add_f32 v[30:31], v[22:23], v[24:25] neg_lo:[0,1] neg_hi:[0,1]
	v_pk_add_f32 v[22:23], v[22:23], v[24:25]
	s_nop 0
	v_mov_b32_e32 v18, v23
	v_pk_add_f32 v[24:25], v[18:19], v[12:13] neg_lo:[0,1] neg_hi:[0,1]
	v_mov_b32_e32 v22, v29
	v_mov_b32_e32 v25, v24
	v_pk_add_f32 v[32:33], v[28:29], v[24:25] neg_lo:[0,1] neg_hi:[0,1]
	v_mov_b32_e32 v28, v13
	v_mov_b32_e32 v29, v24
	;; [unrolled: 1-line block ×3, first 2 shown]
	v_pk_add_f32 v[22:23], v[22:23], v[28:29] neg_lo:[0,1] neg_hi:[0,1]
	v_mov_b32_e32 v24, v27
	v_mov_b32_e32 v25, v12
	v_pk_add_f32 v[12:13], v[24:25], v[22:23] neg_lo:[0,1] neg_hi:[0,1]
	v_mov_b32_e32 v32, v30
	v_pk_add_f32 v[22:23], v[32:33], v[12:13]
	s_nop 0
	v_mov_b32_e32 v24, v23
	v_pk_add_f32 v[24:25], v[22:23], v[24:25]
	s_nop 0
	v_pk_add_f32 v[26:27], v[18:19], v[24:25]
	v_mov_b32_e32 v13, v24
	v_mov_b32_e32 v23, v26
	v_pk_add_f32 v[28:29], v[22:23], v[30:31] neg_lo:[0,1] neg_hi:[0,1]
	s_nop 0
	v_sub_f32_e32 v18, v22, v28
	v_pk_add_f32 v[12:13], v[12:13], v[28:29] neg_lo:[0,1] neg_hi:[0,1]
	v_sub_f32_e32 v18, v30, v18
	v_add_f32_e32 v12, v12, v18
	v_add_f32_e32 v12, v12, v13
	;; [unrolled: 1-line block ×3, first 2 shown]
	v_cndmask_b32_e32 v18, v12, v34, vcc
.LBB54_83:                              ;   in Loop: Header=BB54_13 Depth=1
	s_or_b64 exec, exec, s[54:55]
	v_lshlrev_b32_e32 v12, 16, v14
	v_readlane_b32 s0, v95, 2
	s_nop 1
	v_add_f32_e32 v66, s0, v12
	v_cmp_ge_f32_e32 vcc, s6, v66
	s_and_b64 s[0:1], s[4:5], vcc
	s_and_saveexec_b64 s[54:55], s[0:1]
	s_cbranch_execz .LBB54_85
; %bb.84:                               ;   in Loop: Header=BB54_13 Depth=1
	v_mul_f32_e32 v12, 0x3fb8aa3b, v66
	v_rndne_f32_e32 v13, v12
	v_sub_f32_e32 v22, v12, v13
	v_fma_f32 v12, v66, s7, -v12
	v_fmac_f32_e32 v12, 0x32a5705f, v66
	v_add_f32_e32 v12, v22, v12
	v_cvt_i32_f32_e32 v13, v13
	v_exp_f32_e32 v12, v12
	v_cmp_ngt_f32_e32 vcc, s8, v66
	v_ldexp_f32 v12, v12, v13
	s_nop 0
	v_cndmask_b32_e32 v12, 0, v12, vcc
	v_cmp_nlt_f32_e32 vcc, s9, v66
	s_nop 1
	v_cndmask_b32_e32 v36, v41, v12, vcc
	v_add_f32_e32 v22, 1.0, v36
	v_add_f32_e32 v12, -1.0, v22
	v_sub_f32_e32 v13, v12, v22
	v_add_f32_e32 v13, 1.0, v13
	v_sub_f32_e32 v12, v36, v12
	v_add_f32_e32 v23, v12, v13
	v_frexp_mant_f32_e32 v24, v22
	v_cvt_f64_f32_e32 v[12:13], v22
	v_frexp_exp_i32_f64_e32 v12, v[12:13]
	v_cmp_gt_f32_e32 vcc, s11, v24
	v_cmp_gt_f32_e64 s[52:53], s57, v36
	s_nop 0
	v_subbrev_co_u32_e32 v28, vcc, 0, v12, vcc
	v_sub_u32_e32 v12, 0, v28
	v_ldexp_f32 v13, v22, v12
	v_add_f32_e32 v22, -1.0, v13
	v_add_f32_e32 v24, 1.0, v13
	v_ldexp_f32 v12, v23, v12
	v_add_f32_e32 v23, 1.0, v22
	v_add_f32_e32 v25, -1.0, v24
	v_sub_f32_e32 v23, v13, v23
	v_sub_f32_e32 v13, v13, v25
	v_add_f32_e32 v23, v12, v23
	v_add_f32_e32 v12, v12, v13
	;; [unrolled: 1-line block ×3, first 2 shown]
	v_rcp_f32_e32 v31, v29
	v_sub_f32_e32 v13, v24, v29
	v_add_f32_e32 v30, v12, v13
	v_add_f32_e32 v13, v22, v23
	v_mul_f32_e32 v33, v13, v31
	v_sub_f32_e32 v12, v22, v13
	v_mul_f32_e32 v22, v29, v33
	v_fma_f32 v24, v33, v29, -v22
	v_fmac_f32_e32 v24, v33, v30
	v_add_f32_e32 v32, v23, v12
	v_add_f32_e32 v12, v22, v24
	v_sub_f32_e32 v23, v13, v12
	v_pk_add_f32 v[26:27], v[12:13], v[22:23] neg_lo:[0,1] neg_hi:[0,1]
	v_mov_b32_e32 v25, v12
	v_pk_add_f32 v[12:13], v[26:27], v[24:25] neg_lo:[0,1] neg_hi:[0,1]
	v_cmp_eq_f32_e32 vcc, s10, v36
	v_add_f32_e32 v13, v32, v13
	v_add_f32_e32 v12, v12, v13
	v_add_f32_e32 v13, v23, v12
	v_mul_f32_e32 v32, v31, v13
	v_mul_f32_e32 v22, v29, v32
	v_fma_f32 v24, v32, v29, -v22
	v_fmac_f32_e32 v24, v32, v30
	v_sub_f32_e32 v23, v23, v13
	v_add_f32_e32 v29, v12, v23
	v_add_f32_e32 v12, v22, v24
	v_sub_f32_e32 v23, v13, v12
	v_pk_add_f32 v[26:27], v[12:13], v[22:23] neg_lo:[0,1] neg_hi:[0,1]
	v_mov_b32_e32 v25, v12
	v_pk_add_f32 v[12:13], v[26:27], v[24:25] neg_lo:[0,1] neg_hi:[0,1]
	s_or_b64 vcc, s[52:53], vcc
	v_add_f32_e32 v13, v29, v13
	v_add_f32_e32 v12, v12, v13
	v_add_f32_e32 v13, v33, v32
	v_add_f32_e32 v12, v23, v12
	v_sub_f32_e32 v22, v13, v33
	v_mul_f32_e32 v12, v31, v12
	v_sub_f32_e32 v22, v32, v22
	v_add_f32_e32 v22, v22, v12
	v_add_f32_e32 v24, v13, v22
	v_mul_f32_e32 v25, v24, v24
	v_fmamk_f32 v12, v25, 0x3e9b6dac, v40
	v_fmaak_f32 v43, v25, v12, 0x3f2aaada
	v_cvt_f32_i32_e32 v12, v28
	v_sub_f32_e32 v13, v24, v13
	v_sub_f32_e32 v13, v22, v13
	v_ldexp_f32 v26, v13, 1
	v_mul_f32_e32 v13, v24, v25
	v_ldexp_f32 v23, v24, 1
	v_pk_mul_f32 v[24:25], v[12:13], v[42:43]
	s_nop 0
	v_fma_f32 v22, v12, s56, -v24
	v_fmac_f32_e32 v22, 0xb102e308, v12
	v_pk_add_f32 v[12:13], v[24:25], v[22:23]
	s_nop 0
	v_sub_f32_e32 v23, v13, v23
	v_sub_f32_e32 v23, v25, v23
	v_add_f32_e32 v27, v26, v23
	v_mov_b32_e32 v26, v24
	v_pk_add_f32 v[24:25], v[12:13], v[24:25] neg_lo:[0,1] neg_hi:[0,1]
	v_pk_add_f32 v[28:29], v[12:13], v[26:27]
	v_mov_b32_e32 v23, v12
	v_mov_b32_e32 v25, v29
	v_pk_add_f32 v[30:31], v[22:23], v[24:25] neg_lo:[0,1] neg_hi:[0,1]
	v_pk_add_f32 v[22:23], v[22:23], v[24:25]
	v_mov_b32_e32 v26, v27
	v_mov_b32_e32 v24, v23
	v_pk_add_f32 v[32:33], v[24:25], v[12:13] neg_lo:[0,1] neg_hi:[0,1]
	v_mov_b32_e32 v22, v29
	v_mov_b32_e32 v25, v32
	v_pk_add_f32 v[34:35], v[28:29], v[24:25] neg_lo:[0,1] neg_hi:[0,1]
	v_mov_b32_e32 v28, v13
	v_mov_b32_e32 v29, v32
	;; [unrolled: 1-line block ×3, first 2 shown]
	v_pk_add_f32 v[22:23], v[22:23], v[28:29] neg_lo:[0,1] neg_hi:[0,1]
	v_mov_b32_e32 v27, v12
	v_pk_add_f32 v[12:13], v[26:27], v[22:23] neg_lo:[0,1] neg_hi:[0,1]
	v_mov_b32_e32 v34, v30
	v_pk_add_f32 v[22:23], v[34:35], v[12:13]
	s_nop 0
	v_mov_b32_e32 v26, v23
	v_pk_add_f32 v[26:27], v[22:23], v[26:27]
	s_nop 0
	v_pk_add_f32 v[24:25], v[24:25], v[26:27]
	v_mov_b32_e32 v13, v26
	v_mov_b32_e32 v23, v24
	v_pk_add_f32 v[28:29], v[22:23], v[30:31] neg_lo:[0,1] neg_hi:[0,1]
	s_nop 0
	v_sub_f32_e32 v22, v22, v28
	v_pk_add_f32 v[12:13], v[12:13], v[28:29] neg_lo:[0,1] neg_hi:[0,1]
	v_sub_f32_e32 v22, v30, v22
	v_add_f32_e32 v12, v12, v22
	v_add_f32_e32 v12, v12, v13
	;; [unrolled: 1-line block ×3, first 2 shown]
	v_cndmask_b32_e32 v66, v12, v36, vcc
.LBB54_85:                              ;   in Loop: Header=BB54_13 Depth=1
	s_or_b64 exec, exec, s[54:55]
	v_and_b32_e32 v12, 0xffff0000, v14
	v_readlane_b32 s0, v95, 2
	s_nop 1
	v_add_f32_e32 v67, s0, v12
	v_cmp_ge_f32_e32 vcc, s6, v67
	s_and_b64 s[0:1], s[4:5], vcc
	s_and_saveexec_b64 s[54:55], s[0:1]
	s_cbranch_execz .LBB54_87
; %bb.86:                               ;   in Loop: Header=BB54_13 Depth=1
	v_mul_f32_e32 v12, 0x3fb8aa3b, v67
	v_rndne_f32_e32 v13, v12
	v_sub_f32_e32 v14, v12, v13
	v_fma_f32 v12, v67, s7, -v12
	v_fmac_f32_e32 v12, 0x32a5705f, v67
	v_add_f32_e32 v12, v14, v12
	v_cvt_i32_f32_e32 v13, v13
	v_exp_f32_e32 v12, v12
	v_cmp_ngt_f32_e32 vcc, s8, v67
	v_ldexp_f32 v12, v12, v13
	s_nop 0
	v_cndmask_b32_e32 v12, 0, v12, vcc
	v_cmp_nlt_f32_e32 vcc, s9, v67
	s_nop 1
	v_cndmask_b32_e32 v34, v41, v12, vcc
	v_add_f32_e32 v14, 1.0, v34
	v_add_f32_e32 v12, -1.0, v14
	v_sub_f32_e32 v13, v12, v14
	v_add_f32_e32 v13, 1.0, v13
	v_sub_f32_e32 v12, v34, v12
	v_add_f32_e32 v22, v12, v13
	v_frexp_mant_f32_e32 v23, v14
	v_cvt_f64_f32_e32 v[12:13], v14
	v_frexp_exp_i32_f64_e32 v12, v[12:13]
	v_cmp_gt_f32_e32 vcc, s11, v23
	v_cmp_gt_f32_e64 s[52:53], s57, v34
	s_nop 0
	v_subbrev_co_u32_e32 v28, vcc, 0, v12, vcc
	v_sub_u32_e32 v12, 0, v28
	v_ldexp_f32 v13, v14, v12
	v_add_f32_e32 v14, -1.0, v13
	v_add_f32_e32 v23, 1.0, v13
	v_ldexp_f32 v12, v22, v12
	v_add_f32_e32 v22, 1.0, v14
	v_add_f32_e32 v24, -1.0, v23
	v_sub_f32_e32 v22, v13, v22
	v_sub_f32_e32 v13, v13, v24
	v_add_f32_e32 v22, v12, v22
	v_add_f32_e32 v12, v12, v13
	;; [unrolled: 1-line block ×3, first 2 shown]
	v_rcp_f32_e32 v31, v29
	v_sub_f32_e32 v13, v23, v29
	v_add_f32_e32 v30, v12, v13
	v_add_f32_e32 v13, v14, v22
	v_sub_f32_e32 v12, v14, v13
	v_mul_f32_e32 v32, v13, v31
	v_add_f32_e32 v14, v22, v12
	v_mul_f32_e32 v22, v29, v32
	v_fma_f32 v24, v32, v29, -v22
	v_fmac_f32_e32 v24, v32, v30
	v_add_f32_e32 v12, v22, v24
	v_sub_f32_e32 v23, v13, v12
	v_pk_add_f32 v[26:27], v[12:13], v[22:23] neg_lo:[0,1] neg_hi:[0,1]
	v_mov_b32_e32 v25, v12
	v_pk_add_f32 v[12:13], v[26:27], v[24:25] neg_lo:[0,1] neg_hi:[0,1]
	v_cmp_eq_f32_e32 vcc, s10, v34
	v_add_f32_e32 v13, v14, v13
	v_add_f32_e32 v12, v12, v13
	;; [unrolled: 1-line block ×3, first 2 shown]
	v_mul_f32_e32 v14, v31, v13
	v_mul_f32_e32 v22, v29, v14
	v_fma_f32 v24, v14, v29, -v22
	v_fmac_f32_e32 v24, v14, v30
	v_sub_f32_e32 v23, v23, v13
	v_add_f32_e32 v29, v12, v23
	v_add_f32_e32 v12, v22, v24
	v_sub_f32_e32 v23, v13, v12
	v_pk_add_f32 v[26:27], v[12:13], v[22:23] neg_lo:[0,1] neg_hi:[0,1]
	v_mov_b32_e32 v25, v12
	v_pk_add_f32 v[12:13], v[26:27], v[24:25] neg_lo:[0,1] neg_hi:[0,1]
	s_or_b64 vcc, s[52:53], vcc
	v_add_f32_e32 v13, v29, v13
	v_add_f32_e32 v12, v12, v13
	;; [unrolled: 1-line block ×4, first 2 shown]
	v_sub_f32_e32 v22, v13, v32
	v_mul_f32_e32 v12, v31, v12
	v_sub_f32_e32 v14, v14, v22
	v_add_f32_e32 v14, v14, v12
	v_add_f32_e32 v22, v13, v14
	v_mul_f32_e32 v24, v22, v22
	v_fmamk_f32 v12, v24, 0x3e9b6dac, v40
	v_fmaak_f32 v43, v24, v12, 0x3f2aaada
	v_cvt_f32_i32_e32 v12, v28
	v_sub_f32_e32 v13, v22, v13
	v_sub_f32_e32 v13, v14, v13
	v_ldexp_f32 v14, v13, 1
	v_mul_f32_e32 v13, v22, v24
	v_pk_mul_f32 v[24:25], v[12:13], v[42:43]
	v_ldexp_f32 v23, v22, 1
	v_fma_f32 v22, v12, s56, -v24
	v_fmac_f32_e32 v22, 0xb102e308, v12
	v_pk_add_f32 v[12:13], v[24:25], v[22:23]
	v_mov_b32_e32 v26, v24
	v_sub_f32_e32 v23, v13, v23
	v_sub_f32_e32 v23, v25, v23
	v_add_f32_e32 v27, v14, v23
	v_pk_add_f32 v[24:25], v[12:13], v[24:25] neg_lo:[0,1] neg_hi:[0,1]
	v_pk_add_f32 v[28:29], v[12:13], v[26:27]
	v_mov_b32_e32 v23, v12
	v_mov_b32_e32 v25, v29
	v_pk_add_f32 v[30:31], v[22:23], v[24:25] neg_lo:[0,1] neg_hi:[0,1]
	v_pk_add_f32 v[22:23], v[22:23], v[24:25]
	s_nop 0
	v_mov_b32_e32 v14, v23
	v_pk_add_f32 v[24:25], v[14:15], v[12:13] neg_lo:[0,1] neg_hi:[0,1]
	v_mov_b32_e32 v22, v29
	v_mov_b32_e32 v25, v24
	v_pk_add_f32 v[32:33], v[28:29], v[24:25] neg_lo:[0,1] neg_hi:[0,1]
	v_mov_b32_e32 v28, v13
	v_mov_b32_e32 v29, v24
	;; [unrolled: 1-line block ×3, first 2 shown]
	v_pk_add_f32 v[22:23], v[22:23], v[28:29] neg_lo:[0,1] neg_hi:[0,1]
	v_mov_b32_e32 v24, v27
	v_mov_b32_e32 v25, v12
	v_pk_add_f32 v[12:13], v[24:25], v[22:23] neg_lo:[0,1] neg_hi:[0,1]
	v_mov_b32_e32 v32, v30
	v_pk_add_f32 v[22:23], v[32:33], v[12:13]
	s_nop 0
	v_mov_b32_e32 v24, v23
	v_pk_add_f32 v[24:25], v[22:23], v[24:25]
	s_nop 0
	v_pk_add_f32 v[26:27], v[14:15], v[24:25]
	v_mov_b32_e32 v13, v24
	v_mov_b32_e32 v23, v26
	v_pk_add_f32 v[28:29], v[22:23], v[30:31] neg_lo:[0,1] neg_hi:[0,1]
	s_nop 0
	v_sub_f32_e32 v14, v22, v28
	v_pk_add_f32 v[12:13], v[12:13], v[28:29] neg_lo:[0,1] neg_hi:[0,1]
	v_sub_f32_e32 v14, v30, v14
	v_add_f32_e32 v12, v12, v14
	v_add_f32_e32 v12, v12, v13
	;; [unrolled: 1-line block ×3, first 2 shown]
	v_cndmask_b32_e32 v67, v12, v34, vcc
.LBB54_87:                              ;   in Loop: Header=BB54_13 Depth=1
	s_or_b64 exec, exec, s[54:55]
	v_lshlrev_b32_e32 v12, 16, v15
	v_readlane_b32 s0, v95, 2
	s_nop 1
	v_add_f32_e32 v70, s0, v12
	v_cmp_ge_f32_e32 vcc, s6, v70
	s_and_b64 s[0:1], s[4:5], vcc
	s_and_saveexec_b64 s[54:55], s[0:1]
	s_cbranch_execz .LBB54_89
; %bb.88:                               ;   in Loop: Header=BB54_13 Depth=1
	v_mul_f32_e32 v12, 0x3fb8aa3b, v70
	v_rndne_f32_e32 v13, v12
	v_sub_f32_e32 v14, v12, v13
	v_fma_f32 v12, v70, s7, -v12
	v_fmac_f32_e32 v12, 0x32a5705f, v70
	v_add_f32_e32 v12, v14, v12
	v_cvt_i32_f32_e32 v13, v13
	v_exp_f32_e32 v12, v12
	v_cmp_ngt_f32_e32 vcc, s8, v70
	v_ldexp_f32 v12, v12, v13
	s_nop 0
	v_cndmask_b32_e32 v12, 0, v12, vcc
	v_cmp_nlt_f32_e32 vcc, s9, v70
	s_nop 1
	v_cndmask_b32_e32 v34, v41, v12, vcc
	v_add_f32_e32 v14, 1.0, v34
	v_add_f32_e32 v12, -1.0, v14
	v_sub_f32_e32 v13, v12, v14
	v_add_f32_e32 v13, 1.0, v13
	v_sub_f32_e32 v12, v34, v12
	v_add_f32_e32 v22, v12, v13
	v_frexp_mant_f32_e32 v23, v14
	v_cvt_f64_f32_e32 v[12:13], v14
	v_frexp_exp_i32_f64_e32 v12, v[12:13]
	v_cmp_gt_f32_e32 vcc, s11, v23
	v_cmp_gt_f32_e64 s[52:53], s57, v34
	s_nop 0
	v_subbrev_co_u32_e32 v28, vcc, 0, v12, vcc
	v_sub_u32_e32 v12, 0, v28
	v_ldexp_f32 v13, v14, v12
	v_add_f32_e32 v14, -1.0, v13
	v_add_f32_e32 v23, 1.0, v13
	v_ldexp_f32 v12, v22, v12
	v_add_f32_e32 v22, 1.0, v14
	v_add_f32_e32 v24, -1.0, v23
	v_sub_f32_e32 v22, v13, v22
	v_sub_f32_e32 v13, v13, v24
	v_add_f32_e32 v22, v12, v22
	v_add_f32_e32 v12, v12, v13
	;; [unrolled: 1-line block ×3, first 2 shown]
	v_rcp_f32_e32 v31, v29
	v_sub_f32_e32 v13, v23, v29
	v_add_f32_e32 v30, v12, v13
	v_add_f32_e32 v13, v14, v22
	v_sub_f32_e32 v12, v14, v13
	v_mul_f32_e32 v32, v13, v31
	v_add_f32_e32 v14, v22, v12
	v_mul_f32_e32 v22, v29, v32
	v_fma_f32 v24, v32, v29, -v22
	v_fmac_f32_e32 v24, v32, v30
	v_add_f32_e32 v12, v22, v24
	v_sub_f32_e32 v23, v13, v12
	v_pk_add_f32 v[26:27], v[12:13], v[22:23] neg_lo:[0,1] neg_hi:[0,1]
	v_mov_b32_e32 v25, v12
	v_pk_add_f32 v[12:13], v[26:27], v[24:25] neg_lo:[0,1] neg_hi:[0,1]
	v_cmp_eq_f32_e32 vcc, s10, v34
	v_add_f32_e32 v13, v14, v13
	v_add_f32_e32 v12, v12, v13
	;; [unrolled: 1-line block ×3, first 2 shown]
	v_mul_f32_e32 v14, v31, v13
	v_mul_f32_e32 v22, v29, v14
	v_fma_f32 v24, v14, v29, -v22
	v_fmac_f32_e32 v24, v14, v30
	v_sub_f32_e32 v23, v23, v13
	v_add_f32_e32 v29, v12, v23
	v_add_f32_e32 v12, v22, v24
	v_sub_f32_e32 v23, v13, v12
	v_pk_add_f32 v[26:27], v[12:13], v[22:23] neg_lo:[0,1] neg_hi:[0,1]
	v_mov_b32_e32 v25, v12
	v_pk_add_f32 v[12:13], v[26:27], v[24:25] neg_lo:[0,1] neg_hi:[0,1]
	s_or_b64 vcc, s[52:53], vcc
	v_add_f32_e32 v13, v29, v13
	v_add_f32_e32 v12, v12, v13
	;; [unrolled: 1-line block ×4, first 2 shown]
	v_sub_f32_e32 v22, v13, v32
	v_mul_f32_e32 v12, v31, v12
	v_sub_f32_e32 v14, v14, v22
	v_add_f32_e32 v14, v14, v12
	v_add_f32_e32 v22, v13, v14
	v_mul_f32_e32 v24, v22, v22
	v_fmamk_f32 v12, v24, 0x3e9b6dac, v40
	v_fmaak_f32 v43, v24, v12, 0x3f2aaada
	v_cvt_f32_i32_e32 v12, v28
	v_sub_f32_e32 v13, v22, v13
	v_sub_f32_e32 v13, v14, v13
	v_ldexp_f32 v14, v13, 1
	v_mul_f32_e32 v13, v22, v24
	v_pk_mul_f32 v[24:25], v[12:13], v[42:43]
	v_ldexp_f32 v23, v22, 1
	v_fma_f32 v22, v12, s56, -v24
	v_fmac_f32_e32 v22, 0xb102e308, v12
	v_pk_add_f32 v[12:13], v[24:25], v[22:23]
	v_mov_b32_e32 v26, v24
	v_sub_f32_e32 v23, v13, v23
	v_sub_f32_e32 v23, v25, v23
	v_add_f32_e32 v27, v14, v23
	v_pk_add_f32 v[24:25], v[12:13], v[24:25] neg_lo:[0,1] neg_hi:[0,1]
	v_pk_add_f32 v[28:29], v[12:13], v[26:27]
	v_mov_b32_e32 v23, v12
	v_mov_b32_e32 v25, v29
	v_pk_add_f32 v[30:31], v[22:23], v[24:25] neg_lo:[0,1] neg_hi:[0,1]
	v_pk_add_f32 v[22:23], v[22:23], v[24:25]
	s_nop 0
	v_mov_b32_e32 v14, v23
	v_pk_add_f32 v[24:25], v[14:15], v[12:13] neg_lo:[0,1] neg_hi:[0,1]
	v_mov_b32_e32 v22, v29
	v_mov_b32_e32 v25, v24
	v_pk_add_f32 v[32:33], v[28:29], v[24:25] neg_lo:[0,1] neg_hi:[0,1]
	v_mov_b32_e32 v28, v13
	v_mov_b32_e32 v29, v24
	;; [unrolled: 1-line block ×3, first 2 shown]
	v_pk_add_f32 v[22:23], v[22:23], v[28:29] neg_lo:[0,1] neg_hi:[0,1]
	v_mov_b32_e32 v24, v27
	v_mov_b32_e32 v25, v12
	v_pk_add_f32 v[12:13], v[24:25], v[22:23] neg_lo:[0,1] neg_hi:[0,1]
	v_mov_b32_e32 v32, v30
	v_pk_add_f32 v[22:23], v[32:33], v[12:13]
	s_nop 0
	v_mov_b32_e32 v24, v23
	v_pk_add_f32 v[24:25], v[22:23], v[24:25]
	s_nop 0
	v_pk_add_f32 v[26:27], v[14:15], v[24:25]
	v_mov_b32_e32 v13, v24
	v_mov_b32_e32 v23, v26
	v_pk_add_f32 v[28:29], v[22:23], v[30:31] neg_lo:[0,1] neg_hi:[0,1]
	s_nop 0
	v_sub_f32_e32 v14, v22, v28
	v_pk_add_f32 v[12:13], v[12:13], v[28:29] neg_lo:[0,1] neg_hi:[0,1]
	v_sub_f32_e32 v14, v30, v14
	v_add_f32_e32 v12, v12, v14
	v_add_f32_e32 v12, v12, v13
	;; [unrolled: 1-line block ×3, first 2 shown]
	v_cndmask_b32_e32 v70, v12, v34, vcc
.LBB54_89:                              ;   in Loop: Header=BB54_13 Depth=1
	s_or_b64 exec, exec, s[54:55]
	v_and_b32_e32 v12, 0xffff0000, v15
	v_readlane_b32 s0, v95, 2
	s_nop 1
	v_add_f32_e32 v88, s0, v12
	v_cmp_ge_f32_e32 vcc, s6, v88
	s_and_b64 s[0:1], s[4:5], vcc
	s_and_saveexec_b64 s[54:55], s[0:1]
	s_cbranch_execz .LBB54_91
; %bb.90:                               ;   in Loop: Header=BB54_13 Depth=1
	v_mul_f32_e32 v12, 0x3fb8aa3b, v88
	v_rndne_f32_e32 v13, v12
	v_sub_f32_e32 v14, v12, v13
	v_fma_f32 v12, v88, s7, -v12
	v_fmac_f32_e32 v12, 0x32a5705f, v88
	v_add_f32_e32 v12, v14, v12
	v_cvt_i32_f32_e32 v13, v13
	v_exp_f32_e32 v12, v12
	v_cmp_ngt_f32_e32 vcc, s8, v88
	v_ldexp_f32 v12, v12, v13
	s_nop 0
	v_cndmask_b32_e32 v12, 0, v12, vcc
	v_cmp_nlt_f32_e32 vcc, s9, v88
	s_nop 1
	v_cndmask_b32_e32 v34, v41, v12, vcc
	v_add_f32_e32 v14, 1.0, v34
	v_add_f32_e32 v12, -1.0, v14
	v_sub_f32_e32 v13, v12, v14
	v_add_f32_e32 v13, 1.0, v13
	v_sub_f32_e32 v12, v34, v12
	v_add_f32_e32 v15, v12, v13
	v_frexp_mant_f32_e32 v22, v14
	v_cvt_f64_f32_e32 v[12:13], v14
	v_frexp_exp_i32_f64_e32 v12, v[12:13]
	v_cmp_gt_f32_e32 vcc, s11, v22
	v_cmp_gt_f32_e64 s[52:53], s57, v34
	s_nop 0
	v_subbrev_co_u32_e32 v26, vcc, 0, v12, vcc
	v_sub_u32_e32 v12, 0, v26
	v_ldexp_f32 v13, v14, v12
	v_add_f32_e32 v14, -1.0, v13
	v_add_f32_e32 v22, 1.0, v13
	v_ldexp_f32 v12, v15, v12
	v_add_f32_e32 v15, 1.0, v14
	v_add_f32_e32 v23, -1.0, v22
	v_sub_f32_e32 v15, v13, v15
	v_sub_f32_e32 v13, v13, v23
	v_add_f32_e32 v15, v12, v15
	v_add_f32_e32 v12, v12, v13
	;; [unrolled: 1-line block ×3, first 2 shown]
	v_rcp_f32_e32 v29, v27
	v_sub_f32_e32 v13, v22, v27
	v_add_f32_e32 v28, v12, v13
	v_add_f32_e32 v13, v14, v15
	v_mul_f32_e32 v31, v13, v29
	v_sub_f32_e32 v12, v14, v13
	v_mul_f32_e32 v14, v27, v31
	v_fma_f32 v22, v31, v27, -v14
	v_fmac_f32_e32 v22, v31, v28
	v_add_f32_e32 v30, v15, v12
	v_add_f32_e32 v12, v14, v22
	v_sub_f32_e32 v15, v13, v12
	v_pk_add_f32 v[24:25], v[12:13], v[14:15] neg_lo:[0,1] neg_hi:[0,1]
	v_mov_b32_e32 v23, v12
	v_pk_add_f32 v[12:13], v[24:25], v[22:23] neg_lo:[0,1] neg_hi:[0,1]
	v_cmp_eq_f32_e32 vcc, s10, v34
	v_add_f32_e32 v13, v30, v13
	v_add_f32_e32 v12, v12, v13
	;; [unrolled: 1-line block ×3, first 2 shown]
	v_mul_f32_e32 v30, v29, v13
	v_mul_f32_e32 v14, v27, v30
	v_fma_f32 v22, v30, v27, -v14
	v_fmac_f32_e32 v22, v30, v28
	v_sub_f32_e32 v15, v15, v13
	v_add_f32_e32 v27, v12, v15
	v_add_f32_e32 v12, v14, v22
	v_sub_f32_e32 v15, v13, v12
	v_pk_add_f32 v[24:25], v[12:13], v[14:15] neg_lo:[0,1] neg_hi:[0,1]
	v_mov_b32_e32 v23, v12
	v_pk_add_f32 v[12:13], v[24:25], v[22:23] neg_lo:[0,1] neg_hi:[0,1]
	s_or_b64 vcc, s[52:53], vcc
	v_add_f32_e32 v13, v27, v13
	v_add_f32_e32 v12, v12, v13
	;; [unrolled: 1-line block ×4, first 2 shown]
	v_sub_f32_e32 v14, v13, v31
	v_mul_f32_e32 v12, v29, v12
	v_sub_f32_e32 v14, v30, v14
	v_add_f32_e32 v14, v14, v12
	v_add_f32_e32 v22, v13, v14
	v_mul_f32_e32 v23, v22, v22
	v_fmamk_f32 v12, v23, 0x3e9b6dac, v40
	v_fmaak_f32 v43, v23, v12, 0x3f2aaada
	v_cvt_f32_i32_e32 v12, v26
	v_sub_f32_e32 v13, v22, v13
	v_sub_f32_e32 v13, v14, v13
	v_ldexp_f32 v24, v13, 1
	v_mul_f32_e32 v13, v22, v23
	v_ldexp_f32 v15, v22, 1
	v_pk_mul_f32 v[22:23], v[12:13], v[42:43]
	s_nop 0
	v_fma_f32 v14, v12, s56, -v22
	v_fmac_f32_e32 v14, 0xb102e308, v12
	v_pk_add_f32 v[12:13], v[22:23], v[14:15]
	s_nop 0
	v_sub_f32_e32 v15, v13, v15
	v_sub_f32_e32 v15, v23, v15
	v_add_f32_e32 v25, v24, v15
	v_mov_b32_e32 v24, v22
	v_pk_add_f32 v[22:23], v[12:13], v[22:23] neg_lo:[0,1] neg_hi:[0,1]
	v_pk_add_f32 v[26:27], v[12:13], v[24:25]
	v_mov_b32_e32 v15, v12
	v_mov_b32_e32 v23, v27
	v_pk_add_f32 v[28:29], v[14:15], v[22:23] neg_lo:[0,1] neg_hi:[0,1]
	v_pk_add_f32 v[14:15], v[14:15], v[22:23]
	v_mov_b32_e32 v24, v25
	v_mov_b32_e32 v22, v15
	v_pk_add_f32 v[30:31], v[22:23], v[12:13] neg_lo:[0,1] neg_hi:[0,1]
	v_mov_b32_e32 v14, v27
	v_mov_b32_e32 v23, v30
	v_pk_add_f32 v[32:33], v[26:27], v[22:23] neg_lo:[0,1] neg_hi:[0,1]
	v_mov_b32_e32 v26, v13
	v_mov_b32_e32 v27, v30
	;; [unrolled: 1-line block ×3, first 2 shown]
	v_pk_add_f32 v[14:15], v[14:15], v[26:27] neg_lo:[0,1] neg_hi:[0,1]
	v_mov_b32_e32 v25, v12
	v_pk_add_f32 v[12:13], v[24:25], v[14:15] neg_lo:[0,1] neg_hi:[0,1]
	v_mov_b32_e32 v32, v28
	v_pk_add_f32 v[14:15], v[32:33], v[12:13]
	s_nop 0
	v_mov_b32_e32 v24, v15
	v_pk_add_f32 v[24:25], v[14:15], v[24:25]
	s_nop 0
	v_pk_add_f32 v[22:23], v[22:23], v[24:25]
	v_mov_b32_e32 v13, v24
	v_mov_b32_e32 v15, v22
	v_pk_add_f32 v[26:27], v[14:15], v[28:29] neg_lo:[0,1] neg_hi:[0,1]
	s_nop 0
	v_sub_f32_e32 v14, v14, v26
	v_pk_add_f32 v[12:13], v[12:13], v[26:27] neg_lo:[0,1] neg_hi:[0,1]
	v_sub_f32_e32 v14, v28, v14
	v_add_f32_e32 v12, v12, v14
	v_add_f32_e32 v12, v12, v13
	;; [unrolled: 1-line block ×3, first 2 shown]
	v_cndmask_b32_e32 v88, v12, v34, vcc
.LBB54_91:                              ;   in Loop: Header=BB54_13 Depth=1
	s_or_b64 exec, exec, s[54:55]
	s_waitcnt lgkmcnt(0)
	v_lshlrev_b32_e32 v12, 16, v8
	v_readlane_b32 s0, v95, 2
	s_nop 1
	v_add_f32_e32 v89, s0, v12
	v_cmp_ge_f32_e32 vcc, s6, v89
	s_and_b64 s[0:1], s[4:5], vcc
	s_and_saveexec_b64 s[54:55], s[0:1]
	s_cbranch_execz .LBB54_93
; %bb.92:                               ;   in Loop: Header=BB54_13 Depth=1
	v_mul_f32_e32 v12, 0x3fb8aa3b, v89
	v_rndne_f32_e32 v13, v12
	v_sub_f32_e32 v14, v12, v13
	v_fma_f32 v12, v89, s7, -v12
	v_fmac_f32_e32 v12, 0x32a5705f, v89
	v_add_f32_e32 v12, v14, v12
	v_cvt_i32_f32_e32 v13, v13
	v_exp_f32_e32 v12, v12
	v_cmp_ngt_f32_e32 vcc, s8, v89
	v_ldexp_f32 v12, v12, v13
	s_nop 0
	v_cndmask_b32_e32 v12, 0, v12, vcc
	v_cmp_nlt_f32_e32 vcc, s9, v89
	s_nop 1
	v_cndmask_b32_e32 v34, v41, v12, vcc
	v_add_f32_e32 v14, 1.0, v34
	v_add_f32_e32 v12, -1.0, v14
	v_sub_f32_e32 v13, v12, v14
	v_add_f32_e32 v13, 1.0, v13
	v_sub_f32_e32 v12, v34, v12
	v_add_f32_e32 v15, v12, v13
	v_frexp_mant_f32_e32 v22, v14
	v_cvt_f64_f32_e32 v[12:13], v14
	v_frexp_exp_i32_f64_e32 v12, v[12:13]
	v_cmp_gt_f32_e32 vcc, s11, v22
	v_cmp_gt_f32_e64 s[52:53], s57, v34
	s_nop 0
	v_subbrev_co_u32_e32 v26, vcc, 0, v12, vcc
	v_sub_u32_e32 v12, 0, v26
	v_ldexp_f32 v13, v14, v12
	v_add_f32_e32 v14, -1.0, v13
	v_add_f32_e32 v22, 1.0, v13
	v_ldexp_f32 v12, v15, v12
	v_add_f32_e32 v15, 1.0, v14
	v_add_f32_e32 v23, -1.0, v22
	v_sub_f32_e32 v15, v13, v15
	v_sub_f32_e32 v13, v13, v23
	v_add_f32_e32 v15, v12, v15
	v_add_f32_e32 v12, v12, v13
	;; [unrolled: 1-line block ×3, first 2 shown]
	v_rcp_f32_e32 v29, v27
	v_sub_f32_e32 v13, v22, v27
	v_add_f32_e32 v28, v12, v13
	v_add_f32_e32 v13, v14, v15
	v_mul_f32_e32 v31, v13, v29
	v_sub_f32_e32 v12, v14, v13
	v_mul_f32_e32 v14, v27, v31
	v_fma_f32 v22, v31, v27, -v14
	v_fmac_f32_e32 v22, v31, v28
	v_add_f32_e32 v30, v15, v12
	v_add_f32_e32 v12, v14, v22
	v_sub_f32_e32 v15, v13, v12
	v_pk_add_f32 v[24:25], v[12:13], v[14:15] neg_lo:[0,1] neg_hi:[0,1]
	v_mov_b32_e32 v23, v12
	v_pk_add_f32 v[12:13], v[24:25], v[22:23] neg_lo:[0,1] neg_hi:[0,1]
	v_cmp_eq_f32_e32 vcc, s10, v34
	v_add_f32_e32 v13, v30, v13
	v_add_f32_e32 v12, v12, v13
	;; [unrolled: 1-line block ×3, first 2 shown]
	v_mul_f32_e32 v30, v29, v13
	v_mul_f32_e32 v14, v27, v30
	v_fma_f32 v22, v30, v27, -v14
	v_fmac_f32_e32 v22, v30, v28
	v_sub_f32_e32 v15, v15, v13
	v_add_f32_e32 v27, v12, v15
	v_add_f32_e32 v12, v14, v22
	v_sub_f32_e32 v15, v13, v12
	v_pk_add_f32 v[24:25], v[12:13], v[14:15] neg_lo:[0,1] neg_hi:[0,1]
	v_mov_b32_e32 v23, v12
	v_pk_add_f32 v[12:13], v[24:25], v[22:23] neg_lo:[0,1] neg_hi:[0,1]
	s_or_b64 vcc, s[52:53], vcc
	v_add_f32_e32 v13, v27, v13
	v_add_f32_e32 v12, v12, v13
	;; [unrolled: 1-line block ×4, first 2 shown]
	v_sub_f32_e32 v14, v13, v31
	v_mul_f32_e32 v12, v29, v12
	v_sub_f32_e32 v14, v30, v14
	v_add_f32_e32 v14, v14, v12
	v_add_f32_e32 v22, v13, v14
	v_mul_f32_e32 v23, v22, v22
	v_fmamk_f32 v12, v23, 0x3e9b6dac, v40
	v_fmaak_f32 v43, v23, v12, 0x3f2aaada
	v_cvt_f32_i32_e32 v12, v26
	v_sub_f32_e32 v13, v22, v13
	v_sub_f32_e32 v13, v14, v13
	v_ldexp_f32 v24, v13, 1
	v_mul_f32_e32 v13, v22, v23
	v_ldexp_f32 v15, v22, 1
	v_pk_mul_f32 v[22:23], v[12:13], v[42:43]
	s_nop 0
	v_fma_f32 v14, v12, s56, -v22
	v_fmac_f32_e32 v14, 0xb102e308, v12
	v_pk_add_f32 v[12:13], v[22:23], v[14:15]
	s_nop 0
	v_sub_f32_e32 v15, v13, v15
	v_sub_f32_e32 v15, v23, v15
	v_add_f32_e32 v25, v24, v15
	v_mov_b32_e32 v24, v22
	v_pk_add_f32 v[22:23], v[12:13], v[22:23] neg_lo:[0,1] neg_hi:[0,1]
	v_pk_add_f32 v[26:27], v[12:13], v[24:25]
	v_mov_b32_e32 v15, v12
	v_mov_b32_e32 v23, v27
	v_pk_add_f32 v[28:29], v[14:15], v[22:23] neg_lo:[0,1] neg_hi:[0,1]
	v_pk_add_f32 v[14:15], v[14:15], v[22:23]
	v_mov_b32_e32 v24, v25
	v_mov_b32_e32 v22, v15
	v_pk_add_f32 v[30:31], v[22:23], v[12:13] neg_lo:[0,1] neg_hi:[0,1]
	v_mov_b32_e32 v14, v27
	v_mov_b32_e32 v23, v30
	v_pk_add_f32 v[32:33], v[26:27], v[22:23] neg_lo:[0,1] neg_hi:[0,1]
	v_mov_b32_e32 v26, v13
	v_mov_b32_e32 v27, v30
	v_mov_b32_e32 v29, v15
	v_pk_add_f32 v[14:15], v[14:15], v[26:27] neg_lo:[0,1] neg_hi:[0,1]
	v_mov_b32_e32 v25, v12
	v_pk_add_f32 v[12:13], v[24:25], v[14:15] neg_lo:[0,1] neg_hi:[0,1]
	v_mov_b32_e32 v32, v28
	v_pk_add_f32 v[14:15], v[32:33], v[12:13]
	s_nop 0
	v_mov_b32_e32 v24, v15
	v_pk_add_f32 v[24:25], v[14:15], v[24:25]
	s_nop 0
	v_pk_add_f32 v[22:23], v[22:23], v[24:25]
	v_mov_b32_e32 v13, v24
	v_mov_b32_e32 v15, v22
	v_pk_add_f32 v[26:27], v[14:15], v[28:29] neg_lo:[0,1] neg_hi:[0,1]
	s_nop 0
	v_sub_f32_e32 v14, v14, v26
	v_pk_add_f32 v[12:13], v[12:13], v[26:27] neg_lo:[0,1] neg_hi:[0,1]
	v_sub_f32_e32 v14, v28, v14
	v_add_f32_e32 v12, v12, v14
	v_add_f32_e32 v12, v12, v13
	;; [unrolled: 1-line block ×3, first 2 shown]
	v_cndmask_b32_e32 v89, v12, v34, vcc
.LBB54_93:                              ;   in Loop: Header=BB54_13 Depth=1
	s_or_b64 exec, exec, s[54:55]
	v_and_b32_e32 v8, 0xffff0000, v8
	v_readlane_b32 s0, v95, 2
	s_nop 1
	v_add_f32_e32 v90, s0, v8
	v_cmp_ge_f32_e32 vcc, s6, v90
	s_and_b64 s[0:1], s[4:5], vcc
	s_and_saveexec_b64 s[54:55], s[0:1]
	s_cbranch_execz .LBB54_95
; %bb.94:                               ;   in Loop: Header=BB54_13 Depth=1
	v_mul_f32_e32 v8, 0x3fb8aa3b, v90
	v_rndne_f32_e32 v12, v8
	v_sub_f32_e32 v13, v8, v12
	v_fma_f32 v8, v90, s7, -v8
	v_fmac_f32_e32 v8, 0x32a5705f, v90
	v_add_f32_e32 v8, v13, v8
	v_cvt_i32_f32_e32 v12, v12
	v_exp_f32_e32 v8, v8
	v_cmp_ngt_f32_e32 vcc, s8, v90
	v_ldexp_f32 v8, v8, v12
	s_nop 0
	v_cndmask_b32_e32 v8, 0, v8, vcc
	v_cmp_nlt_f32_e32 vcc, s9, v90
	s_nop 1
	v_cndmask_b32_e32 v32, v41, v8, vcc
	v_add_f32_e32 v8, 1.0, v32
	v_add_f32_e32 v12, -1.0, v8
	v_sub_f32_e32 v13, v12, v8
	v_add_f32_e32 v13, 1.0, v13
	v_sub_f32_e32 v12, v32, v12
	v_add_f32_e32 v14, v12, v13
	v_frexp_mant_f32_e32 v15, v8
	v_cvt_f64_f32_e32 v[12:13], v8
	v_frexp_exp_i32_f64_e32 v12, v[12:13]
	v_cmp_gt_f32_e32 vcc, s11, v15
	v_cmp_gt_f32_e64 s[52:53], s57, v32
	s_nop 0
	v_subbrev_co_u32_e32 v26, vcc, 0, v12, vcc
	v_sub_u32_e32 v12, 0, v26
	v_ldexp_f32 v8, v8, v12
	v_ldexp_f32 v12, v14, v12
	v_add_f32_e32 v14, -1.0, v8
	v_add_f32_e32 v13, 1.0, v14
	v_sub_f32_e32 v13, v8, v13
	v_add_f32_e32 v15, v12, v13
	v_add_f32_e32 v13, 1.0, v8
	v_add_f32_e32 v22, -1.0, v13
	v_sub_f32_e32 v8, v8, v22
	v_add_f32_e32 v8, v12, v8
	v_add_f32_e32 v27, v13, v8
	v_rcp_f32_e32 v28, v27
	v_sub_f32_e32 v12, v13, v27
	v_add_f32_e32 v13, v14, v15
	v_add_f32_e32 v8, v8, v12
	v_mul_f32_e32 v30, v13, v28
	v_sub_f32_e32 v12, v14, v13
	v_mul_f32_e32 v14, v27, v30
	v_fma_f32 v22, v30, v27, -v14
	v_fmac_f32_e32 v22, v30, v8
	v_add_f32_e32 v29, v15, v12
	v_add_f32_e32 v12, v14, v22
	v_sub_f32_e32 v15, v13, v12
	v_pk_add_f32 v[24:25], v[12:13], v[14:15] neg_lo:[0,1] neg_hi:[0,1]
	v_mov_b32_e32 v23, v12
	v_pk_add_f32 v[12:13], v[24:25], v[22:23] neg_lo:[0,1] neg_hi:[0,1]
	v_cmp_eq_f32_e32 vcc, s10, v32
	v_add_f32_e32 v13, v29, v13
	v_add_f32_e32 v12, v12, v13
	;; [unrolled: 1-line block ×3, first 2 shown]
	v_mul_f32_e32 v29, v28, v13
	v_mul_f32_e32 v14, v27, v29
	v_fma_f32 v22, v29, v27, -v14
	v_fmac_f32_e32 v22, v29, v8
	v_sub_f32_e32 v8, v15, v13
	v_add_f32_e32 v8, v12, v8
	v_add_f32_e32 v12, v14, v22
	v_sub_f32_e32 v15, v13, v12
	v_pk_add_f32 v[24:25], v[12:13], v[14:15] neg_lo:[0,1] neg_hi:[0,1]
	v_mov_b32_e32 v23, v12
	v_pk_add_f32 v[12:13], v[24:25], v[22:23] neg_lo:[0,1] neg_hi:[0,1]
	s_or_b64 vcc, s[52:53], vcc
	v_add_f32_e32 v8, v8, v13
	v_add_f32_e32 v8, v12, v8
	;; [unrolled: 1-line block ×4, first 2 shown]
	v_sub_f32_e32 v12, v13, v30
	v_mul_f32_e32 v8, v28, v8
	v_sub_f32_e32 v12, v29, v12
	v_add_f32_e32 v8, v12, v8
	v_add_f32_e32 v14, v13, v8
	v_mul_f32_e32 v22, v14, v14
	v_fmamk_f32 v12, v22, 0x3e9b6dac, v40
	v_fmaak_f32 v43, v22, v12, 0x3f2aaada
	v_cvt_f32_i32_e32 v12, v26
	v_sub_f32_e32 v13, v14, v13
	v_sub_f32_e32 v8, v8, v13
	v_mul_f32_e32 v13, v14, v22
	v_pk_mul_f32 v[22:23], v[12:13], v[42:43]
	v_ldexp_f32 v15, v14, 1
	v_fma_f32 v14, v12, s56, -v22
	v_fmac_f32_e32 v14, 0xb102e308, v12
	v_pk_add_f32 v[12:13], v[22:23], v[14:15]
	v_ldexp_f32 v8, v8, 1
	v_sub_f32_e32 v15, v13, v15
	v_sub_f32_e32 v15, v23, v15
	v_add_f32_e32 v25, v8, v15
	v_mov_b32_e32 v24, v22
	v_pk_add_f32 v[22:23], v[12:13], v[22:23] neg_lo:[0,1] neg_hi:[0,1]
	v_pk_add_f32 v[26:27], v[12:13], v[24:25]
	v_mov_b32_e32 v15, v12
	v_mov_b32_e32 v23, v27
	v_pk_add_f32 v[28:29], v[14:15], v[22:23] neg_lo:[0,1] neg_hi:[0,1]
	v_pk_add_f32 v[14:15], v[14:15], v[22:23]
	s_nop 0
	v_mov_b32_e32 v8, v15
	v_pk_add_f32 v[22:23], v[8:9], v[12:13] neg_lo:[0,1] neg_hi:[0,1]
	v_mov_b32_e32 v14, v27
	v_mov_b32_e32 v23, v22
	v_pk_add_f32 v[30:31], v[26:27], v[22:23] neg_lo:[0,1] neg_hi:[0,1]
	v_mov_b32_e32 v26, v13
	v_mov_b32_e32 v27, v22
	;; [unrolled: 1-line block ×3, first 2 shown]
	v_pk_add_f32 v[14:15], v[14:15], v[26:27] neg_lo:[0,1] neg_hi:[0,1]
	v_mov_b32_e32 v22, v25
	v_mov_b32_e32 v23, v12
	v_pk_add_f32 v[12:13], v[22:23], v[14:15] neg_lo:[0,1] neg_hi:[0,1]
	v_mov_b32_e32 v30, v28
	v_pk_add_f32 v[14:15], v[30:31], v[12:13]
	s_nop 0
	v_mov_b32_e32 v22, v15
	v_pk_add_f32 v[22:23], v[14:15], v[22:23]
	s_nop 0
	v_pk_add_f32 v[24:25], v[8:9], v[22:23]
	v_mov_b32_e32 v13, v22
	v_mov_b32_e32 v15, v24
	v_pk_add_f32 v[26:27], v[14:15], v[28:29] neg_lo:[0,1] neg_hi:[0,1]
	s_nop 0
	v_sub_f32_e32 v8, v14, v26
	v_pk_add_f32 v[12:13], v[12:13], v[26:27] neg_lo:[0,1] neg_hi:[0,1]
	v_sub_f32_e32 v8, v28, v8
	v_add_f32_e32 v8, v12, v8
	v_add_f32_e32 v8, v8, v13
	;; [unrolled: 1-line block ×3, first 2 shown]
	v_cndmask_b32_e32 v90, v8, v32, vcc
.LBB54_95:                              ;   in Loop: Header=BB54_13 Depth=1
	s_or_b64 exec, exec, s[54:55]
	v_lshlrev_b32_e32 v8, 16, v9
	v_readlane_b32 s0, v95, 2
	s_nop 1
	v_add_f32_e32 v91, s0, v8
	v_cmp_ge_f32_e32 vcc, s6, v91
	s_and_b64 s[0:1], s[4:5], vcc
	s_and_saveexec_b64 s[54:55], s[0:1]
	s_cbranch_execz .LBB54_97
; %bb.96:                               ;   in Loop: Header=BB54_13 Depth=1
	v_mul_f32_e32 v8, 0x3fb8aa3b, v91
	v_rndne_f32_e32 v12, v8
	v_sub_f32_e32 v13, v8, v12
	v_fma_f32 v8, v91, s7, -v8
	v_fmac_f32_e32 v8, 0x32a5705f, v91
	v_add_f32_e32 v8, v13, v8
	v_cvt_i32_f32_e32 v12, v12
	v_exp_f32_e32 v8, v8
	v_cmp_ngt_f32_e32 vcc, s8, v91
	v_ldexp_f32 v8, v8, v12
	s_nop 0
	v_cndmask_b32_e32 v8, 0, v8, vcc
	v_cmp_nlt_f32_e32 vcc, s9, v91
	s_nop 1
	v_cndmask_b32_e32 v32, v41, v8, vcc
	v_add_f32_e32 v8, 1.0, v32
	v_add_f32_e32 v12, -1.0, v8
	v_sub_f32_e32 v13, v12, v8
	v_add_f32_e32 v13, 1.0, v13
	v_sub_f32_e32 v12, v32, v12
	v_add_f32_e32 v14, v12, v13
	v_frexp_mant_f32_e32 v15, v8
	v_cvt_f64_f32_e32 v[12:13], v8
	v_frexp_exp_i32_f64_e32 v12, v[12:13]
	v_cmp_gt_f32_e32 vcc, s11, v15
	v_cmp_gt_f32_e64 s[52:53], s57, v32
	s_nop 0
	v_subbrev_co_u32_e32 v26, vcc, 0, v12, vcc
	v_sub_u32_e32 v12, 0, v26
	v_ldexp_f32 v8, v8, v12
	v_ldexp_f32 v12, v14, v12
	v_add_f32_e32 v14, -1.0, v8
	v_add_f32_e32 v13, 1.0, v14
	v_sub_f32_e32 v13, v8, v13
	v_add_f32_e32 v15, v12, v13
	v_add_f32_e32 v13, 1.0, v8
	v_add_f32_e32 v22, -1.0, v13
	v_sub_f32_e32 v8, v8, v22
	v_add_f32_e32 v8, v12, v8
	v_add_f32_e32 v27, v13, v8
	v_rcp_f32_e32 v28, v27
	v_sub_f32_e32 v12, v13, v27
	v_add_f32_e32 v13, v14, v15
	v_add_f32_e32 v8, v8, v12
	v_mul_f32_e32 v30, v13, v28
	v_sub_f32_e32 v12, v14, v13
	v_mul_f32_e32 v14, v27, v30
	v_fma_f32 v22, v30, v27, -v14
	v_fmac_f32_e32 v22, v30, v8
	v_add_f32_e32 v29, v15, v12
	v_add_f32_e32 v12, v14, v22
	v_sub_f32_e32 v15, v13, v12
	v_pk_add_f32 v[24:25], v[12:13], v[14:15] neg_lo:[0,1] neg_hi:[0,1]
	v_mov_b32_e32 v23, v12
	v_pk_add_f32 v[12:13], v[24:25], v[22:23] neg_lo:[0,1] neg_hi:[0,1]
	v_cmp_eq_f32_e32 vcc, s10, v32
	v_add_f32_e32 v13, v29, v13
	v_add_f32_e32 v12, v12, v13
	;; [unrolled: 1-line block ×3, first 2 shown]
	v_mul_f32_e32 v29, v28, v13
	v_mul_f32_e32 v14, v27, v29
	v_fma_f32 v22, v29, v27, -v14
	v_fmac_f32_e32 v22, v29, v8
	v_sub_f32_e32 v8, v15, v13
	v_add_f32_e32 v8, v12, v8
	v_add_f32_e32 v12, v14, v22
	v_sub_f32_e32 v15, v13, v12
	v_pk_add_f32 v[24:25], v[12:13], v[14:15] neg_lo:[0,1] neg_hi:[0,1]
	v_mov_b32_e32 v23, v12
	v_pk_add_f32 v[12:13], v[24:25], v[22:23] neg_lo:[0,1] neg_hi:[0,1]
	s_or_b64 vcc, s[52:53], vcc
	v_add_f32_e32 v8, v8, v13
	v_add_f32_e32 v8, v12, v8
	;; [unrolled: 1-line block ×4, first 2 shown]
	v_sub_f32_e32 v12, v13, v30
	v_mul_f32_e32 v8, v28, v8
	v_sub_f32_e32 v12, v29, v12
	v_add_f32_e32 v8, v12, v8
	v_add_f32_e32 v14, v13, v8
	v_mul_f32_e32 v22, v14, v14
	v_fmamk_f32 v12, v22, 0x3e9b6dac, v40
	v_fmaak_f32 v43, v22, v12, 0x3f2aaada
	v_cvt_f32_i32_e32 v12, v26
	v_sub_f32_e32 v13, v14, v13
	v_sub_f32_e32 v8, v8, v13
	v_mul_f32_e32 v13, v14, v22
	v_pk_mul_f32 v[22:23], v[12:13], v[42:43]
	v_ldexp_f32 v15, v14, 1
	v_fma_f32 v14, v12, s56, -v22
	v_fmac_f32_e32 v14, 0xb102e308, v12
	v_pk_add_f32 v[12:13], v[22:23], v[14:15]
	v_ldexp_f32 v8, v8, 1
	v_sub_f32_e32 v15, v13, v15
	v_sub_f32_e32 v15, v23, v15
	v_add_f32_e32 v25, v8, v15
	v_mov_b32_e32 v24, v22
	v_pk_add_f32 v[22:23], v[12:13], v[22:23] neg_lo:[0,1] neg_hi:[0,1]
	v_pk_add_f32 v[26:27], v[12:13], v[24:25]
	v_mov_b32_e32 v15, v12
	v_mov_b32_e32 v23, v27
	v_pk_add_f32 v[28:29], v[14:15], v[22:23] neg_lo:[0,1] neg_hi:[0,1]
	v_pk_add_f32 v[14:15], v[14:15], v[22:23]
	s_nop 0
	v_mov_b32_e32 v8, v15
	v_pk_add_f32 v[22:23], v[8:9], v[12:13] neg_lo:[0,1] neg_hi:[0,1]
	v_mov_b32_e32 v14, v27
	v_mov_b32_e32 v23, v22
	v_pk_add_f32 v[30:31], v[26:27], v[22:23] neg_lo:[0,1] neg_hi:[0,1]
	v_mov_b32_e32 v26, v13
	v_mov_b32_e32 v27, v22
	;; [unrolled: 1-line block ×3, first 2 shown]
	v_pk_add_f32 v[14:15], v[14:15], v[26:27] neg_lo:[0,1] neg_hi:[0,1]
	v_mov_b32_e32 v22, v25
	v_mov_b32_e32 v23, v12
	v_pk_add_f32 v[12:13], v[22:23], v[14:15] neg_lo:[0,1] neg_hi:[0,1]
	v_mov_b32_e32 v30, v28
	v_pk_add_f32 v[14:15], v[30:31], v[12:13]
	s_nop 0
	v_mov_b32_e32 v22, v15
	v_pk_add_f32 v[22:23], v[14:15], v[22:23]
	s_nop 0
	v_pk_add_f32 v[24:25], v[8:9], v[22:23]
	v_mov_b32_e32 v13, v22
	v_mov_b32_e32 v15, v24
	v_pk_add_f32 v[26:27], v[14:15], v[28:29] neg_lo:[0,1] neg_hi:[0,1]
	s_nop 0
	v_sub_f32_e32 v8, v14, v26
	v_pk_add_f32 v[12:13], v[12:13], v[26:27] neg_lo:[0,1] neg_hi:[0,1]
	v_sub_f32_e32 v8, v28, v8
	v_add_f32_e32 v8, v12, v8
	v_add_f32_e32 v8, v8, v13
	;; [unrolled: 1-line block ×3, first 2 shown]
	v_cndmask_b32_e32 v91, v8, v32, vcc
.LBB54_97:                              ;   in Loop: Header=BB54_13 Depth=1
	s_or_b64 exec, exec, s[54:55]
	v_and_b32_e32 v8, 0xffff0000, v9
	v_readlane_b32 s0, v95, 2
	s_nop 1
	v_add_f32_e32 v92, s0, v8
	v_cmp_ge_f32_e32 vcc, s6, v92
	s_and_b64 s[0:1], s[4:5], vcc
	s_and_saveexec_b64 s[54:55], s[0:1]
	s_cbranch_execz .LBB54_99
; %bb.98:                               ;   in Loop: Header=BB54_13 Depth=1
	v_mul_f32_e32 v8, 0x3fb8aa3b, v92
	v_rndne_f32_e32 v9, v8
	v_sub_f32_e32 v12, v8, v9
	v_fma_f32 v8, v92, s7, -v8
	v_fmac_f32_e32 v8, 0x32a5705f, v92
	v_add_f32_e32 v8, v12, v8
	v_cvt_i32_f32_e32 v9, v9
	v_exp_f32_e32 v8, v8
	v_cmp_ngt_f32_e32 vcc, s8, v92
	v_ldexp_f32 v8, v8, v9
	s_nop 0
	v_cndmask_b32_e32 v8, 0, v8, vcc
	v_cmp_nlt_f32_e32 vcc, s9, v92
	s_nop 1
	v_cndmask_b32_e32 v32, v41, v8, vcc
	v_add_f32_e32 v12, 1.0, v32
	v_add_f32_e32 v8, -1.0, v12
	v_sub_f32_e32 v9, v8, v12
	v_add_f32_e32 v9, 1.0, v9
	v_sub_f32_e32 v8, v32, v8
	v_add_f32_e32 v13, v8, v9
	v_frexp_mant_f32_e32 v14, v12
	v_cvt_f64_f32_e32 v[8:9], v12
	v_frexp_exp_i32_f64_e32 v8, v[8:9]
	v_cmp_gt_f32_e32 vcc, s11, v14
	v_cmp_gt_f32_e64 s[52:53], s57, v32
	s_nop 0
	v_subbrev_co_u32_e32 v24, vcc, 0, v8, vcc
	v_sub_u32_e32 v8, 0, v24
	v_ldexp_f32 v9, v12, v8
	v_add_f32_e32 v12, -1.0, v9
	v_add_f32_e32 v14, 1.0, v9
	v_ldexp_f32 v8, v13, v8
	v_add_f32_e32 v13, 1.0, v12
	v_add_f32_e32 v15, -1.0, v14
	v_sub_f32_e32 v13, v9, v13
	v_sub_f32_e32 v9, v9, v15
	v_add_f32_e32 v13, v8, v13
	v_add_f32_e32 v8, v8, v9
	;; [unrolled: 1-line block ×3, first 2 shown]
	v_rcp_f32_e32 v27, v25
	v_sub_f32_e32 v9, v14, v25
	v_add_f32_e32 v26, v8, v9
	v_add_f32_e32 v9, v12, v13
	v_mul_f32_e32 v29, v9, v27
	v_sub_f32_e32 v8, v12, v9
	v_mul_f32_e32 v12, v25, v29
	v_fma_f32 v14, v29, v25, -v12
	v_fmac_f32_e32 v14, v29, v26
	v_add_f32_e32 v28, v13, v8
	v_add_f32_e32 v8, v12, v14
	v_sub_f32_e32 v13, v9, v8
	v_pk_add_f32 v[22:23], v[8:9], v[12:13] neg_lo:[0,1] neg_hi:[0,1]
	v_mov_b32_e32 v15, v8
	v_pk_add_f32 v[8:9], v[22:23], v[14:15] neg_lo:[0,1] neg_hi:[0,1]
	v_cmp_eq_f32_e32 vcc, s10, v32
	v_add_f32_e32 v9, v28, v9
	v_add_f32_e32 v8, v8, v9
	;; [unrolled: 1-line block ×3, first 2 shown]
	v_mul_f32_e32 v28, v27, v9
	v_mul_f32_e32 v12, v25, v28
	v_fma_f32 v14, v28, v25, -v12
	v_fmac_f32_e32 v14, v28, v26
	v_sub_f32_e32 v13, v13, v9
	v_add_f32_e32 v25, v8, v13
	v_add_f32_e32 v8, v12, v14
	v_sub_f32_e32 v13, v9, v8
	v_pk_add_f32 v[22:23], v[8:9], v[12:13] neg_lo:[0,1] neg_hi:[0,1]
	v_mov_b32_e32 v15, v8
	v_pk_add_f32 v[8:9], v[22:23], v[14:15] neg_lo:[0,1] neg_hi:[0,1]
	s_or_b64 vcc, s[52:53], vcc
	v_add_f32_e32 v9, v25, v9
	v_add_f32_e32 v8, v8, v9
	;; [unrolled: 1-line block ×4, first 2 shown]
	v_sub_f32_e32 v12, v9, v29
	v_mul_f32_e32 v8, v27, v8
	v_sub_f32_e32 v12, v28, v12
	v_add_f32_e32 v12, v12, v8
	v_add_f32_e32 v14, v9, v12
	v_mul_f32_e32 v15, v14, v14
	v_fmamk_f32 v8, v15, 0x3e9b6dac, v40
	v_fmaak_f32 v43, v15, v8, 0x3f2aaada
	v_cvt_f32_i32_e32 v8, v24
	v_sub_f32_e32 v9, v14, v9
	v_sub_f32_e32 v9, v12, v9
	v_ldexp_f32 v22, v9, 1
	v_mul_f32_e32 v9, v14, v15
	v_ldexp_f32 v13, v14, 1
	v_pk_mul_f32 v[14:15], v[8:9], v[42:43]
	s_nop 0
	v_fma_f32 v12, v8, s56, -v14
	v_fmac_f32_e32 v12, 0xb102e308, v8
	v_pk_add_f32 v[8:9], v[14:15], v[12:13]
	s_nop 0
	v_sub_f32_e32 v13, v9, v13
	v_sub_f32_e32 v13, v15, v13
	v_add_f32_e32 v23, v22, v13
	v_mov_b32_e32 v22, v14
	v_pk_add_f32 v[14:15], v[8:9], v[14:15] neg_lo:[0,1] neg_hi:[0,1]
	v_pk_add_f32 v[24:25], v[8:9], v[22:23]
	v_mov_b32_e32 v13, v8
	v_mov_b32_e32 v15, v25
	v_pk_add_f32 v[26:27], v[12:13], v[14:15] neg_lo:[0,1] neg_hi:[0,1]
	v_pk_add_f32 v[12:13], v[12:13], v[14:15]
	v_mov_b32_e32 v22, v23
	v_mov_b32_e32 v14, v13
	v_pk_add_f32 v[28:29], v[14:15], v[8:9] neg_lo:[0,1] neg_hi:[0,1]
	v_mov_b32_e32 v12, v25
	v_mov_b32_e32 v15, v28
	v_pk_add_f32 v[30:31], v[24:25], v[14:15] neg_lo:[0,1] neg_hi:[0,1]
	v_mov_b32_e32 v24, v9
	v_mov_b32_e32 v25, v28
	;; [unrolled: 1-line block ×3, first 2 shown]
	v_pk_add_f32 v[12:13], v[12:13], v[24:25] neg_lo:[0,1] neg_hi:[0,1]
	v_mov_b32_e32 v23, v8
	v_pk_add_f32 v[8:9], v[22:23], v[12:13] neg_lo:[0,1] neg_hi:[0,1]
	v_mov_b32_e32 v30, v26
	v_pk_add_f32 v[12:13], v[30:31], v[8:9]
	s_nop 0
	v_mov_b32_e32 v22, v13
	v_pk_add_f32 v[22:23], v[12:13], v[22:23]
	s_nop 0
	v_pk_add_f32 v[14:15], v[14:15], v[22:23]
	v_mov_b32_e32 v9, v22
	v_mov_b32_e32 v13, v14
	v_pk_add_f32 v[24:25], v[12:13], v[26:27] neg_lo:[0,1] neg_hi:[0,1]
	s_nop 0
	v_sub_f32_e32 v12, v12, v24
	v_pk_add_f32 v[8:9], v[8:9], v[24:25] neg_lo:[0,1] neg_hi:[0,1]
	v_sub_f32_e32 v12, v26, v12
	v_add_f32_e32 v8, v8, v12
	v_add_f32_e32 v8, v8, v9
	;; [unrolled: 1-line block ×3, first 2 shown]
	v_cndmask_b32_e32 v92, v8, v32, vcc
.LBB54_99:                              ;   in Loop: Header=BB54_13 Depth=1
	s_or_b64 exec, exec, s[54:55]
	v_lshlrev_b32_e32 v8, 16, v10
	v_readlane_b32 s0, v95, 2
	s_nop 1
	v_add_f32_e32 v93, s0, v8
	v_cmp_ge_f32_e32 vcc, s6, v93
	s_and_b64 s[0:1], s[4:5], vcc
	s_and_saveexec_b64 s[54:55], s[0:1]
	s_cbranch_execz .LBB54_101
; %bb.100:                              ;   in Loop: Header=BB54_13 Depth=1
	v_mul_f32_e32 v8, 0x3fb8aa3b, v93
	v_rndne_f32_e32 v9, v8
	v_sub_f32_e32 v12, v8, v9
	v_fma_f32 v8, v93, s7, -v8
	v_fmac_f32_e32 v8, 0x32a5705f, v93
	v_add_f32_e32 v8, v12, v8
	v_cvt_i32_f32_e32 v9, v9
	v_exp_f32_e32 v8, v8
	v_cmp_ngt_f32_e32 vcc, s8, v93
	v_ldexp_f32 v8, v8, v9
	s_nop 0
	v_cndmask_b32_e32 v8, 0, v8, vcc
	v_cmp_nlt_f32_e32 vcc, s9, v93
	s_nop 1
	v_cndmask_b32_e32 v32, v41, v8, vcc
	v_add_f32_e32 v12, 1.0, v32
	v_add_f32_e32 v8, -1.0, v12
	v_sub_f32_e32 v9, v8, v12
	v_add_f32_e32 v9, 1.0, v9
	v_sub_f32_e32 v8, v32, v8
	v_add_f32_e32 v13, v8, v9
	v_frexp_mant_f32_e32 v14, v12
	v_cvt_f64_f32_e32 v[8:9], v12
	v_frexp_exp_i32_f64_e32 v8, v[8:9]
	v_cmp_gt_f32_e32 vcc, s11, v14
	v_cmp_gt_f32_e64 s[52:53], s57, v32
	s_nop 0
	v_subbrev_co_u32_e32 v24, vcc, 0, v8, vcc
	v_sub_u32_e32 v8, 0, v24
	v_ldexp_f32 v9, v12, v8
	v_add_f32_e32 v12, -1.0, v9
	v_add_f32_e32 v14, 1.0, v9
	v_ldexp_f32 v8, v13, v8
	v_add_f32_e32 v13, 1.0, v12
	v_add_f32_e32 v15, -1.0, v14
	v_sub_f32_e32 v13, v9, v13
	v_sub_f32_e32 v9, v9, v15
	v_add_f32_e32 v13, v8, v13
	v_add_f32_e32 v8, v8, v9
	;; [unrolled: 1-line block ×3, first 2 shown]
	v_rcp_f32_e32 v27, v25
	v_sub_f32_e32 v9, v14, v25
	v_add_f32_e32 v26, v8, v9
	v_add_f32_e32 v9, v12, v13
	v_mul_f32_e32 v29, v9, v27
	v_sub_f32_e32 v8, v12, v9
	v_mul_f32_e32 v12, v25, v29
	v_fma_f32 v14, v29, v25, -v12
	v_fmac_f32_e32 v14, v29, v26
	v_add_f32_e32 v28, v13, v8
	v_add_f32_e32 v8, v12, v14
	v_sub_f32_e32 v13, v9, v8
	v_pk_add_f32 v[22:23], v[8:9], v[12:13] neg_lo:[0,1] neg_hi:[0,1]
	v_mov_b32_e32 v15, v8
	v_pk_add_f32 v[8:9], v[22:23], v[14:15] neg_lo:[0,1] neg_hi:[0,1]
	v_cmp_eq_f32_e32 vcc, s10, v32
	v_add_f32_e32 v9, v28, v9
	v_add_f32_e32 v8, v8, v9
	v_add_f32_e32 v9, v13, v8
	v_mul_f32_e32 v28, v27, v9
	v_mul_f32_e32 v12, v25, v28
	v_fma_f32 v14, v28, v25, -v12
	v_fmac_f32_e32 v14, v28, v26
	v_sub_f32_e32 v13, v13, v9
	v_add_f32_e32 v25, v8, v13
	v_add_f32_e32 v8, v12, v14
	v_sub_f32_e32 v13, v9, v8
	v_pk_add_f32 v[22:23], v[8:9], v[12:13] neg_lo:[0,1] neg_hi:[0,1]
	v_mov_b32_e32 v15, v8
	v_pk_add_f32 v[8:9], v[22:23], v[14:15] neg_lo:[0,1] neg_hi:[0,1]
	s_or_b64 vcc, s[52:53], vcc
	v_add_f32_e32 v9, v25, v9
	v_add_f32_e32 v8, v8, v9
	;; [unrolled: 1-line block ×4, first 2 shown]
	v_sub_f32_e32 v12, v9, v29
	v_mul_f32_e32 v8, v27, v8
	v_sub_f32_e32 v12, v28, v12
	v_add_f32_e32 v12, v12, v8
	v_add_f32_e32 v14, v9, v12
	v_mul_f32_e32 v15, v14, v14
	v_fmamk_f32 v8, v15, 0x3e9b6dac, v40
	v_fmaak_f32 v43, v15, v8, 0x3f2aaada
	v_cvt_f32_i32_e32 v8, v24
	v_sub_f32_e32 v9, v14, v9
	v_sub_f32_e32 v9, v12, v9
	v_ldexp_f32 v22, v9, 1
	v_mul_f32_e32 v9, v14, v15
	v_ldexp_f32 v13, v14, 1
	v_pk_mul_f32 v[14:15], v[8:9], v[42:43]
	s_nop 0
	v_fma_f32 v12, v8, s56, -v14
	v_fmac_f32_e32 v12, 0xb102e308, v8
	v_pk_add_f32 v[8:9], v[14:15], v[12:13]
	s_nop 0
	v_sub_f32_e32 v13, v9, v13
	v_sub_f32_e32 v13, v15, v13
	v_add_f32_e32 v23, v22, v13
	v_mov_b32_e32 v22, v14
	v_pk_add_f32 v[14:15], v[8:9], v[14:15] neg_lo:[0,1] neg_hi:[0,1]
	v_pk_add_f32 v[24:25], v[8:9], v[22:23]
	v_mov_b32_e32 v13, v8
	v_mov_b32_e32 v15, v25
	v_pk_add_f32 v[26:27], v[12:13], v[14:15] neg_lo:[0,1] neg_hi:[0,1]
	v_pk_add_f32 v[12:13], v[12:13], v[14:15]
	v_mov_b32_e32 v22, v23
	v_mov_b32_e32 v14, v13
	v_pk_add_f32 v[28:29], v[14:15], v[8:9] neg_lo:[0,1] neg_hi:[0,1]
	v_mov_b32_e32 v12, v25
	v_mov_b32_e32 v15, v28
	v_pk_add_f32 v[30:31], v[24:25], v[14:15] neg_lo:[0,1] neg_hi:[0,1]
	v_mov_b32_e32 v24, v9
	v_mov_b32_e32 v25, v28
	;; [unrolled: 1-line block ×3, first 2 shown]
	v_pk_add_f32 v[12:13], v[12:13], v[24:25] neg_lo:[0,1] neg_hi:[0,1]
	v_mov_b32_e32 v23, v8
	v_pk_add_f32 v[8:9], v[22:23], v[12:13] neg_lo:[0,1] neg_hi:[0,1]
	v_mov_b32_e32 v30, v26
	v_pk_add_f32 v[12:13], v[30:31], v[8:9]
	s_nop 0
	v_mov_b32_e32 v22, v13
	v_pk_add_f32 v[22:23], v[12:13], v[22:23]
	s_nop 0
	v_pk_add_f32 v[14:15], v[14:15], v[22:23]
	v_mov_b32_e32 v9, v22
	v_mov_b32_e32 v13, v14
	v_pk_add_f32 v[24:25], v[12:13], v[26:27] neg_lo:[0,1] neg_hi:[0,1]
	s_nop 0
	v_sub_f32_e32 v12, v12, v24
	v_pk_add_f32 v[8:9], v[8:9], v[24:25] neg_lo:[0,1] neg_hi:[0,1]
	v_sub_f32_e32 v12, v26, v12
	v_add_f32_e32 v8, v8, v12
	v_add_f32_e32 v8, v8, v9
	;; [unrolled: 1-line block ×3, first 2 shown]
	v_cndmask_b32_e32 v93, v8, v32, vcc
.LBB54_101:                             ;   in Loop: Header=BB54_13 Depth=1
	s_or_b64 exec, exec, s[54:55]
	v_and_b32_e32 v8, 0xffff0000, v10
	v_readlane_b32 s0, v95, 2
	s_nop 1
	v_add_f32_e32 v94, s0, v8
	v_cmp_ge_f32_e32 vcc, s6, v94
	s_and_b64 s[0:1], s[4:5], vcc
	s_and_saveexec_b64 s[54:55], s[0:1]
	s_cbranch_execz .LBB54_103
; %bb.102:                              ;   in Loop: Header=BB54_13 Depth=1
	v_mul_f32_e32 v8, 0x3fb8aa3b, v94
	v_rndne_f32_e32 v9, v8
	v_sub_f32_e32 v10, v8, v9
	v_fma_f32 v8, v94, s7, -v8
	v_fmac_f32_e32 v8, 0x32a5705f, v94
	v_add_f32_e32 v8, v10, v8
	v_cvt_i32_f32_e32 v9, v9
	v_exp_f32_e32 v8, v8
	v_cmp_ngt_f32_e32 vcc, s8, v94
	v_ldexp_f32 v8, v8, v9
	s_nop 0
	v_cndmask_b32_e32 v8, 0, v8, vcc
	v_cmp_nlt_f32_e32 vcc, s9, v94
	s_nop 1
	v_cndmask_b32_e32 v30, v41, v8, vcc
	v_add_f32_e32 v10, 1.0, v30
	v_add_f32_e32 v8, -1.0, v10
	v_sub_f32_e32 v9, v8, v10
	v_add_f32_e32 v9, 1.0, v9
	v_sub_f32_e32 v8, v30, v8
	v_add_f32_e32 v12, v8, v9
	v_frexp_mant_f32_e32 v13, v10
	v_cvt_f64_f32_e32 v[8:9], v10
	v_frexp_exp_i32_f64_e32 v8, v[8:9]
	v_cmp_gt_f32_e32 vcc, s11, v13
	v_cmp_gt_f32_e64 s[52:53], s57, v30
	s_nop 0
	v_subbrev_co_u32_e32 v24, vcc, 0, v8, vcc
	v_sub_u32_e32 v8, 0, v24
	v_ldexp_f32 v9, v10, v8
	v_add_f32_e32 v10, -1.0, v9
	v_add_f32_e32 v13, 1.0, v9
	v_ldexp_f32 v8, v12, v8
	v_add_f32_e32 v12, 1.0, v10
	v_add_f32_e32 v14, -1.0, v13
	v_sub_f32_e32 v12, v9, v12
	v_sub_f32_e32 v9, v9, v14
	v_add_f32_e32 v12, v8, v12
	v_add_f32_e32 v8, v8, v9
	;; [unrolled: 1-line block ×3, first 2 shown]
	v_rcp_f32_e32 v27, v25
	v_sub_f32_e32 v9, v13, v25
	v_add_f32_e32 v26, v8, v9
	v_add_f32_e32 v9, v10, v12
	v_sub_f32_e32 v8, v10, v9
	v_mul_f32_e32 v28, v9, v27
	v_add_f32_e32 v10, v12, v8
	v_mul_f32_e32 v12, v25, v28
	v_fma_f32 v14, v28, v25, -v12
	v_fmac_f32_e32 v14, v28, v26
	v_add_f32_e32 v8, v12, v14
	v_sub_f32_e32 v13, v9, v8
	v_pk_add_f32 v[22:23], v[8:9], v[12:13] neg_lo:[0,1] neg_hi:[0,1]
	v_mov_b32_e32 v15, v8
	v_pk_add_f32 v[8:9], v[22:23], v[14:15] neg_lo:[0,1] neg_hi:[0,1]
	v_cmp_eq_f32_e32 vcc, s10, v30
	v_add_f32_e32 v9, v10, v9
	v_add_f32_e32 v8, v8, v9
	;; [unrolled: 1-line block ×3, first 2 shown]
	v_mul_f32_e32 v10, v27, v9
	v_mul_f32_e32 v12, v25, v10
	v_fma_f32 v14, v10, v25, -v12
	v_fmac_f32_e32 v14, v10, v26
	v_sub_f32_e32 v13, v13, v9
	v_add_f32_e32 v25, v8, v13
	v_add_f32_e32 v8, v12, v14
	v_sub_f32_e32 v13, v9, v8
	v_pk_add_f32 v[22:23], v[8:9], v[12:13] neg_lo:[0,1] neg_hi:[0,1]
	v_mov_b32_e32 v15, v8
	v_pk_add_f32 v[8:9], v[22:23], v[14:15] neg_lo:[0,1] neg_hi:[0,1]
	s_or_b64 vcc, s[52:53], vcc
	v_add_f32_e32 v9, v25, v9
	v_add_f32_e32 v8, v8, v9
	;; [unrolled: 1-line block ×4, first 2 shown]
	v_sub_f32_e32 v12, v9, v28
	v_mul_f32_e32 v8, v27, v8
	v_sub_f32_e32 v10, v10, v12
	v_add_f32_e32 v10, v10, v8
	v_add_f32_e32 v12, v9, v10
	v_mul_f32_e32 v14, v12, v12
	v_fmamk_f32 v8, v14, 0x3e9b6dac, v40
	v_fmaak_f32 v43, v14, v8, 0x3f2aaada
	v_cvt_f32_i32_e32 v8, v24
	v_sub_f32_e32 v9, v12, v9
	v_sub_f32_e32 v9, v10, v9
	v_ldexp_f32 v10, v9, 1
	v_mul_f32_e32 v9, v12, v14
	v_pk_mul_f32 v[14:15], v[8:9], v[42:43]
	v_ldexp_f32 v13, v12, 1
	v_fma_f32 v12, v8, s56, -v14
	v_fmac_f32_e32 v12, 0xb102e308, v8
	v_pk_add_f32 v[8:9], v[14:15], v[12:13]
	v_mov_b32_e32 v22, v14
	v_sub_f32_e32 v13, v9, v13
	v_sub_f32_e32 v13, v15, v13
	v_add_f32_e32 v23, v10, v13
	v_pk_add_f32 v[14:15], v[8:9], v[14:15] neg_lo:[0,1] neg_hi:[0,1]
	v_pk_add_f32 v[24:25], v[8:9], v[22:23]
	v_mov_b32_e32 v13, v8
	v_mov_b32_e32 v15, v25
	v_pk_add_f32 v[26:27], v[12:13], v[14:15] neg_lo:[0,1] neg_hi:[0,1]
	v_pk_add_f32 v[12:13], v[12:13], v[14:15]
	s_nop 0
	v_mov_b32_e32 v10, v13
	v_pk_add_f32 v[14:15], v[10:11], v[8:9] neg_lo:[0,1] neg_hi:[0,1]
	v_mov_b32_e32 v12, v25
	v_mov_b32_e32 v15, v14
	v_pk_add_f32 v[28:29], v[24:25], v[14:15] neg_lo:[0,1] neg_hi:[0,1]
	v_mov_b32_e32 v24, v9
	v_mov_b32_e32 v25, v14
	;; [unrolled: 1-line block ×3, first 2 shown]
	v_pk_add_f32 v[12:13], v[12:13], v[24:25] neg_lo:[0,1] neg_hi:[0,1]
	v_mov_b32_e32 v14, v23
	v_mov_b32_e32 v15, v8
	v_pk_add_f32 v[8:9], v[14:15], v[12:13] neg_lo:[0,1] neg_hi:[0,1]
	v_mov_b32_e32 v28, v26
	v_pk_add_f32 v[12:13], v[28:29], v[8:9]
	s_nop 0
	v_mov_b32_e32 v14, v13
	v_pk_add_f32 v[14:15], v[12:13], v[14:15]
	s_nop 0
	v_pk_add_f32 v[22:23], v[10:11], v[14:15]
	v_mov_b32_e32 v9, v14
	v_mov_b32_e32 v13, v22
	v_pk_add_f32 v[24:25], v[12:13], v[26:27] neg_lo:[0,1] neg_hi:[0,1]
	s_nop 0
	v_sub_f32_e32 v10, v12, v24
	v_pk_add_f32 v[8:9], v[8:9], v[24:25] neg_lo:[0,1] neg_hi:[0,1]
	v_sub_f32_e32 v10, v26, v10
	v_add_f32_e32 v8, v8, v10
	v_add_f32_e32 v8, v8, v9
	;; [unrolled: 1-line block ×3, first 2 shown]
	v_cndmask_b32_e32 v94, v8, v30, vcc
.LBB54_103:                             ;   in Loop: Header=BB54_13 Depth=1
	s_or_b64 exec, exec, s[54:55]
	v_lshlrev_b32_e32 v8, 16, v11
	v_readlane_b32 s0, v95, 2
	s_nop 1
	v_add_f32_e32 v56, s0, v8
	v_cmp_ge_f32_e32 vcc, s6, v56
	s_and_b64 s[0:1], s[4:5], vcc
	s_and_saveexec_b64 s[54:55], s[0:1]
	s_cbranch_execz .LBB54_105
; %bb.104:                              ;   in Loop: Header=BB54_13 Depth=1
	v_mul_f32_e32 v8, 0x3fb8aa3b, v56
	v_rndne_f32_e32 v9, v8
	v_sub_f32_e32 v10, v8, v9
	v_fma_f32 v8, v56, s7, -v8
	v_fmac_f32_e32 v8, 0x32a5705f, v56
	v_add_f32_e32 v8, v10, v8
	v_cvt_i32_f32_e32 v9, v9
	v_exp_f32_e32 v8, v8
	v_cmp_ngt_f32_e32 vcc, s8, v56
	v_ldexp_f32 v8, v8, v9
	s_nop 0
	v_cndmask_b32_e32 v8, 0, v8, vcc
	v_cmp_nlt_f32_e32 vcc, s9, v56
	s_nop 1
	v_cndmask_b32_e32 v30, v41, v8, vcc
	v_add_f32_e32 v10, 1.0, v30
	v_add_f32_e32 v8, -1.0, v10
	v_sub_f32_e32 v9, v8, v10
	v_add_f32_e32 v9, 1.0, v9
	v_sub_f32_e32 v8, v30, v8
	v_add_f32_e32 v12, v8, v9
	v_frexp_mant_f32_e32 v13, v10
	v_cvt_f64_f32_e32 v[8:9], v10
	v_frexp_exp_i32_f64_e32 v8, v[8:9]
	v_cmp_gt_f32_e32 vcc, s11, v13
	v_cmp_gt_f32_e64 s[52:53], s57, v30
	s_nop 0
	v_subbrev_co_u32_e32 v24, vcc, 0, v8, vcc
	v_sub_u32_e32 v8, 0, v24
	v_ldexp_f32 v9, v10, v8
	v_add_f32_e32 v10, -1.0, v9
	v_add_f32_e32 v13, 1.0, v9
	v_ldexp_f32 v8, v12, v8
	v_add_f32_e32 v12, 1.0, v10
	v_add_f32_e32 v14, -1.0, v13
	v_sub_f32_e32 v12, v9, v12
	v_sub_f32_e32 v9, v9, v14
	v_add_f32_e32 v12, v8, v12
	v_add_f32_e32 v8, v8, v9
	;; [unrolled: 1-line block ×3, first 2 shown]
	v_rcp_f32_e32 v27, v25
	v_sub_f32_e32 v9, v13, v25
	v_add_f32_e32 v26, v8, v9
	v_add_f32_e32 v9, v10, v12
	v_sub_f32_e32 v8, v10, v9
	v_mul_f32_e32 v28, v9, v27
	v_add_f32_e32 v10, v12, v8
	v_mul_f32_e32 v12, v25, v28
	v_fma_f32 v14, v28, v25, -v12
	v_fmac_f32_e32 v14, v28, v26
	v_add_f32_e32 v8, v12, v14
	v_sub_f32_e32 v13, v9, v8
	v_pk_add_f32 v[22:23], v[8:9], v[12:13] neg_lo:[0,1] neg_hi:[0,1]
	v_mov_b32_e32 v15, v8
	v_pk_add_f32 v[8:9], v[22:23], v[14:15] neg_lo:[0,1] neg_hi:[0,1]
	v_cmp_eq_f32_e32 vcc, s10, v30
	v_add_f32_e32 v9, v10, v9
	v_add_f32_e32 v8, v8, v9
	;; [unrolled: 1-line block ×3, first 2 shown]
	v_mul_f32_e32 v10, v27, v9
	v_mul_f32_e32 v12, v25, v10
	v_fma_f32 v14, v10, v25, -v12
	v_fmac_f32_e32 v14, v10, v26
	v_sub_f32_e32 v13, v13, v9
	v_add_f32_e32 v25, v8, v13
	v_add_f32_e32 v8, v12, v14
	v_sub_f32_e32 v13, v9, v8
	v_pk_add_f32 v[22:23], v[8:9], v[12:13] neg_lo:[0,1] neg_hi:[0,1]
	v_mov_b32_e32 v15, v8
	v_pk_add_f32 v[8:9], v[22:23], v[14:15] neg_lo:[0,1] neg_hi:[0,1]
	s_or_b64 vcc, s[52:53], vcc
	v_add_f32_e32 v9, v25, v9
	v_add_f32_e32 v8, v8, v9
	;; [unrolled: 1-line block ×4, first 2 shown]
	v_sub_f32_e32 v12, v9, v28
	v_mul_f32_e32 v8, v27, v8
	v_sub_f32_e32 v10, v10, v12
	v_add_f32_e32 v10, v10, v8
	v_add_f32_e32 v12, v9, v10
	v_mul_f32_e32 v14, v12, v12
	v_fmamk_f32 v8, v14, 0x3e9b6dac, v40
	v_fmaak_f32 v43, v14, v8, 0x3f2aaada
	v_cvt_f32_i32_e32 v8, v24
	v_sub_f32_e32 v9, v12, v9
	v_sub_f32_e32 v9, v10, v9
	v_ldexp_f32 v10, v9, 1
	v_mul_f32_e32 v9, v12, v14
	v_pk_mul_f32 v[14:15], v[8:9], v[42:43]
	v_ldexp_f32 v13, v12, 1
	v_fma_f32 v12, v8, s56, -v14
	v_fmac_f32_e32 v12, 0xb102e308, v8
	v_pk_add_f32 v[8:9], v[14:15], v[12:13]
	v_mov_b32_e32 v22, v14
	v_sub_f32_e32 v13, v9, v13
	v_sub_f32_e32 v13, v15, v13
	v_add_f32_e32 v23, v10, v13
	v_pk_add_f32 v[14:15], v[8:9], v[14:15] neg_lo:[0,1] neg_hi:[0,1]
	v_pk_add_f32 v[24:25], v[8:9], v[22:23]
	v_mov_b32_e32 v13, v8
	v_mov_b32_e32 v15, v25
	v_pk_add_f32 v[26:27], v[12:13], v[14:15] neg_lo:[0,1] neg_hi:[0,1]
	v_pk_add_f32 v[12:13], v[12:13], v[14:15]
	s_nop 0
	v_mov_b32_e32 v10, v13
	v_pk_add_f32 v[14:15], v[10:11], v[8:9] neg_lo:[0,1] neg_hi:[0,1]
	v_mov_b32_e32 v12, v25
	v_mov_b32_e32 v15, v14
	v_pk_add_f32 v[28:29], v[24:25], v[14:15] neg_lo:[0,1] neg_hi:[0,1]
	v_mov_b32_e32 v24, v9
	v_mov_b32_e32 v25, v14
	;; [unrolled: 1-line block ×3, first 2 shown]
	v_pk_add_f32 v[12:13], v[12:13], v[24:25] neg_lo:[0,1] neg_hi:[0,1]
	v_mov_b32_e32 v14, v23
	v_mov_b32_e32 v15, v8
	v_pk_add_f32 v[8:9], v[14:15], v[12:13] neg_lo:[0,1] neg_hi:[0,1]
	v_mov_b32_e32 v28, v26
	v_pk_add_f32 v[12:13], v[28:29], v[8:9]
	s_nop 0
	v_mov_b32_e32 v14, v13
	v_pk_add_f32 v[14:15], v[12:13], v[14:15]
	s_nop 0
	v_pk_add_f32 v[22:23], v[10:11], v[14:15]
	v_mov_b32_e32 v9, v14
	v_mov_b32_e32 v13, v22
	v_pk_add_f32 v[24:25], v[12:13], v[26:27] neg_lo:[0,1] neg_hi:[0,1]
	s_nop 0
	v_sub_f32_e32 v10, v12, v24
	v_pk_add_f32 v[8:9], v[8:9], v[24:25] neg_lo:[0,1] neg_hi:[0,1]
	v_sub_f32_e32 v10, v26, v10
	v_add_f32_e32 v8, v8, v10
	v_add_f32_e32 v8, v8, v9
	;; [unrolled: 1-line block ×3, first 2 shown]
	v_cndmask_b32_e32 v56, v8, v30, vcc
.LBB54_105:                             ;   in Loop: Header=BB54_13 Depth=1
	s_or_b64 exec, exec, s[54:55]
	v_and_b32_e32 v8, 0xffff0000, v11
	v_readlane_b32 s0, v95, 2
	s_nop 1
	v_add_f32_e32 v23, s0, v8
	v_cmp_ge_f32_e32 vcc, s6, v23
	s_and_b64 s[0:1], s[4:5], vcc
	s_and_saveexec_b64 s[54:55], s[0:1]
	s_cbranch_execz .LBB54_107
; %bb.106:                              ;   in Loop: Header=BB54_13 Depth=1
	v_mul_f32_e32 v8, 0x3fb8aa3b, v23
	v_rndne_f32_e32 v9, v8
	v_sub_f32_e32 v10, v8, v9
	v_fma_f32 v8, v23, s7, -v8
	v_fmac_f32_e32 v8, 0x32a5705f, v23
	v_add_f32_e32 v8, v10, v8
	v_cvt_i32_f32_e32 v9, v9
	v_exp_f32_e32 v8, v8
	v_cmp_ngt_f32_e32 vcc, s8, v23
	v_ldexp_f32 v8, v8, v9
	s_nop 0
	v_cndmask_b32_e32 v8, 0, v8, vcc
	v_cmp_nlt_f32_e32 vcc, s9, v23
	s_nop 1
	v_cndmask_b32_e32 v30, v41, v8, vcc
	v_add_f32_e32 v10, 1.0, v30
	v_add_f32_e32 v8, -1.0, v10
	v_sub_f32_e32 v9, v8, v10
	v_add_f32_e32 v9, 1.0, v9
	v_sub_f32_e32 v8, v30, v8
	v_add_f32_e32 v11, v8, v9
	v_frexp_mant_f32_e32 v12, v10
	v_cvt_f64_f32_e32 v[8:9], v10
	v_frexp_exp_i32_f64_e32 v8, v[8:9]
	v_cmp_gt_f32_e32 vcc, s11, v12
	v_cmp_gt_f32_e64 s[52:53], s57, v30
	s_nop 0
	v_subbrev_co_u32_e32 v22, vcc, 0, v8, vcc
	v_sub_u32_e32 v8, 0, v22
	v_ldexp_f32 v9, v10, v8
	v_add_f32_e32 v10, -1.0, v9
	v_add_f32_e32 v12, 1.0, v9
	v_ldexp_f32 v8, v11, v8
	v_add_f32_e32 v11, 1.0, v10
	v_add_f32_e32 v13, -1.0, v12
	v_sub_f32_e32 v11, v9, v11
	v_sub_f32_e32 v9, v9, v13
	v_add_f32_e32 v11, v8, v11
	v_add_f32_e32 v8, v8, v9
	;; [unrolled: 1-line block ×3, first 2 shown]
	v_rcp_f32_e32 v25, v23
	v_sub_f32_e32 v9, v12, v23
	v_add_f32_e32 v24, v8, v9
	v_add_f32_e32 v9, v10, v11
	v_mul_f32_e32 v27, v9, v25
	v_sub_f32_e32 v8, v10, v9
	v_mul_f32_e32 v10, v23, v27
	v_fma_f32 v12, v27, v23, -v10
	v_fmac_f32_e32 v12, v27, v24
	v_add_f32_e32 v26, v11, v8
	v_add_f32_e32 v8, v10, v12
	v_sub_f32_e32 v11, v9, v8
	v_pk_add_f32 v[14:15], v[8:9], v[10:11] neg_lo:[0,1] neg_hi:[0,1]
	v_mov_b32_e32 v13, v8
	v_pk_add_f32 v[8:9], v[14:15], v[12:13] neg_lo:[0,1] neg_hi:[0,1]
	v_cmp_eq_f32_e32 vcc, s10, v30
	v_add_f32_e32 v9, v26, v9
	v_add_f32_e32 v8, v8, v9
	;; [unrolled: 1-line block ×3, first 2 shown]
	v_mul_f32_e32 v26, v25, v9
	v_mul_f32_e32 v10, v23, v26
	v_fma_f32 v12, v26, v23, -v10
	v_fmac_f32_e32 v12, v26, v24
	v_sub_f32_e32 v11, v11, v9
	v_add_f32_e32 v23, v8, v11
	v_add_f32_e32 v8, v10, v12
	v_sub_f32_e32 v11, v9, v8
	v_pk_add_f32 v[14:15], v[8:9], v[10:11] neg_lo:[0,1] neg_hi:[0,1]
	v_mov_b32_e32 v13, v8
	v_pk_add_f32 v[8:9], v[14:15], v[12:13] neg_lo:[0,1] neg_hi:[0,1]
	s_or_b64 vcc, s[52:53], vcc
	v_add_f32_e32 v9, v23, v9
	v_add_f32_e32 v8, v8, v9
	;; [unrolled: 1-line block ×4, first 2 shown]
	v_sub_f32_e32 v10, v9, v27
	v_mul_f32_e32 v8, v25, v8
	v_sub_f32_e32 v10, v26, v10
	v_add_f32_e32 v10, v10, v8
	v_add_f32_e32 v12, v9, v10
	v_mul_f32_e32 v13, v12, v12
	v_fmamk_f32 v8, v13, 0x3e9b6dac, v40
	v_fmaak_f32 v43, v13, v8, 0x3f2aaada
	v_cvt_f32_i32_e32 v8, v22
	v_sub_f32_e32 v9, v12, v9
	v_sub_f32_e32 v9, v10, v9
	v_ldexp_f32 v14, v9, 1
	v_mul_f32_e32 v9, v12, v13
	v_ldexp_f32 v11, v12, 1
	v_pk_mul_f32 v[12:13], v[8:9], v[42:43]
	s_nop 0
	v_fma_f32 v10, v8, s56, -v12
	v_fmac_f32_e32 v10, 0xb102e308, v8
	v_pk_add_f32 v[8:9], v[12:13], v[10:11]
	s_nop 0
	v_sub_f32_e32 v11, v9, v11
	v_sub_f32_e32 v11, v13, v11
	v_add_f32_e32 v15, v14, v11
	v_mov_b32_e32 v14, v12
	v_pk_add_f32 v[12:13], v[8:9], v[12:13] neg_lo:[0,1] neg_hi:[0,1]
	v_pk_add_f32 v[22:23], v[8:9], v[14:15]
	v_mov_b32_e32 v11, v8
	v_mov_b32_e32 v13, v23
	v_pk_add_f32 v[24:25], v[10:11], v[12:13] neg_lo:[0,1] neg_hi:[0,1]
	v_pk_add_f32 v[10:11], v[10:11], v[12:13]
	v_mov_b32_e32 v14, v15
	v_mov_b32_e32 v12, v11
	v_pk_add_f32 v[26:27], v[12:13], v[8:9] neg_lo:[0,1] neg_hi:[0,1]
	v_mov_b32_e32 v10, v23
	v_mov_b32_e32 v13, v26
	v_pk_add_f32 v[28:29], v[22:23], v[12:13] neg_lo:[0,1] neg_hi:[0,1]
	v_mov_b32_e32 v22, v9
	v_mov_b32_e32 v23, v26
	v_mov_b32_e32 v25, v11
	v_pk_add_f32 v[10:11], v[10:11], v[22:23] neg_lo:[0,1] neg_hi:[0,1]
	v_mov_b32_e32 v15, v8
	v_pk_add_f32 v[8:9], v[14:15], v[10:11] neg_lo:[0,1] neg_hi:[0,1]
	v_mov_b32_e32 v28, v24
	v_pk_add_f32 v[10:11], v[28:29], v[8:9]
	s_nop 0
	v_mov_b32_e32 v14, v11
	v_pk_add_f32 v[14:15], v[10:11], v[14:15]
	s_nop 0
	v_pk_add_f32 v[12:13], v[12:13], v[14:15]
	v_mov_b32_e32 v9, v14
	v_mov_b32_e32 v11, v12
	v_pk_add_f32 v[22:23], v[10:11], v[24:25] neg_lo:[0,1] neg_hi:[0,1]
	s_nop 0
	v_sub_f32_e32 v10, v10, v22
	v_pk_add_f32 v[8:9], v[8:9], v[22:23] neg_lo:[0,1] neg_hi:[0,1]
	v_sub_f32_e32 v10, v24, v10
	v_add_f32_e32 v8, v8, v10
	v_add_f32_e32 v8, v8, v9
	;; [unrolled: 1-line block ×3, first 2 shown]
	v_cndmask_b32_e32 v23, v8, v30, vcc
.LBB54_107:                             ;   in Loop: Header=BB54_13 Depth=1
	s_or_b64 exec, exec, s[54:55]
	v_lshlrev_b32_e32 v8, 16, v7
	v_readlane_b32 s0, v95, 3
	v_and_b32_e32 v13, 0xffff0000, v7
	v_and_b32_e32 v7, 0xffff0000, v6
	v_lshlrev_b32_e32 v6, 16, v6
	v_and_b32_e32 v9, 0xffff0000, v5
	v_lshlrev_b32_e32 v5, 16, v5
	;; [unrolled: 2-line block ×7, first 2 shown]
	v_mul_f32_e32 v24, s0, v8
	v_mul_f32_e32 v27, s0, v7
	;; [unrolled: 1-line block ×16, first 2 shown]
	v_readlane_b32 s0, v95, 30
	v_readlane_b32 s1, v95, 31
	s_and_b64 vcc, exec, s[0:1]
	s_waitcnt lgkmcnt(0)
	; wave barrier
	s_cbranch_vccz .LBB54_200
; %bb.108:                              ;   in Loop: Header=BB54_13 Depth=1
	v_mul_f32_e32 v78, v19, v0
	scratch_load_dword v0, off, off offset:248 ; 4-byte Folded Reload
	v_readlane_b32 s0, v95, 7
	v_readlane_b32 s1, v95, 8
	scratch_store_dwordx2 off, v[42:43], off offset:164 ; 8-byte Folded Spill
	v_mul_f32_e32 v6, v93, v6
	v_lshl_add_u64 v[40:41], s[0:1], 0, v[16:17]
	v_readlane_b32 s0, v95, 21
	v_readlane_b32 s1, v95, 22
	v_mul_f32_e32 v5, v91, v5
	s_mov_b32 s92, 0
	v_lshl_add_u64 v[42:43], s[0:1], 0, v[16:17]
	v_readlane_b32 s1, v95, 51
	s_cmp_lg_u32 s1, 0
	v_readlane_b32 s0, v95, 44
	s_cselect_b64 s[86:87], -1, 0
	s_cmp_eq_u32 s1, s0
	v_readlane_b32 s0, v95, 33
	v_readlane_b32 s1, v95, 34
	s_cselect_b64 s[90:91], -1, 0
	v_mul_f32_e32 v13, v23, v13
	v_mul_f32_e32 v8, v56, v8
	;; [unrolled: 1-line block ×3, first 2 shown]
	scratch_store_dword off, v6, off offset:80 ; 4-byte Folded Spill
	v_mul_f32_e32 v6, v92, v9
	scratch_store_dword off, v5, off offset:88 ; 4-byte Folded Spill
	v_mul_f32_e32 v5, v90, v10
	v_mul_f32_e32 v63, v89, v4
	;; [unrolled: 1-line block ×9, first 2 shown]
	s_mov_b32 s96, s92
	s_mov_b32 s94, s92
	;; [unrolled: 1-line block ×3, first 2 shown]
	scratch_store_dword off, v13, off offset:68 ; 4-byte Folded Spill
	scratch_store_dword off, v8, off offset:72 ; 4-byte Folded Spill
	scratch_store_dword off, v7, off offset:76 ; 4-byte Folded Spill
	scratch_store_dword off, v6, off offset:84 ; 4-byte Folded Spill
	scratch_store_dword off, v5, off offset:92 ; 4-byte Folded Spill
	s_waitcnt vmcnt(8)
	v_cmp_gt_u32_e32 vcc, s82, v0
	scratch_load_dword v0, off, off offset:252 ; 4-byte Folded Reload
	s_or_b64 s[52:53], s[0:1], vcc
	s_waitcnt vmcnt(0)
	v_cmp_gt_u32_e32 vcc, s82, v0
	scratch_load_dword v0, off, off offset:256 ; 4-byte Folded Reload
	s_or_b64 s[54:55], s[0:1], vcc
	s_waitcnt vmcnt(0)
	v_cmp_gt_u32_e32 vcc, s82, v0
	scratch_load_dword v0, off, off offset:260 ; 4-byte Folded Reload
	s_or_b64 s[56:57], s[0:1], vcc
	s_waitcnt vmcnt(0)
	v_cmp_gt_u32_e32 vcc, s82, v0
	scratch_load_dword v0, off, off offset:264 ; 4-byte Folded Reload
	s_or_b64 s[58:59], s[0:1], vcc
	s_waitcnt vmcnt(0)
	v_cmp_gt_u32_e32 vcc, s82, v0
	scratch_load_dword v0, off, off offset:268 ; 4-byte Folded Reload
	s_or_b64 s[60:61], s[0:1], vcc
	s_waitcnt vmcnt(0)
	v_cmp_gt_u32_e32 vcc, s82, v0
	scratch_load_dword v0, off, off offset:272 ; 4-byte Folded Reload
	s_or_b64 s[62:63], s[0:1], vcc
	s_waitcnt vmcnt(0)
	v_cmp_gt_u32_e32 vcc, s82, v0
	scratch_load_dword v0, off, off offset:276 ; 4-byte Folded Reload
	s_or_b64 s[64:65], s[0:1], vcc
	s_waitcnt vmcnt(0)
	v_cmp_gt_u32_e32 vcc, s82, v0
	scratch_load_dword v0, off, off offset:280 ; 4-byte Folded Reload
	s_or_b64 s[66:67], s[0:1], vcc
	s_waitcnt vmcnt(0)
	v_cmp_gt_u32_e32 vcc, s82, v0
	scratch_load_dword v0, off, off offset:284 ; 4-byte Folded Reload
	s_or_b64 s[68:69], s[0:1], vcc
	s_waitcnt vmcnt(0)
	v_cmp_gt_u32_e32 vcc, s82, v0
	scratch_load_dword v0, off, off offset:288 ; 4-byte Folded Reload
	s_or_b64 s[70:71], s[0:1], vcc
	s_waitcnt vmcnt(0)
	v_cmp_gt_u32_e32 vcc, s82, v0
	scratch_load_dword v0, off, off offset:292 ; 4-byte Folded Reload
	s_or_b64 s[72:73], s[0:1], vcc
	s_waitcnt vmcnt(0)
	v_cmp_gt_u32_e32 vcc, s82, v0
	scratch_load_dword v0, off, off offset:296 ; 4-byte Folded Reload
	s_or_b64 s[74:75], s[0:1], vcc
	s_waitcnt vmcnt(0)
	v_cmp_gt_u32_e32 vcc, s82, v0
	scratch_load_dword v0, off, off offset:300 ; 4-byte Folded Reload
	s_or_b64 s[76:77], s[0:1], vcc
	s_waitcnt vmcnt(0)
	v_cmp_gt_u32_e32 vcc, s82, v0
	scratch_load_dword v0, off, off offset:304 ; 4-byte Folded Reload
	s_or_b64 s[78:79], s[0:1], vcc
	s_waitcnt vmcnt(0)
	v_cmp_gt_u32_e32 vcc, s82, v0
	scratch_load_dword v0, off, off offset:308 ; 4-byte Folded Reload
	s_or_b64 s[80:81], s[0:1], vcc
	s_waitcnt vmcnt(0)
	v_cmp_gt_u32_e32 vcc, s82, v0
	s_or_b64 s[82:83], s[0:1], vcc
	v_readlane_b32 s0, v95, 29
	v_readlane_b32 s1, v95, 47
	s_branch .LBB54_110
.LBB54_109:                             ;   in Loop: Header=BB54_110 Depth=2
	s_or_b64 exec, exec, s[84:85]
	v_mul_f32_e32 v44, v79, v60
	v_fma_f32 v45, v79, v61, v8
	v_cndmask_b32_e64 v8, v45, v8, s[16:17]
	v_cndmask_b32_e64 v44, v44, v79, s[16:17]
	s_waitcnt lgkmcnt(0)
	v_fmac_f32_e32 v8, v54, v44
	v_fmac_f32_e32 v9, v8, v80
	;; [unrolled: 1-line block ×10, first 2 shown]
	v_readlane_b32 s4, v95, 23
	v_fmac_f32_e32 v50, v49, v22
	v_readlane_b32 s5, v95, 24
	v_readlane_b32 s6, v95, 25
	;; [unrolled: 1-line block ×3, first 2 shown]
	v_fmac_f32_e32 v51, v50, v87
	s_add_i32 s98, s98, s6
	v_readlane_b32 s4, v95, 17
	v_fmac_f32_e32 v46, v51, v57
	v_readlane_b32 s5, v95, 18
	v_readlane_b32 s6, v95, 19
	;; [unrolled: 1-line block ×3, first 2 shown]
	v_fmac_f32_e32 v47, v46, v16
	s_add_i32 s94, s94, s4
	v_readlane_b32 s4, v95, 9
	v_fmac_f32_e32 v52, v47, v58
	v_readlane_b32 s5, v95, 10
	v_readlane_b32 s8, v95, 13
	v_fmac_f32_e32 v53, v52, v59
	v_and_b32_e32 v45, 0xffff0000, v4
	v_and_b32_e32 v55, 0xffff0000, v5
	v_lshlrev_b32_e32 v44, 16, v4
	v_lshlrev_b32_e32 v54, 16, v5
	v_and_b32_e32 v5, 0xffff0000, v6
	v_and_b32_e32 v59, 0xffff0000, v7
	v_lshlrev_b32_e32 v4, 16, v6
	v_lshlrev_b32_e32 v58, 16, v7
	;; [unrolled: 4-line block ×4, first 2 shown]
	s_add_i32 s1, s1, 8
	s_add_i32 s0, s0, -1
	s_add_i32 s96, s96, s8
	s_add_i32 s92, s92, s5
	v_pk_fma_f32 v[36:37], v[10:11], v[54:55], v[36:37]
	v_pk_fma_f32 v[38:39], v[8:9], v[44:45], v[38:39]
	;; [unrolled: 1-line block ×7, first 2 shown]
	s_cmp_eq_u32 s0, 0
	v_pk_fma_f32 v[26:27], v[46:47], v[0:1], v[26:27]
	v_readlane_b32 s6, v95, 11
	v_readlane_b32 s7, v95, 12
	;; [unrolled: 1-line block ×5, first 2 shown]
	s_cbranch_scc1 .LBB54_199
.LBB54_110:                             ;   Parent Loop BB54_13 Depth=1
                                        ; =>  This Inner Loop Header: Depth=2
	s_lshl_b64 s[84:85], s[92:93], 2
	s_add_u32 s84, s99, s84
	v_readlane_b32 s4, v95, 6
	s_addc_u32 s85, s4, s85
	global_load_dword v46, v17, s[84:85]
	s_mov_b32 s97, s93
	v_lshl_add_u64 v[0:1], s[96:97], 1, v[40:41]
	v_mov_b32_e32 v2, 0
	v_mov_b32_e32 v3, 0
	s_and_saveexec_b64 s[84:85], s[18:19]
	s_cbranch_execz .LBB54_112
; %bb.111:                              ;   in Loop: Header=BB54_110 Depth=2
	global_load_ushort v3, v[0:1], off
.LBB54_112:                             ;   in Loop: Header=BB54_110 Depth=2
	s_or_b64 exec, exec, s[84:85]
	s_and_saveexec_b64 s[84:85], s[20:21]
	s_cbranch_execz .LBB54_114
; %bb.113:                              ;   in Loop: Header=BB54_110 Depth=2
	global_load_ushort v2, v[0:1], off offset:128
.LBB54_114:                             ;   in Loop: Header=BB54_110 Depth=2
	s_or_b64 exec, exec, s[84:85]
	v_mov_b32_e32 v4, 0
	v_mov_b32_e32 v5, 0
	s_and_saveexec_b64 s[84:85], s[22:23]
	s_cbranch_execz .LBB54_116
; %bb.115:                              ;   in Loop: Header=BB54_110 Depth=2
	global_load_ushort v5, v[0:1], off offset:256
.LBB54_116:                             ;   in Loop: Header=BB54_110 Depth=2
	s_or_b64 exec, exec, s[84:85]
	s_and_saveexec_b64 s[84:85], s[24:25]
	s_cbranch_execz .LBB54_118
; %bb.117:                              ;   in Loop: Header=BB54_110 Depth=2
	global_load_ushort v4, v[0:1], off offset:384
.LBB54_118:                             ;   in Loop: Header=BB54_110 Depth=2
	s_or_b64 exec, exec, s[84:85]
	v_mov_b32_e32 v6, 0
	v_mov_b32_e32 v7, 0
	s_and_saveexec_b64 s[84:85], s[26:27]
	s_cbranch_execz .LBB54_120
; %bb.119:                              ;   in Loop: Header=BB54_110 Depth=2
	global_load_ushort v7, v[0:1], off offset:512
.LBB54_120:                             ;   in Loop: Header=BB54_110 Depth=2
	;; [unrolled: 14-line block ×7, first 2 shown]
	s_or_b64 exec, exec, s[84:85]
	s_and_saveexec_b64 s[84:85], s[50:51]
	s_cbranch_execz .LBB54_142
; %bb.141:                              ;   in Loop: Header=BB54_110 Depth=2
	global_load_ushort v16, v[0:1], off offset:1920
.LBB54_142:                             ;   in Loop: Header=BB54_110 Depth=2
	s_or_b64 exec, exec, s[84:85]
	scratch_load_dword v0, off, off offset:4 ; 4-byte Folded Reload
	s_mov_b32 s95, s93
	s_waitcnt vmcnt(0)
	ds_write_b16 v0, v3
	scratch_load_dword v0, off, off offset:8 ; 4-byte Folded Reload
	v_mov_b32_e32 v3, 0
	s_waitcnt vmcnt(0)
	ds_write_b16 v0, v2 offset:128
	scratch_load_dword v0, off, off offset:12 ; 4-byte Folded Reload
	v_mov_b32_e32 v2, 0
	s_waitcnt vmcnt(0)
	ds_write_b16 v0, v5 offset:256
	scratch_load_dword v0, off, off offset:16 ; 4-byte Folded Reload
	s_waitcnt vmcnt(0)
	ds_write_b16 v0, v4 offset:384
	scratch_load_dword v0, off, off offset:20 ; 4-byte Folded Reload
	;; [unrolled: 3-line block ×13, first 2 shown]
	s_waitcnt vmcnt(0)
	ds_write_b16 v0, v16 offset:1920
	; wave barrier
	scratch_load_dword v0, off, off         ; 4-byte Folded Reload
	s_waitcnt vmcnt(0)
	ds_read_b128 v[12:15], v0
	ds_read_b128 v[8:11], v0 offset:16
	v_lshl_add_u64 v[0:1], s[94:95], 1, v[42:43]
	s_and_saveexec_b64 s[84:85], s[18:19]
	s_cbranch_execz .LBB54_144
; %bb.143:                              ;   in Loop: Header=BB54_110 Depth=2
	global_load_ushort v3, v[0:1], off
.LBB54_144:                             ;   in Loop: Header=BB54_110 Depth=2
	s_or_b64 exec, exec, s[84:85]
	s_and_saveexec_b64 s[84:85], s[20:21]
	s_cbranch_execz .LBB54_146
; %bb.145:                              ;   in Loop: Header=BB54_110 Depth=2
	global_load_ushort v2, v[0:1], off offset:128
.LBB54_146:                             ;   in Loop: Header=BB54_110 Depth=2
	s_or_b64 exec, exec, s[84:85]
	v_mov_b32_e32 v4, 0
	v_mov_b32_e32 v5, 0
	s_and_saveexec_b64 s[84:85], s[22:23]
	s_cbranch_execz .LBB54_148
; %bb.147:                              ;   in Loop: Header=BB54_110 Depth=2
	global_load_ushort v5, v[0:1], off offset:256
.LBB54_148:                             ;   in Loop: Header=BB54_110 Depth=2
	s_or_b64 exec, exec, s[84:85]
	s_and_saveexec_b64 s[84:85], s[24:25]
	s_cbranch_execz .LBB54_150
; %bb.149:                              ;   in Loop: Header=BB54_110 Depth=2
	global_load_ushort v4, v[0:1], off offset:384
.LBB54_150:                             ;   in Loop: Header=BB54_110 Depth=2
	s_or_b64 exec, exec, s[84:85]
	v_mov_b32_e32 v6, 0
	v_mov_b32_e32 v7, 0
	s_and_saveexec_b64 s[84:85], s[26:27]
	s_cbranch_execz .LBB54_152
; %bb.151:                              ;   in Loop: Header=BB54_110 Depth=2
	global_load_ushort v7, v[0:1], off offset:512
.LBB54_152:                             ;   in Loop: Header=BB54_110 Depth=2
	;; [unrolled: 14-line block ×7, first 2 shown]
	s_or_b64 exec, exec, s[84:85]
	s_and_saveexec_b64 s[84:85], s[50:51]
	s_cbranch_execz .LBB54_174
; %bb.173:                              ;   in Loop: Header=BB54_110 Depth=2
	global_load_ushort v51, v[0:1], off offset:1920
.LBB54_174:                             ;   in Loop: Header=BB54_110 Depth=2
	s_or_b64 exec, exec, s[84:85]
	scratch_load_dword v0, off, off offset:4 ; 4-byte Folded Reload
	s_andn2_b64 vcc, exec, s[86:87]
	s_waitcnt vmcnt(0)
	ds_write_b16 v0, v3 offset:2112
	scratch_load_dword v0, off, off offset:96 ; 4-byte Folded Reload
	s_waitcnt vmcnt(0)
	ds_write_b16 v0, v2 offset:128
	scratch_load_dword v0, off, off offset:100 ; 4-byte Folded Reload
	;; [unrolled: 3-line block ×15, first 2 shown]
	s_waitcnt vmcnt(0)
	ds_write_b16 v0, v51 offset:1920
	; wave barrier
	scratch_load_dword v0, off, off         ; 4-byte Folded Reload
	s_waitcnt vmcnt(0)
	ds_read_b128 v[4:7], v0 offset:2112
	scratch_load_dword v0, off, off offset:156 ; 4-byte Folded Reload
	s_waitcnt vmcnt(0)
	ds_read_b128 v[0:3], v0 offset:16
	s_cbranch_vccnz .LBB54_176
; %bb.175:                              ;   in Loop: Header=BB54_110 Depth=2
	v_mov_b32_e32 v16, s1
	ds_read_b64 v[44:45], v16
	s_cbranch_execz .LBB54_177
	s_branch .LBB54_180
.LBB54_176:                             ;   in Loop: Header=BB54_110 Depth=2
                                        ; implicit-def: $vgpr45
.LBB54_177:                             ;   in Loop: Header=BB54_110 Depth=2
	v_readlane_b32 s84, v95, 0
	v_readlane_b32 s85, v95, 1
	s_andn2_b64 vcc, exec, s[84:85]
	s_waitcnt lgkmcnt(0)
	v_mov_b32_e32 v45, 0
	s_cbranch_vccnz .LBB54_179
; %bb.178:                              ;   in Loop: Header=BB54_110 Depth=2
	s_mov_b32 s99, s93
	s_lshl_b64 s[84:85], s[98:99], 2
	v_readlane_b32 s4, v95, 27
	s_add_u32 s84, s4, s84
	v_readlane_b32 s4, v95, 28
	s_addc_u32 s85, s4, s85
	global_load_dword v45, v17, s[84:85]
	v_readlane_b32 s99, v95, 48
.LBB54_179:                             ;   in Loop: Header=BB54_110 Depth=2
	v_mov_b32_e32 v44, 1.0
.LBB54_180:                             ;   in Loop: Header=BB54_110 Depth=2
	v_mul_f32_e32 v52, 0x3fb8aa3b, v46
	s_waitcnt lgkmcnt(14)
	v_lshlrev_b32_e32 v49, 16, v8
	v_and_b32_e32 v50, 0xffff0000, v8
	v_mul_f32_e32 v8, v52, v19
	v_cmp_gt_f32_e32 vcc, s33, v8
	v_lshlrev_b32_e32 v55, 16, v10
	v_and_b32_e32 v58, 0xffff0000, v10
	v_cndmask_b32_e32 v8, 0, v68, vcc
	v_mul_f32_e32 v10, v52, v20
	v_lshlrev_b32_e32 v51, 16, v9
	v_and_b32_e32 v54, 0xffff0000, v9
	v_fmac_f32_e32 v8, v52, v19
	v_cndmask_b32_e32 v9, 1.0, v69, vcc
	v_cmp_gt_f32_e32 vcc, s33, v10
	v_exp_f32_e32 v8, v8
	v_lshlrev_b32_e32 v59, 16, v11
	v_cndmask_b32_e32 v10, 0, v68, vcc
	v_fmac_f32_e32 v10, v52, v20
	v_exp_f32_e32 v10, v10
	v_and_b32_e32 v53, 0xffff0000, v11
	v_mul_f32_e32 v9, v8, v9
	v_mul_f32_e32 v11, v52, v21
	v_lshlrev_b32_e32 v16, 16, v12
	v_and_b32_e32 v12, 0xffff0000, v12
	v_cndmask_b32_e64 v79, 1.0, v9, s[52:53]
	v_cndmask_b32_e32 v9, 1.0, v69, vcc
	v_cmp_gt_f32_e32 vcc, s33, v11
	v_mul_f32_e32 v10, v10, v9
	v_mul_f32_e32 v9, v77, v12
	v_cndmask_b32_e32 v11, 0, v68, vcc
	v_mul_f32_e32 v12, v52, v18
	v_fmac_f32_e32 v11, v52, v21
	v_cndmask_b32_e64 v80, 1.0, v10, s[54:55]
	v_cndmask_b32_e32 v10, 1.0, v69, vcc
	v_cmp_gt_f32_e32 vcc, s33, v12
	v_exp_f32_e32 v11, v11
	v_lshlrev_b32_e32 v22, 16, v13
	v_cndmask_b32_e32 v12, 0, v68, vcc
	v_fmac_f32_e32 v12, v52, v18
	v_exp_f32_e32 v12, v12
	v_mul_f32_e32 v11, v11, v10
	v_and_b32_e32 v13, 0xffff0000, v13
	v_cndmask_b32_e64 v81, 1.0, v11, s[56:57]
	v_cndmask_b32_e32 v11, 1.0, v69, vcc
	v_mul_f32_e32 v12, v12, v11
	v_mul_f32_e32 v11, v75, v13
	v_mul_f32_e32 v13, v52, v66
	v_cmp_gt_f32_e32 vcc, s33, v13
	v_mul_f32_e32 v8, v78, v16
	v_mul_f32_e32 v16, v52, v67
	v_cndmask_b32_e32 v13, 0, v68, vcc
	v_fmac_f32_e32 v13, v52, v66
	v_cndmask_b32_e64 v82, 1.0, v12, s[58:59]
	v_cndmask_b32_e32 v12, 1.0, v69, vcc
	v_cmp_gt_f32_e32 vcc, s33, v16
	v_exp_f32_e32 v13, v13
	v_lshlrev_b32_e32 v47, 16, v14
	v_cndmask_b32_e32 v16, 0, v68, vcc
	v_fmac_f32_e32 v16, v52, v67
	v_exp_f32_e32 v16, v16
	v_mul_f32_e32 v13, v13, v12
	v_and_b32_e32 v14, 0xffff0000, v14
	v_cndmask_b32_e64 v83, 1.0, v13, s[60:61]
	v_cndmask_b32_e32 v13, 1.0, v69, vcc
	v_mul_f32_e32 v16, v16, v13
	v_mul_f32_e32 v13, v73, v14
	;; [unrolled: 1-line block ×3, first 2 shown]
	v_cmp_gt_f32_e32 vcc, s33, v14
	v_mul_f32_e32 v10, v76, v22
	v_mul_f32_e32 v22, v52, v88
	v_cndmask_b32_e32 v14, 0, v68, vcc
	v_fmac_f32_e32 v14, v52, v70
	v_cndmask_b32_e64 v84, 1.0, v16, s[62:63]
	v_cndmask_b32_e32 v16, 1.0, v69, vcc
	v_cmp_gt_f32_e32 vcc, s33, v22
	v_exp_f32_e32 v14, v14
	v_lshlrev_b32_e32 v48, 16, v15
	v_cndmask_b32_e32 v22, 0, v68, vcc
	v_fmac_f32_e32 v22, v52, v88
	v_exp_f32_e32 v22, v22
	v_mul_f32_e32 v16, v14, v16
	v_cndmask_b32_e64 v85, 1.0, v16, s[64:65]
	v_cndmask_b32_e32 v16, 1.0, v69, vcc
	v_mul_f32_e32 v16, v22, v16
	v_mul_f32_e32 v22, v52, v89
	v_cmp_gt_f32_e32 vcc, s33, v22
	v_cndmask_b32_e64 v86, 1.0, v16, s[66:67]
	v_mul_f32_e32 v14, v72, v48
	v_cndmask_b32_e32 v22, 0, v68, vcc
	v_fmac_f32_e32 v22, v52, v89
	v_exp_f32_e32 v22, v22
	v_cndmask_b32_e32 v16, 1.0, v69, vcc
	v_mul_f32_e32 v46, v52, v90
	v_cmp_gt_f32_e32 vcc, s33, v46
	v_mul_f32_e32 v16, v22, v16
	v_mul_f32_e32 v22, v63, v49
	v_cndmask_b32_e64 v48, 0, v22, s[68:69]
	scratch_load_dword v22, off, off offset:92 ; 4-byte Folded Reload
	v_cndmask_b32_e32 v46, 0, v68, vcc
	v_fmac_f32_e32 v46, v52, v90
	v_exp_f32_e32 v46, v46
	v_cndmask_b32_e64 v65, 1.0, v16, s[68:69]
	v_cndmask_b32_e32 v16, 1.0, v69, vcc
	v_mul_f32_e32 v12, v74, v47
	v_mul_f32_e32 v16, v46, v16
	;; [unrolled: 1-line block ×3, first 2 shown]
	v_cmp_gt_f32_e32 vcc, s33, v46
	v_cndmask_b32_e64 v71, 1.0, v16, s[70:71]
	v_mul_f32_e32 v47, v52, v93
	v_cndmask_b32_e32 v46, 0, v68, vcc
	v_fmac_f32_e32 v46, v52, v91
	v_exp_f32_e32 v46, v46
	v_cndmask_b32_e32 v16, 1.0, v69, vcc
	v_cndmask_b32_e64 v8, 0, v8, s[52:53]
	v_cndmask_b32_e64 v9, 0, v9, s[54:55]
	v_mul_f32_e32 v16, v46, v16
	v_mul_f32_e32 v46, v52, v92
	v_cmp_gt_f32_e32 vcc, s33, v46
	v_cndmask_b32_e64 v10, 0, v10, s[56:57]
	v_cndmask_b32_e64 v11, 0, v11, s[58:59]
	v_cndmask_b32_e32 v46, 0, v68, vcc
	v_fmac_f32_e32 v46, v52, v92
	v_exp_f32_e32 v46, v46
	v_cndmask_b32_e64 v12, 0, v12, s[60:61]
	v_and_b32_e32 v15, 0xffff0000, v15
	v_cndmask_b32_e64 v13, 0, v13, s[62:63]
	v_cndmask_b32_e64 v14, 0, v14, s[64:65]
	v_mul_f32_e32 v15, v64, v15
	v_cndmask_b32_e64 v15, 0, v15, s[66:67]
	v_readlane_b32 s4, v95, 35
	v_readlane_b32 s5, v95, 36
	s_waitcnt vmcnt(0)
	v_mul_f32_e32 v22, v22, v50
	v_cndmask_b32_e64 v49, 0, v22, s[70:71]
	scratch_load_dword v22, off, off offset:88 ; 4-byte Folded Reload
	s_waitcnt vmcnt(0)
	v_mul_f32_e32 v22, v22, v51
	v_cndmask_b32_e64 v50, 0, v22, s[72:73]
	v_cndmask_b32_e64 v22, 1.0, v16, s[72:73]
	v_cndmask_b32_e32 v16, 1.0, v69, vcc
	v_mul_f32_e32 v16, v46, v16
	scratch_load_dword v46, off, off offset:84 ; 4-byte Folded Reload
	v_cmp_gt_f32_e32 vcc, s33, v47
	v_cndmask_b32_e64 v87, 1.0, v16, s[74:75]
	s_waitcnt vmcnt(0)
	v_mul_f32_e32 v46, v46, v54
	v_cndmask_b32_e64 v51, 0, v46, s[74:75]
	scratch_load_dword v46, off, off offset:80 ; 4-byte Folded Reload
	v_cndmask_b32_e32 v47, 0, v68, vcc
	v_fmac_f32_e32 v47, v52, v93
	v_exp_f32_e32 v47, v47
	v_cndmask_b32_e32 v16, 1.0, v69, vcc
	v_mul_f32_e32 v54, v52, v56
	v_mul_f32_e32 v16, v47, v16
	;; [unrolled: 1-line block ×3, first 2 shown]
	v_cmp_gt_f32_e32 vcc, s33, v47
	v_cndmask_b32_e64 v57, 1.0, v16, s[76:77]
	s_nop 0
	v_cndmask_b32_e32 v47, 0, v68, vcc
	v_fmac_f32_e32 v47, v52, v94
	v_cndmask_b32_e32 v16, 1.0, v69, vcc
	v_cmp_gt_f32_e32 vcc, s33, v54
	v_exp_f32_e32 v47, v47
	s_nop 0
	v_cndmask_b32_e32 v54, 0, v68, vcc
	v_fmac_f32_e32 v54, v52, v56
	v_exp_f32_e32 v54, v54
	v_mul_f32_e32 v16, v47, v16
	scratch_load_dword v47, off, off offset:76 ; 4-byte Folded Reload
	v_cndmask_b32_e64 v16, 1.0, v16, s[78:79]
	s_waitcnt vmcnt(1)
	v_mul_f32_e32 v46, v46, v55
	v_cndmask_b32_e32 v55, 1.0, v69, vcc
	v_mul_f32_e32 v54, v54, v55
	scratch_load_dword v55, off, off offset:72 ; 4-byte Folded Reload
	v_cndmask_b32_e64 v46, 0, v46, s[76:77]
	s_waitcnt vmcnt(1)
	v_mul_f32_e32 v47, v47, v58
	v_mul_f32_e32 v58, v52, v23
	v_cmp_gt_f32_e32 vcc, s33, v58
	v_cndmask_b32_e64 v47, 0, v47, s[78:79]
	s_waitcnt vmcnt(0)
	v_mul_f32_e32 v55, v55, v59
	v_cndmask_b32_e32 v58, 0, v68, vcc
	v_fmac_f32_e32 v58, v52, v23
	v_cndmask_b32_e64 v52, 0, v55, s[80:81]
	scratch_load_dword v55, off, off offset:68 ; 4-byte Folded Reload
	v_exp_f32_e32 v59, v58
	v_cndmask_b32_e64 v58, 1.0, v54, s[80:81]
	v_cndmask_b32_e32 v54, 1.0, v69, vcc
	v_mul_f32_e32 v54, v59, v54
	v_cndmask_b32_e64 v59, 1.0, v54, s[82:83]
	v_mul_f32_e32 v54, v80, v79
	v_mul_f32_e32 v54, v54, v81
	v_mul_f32_e32 v54, v54, v82
	v_mul_f32_e32 v54, v54, v83
	v_mul_f32_e32 v54, v54, v84
	v_mul_f32_e32 v54, v54, v85
	v_mul_f32_e32 v54, v54, v86
	v_mul_f32_e32 v54, v54, v65
	v_mul_f32_e32 v54, v54, v71
	v_mul_f32_e32 v54, v54, v22
	v_mul_f32_e32 v54, v54, v87
	v_mul_f32_e32 v54, v54, v57
	v_mul_f32_e32 v54, v54, v16
	v_mul_f32_e32 v54, v54, v58
	v_mul_f32_e32 v54, v54, v59
	s_waitcnt vmcnt(0)
	v_mul_f32_e32 v53, v55, v53
	v_fma_f32 v55, v80, v8, v9
	v_fma_f32 v55, v55, v81, v10
	;; [unrolled: 1-line block ×13, first 2 shown]
	v_cndmask_b32_e64 v53, 0, v53, s[82:83]
	v_fma_f32 v55, v55, v58, v52
	v_fma_f32 v62, v55, v59, v53
	v_mov_b32_dpp v61, v54 row_shr:1 row_mask:0xf bank_mask:0xf
	s_nop 0
	v_mov_b32_dpp v60, v62 row_shr:1 row_mask:0xf bank_mask:0xf
	s_and_saveexec_b64 s[84:85], s[4:5]
; %bb.181:                              ;   in Loop: Header=BB54_110 Depth=2
	v_mul_f32_e32 v61, v54, v61
	v_fmac_f32_e32 v62, v54, v60
	v_mov_b32_e32 v54, v61
; %bb.182:                              ;   in Loop: Header=BB54_110 Depth=2
	s_or_b64 exec, exec, s[84:85]
	v_readlane_b32 s4, v95, 37
	v_mov_b32_dpp v60, v54 row_shr:2 row_mask:0xf bank_mask:0xf
	v_mov_b32_dpp v61, v62 row_shr:2 row_mask:0xf bank_mask:0xf
	v_readlane_b32 s5, v95, 38
	s_and_saveexec_b64 s[84:85], s[4:5]
; %bb.183:                              ;   in Loop: Header=BB54_110 Depth=2
	v_fmac_f32_e32 v62, v54, v61
	v_mul_f32_e32 v54, v54, v60
; %bb.184:                              ;   in Loop: Header=BB54_110 Depth=2
	s_or_b64 exec, exec, s[84:85]
	s_nop 0
	v_mov_b32_dpp v60, v54 row_shr:4 row_mask:0xf bank_mask:0xf
	v_mov_b32_dpp v61, v62 row_shr:4 row_mask:0xf bank_mask:0xf
	s_and_saveexec_b64 s[84:85], s[2:3]
; %bb.185:                              ;   in Loop: Header=BB54_110 Depth=2
	v_fmac_f32_e32 v62, v54, v61
	v_mul_f32_e32 v54, v54, v60
; %bb.186:                              ;   in Loop: Header=BB54_110 Depth=2
	s_or_b64 exec, exec, s[84:85]
	v_readlane_b32 s4, v95, 39
	v_mov_b32_dpp v60, v54 row_shr:8 row_mask:0xf bank_mask:0xf
	v_mov_b32_dpp v61, v62 row_shr:8 row_mask:0xf bank_mask:0xf
	v_readlane_b32 s5, v95, 40
	s_and_saveexec_b64 s[84:85], s[4:5]
; %bb.187:                              ;   in Loop: Header=BB54_110 Depth=2
	v_fmac_f32_e32 v62, v54, v61
	v_mul_f32_e32 v54, v54, v60
; %bb.188:                              ;   in Loop: Header=BB54_110 Depth=2
	s_or_b64 exec, exec, s[84:85]
	v_readlane_b32 s4, v95, 41
	v_mov_b32_dpp v60, v54 row_bcast:15 row_mask:0xf bank_mask:0xf
	v_mov_b32_dpp v61, v62 row_bcast:15 row_mask:0xf bank_mask:0xf
	v_readlane_b32 s5, v95, 42
	s_and_saveexec_b64 s[84:85], s[4:5]
; %bb.189:                              ;   in Loop: Header=BB54_110 Depth=2
	v_fmac_f32_e32 v62, v54, v61
	v_mul_f32_e32 v54, v54, v60
; %bb.190:                              ;   in Loop: Header=BB54_110 Depth=2
	s_or_b64 exec, exec, s[84:85]
	s_nop 0
	v_mov_b32_dpp v60, v54 row_bcast:31 row_mask:0xf bank_mask:0xf
	v_mov_b32_dpp v61, v62 row_bcast:31 row_mask:0xf bank_mask:0xf
	v_mov_b32_e32 v55, v62
	v_mul_f32_e32 v60, v54, v60
	v_fmac_f32_e32 v55, v54, v61
	v_readlane_b32 s4, v95, 45
	v_cndmask_b32_e64 v54, v54, v60, s[12:13]
	v_cndmask_b32_e64 v55, v62, v55, s[12:13]
	v_readlane_b32 s5, v95, 46
	s_and_saveexec_b64 s[84:85], s[4:5]
	s_cbranch_execz .LBB54_192
; %bb.191:                              ;   in Loop: Header=BB54_110 Depth=2
	ds_write_b64 v17, v[54:55] offset:4224
.LBB54_192:                             ;   in Loop: Header=BB54_110 Depth=2
	s_or_b64 exec, exec, s[84:85]
	scratch_load_dword v61, off, off offset:160 ; 4-byte Folded Reload
	s_waitcnt lgkmcnt(0)
	; wave barrier
	s_waitcnt vmcnt(0) lgkmcnt(0)
	ds_bpermute_b32 v60, v61, v54
	ds_bpermute_b32 v61, v61, v55
	v_mov_b32_e32 v55, v45
	s_and_saveexec_b64 s[84:85], s[14:15]
	s_cbranch_execz .LBB54_196
; %bb.193:                              ;   in Loop: Header=BB54_110 Depth=2
	ds_read_b64 v[54:55], v17 offset:4224
	s_and_saveexec_b64 s[88:89], s[16:17]
	s_cbranch_execz .LBB54_195
; %bb.194:                              ;   in Loop: Header=BB54_110 Depth=2
	ds_write_b64 v17, v[44:45] offset:4224
.LBB54_195:                             ;   in Loop: Header=BB54_110 Depth=2
	s_or_b64 exec, exec, s[88:89]
	s_waitcnt lgkmcnt(0)
	v_fmac_f32_e32 v55, v45, v54
	v_mul_f32_e32 v44, v44, v54
	v_mov_b32_e32 v45, v55
.LBB54_196:                             ;   in Loop: Header=BB54_110 Depth=2
	s_or_b64 exec, exec, s[84:85]
	s_waitcnt lgkmcnt(0)
	; wave barrier
	s_waitcnt lgkmcnt(0)
	ds_read_b32 v54, v17 offset:4228
	s_and_saveexec_b64 s[84:85], s[16:17]
	s_cbranch_execz .LBB54_109
; %bb.197:                              ;   in Loop: Header=BB54_110 Depth=2
	v_mov_b32_e32 v62, s1
	s_andn2_b64 vcc, exec, s[90:91]
	ds_write_b64 v62, v[44:45]
	s_cbranch_vccnz .LBB54_109
; %bb.198:                              ;   in Loop: Header=BB54_110 Depth=2
	s_mov_b32 s99, s93
	s_lshl_b64 s[88:89], s[98:99], 2
	v_readlane_b32 s4, v95, 27
	s_add_u32 s88, s4, s88
	v_readlane_b32 s4, v95, 28
	v_readlane_b32 s99, v95, 48
	s_addc_u32 s89, s4, s89
	global_store_dword v17, v55, s[88:89]
	s_branch .LBB54_109
.LBB54_199:                             ;   in Loop: Header=BB54_13 Depth=1
	scratch_load_dwordx2 v[42:43], off, off offset:164 ; 8-byte Folded Reload
	v_readlane_b32 s4, v95, 49
	v_readlane_b32 s5, v95, 50
	s_mov_b32 s6, 0x41a00000
	s_mov_b32 s7, 0x3fb8aa3b
	;; [unrolled: 1-line block ×8, first 2 shown]
	v_mov_b32_e32 v40, 0x3ecc95a3
	v_mov_b32_e32 v41, 0x7f800000
.LBB54_200:                             ;   in Loop: Header=BB54_13 Depth=1
	s_waitcnt lgkmcnt(0)
	; wave barrier
	scratch_load_dword v9, off, off         ; 4-byte Folded Reload
	v_bfe_u32 v0, v38, 16, 1
	s_movk_i32 s0, 0x7fff
	v_bfe_u32 v1, v39, 16, 1
	v_add3_u32 v0, v38, v0, s0
	v_bfe_u32 v2, v36, 16, 1
	v_add3_u32 v1, v39, v1, s0
	v_lshrrev_b32_e32 v0, 16, v0
	v_cmp_o_f32_e32 vcc, v38, v38
	v_mov_b32_e32 v10, 0x7fc0
	v_bfe_u32 v3, v37, 16, 1
	v_add3_u32 v2, v36, v2, s0
	v_lshrrev_b32_e32 v1, 16, v1
	v_cndmask_b32_e32 v0, v10, v0, vcc
	v_cmp_o_f32_e32 vcc, v39, v39
	v_add3_u32 v3, v37, v3, s0
	v_lshrrev_b32_e32 v2, 16, v2
	v_cndmask_b32_e32 v4, v10, v1, vcc
	v_cmp_o_f32_e32 vcc, v36, v36
	v_lshrrev_b32_e32 v3, 16, v3
	v_bfe_u32 v6, v32, 16, 1
	v_cndmask_b32_e32 v1, v10, v2, vcc
	v_cmp_o_f32_e32 vcc, v37, v37
	v_bfe_u32 v2, v34, 16, 1
	v_add3_u32 v2, v34, v2, s0
	v_cndmask_b32_e32 v5, v10, v3, vcc
	v_bfe_u32 v3, v35, 16, 1
	v_add3_u32 v3, v35, v3, s0
	v_lshrrev_b32_e32 v2, 16, v2
	v_cmp_o_f32_e32 vcc, v34, v34
	v_bfe_u32 v7, v33, 16, 1
	v_add3_u32 v6, v32, v6, s0
	v_lshrrev_b32_e32 v3, 16, v3
	v_cndmask_b32_e32 v2, v10, v2, vcc
	v_cmp_o_f32_e32 vcc, v35, v35
	v_add3_u32 v7, v33, v7, s0
	v_lshrrev_b32_e32 v6, 16, v6
	v_cndmask_b32_e32 v8, v10, v3, vcc
	v_cmp_o_f32_e32 vcc, v32, v32
	v_lshrrev_b32_e32 v7, 16, v7
	s_mov_b32 s1, 0x5040100
	v_cndmask_b32_e32 v3, v10, v6, vcc
	v_cmp_o_f32_e32 vcc, v33, v33
	v_perm_b32 v2, v8, v2, s1
	v_perm_b32 v1, v5, v1, s1
	v_cndmask_b32_e32 v6, v10, v7, vcc
	v_perm_b32 v3, v6, v3, s1
	v_perm_b32 v0, v4, v0, s1
	v_cmp_o_f32_e32 vcc, v30, v30
	v_bfe_u32 v6, v24, 16, 1
	v_bfe_u32 v7, v25, 16, 1
	v_add3_u32 v6, v24, v6, s0
	v_add3_u32 v7, v25, v7, s0
	v_lshrrev_b32_e32 v6, 16, v6
	v_lshrrev_b32_e32 v7, 16, v7
	s_waitcnt vmcnt(0)
	ds_write_b128 v9, v[0:3]
	v_bfe_u32 v0, v30, 16, 1
	v_bfe_u32 v1, v31, 16, 1
	v_add3_u32 v0, v30, v0, s0
	v_bfe_u32 v2, v28, 16, 1
	v_add3_u32 v1, v31, v1, s0
	v_lshrrev_b32_e32 v0, 16, v0
	v_bfe_u32 v3, v29, 16, 1
	v_add3_u32 v2, v28, v2, s0
	v_lshrrev_b32_e32 v1, 16, v1
	v_cndmask_b32_e32 v0, v10, v0, vcc
	v_cmp_o_f32_e32 vcc, v31, v31
	v_add3_u32 v3, v29, v3, s0
	v_lshrrev_b32_e32 v2, 16, v2
	v_cndmask_b32_e32 v4, v10, v1, vcc
	v_cmp_o_f32_e32 vcc, v28, v28
	v_lshrrev_b32_e32 v3, 16, v3
	v_perm_b32 v0, v4, v0, s1
	v_cndmask_b32_e32 v1, v10, v2, vcc
	v_cmp_o_f32_e32 vcc, v29, v29
	v_bfe_u32 v2, v26, 16, 1
	v_add3_u32 v2, v26, v2, s0
	v_cndmask_b32_e32 v5, v10, v3, vcc
	v_bfe_u32 v3, v27, 16, 1
	v_add3_u32 v3, v27, v3, s0
	v_lshrrev_b32_e32 v2, 16, v2
	v_cmp_o_f32_e32 vcc, v26, v26
	v_lshrrev_b32_e32 v3, 16, v3
	v_perm_b32 v1, v5, v1, s1
	v_cndmask_b32_e32 v2, v10, v2, vcc
	v_cmp_o_f32_e32 vcc, v27, v27
	s_nop 1
	v_cndmask_b32_e32 v8, v10, v3, vcc
	v_cmp_o_f32_e32 vcc, v24, v24
	v_perm_b32 v2, v8, v2, s1
	s_nop 0
	v_cndmask_b32_e32 v3, v10, v6, vcc
	v_cmp_o_f32_e32 vcc, v25, v25
	s_nop 1
	v_cndmask_b32_e32 v6, v10, v7, vcc
	v_perm_b32 v3, v6, v3, s1
	ds_write_b128 v9, v[0:3] offset:16
	; wave barrier
	scratch_load_dword v0, off, off offset:8 ; 4-byte Folded Reload
	v_readlane_b32 s0, v95, 52
	v_readlane_b32 s1, v95, 53
	s_mov_b32 s1, s93
	s_waitcnt vmcnt(0)
	ds_read_u16 v16, v0 offset:128
	scratch_load_dword v0, off, off offset:12 ; 4-byte Folded Reload
	s_waitcnt vmcnt(0)
	ds_read_u16 v15, v0 offset:256
	scratch_load_dword v0, off, off offset:16 ; 4-byte Folded Reload
	;; [unrolled: 3-line block ×14, first 2 shown]
	s_waitcnt vmcnt(0)
	ds_read_u16 v2, v0 offset:1920
	scratch_load_dwordx2 v[0:1], off, off offset:240 ; 8-byte Folded Reload
	s_waitcnt vmcnt(0)
	v_lshl_add_u64 v[0:1], s[0:1], 1, v[0:1]
	s_and_saveexec_b64 s[52:53], s[18:19]
	s_cbranch_execnz .LBB54_218
; %bb.201:                              ;   in Loop: Header=BB54_13 Depth=1
	s_or_b64 exec, exec, s[52:53]
	s_and_saveexec_b64 s[18:19], s[20:21]
	s_cbranch_execnz .LBB54_219
.LBB54_202:                             ;   in Loop: Header=BB54_13 Depth=1
	s_or_b64 exec, exec, s[18:19]
	s_and_saveexec_b64 s[18:19], s[22:23]
	s_cbranch_execnz .LBB54_220
.LBB54_203:                             ;   in Loop: Header=BB54_13 Depth=1
	s_or_b64 exec, exec, s[18:19]
	s_and_saveexec_b64 s[18:19], s[24:25]
	s_cbranch_execnz .LBB54_221
.LBB54_204:                             ;   in Loop: Header=BB54_13 Depth=1
	s_or_b64 exec, exec, s[18:19]
	s_and_saveexec_b64 s[18:19], s[26:27]
	s_cbranch_execnz .LBB54_222
.LBB54_205:                             ;   in Loop: Header=BB54_13 Depth=1
	s_or_b64 exec, exec, s[18:19]
	s_and_saveexec_b64 s[18:19], s[28:29]
	s_cbranch_execnz .LBB54_223
.LBB54_206:                             ;   in Loop: Header=BB54_13 Depth=1
	s_or_b64 exec, exec, s[18:19]
	s_and_saveexec_b64 s[18:19], s[30:31]
	s_cbranch_execnz .LBB54_224
.LBB54_207:                             ;   in Loop: Header=BB54_13 Depth=1
	s_or_b64 exec, exec, s[18:19]
	s_and_saveexec_b64 s[18:19], s[34:35]
	s_cbranch_execnz .LBB54_225
.LBB54_208:                             ;   in Loop: Header=BB54_13 Depth=1
	s_or_b64 exec, exec, s[18:19]
	s_and_saveexec_b64 s[18:19], s[36:37]
	s_cbranch_execnz .LBB54_226
.LBB54_209:                             ;   in Loop: Header=BB54_13 Depth=1
	s_or_b64 exec, exec, s[18:19]
	s_and_saveexec_b64 s[18:19], s[38:39]
	s_cbranch_execnz .LBB54_227
.LBB54_210:                             ;   in Loop: Header=BB54_13 Depth=1
	s_or_b64 exec, exec, s[18:19]
	s_and_saveexec_b64 s[18:19], s[40:41]
	s_cbranch_execnz .LBB54_228
.LBB54_211:                             ;   in Loop: Header=BB54_13 Depth=1
	s_or_b64 exec, exec, s[18:19]
	s_and_saveexec_b64 s[18:19], s[42:43]
	s_cbranch_execnz .LBB54_229
.LBB54_212:                             ;   in Loop: Header=BB54_13 Depth=1
	s_or_b64 exec, exec, s[18:19]
	s_and_saveexec_b64 s[18:19], s[44:45]
	s_cbranch_execnz .LBB54_230
.LBB54_213:                             ;   in Loop: Header=BB54_13 Depth=1
	s_or_b64 exec, exec, s[18:19]
	s_and_saveexec_b64 s[18:19], s[46:47]
	s_cbranch_execnz .LBB54_231
.LBB54_214:                             ;   in Loop: Header=BB54_13 Depth=1
	s_or_b64 exec, exec, s[18:19]
	s_and_saveexec_b64 s[18:19], s[48:49]
	s_cbranch_execnz .LBB54_232
.LBB54_215:                             ;   in Loop: Header=BB54_13 Depth=1
	s_or_b64 exec, exec, s[18:19]
	s_and_saveexec_b64 s[18:19], s[50:51]
	s_cbranch_execz .LBB54_12
	s_branch .LBB54_233
.LBB54_216:                             ;   in Loop: Header=BB54_13 Depth=1
	global_load_ushort v26, v[8:9], off offset:1664
	s_or_b64 exec, exec, s[52:53]
	s_and_saveexec_b64 s[52:53], s[48:49]
	s_cbranch_execz .LBB54_73
.LBB54_217:                             ;   in Loop: Header=BB54_13 Depth=1
	global_load_ushort v25, v[8:9], off offset:1792
	s_or_b64 exec, exec, s[52:53]
	v_mov_b32_e32 v27, 0
	s_and_saveexec_b64 s[52:53], s[50:51]
	s_cbranch_execnz .LBB54_74
	s_branch .LBB54_75
.LBB54_218:                             ;   in Loop: Header=BB54_13 Depth=1
	scratch_load_dword v18, off, off offset:4 ; 4-byte Folded Reload
	s_waitcnt vmcnt(0)
	ds_read_u16 v18, v18
	s_waitcnt lgkmcnt(0)
	global_store_short v[0:1], v18, off
	s_or_b64 exec, exec, s[52:53]
	s_and_saveexec_b64 s[18:19], s[20:21]
	s_cbranch_execz .LBB54_202
.LBB54_219:                             ;   in Loop: Header=BB54_13 Depth=1
	s_waitcnt lgkmcnt(14)
	global_store_short v[0:1], v16, off offset:128
	s_or_b64 exec, exec, s[18:19]
	s_and_saveexec_b64 s[18:19], s[22:23]
	s_cbranch_execz .LBB54_203
.LBB54_220:                             ;   in Loop: Header=BB54_13 Depth=1
	s_waitcnt lgkmcnt(13)
	global_store_short v[0:1], v15, off offset:256
	s_or_b64 exec, exec, s[18:19]
	s_and_saveexec_b64 s[18:19], s[24:25]
	s_cbranch_execz .LBB54_204
.LBB54_221:                             ;   in Loop: Header=BB54_13 Depth=1
	s_waitcnt lgkmcnt(12)
	global_store_short v[0:1], v14, off offset:384
	s_or_b64 exec, exec, s[18:19]
	s_and_saveexec_b64 s[18:19], s[26:27]
	s_cbranch_execz .LBB54_205
.LBB54_222:                             ;   in Loop: Header=BB54_13 Depth=1
	s_waitcnt lgkmcnt(11)
	global_store_short v[0:1], v13, off offset:512
	s_or_b64 exec, exec, s[18:19]
	s_and_saveexec_b64 s[18:19], s[28:29]
	s_cbranch_execz .LBB54_206
.LBB54_223:                             ;   in Loop: Header=BB54_13 Depth=1
	s_waitcnt lgkmcnt(10)
	global_store_short v[0:1], v12, off offset:640
	s_or_b64 exec, exec, s[18:19]
	s_and_saveexec_b64 s[18:19], s[30:31]
	s_cbranch_execz .LBB54_207
.LBB54_224:                             ;   in Loop: Header=BB54_13 Depth=1
	s_waitcnt lgkmcnt(9)
	global_store_short v[0:1], v11, off offset:768
	s_or_b64 exec, exec, s[18:19]
	s_and_saveexec_b64 s[18:19], s[34:35]
	s_cbranch_execz .LBB54_208
.LBB54_225:                             ;   in Loop: Header=BB54_13 Depth=1
	s_waitcnt lgkmcnt(8)
	global_store_short v[0:1], v10, off offset:896
	s_or_b64 exec, exec, s[18:19]
	s_and_saveexec_b64 s[18:19], s[36:37]
	s_cbranch_execz .LBB54_209
.LBB54_226:                             ;   in Loop: Header=BB54_13 Depth=1
	s_waitcnt lgkmcnt(7)
	global_store_short v[0:1], v9, off offset:1024
	s_or_b64 exec, exec, s[18:19]
	s_and_saveexec_b64 s[18:19], s[38:39]
	s_cbranch_execz .LBB54_210
.LBB54_227:                             ;   in Loop: Header=BB54_13 Depth=1
	s_waitcnt lgkmcnt(6)
	global_store_short v[0:1], v8, off offset:1152
	s_or_b64 exec, exec, s[18:19]
	s_and_saveexec_b64 s[18:19], s[40:41]
	s_cbranch_execz .LBB54_211
.LBB54_228:                             ;   in Loop: Header=BB54_13 Depth=1
	s_waitcnt lgkmcnt(5)
	global_store_short v[0:1], v7, off offset:1280
	s_or_b64 exec, exec, s[18:19]
	s_and_saveexec_b64 s[18:19], s[42:43]
	s_cbranch_execz .LBB54_212
.LBB54_229:                             ;   in Loop: Header=BB54_13 Depth=1
	s_waitcnt lgkmcnt(4)
	global_store_short v[0:1], v6, off offset:1408
	s_or_b64 exec, exec, s[18:19]
	s_and_saveexec_b64 s[18:19], s[44:45]
	s_cbranch_execz .LBB54_213
.LBB54_230:                             ;   in Loop: Header=BB54_13 Depth=1
	s_waitcnt lgkmcnt(3)
	global_store_short v[0:1], v5, off offset:1536
	s_or_b64 exec, exec, s[18:19]
	s_and_saveexec_b64 s[18:19], s[46:47]
	s_cbranch_execz .LBB54_214
.LBB54_231:                             ;   in Loop: Header=BB54_13 Depth=1
	s_waitcnt lgkmcnt(2)
	global_store_short v[0:1], v4, off offset:1664
	s_or_b64 exec, exec, s[18:19]
	s_and_saveexec_b64 s[18:19], s[48:49]
	s_cbranch_execz .LBB54_215
.LBB54_232:                             ;   in Loop: Header=BB54_13 Depth=1
	s_waitcnt lgkmcnt(1)
	global_store_short v[0:1], v3, off offset:1792
	s_or_b64 exec, exec, s[18:19]
	s_and_saveexec_b64 s[18:19], s[50:51]
	s_cbranch_execz .LBB54_12
.LBB54_233:                             ;   in Loop: Header=BB54_13 Depth=1
	s_waitcnt lgkmcnt(0)
	global_store_short v[0:1], v2, off offset:1920
	s_branch .LBB54_12
.LBB54_234:
	s_endpgm
	.section	.rodata,"a",@progbits
	.p2align	6, 0x0
	.amdhsa_kernel _Z25selective_scan_fwd_kernelI32Selective_Scan_fwd_kernel_traitsILi64ELi16ELi1ELb0ELb1ELb1ELb0ELb1EN3c108BFloat16EffEEv13SSMParamsBase
		.amdhsa_group_segment_fixed_size 0
		.amdhsa_private_segment_fixed_size 316
		.amdhsa_kernarg_size 248
		.amdhsa_user_sgpr_count 2
		.amdhsa_user_sgpr_dispatch_ptr 0
		.amdhsa_user_sgpr_queue_ptr 0
		.amdhsa_user_sgpr_kernarg_segment_ptr 1
		.amdhsa_user_sgpr_dispatch_id 0
		.amdhsa_user_sgpr_kernarg_preload_length 0
		.amdhsa_user_sgpr_kernarg_preload_offset 0
		.amdhsa_user_sgpr_private_segment_size 0
		.amdhsa_uses_dynamic_stack 0
		.amdhsa_enable_private_segment 1
		.amdhsa_system_sgpr_workgroup_id_x 1
		.amdhsa_system_sgpr_workgroup_id_y 1
		.amdhsa_system_sgpr_workgroup_id_z 0
		.amdhsa_system_sgpr_workgroup_info 0
		.amdhsa_system_vgpr_workitem_id 0
		.amdhsa_next_free_vgpr 96
		.amdhsa_next_free_sgpr 100
		.amdhsa_accum_offset 96
		.amdhsa_reserve_vcc 1
		.amdhsa_float_round_mode_32 0
		.amdhsa_float_round_mode_16_64 0
		.amdhsa_float_denorm_mode_32 3
		.amdhsa_float_denorm_mode_16_64 3
		.amdhsa_dx10_clamp 1
		.amdhsa_ieee_mode 1
		.amdhsa_fp16_overflow 0
		.amdhsa_tg_split 0
		.amdhsa_exception_fp_ieee_invalid_op 0
		.amdhsa_exception_fp_denorm_src 0
		.amdhsa_exception_fp_ieee_div_zero 0
		.amdhsa_exception_fp_ieee_overflow 0
		.amdhsa_exception_fp_ieee_underflow 0
		.amdhsa_exception_fp_ieee_inexact 0
		.amdhsa_exception_int_div_zero 0
	.end_amdhsa_kernel
	.section	.text._Z25selective_scan_fwd_kernelI32Selective_Scan_fwd_kernel_traitsILi64ELi16ELi1ELb0ELb1ELb1ELb0ELb1EN3c108BFloat16EffEEv13SSMParamsBase,"axG",@progbits,_Z25selective_scan_fwd_kernelI32Selective_Scan_fwd_kernel_traitsILi64ELi16ELi1ELb0ELb1ELb1ELb0ELb1EN3c108BFloat16EffEEv13SSMParamsBase,comdat
.Lfunc_end54:
	.size	_Z25selective_scan_fwd_kernelI32Selective_Scan_fwd_kernel_traitsILi64ELi16ELi1ELb0ELb1ELb1ELb0ELb1EN3c108BFloat16EffEEv13SSMParamsBase, .Lfunc_end54-_Z25selective_scan_fwd_kernelI32Selective_Scan_fwd_kernel_traitsILi64ELi16ELi1ELb0ELb1ELb1ELb0ELb1EN3c108BFloat16EffEEv13SSMParamsBase
                                        ; -- End function
	.section	.AMDGPU.csdata,"",@progbits
; Kernel info:
; codeLenInByte = 22232
; NumSgprs: 106
; NumVgprs: 96
; NumAgprs: 0
; TotalNumVgprs: 96
; ScratchSize: 316
; MemoryBound: 0
; FloatMode: 240
; IeeeMode: 1
; LDSByteSize: 0 bytes/workgroup (compile time only)
; SGPRBlocks: 13
; VGPRBlocks: 11
; NumSGPRsForWavesPerEU: 106
; NumVGPRsForWavesPerEU: 96
; AccumOffset: 96
; Occupancy: 5
; WaveLimiterHint : 1
; COMPUTE_PGM_RSRC2:SCRATCH_EN: 1
; COMPUTE_PGM_RSRC2:USER_SGPR: 2
; COMPUTE_PGM_RSRC2:TRAP_HANDLER: 0
; COMPUTE_PGM_RSRC2:TGID_X_EN: 1
; COMPUTE_PGM_RSRC2:TGID_Y_EN: 1
; COMPUTE_PGM_RSRC2:TGID_Z_EN: 0
; COMPUTE_PGM_RSRC2:TIDIG_COMP_CNT: 0
; COMPUTE_PGM_RSRC3_GFX90A:ACCUM_OFFSET: 23
; COMPUTE_PGM_RSRC3_GFX90A:TG_SPLIT: 0
	.section	.text._Z25selective_scan_fwd_kernelI32Selective_Scan_fwd_kernel_traitsILi64ELi16ELi1ELb0ELb1ELb1ELb0ELb0EN3c108BFloat16EffEEv13SSMParamsBase,"axG",@progbits,_Z25selective_scan_fwd_kernelI32Selective_Scan_fwd_kernel_traitsILi64ELi16ELi1ELb0ELb1ELb1ELb0ELb0EN3c108BFloat16EffEEv13SSMParamsBase,comdat
	.protected	_Z25selective_scan_fwd_kernelI32Selective_Scan_fwd_kernel_traitsILi64ELi16ELi1ELb0ELb1ELb1ELb0ELb0EN3c108BFloat16EffEEv13SSMParamsBase ; -- Begin function _Z25selective_scan_fwd_kernelI32Selective_Scan_fwd_kernel_traitsILi64ELi16ELi1ELb0ELb1ELb1ELb0ELb0EN3c108BFloat16EffEEv13SSMParamsBase
	.globl	_Z25selective_scan_fwd_kernelI32Selective_Scan_fwd_kernel_traitsILi64ELi16ELi1ELb0ELb1ELb1ELb0ELb0EN3c108BFloat16EffEEv13SSMParamsBase
	.p2align	8
	.type	_Z25selective_scan_fwd_kernelI32Selective_Scan_fwd_kernel_traitsILi64ELi16ELi1ELb0ELb1ELb1ELb0ELb0EN3c108BFloat16EffEEv13SSMParamsBase,@function
_Z25selective_scan_fwd_kernelI32Selective_Scan_fwd_kernel_traitsILi64ELi16ELi1ELb0ELb1ELb1ELb0ELb0EN3c108BFloat16EffEEv13SSMParamsBase: ; @_Z25selective_scan_fwd_kernelI32Selective_Scan_fwd_kernel_traitsILi64ELi16ELi1ELb0ELb1ELb1ELb0ELb0EN3c108BFloat16EffEEv13SSMParamsBase
; %bb.0:
	s_load_dword s27, s[0:1], 0x18
	s_load_dwordx4 s[4:7], s[0:1], 0xe8
	s_mov_b32 s20, s3
                                        ; implicit-def: $vgpr95 : SGPR spill to VGPR lane
	s_waitcnt lgkmcnt(0)
	s_abs_i32 s26, s27
	v_cvt_f32_u32_e32 v1, s26
	s_cmp_eq_u64 s[6:7], 0
	v_rcp_iflag_f32_e32 v1, v1
	s_nop 0
	v_mul_f32_e32 v1, 0x4f7ffffe, v1
	v_cvt_u32_f32_e32 v1, v1
	s_nop 0
	v_readfirstlane_b32 s22, v1
	s_cbranch_scc1 .LBB55_2
; %bb.1:
	s_ashr_i32 s3, s2, 31
	s_add_u32 s6, s6, s2
	s_addc_u32 s7, s7, s3
	v_mov_b32_e32 v1, 0
	global_load_ubyte v1, v1, s[6:7]
	s_waitcnt vmcnt(0)
	v_and_b32_e32 v1, 1, v1
	v_cmp_eq_u32_e64 s[6:7], 1, v1
	s_branch .LBB55_3
.LBB55_2:
	s_mov_b64 s[6:7], 0
.LBB55_3:
	s_nop 0
	v_writelane_b32 v95, s6, 0
	s_cmp_eq_u64 s[4:5], 0
	s_nop 0
	v_writelane_b32 v95, s7, 1
	s_load_dwordx2 s[6:7], s[0:1], 0x20
	s_cbranch_scc1 .LBB55_5
; %bb.4:
	s_ashr_i32 s3, s2, 31
	s_lshl_b64 s[8:9], s[2:3], 2
	s_add_u32 s4, s4, s8
	s_addc_u32 s5, s5, s9
	s_load_dword s24, s[4:5], 0x0
	s_waitcnt lgkmcnt(0)
	s_ashr_i32 s25, s24, 31
	s_cmp_eq_u64 s[6:7], s[24:25]
	s_cbranch_scc0 .LBB55_6
	s_branch .LBB55_234
.LBB55_5:
	s_mov_b32 s24, s2
	s_ashr_i32 s25, s24, 31
	s_waitcnt lgkmcnt(0)
	s_cmp_eq_u64 s[6:7], s[24:25]
	s_cbranch_scc1 .LBB55_234
.LBB55_6:
	s_load_dwordx16 s[4:19], s[0:1], 0x88
	s_load_dwordx2 s[30:31], s[0:1], 0x8
	s_mov_b32 s3, 0
	v_writelane_b32 v95, s3, 2
	v_writelane_b32 v95, s3, 3
	s_waitcnt lgkmcnt(0)
	s_cmp_eq_u64 s[10:11], 0
	s_cbranch_scc1 .LBB55_8
; %bb.7:
	s_ashr_i32 s21, s20, 31
	s_lshl_b64 s[28:29], s[20:21], 2
	s_add_u32 s10, s10, s28
	s_addc_u32 s11, s11, s29
	s_load_dword s3, s[10:11], 0x0
	s_waitcnt lgkmcnt(0)
	v_writelane_b32 v95, s3, 3
.LBB55_8:
	s_cmp_eq_u64 s[16:17], 0
	s_cbranch_scc1 .LBB55_10
; %bb.9:
	s_ashr_i32 s21, s20, 31
	s_lshl_b64 s[10:11], s[20:21], 2
	s_add_u32 s10, s16, s10
	s_addc_u32 s11, s17, s11
	s_load_dword s3, s[10:11], 0x0
	s_waitcnt lgkmcnt(0)
	v_writelane_b32 v95, s3, 2
.LBB55_10:
	s_cmp_lt_i32 s30, 1
	s_cbranch_scc1 .LBB55_234
; %bb.11:
	v_mbcnt_lo_u32_b32 v1, -1, 0
	v_mbcnt_hi_u32_b32 v20, -1, v1
	v_lshrrev_b32_e32 v1, 5, v20
	s_sub_i32 s3, 0, s26
	v_and_b32_e32 v1, 2, v1
	s_mul_i32 s3, s3, s22
	v_add_u32_e32 v1, v1, v20
	s_mul_hi_u32 s3, s22, s3
	v_add_u32_e32 v2, 64, v20
	v_lshl_add_u32 v1, v1, 1, 0
	s_load_dwordx8 s[36:43], s[0:1], 0x2c
	s_load_dwordx2 s[10:11], s[0:1], 0x5c
	s_load_dwordx4 s[44:47], s[0:1], 0x4c
	s_abs_i32 s21, s20
	s_add_i32 s3, s22, s3
	s_load_dwordx4 s[48:51], s[0:1], 0x7c
	s_load_dwordx2 s[22:23], s[0:1], 0x6c
	s_load_dwordx2 s[16:17], s[0:1], 0xc8
	scratch_store_dword off, v1, off offset:4 ; 4-byte Folded Spill
	scratch_store_dword off, v2, off offset:180 ; 4-byte Folded Spill
	v_lshrrev_b32_e32 v1, 5, v2
	s_mul_hi_u32 s3, s21, s3
	s_load_dword s25, s[0:1], 0x28
	s_ashr_i32 s0, s20, 31
	s_ashr_i32 s1, s27, 31
	v_and_b32_e32 v1, 6, v1
	s_xor_b32 s0, s0, s1
	s_mul_i32 s1, s3, s26
	v_add_lshl_u32 v1, v1, v20, 1
	s_sub_i32 s1, s21, s1
	v_or_b32_e32 v3, 0x80, v20
	v_add_u32_e32 v2, 0, v1
	s_add_i32 s21, s3, 1
	s_sub_i32 s27, s1, s26
	scratch_store_dword off, v2, off offset:8 ; 4-byte Folded Spill
	scratch_store_dword off, v3, off offset:184 ; 4-byte Folded Spill
	v_lshrrev_b32_e32 v2, 5, v3
	s_cmp_ge_u32 s1, s26
	v_and_b32_e32 v2, 6, v2
	s_cselect_b32 s3, s21, s3
	v_add_lshl_u32 v2, v2, v20, 1
	s_cselect_b32 s1, s27, s1
	s_add_i32 s21, s3, 1
	v_add_u32_e32 v4, 0xc0, v20
	v_add_u32_e32 v3, 0, v2
	s_cmp_ge_u32 s1, s26
	scratch_store_dword off, v3, off offset:12 ; 4-byte Folded Spill
	scratch_store_dword off, v4, off offset:188 ; 4-byte Folded Spill
	v_lshrrev_b32_e32 v3, 5, v4
	s_cselect_b32 s1, s21, s3
	v_and_b32_e32 v3, 14, v3
	s_xor_b32 s1, s1, s0
	s_waitcnt lgkmcnt(0)
	s_mul_i32 s88, s46, s2
	s_mov_b32 s89, 0
	v_add_lshl_u32 v3, v3, v20, 1
	s_sub_i32 s3, s1, s0
	s_lshl_b64 s[0:1], s[88:89], 1
	v_or_b32_e32 v5, 0x100, v20
	v_add_u32_e32 v4, 0, v3
	s_add_u32 s12, s12, s0
	s_mul_i32 s88, s47, s20
	scratch_store_dword off, v4, off offset:16 ; 4-byte Folded Spill
	scratch_store_dword off, v5, off offset:192 ; 4-byte Folded Spill
	v_lshrrev_b32_e32 v4, 5, v5
	s_addc_u32 s13, s13, s1
	s_lshl_b64 s[0:1], s[88:89], 1
	v_and_b32_e32 v4, 10, v4
	s_add_u32 s26, s12, s0
	s_mul_i32 s88, s10, s2
	v_add_lshl_u32 v4, v4, v20, 1
	s_addc_u32 s27, s13, s1
	s_lshl_b64 s[0:1], s[88:89], 1
	v_add_u32_e32 v6, 0x140, v20
	v_add_u32_e32 v5, 0, v4
	s_add_u32 s10, s14, s0
	s_mul_i32 s88, s11, s20
	scratch_store_dword off, v5, off offset:20 ; 4-byte Folded Spill
	scratch_store_dword off, v6, off offset:196 ; 4-byte Folded Spill
	v_lshrrev_b32_e32 v5, 5, v6
	s_addc_u32 s12, s15, s1
	s_lshl_b64 s[0:1], s[88:89], 1
	v_and_b32_e32 v5, 14, v5
	s_add_u32 s0, s10, s0
	v_add_lshl_u32 v5, v5, v20, 1
	s_addc_u32 s1, s12, s1
	v_or_b32_e32 v7, 0x180, v20
	v_add_u32_e32 v6, 0, v5
	v_writelane_b32 v95, s0, 4
	s_mul_i32 s88, s36, s20
	scratch_store_dword off, v6, off offset:24 ; 4-byte Folded Spill
	scratch_store_dword off, v7, off offset:200 ; 4-byte Folded Spill
	v_lshrrev_b32_e32 v6, 5, v7
	v_writelane_b32 v95, s1, 5
	s_lshl_b64 s[0:1], s[88:89], 2
	v_and_b32_e32 v6, 14, v6
	s_add_u32 s97, s4, s0
	v_add_lshl_u32 v6, v6, v20, 1
	s_addc_u32 s0, s5, s1
	s_mul_i32 s88, s38, s2
	v_add_u32_e32 v8, 0x1c0, v20
	v_add_u32_e32 v7, 0, v6
	v_writelane_b32 v95, s0, 6
	s_lshl_b64 s[0:1], s[88:89], 1
	scratch_store_dword off, v7, off offset:28 ; 4-byte Folded Spill
	scratch_store_dword off, v8, off offset:204 ; 4-byte Folded Spill
	v_lshrrev_b32_e32 v7, 5, v8
	s_add_u32 s4, s6, s0
	s_mul_i32 s88, s3, s41
	v_and_b32_e32 v7, 30, v7
	s_addc_u32 s5, s7, s1
	s_lshl_b64 s[0:1], s[88:89], 1
	v_add_lshl_u32 v7, v7, v20, 1
	s_add_u32 s0, s4, s0
	v_or_b32_e32 v9, 0x200, v20
	v_add_u32_e32 v8, 0, v7
	s_addc_u32 s1, s5, s1
	scratch_store_dword off, v8, off offset:32 ; 4-byte Folded Spill
	scratch_store_dword off, v9, off offset:208 ; 4-byte Folded Spill
	v_lshrrev_b32_e32 v8, 5, v9
	v_writelane_b32 v95, s0, 7
	v_and_b32_e32 v8, 18, v8
	v_add_lshl_u32 v8, v8, v20, 1
	v_writelane_b32 v95, s1, 8
	v_writelane_b32 v95, s36, 9
	v_add_u32_e32 v10, 0x240, v20
	v_add_u32_e32 v9, 0, v8
	v_writelane_b32 v95, s37, 10
	scratch_store_dword off, v9, off offset:36 ; 4-byte Folded Spill
	scratch_store_dword off, v10, off offset:212 ; 4-byte Folded Spill
	v_lshrrev_b32_e32 v9, 5, v10
	v_writelane_b32 v95, s38, 11
	v_and_b32_e32 v9, 22, v9
	v_writelane_b32 v95, s39, 12
	v_add_lshl_u32 v9, v9, v20, 1
	v_writelane_b32 v95, s40, 13
	v_or_b32_e32 v11, 0x280, v20
	v_add_u32_e32 v10, 0, v9
	v_writelane_b32 v95, s41, 14
	scratch_store_dword off, v10, off offset:40 ; 4-byte Folded Spill
	scratch_store_dword off, v11, off offset:216 ; 4-byte Folded Spill
	v_lshrrev_b32_e32 v10, 5, v11
	v_writelane_b32 v95, s42, 15
	s_mul_i32 s88, s42, s2
	v_and_b32_e32 v10, 22, v10
	v_writelane_b32 v95, s43, 16
	s_lshl_b64 s[0:1], s[88:89], 1
	v_add_lshl_u32 v10, v10, v20, 1
	s_add_u32 s4, s8, s0
	v_writelane_b32 v95, s44, 17
	s_mul_i32 s88, s3, s45
	v_add_u32_e32 v12, 0x2c0, v20
	v_add_u32_e32 v11, 0, v10
	s_addc_u32 s5, s9, s1
	v_writelane_b32 v95, s45, 18
	s_lshl_b64 s[0:1], s[88:89], 1
	scratch_store_dword off, v11, off offset:44 ; 4-byte Folded Spill
	scratch_store_dword off, v12, off offset:220 ; 4-byte Folded Spill
	v_lshrrev_b32_e32 v11, 5, v12
	v_writelane_b32 v95, s46, 19
	s_add_u32 s0, s4, s0
	v_and_b32_e32 v11, 30, v11
	v_writelane_b32 v95, s47, 20
	s_addc_u32 s1, s5, s1
	v_add_lshl_u32 v11, v11, v20, 1
	v_writelane_b32 v95, s0, 21
	v_or_b32_e32 v13, 0x300, v20
	v_add_u32_e32 v12, 0, v11
	v_writelane_b32 v95, s1, 22
	s_mul_i32 s88, s24, s48
	scratch_store_dword off, v12, off offset:48 ; 4-byte Folded Spill
	scratch_store_dword off, v13, off offset:224 ; 4-byte Folded Spill
	v_lshrrev_b32_e32 v12, 5, v13
	s_lshl_b64 s[0:1], s[88:89], 2
	v_writelane_b32 v95, s48, 23
	v_and_b32_e32 v12, 26, v12
	s_add_u32 s3, s16, s0
	v_writelane_b32 v95, s49, 24
	s_mul_i32 s88, s49, s20
	v_add_lshl_u32 v12, v12, v20, 1
	s_addc_u32 s4, s17, s1
	v_writelane_b32 v95, s50, 25
	s_lshl_b64 s[0:1], s[88:89], 2
	v_add_u32_e32 v14, 0x340, v20
	v_add_u32_e32 v13, 0, v12
	v_writelane_b32 v95, s51, 26
	s_add_u32 s0, s3, s0
	scratch_store_dword off, v13, off offset:52 ; 4-byte Folded Spill
	scratch_store_dword off, v14, off offset:228 ; 4-byte Folded Spill
	v_lshrrev_b32_e32 v13, 5, v14
	v_writelane_b32 v95, s0, 27
	s_addc_u32 s0, s4, s1
	v_and_b32_e32 v13, 30, v13
	v_writelane_b32 v95, s0, 28
	s_add_i32 s0, s30, 0x7ff
	v_add_lshl_u32 v13, v13, v20, 1
	s_lshr_b32 s1, s0, 11
	v_or_b32_e32 v15, 0x380, v20
	v_add_u32_e32 v14, 0, v13
	scratch_store_dword off, v14, off offset:56 ; 4-byte Folded Spill
	scratch_store_dword off, v15, off offset:232 ; 4-byte Folded Spill
	v_lshrrev_b32_e32 v14, 5, v15
	s_bitcmp1_b32 s25, 0
	v_and_b32_e32 v14, 30, v14
	s_cselect_b64 s[4:5], -1, 0
	s_cmp_gt_i32 s31, 0
	v_add_lshl_u32 v14, v14, v20, 1
	s_cselect_b64 s[6:7], -1, 0
	s_add_i32 s0, 0, 0x840
	v_add_u32_e32 v15, 0, v14
	v_add_u32_e32 v1, s0, v1
	;; [unrolled: 1-line block ×3, first 2 shown]
	scratch_store_dword off, v15, off offset:60 ; 4-byte Folded Spill
	scratch_store_dword off, v16, off offset:236 ; 4-byte Folded Spill
	;; [unrolled: 1-line block ×3, first 2 shown]
	v_add_u32_e32 v1, s0, v2
	scratch_store_dword off, v1, off offset:100 ; 4-byte Folded Spill
	v_add_u32_e32 v1, s0, v3
	scratch_store_dword off, v1, off offset:104 ; 4-byte Folded Spill
	v_add_u32_e32 v1, s0, v4
	scratch_store_dword off, v1, off offset:108 ; 4-byte Folded Spill
	v_add_u32_e32 v1, s0, v5
	scratch_store_dword off, v1, off offset:112 ; 4-byte Folded Spill
	v_add_u32_e32 v1, s0, v6
	scratch_store_dword off, v1, off offset:116 ; 4-byte Folded Spill
	v_add_u32_e32 v1, s0, v7
	scratch_store_dword off, v1, off offset:120 ; 4-byte Folded Spill
	v_add_u32_e32 v1, s0, v8
	scratch_store_dword off, v1, off offset:124 ; 4-byte Folded Spill
	v_add_u32_e32 v1, s0, v9
	v_lshrrev_b32_e32 v15, 5, v16
	scratch_store_dword off, v1, off offset:128 ; 4-byte Folded Spill
	v_add_u32_e32 v1, s0, v10
	v_and_b32_e32 v15, 62, v15
	scratch_store_dword off, v1, off offset:132 ; 4-byte Folded Spill
	v_add_u32_e32 v1, s0, v11
	v_add_lshl_u32 v15, v15, v20, 1
	scratch_store_dword off, v1, off offset:136 ; 4-byte Folded Spill
	v_add_u32_e32 v1, s0, v12
	v_add_u32_e32 v16, 0, v15
	v_lshrrev_b32_e32 v18, 1, v20
	scratch_store_dword off, v1, off offset:140 ; 4-byte Folded Spill
	v_add_u32_e32 v1, s0, v13
	scratch_store_dword off, v16, off offset:64 ; 4-byte Folded Spill
	v_lshlrev_b32_e32 v16, 4, v20
	v_and_b32_e32 v18, 62, v18
	v_writelane_b32 v95, s6, 29
	scratch_store_dword off, v1, off offset:144 ; 4-byte Folded Spill
	v_add_u32_e32 v1, s0, v14
	v_add_lshl_u32 v16, v18, v16, 1
	v_writelane_b32 v95, s7, 30
	scratch_store_dword off, v1, off offset:148 ; 4-byte Folded Spill
	v_add_u32_e32 v1, s0, v15
	scratch_store_dword off, v1, off offset:152 ; 4-byte Folded Spill
	v_add_u32_e32 v1, s0, v16
	v_writelane_b32 v95, s30, 31
	s_and_b32 s0, s30, 0x3ff
	s_cmp_eq_u32 s0, 0
	v_writelane_b32 v95, s31, 32
	s_cselect_b64 s[6:7], -1, 0
	scratch_store_dword off, v1, off offset:156 ; 4-byte Folded Spill
	v_writelane_b32 v95, s6, 33
	v_and_b32_e32 v1, 15, v20
	v_cmp_lt_u32_e64 s[84:85], 3, v1
	v_writelane_b32 v95, s7, 34
	v_cmp_ne_u32_e64 s[6:7], 0, v1
	s_mul_i32 s88, s22, s2
	v_and_b32_e32 v2, 64, v20
	v_writelane_b32 v95, s6, 35
	s_add_i32 s0, s1, -1
	s_lshl_b64 s[2:3], s[88:89], 1
	v_writelane_b32 v95, s7, 36
	v_cmp_lt_u32_e64 s[6:7], 1, v1
	v_lshlrev_b32_e32 v19, 4, v0
	v_cmp_gt_u32_e64 s[14:15], 64, v0
	v_writelane_b32 v95, s6, 37
	v_cmp_eq_u32_e64 s[16:17], 0, v0
	s_mul_i32 s88, s23, s20
	v_writelane_b32 v95, s7, 38
	v_cmp_lt_u32_e64 s[6:7], 7, v1
	v_and_b32_e32 v1, 16, v20
	v_add_u32_e32 v18, 0, v16
	v_writelane_b32 v95, s6, 39
	v_mov_b32_e32 v17, 0
	scratch_store_dword off, v18, off       ; 4-byte Folded Spill
	v_writelane_b32 v95, s7, 40
	v_cmp_ne_u32_e64 s[6:7], 0, v1
	v_add_u32_e32 v1, -1, v20
	v_cmp_lt_i32_e32 vcc, v1, v2
	v_writelane_b32 v95, s6, 41
	v_lshlrev_b32_e32 v16, 1, v20
	v_cndmask_b32_e32 v1, v1, v20, vcc
	v_writelane_b32 v95, s7, 42
	v_writelane_b32 v95, s1, 43
	;; [unrolled: 1-line block ×3, first 2 shown]
	s_add_u32 s0, s18, s2
	s_addc_u32 s1, s19, s3
	v_cmp_eq_u32_e64 s[2:3], 63, v0
	v_lshlrev_b32_e32 v1, 2, v1
	v_mov_b32_e32 v0, v20
	scratch_store_dwordx2 off, v[0:1], off offset:172 ; 8-byte Folded Spill
	v_or_b32_e32 v0, 1, v19
	scratch_store_dword off, v0, off offset:252 ; 4-byte Folded Spill
	v_or_b32_e32 v0, 2, v19
	scratch_store_dword off, v0, off offset:256 ; 4-byte Folded Spill
	;; [unrolled: 2-line block ×6, first 2 shown]
                                        ; implicit-def: $vgpr0
	v_writelane_b32 v95, s2, 45
	v_or_b32_e32 v0, 7, v19
	scratch_store_dword off, v0, off offset:276 ; 4-byte Folded Spill
	v_or_b32_e32 v0, 8, v19
	scratch_store_dword off, v0, off offset:280 ; 4-byte Folded Spill
	v_or_b32_e32 v0, 9, v19
	v_writelane_b32 v95, s3, 46
	s_lshl_b64 s[2:3], s[88:89], 1
	scratch_store_dword off, v0, off offset:284 ; 4-byte Folded Spill
	v_or_b32_e32 v0, 10, v19
	s_add_u32 s2, s0, s2
	scratch_store_dword off, v0, off offset:288 ; 4-byte Folded Spill
	v_or_b32_e32 v0, 11, v19
	s_addc_u32 s3, s1, s3
	s_add_i32 s0, 0, 0x1088
	scratch_store_dword off, v0, off offset:292 ; 4-byte Folded Spill
	v_or_b32_e32 v0, 12, v19
	v_writelane_b32 v95, s0, 47
	scratch_store_dword off, v0, off offset:296 ; 4-byte Folded Spill
	v_or_b32_e32 v0, 13, v19
	scratch_store_dword off, v0, off offset:300 ; 4-byte Folded Spill
	v_or_b32_e32 v0, 14, v19
	v_writelane_b32 v95, s97, 48
	scratch_store_dword off, v1, off offset:160 ; 4-byte Folded Spill
	scratch_store_dword off, v0, off offset:304 ; 4-byte Folded Spill
	;; [unrolled: 1-line block ×3, first 2 shown]
	v_or_b32_e32 v0, 15, v19
	v_writelane_b32 v95, s4, 49
	v_cmp_lt_u32_e64 s[12:13], 31, v20
	s_mov_b32 s6, 0x41a00000
	s_mov_b32 s7, 0x3fb8aa3b
	;; [unrolled: 1-line block ×10, first 2 shown]
	scratch_store_dword off, v0, off offset:308 ; 4-byte Folded Spill
	v_mov_b32_e32 v40, 0x3ecc95a3
	v_mov_b32_e32 v41, 0x7f800000
	;; [unrolled: 1-line block ×4, first 2 shown]
	v_lshl_add_u64 v[0:1], s[2:3], 0, v[16:17]
	v_mov_b32_e32 v42, 0x3f317218
	v_writelane_b32 v95, s5, 50
	scratch_store_dwordx2 off, v[0:1], off offset:240 ; 8-byte Folded Spill
	s_branch .LBB55_13
.LBB55_12:                              ;   in Loop: Header=BB55_13 Depth=1
	s_or_b64 exec, exec, s[2:3]
	v_readlane_b32 s0, v95, 4
	v_readlane_b32 s1, v95, 5
	s_add_u32 s0, s0, 0x800
	s_addc_u32 s1, s1, 0
	v_writelane_b32 v95, s0, 4
	s_nop 1
	v_writelane_b32 v95, s1, 5
	s_nop 0
	v_readlane_b32 s26, v95, 54
	v_readlane_b32 s27, v95, 55
	s_add_u32 s26, s26, 0x800
	s_addc_u32 s27, s27, 0
	v_readlane_b32 s0, v95, 7
	v_readlane_b32 s1, v95, 8
	s_add_u32 s0, s0, 0x800
	s_addc_u32 s1, s1, 0
	v_writelane_b32 v95, s0, 7
	s_nop 1
	v_writelane_b32 v95, s1, 8
	s_nop 0
	v_readlane_b32 s0, v95, 21
	v_readlane_b32 s1, v95, 22
	s_add_u32 s0, s0, 0x800
	s_addc_u32 s1, s1, 0
	v_writelane_b32 v95, s0, 21
	s_nop 1
	v_writelane_b32 v95, s1, 22
	s_nop 0
	v_readlane_b32 s1, v95, 51
	s_add_i32 s1, s1, 1
	v_readlane_b32 s0, v95, 43
	s_cmp_eq_u32 s1, s0
	s_cbranch_scc1 .LBB55_234
.LBB55_13:                              ; =>This Loop Header: Depth=1
                                        ;     Child Loop BB55_110 Depth 2
	s_waitcnt lgkmcnt(0)
	; wave barrier
	s_waitcnt vmcnt(63) expcnt(7) lgkmcnt(15)
	scratch_load_dwordx2 v[0:1], off, off offset:172 ; 8-byte Folded Reload
	v_writelane_b32 v95, s1, 51
	s_lshl_b32 s18, s1, 10
	v_readlane_b32 s0, v95, 31
	s_mov_b32 s2, s18
	v_readlane_b32 s1, v95, 32
	v_writelane_b32 v95, s2, 52
	s_sub_i32 s82, s0, s18
	s_waitcnt vmcnt(0) lgkmcnt(0)
	v_mov_b32_e32 v2, v0
	v_writelane_b32 v95, s3, 53
	v_lshlrev_b32_e32 v16, 1, v2
	v_writelane_b32 v95, s26, 54
	v_cmp_gt_u32_e64 s[18:19], s82, v2
	v_mov_b32_e32 v2, 0
	v_writelane_b32 v95, s27, 55
	v_lshl_add_u64 v[0:1], s[26:27], 0, v[16:17]
	s_and_saveexec_b64 s[2:3], s[18:19]
	s_cbranch_execz .LBB55_15
; %bb.14:                               ;   in Loop: Header=BB55_13 Depth=1
	global_load_ushort v2, v[0:1], off
.LBB55_15:                              ;   in Loop: Header=BB55_13 Depth=1
	s_or_b64 exec, exec, s[2:3]
	scratch_load_dword v3, off, off offset:180 ; 4-byte Folded Reload
	v_mov_b32_e32 v4, 0
	s_waitcnt vmcnt(0)
	v_cmp_gt_u32_e64 s[20:21], s82, v3
	v_mov_b32_e32 v3, 0
	s_and_saveexec_b64 s[2:3], s[20:21]
	s_cbranch_execz .LBB55_17
; %bb.16:                               ;   in Loop: Header=BB55_13 Depth=1
	global_load_ushort v4, v[0:1], off offset:128
.LBB55_17:                              ;   in Loop: Header=BB55_13 Depth=1
	s_or_b64 exec, exec, s[2:3]
	scratch_load_dword v5, off, off offset:184 ; 4-byte Folded Reload
	s_waitcnt vmcnt(0)
	v_cmp_gt_u32_e64 s[22:23], s82, v5
	s_and_saveexec_b64 s[2:3], s[22:23]
	s_cbranch_execz .LBB55_19
; %bb.18:                               ;   in Loop: Header=BB55_13 Depth=1
	global_load_ushort v3, v[0:1], off offset:256
.LBB55_19:                              ;   in Loop: Header=BB55_13 Depth=1
	s_or_b64 exec, exec, s[2:3]
	scratch_load_dword v5, off, off offset:188 ; 4-byte Folded Reload
	v_mov_b32_e32 v6, 0
	s_waitcnt vmcnt(0)
	v_cmp_gt_u32_e64 s[24:25], s82, v5
	v_mov_b32_e32 v5, 0
	s_and_saveexec_b64 s[2:3], s[24:25]
	s_cbranch_execz .LBB55_21
; %bb.20:                               ;   in Loop: Header=BB55_13 Depth=1
	global_load_ushort v6, v[0:1], off offset:384
.LBB55_21:                              ;   in Loop: Header=BB55_13 Depth=1
	s_or_b64 exec, exec, s[2:3]
	scratch_load_dword v7, off, off offset:192 ; 4-byte Folded Reload
	s_waitcnt vmcnt(0)
	v_cmp_gt_u32_e64 s[26:27], s82, v7
	s_and_saveexec_b64 s[2:3], s[26:27]
	s_cbranch_execz .LBB55_23
; %bb.22:                               ;   in Loop: Header=BB55_13 Depth=1
	global_load_ushort v5, v[0:1], off offset:512
.LBB55_23:                              ;   in Loop: Header=BB55_13 Depth=1
	;; [unrolled: 20-line block ×4, first 2 shown]
	s_or_b64 exec, exec, s[2:3]
	scratch_load_dword v10, off, off offset:212 ; 4-byte Folded Reload
	v_mov_b32_e32 v12, 0
	v_mov_b32_e32 v13, 0
	s_waitcnt vmcnt(0)
	v_cmp_gt_u32_e64 s[38:39], s82, v10
	s_and_saveexec_b64 s[2:3], s[38:39]
	s_cbranch_execz .LBB55_33
; %bb.32:                               ;   in Loop: Header=BB55_13 Depth=1
	global_load_ushort v13, v[0:1], off offset:1152
.LBB55_33:                              ;   in Loop: Header=BB55_13 Depth=1
	s_or_b64 exec, exec, s[2:3]
	scratch_load_dword v10, off, off offset:216 ; 4-byte Folded Reload
	s_waitcnt vmcnt(0)
	v_cmp_gt_u32_e64 s[40:41], s82, v10
	s_and_saveexec_b64 s[2:3], s[40:41]
	s_cbranch_execz .LBB55_35
; %bb.34:                               ;   in Loop: Header=BB55_13 Depth=1
	global_load_ushort v12, v[0:1], off offset:1280
.LBB55_35:                              ;   in Loop: Header=BB55_13 Depth=1
	s_or_b64 exec, exec, s[2:3]
	scratch_load_dword v10, off, off offset:220 ; 4-byte Folded Reload
	v_mov_b32_e32 v14, 0
	v_mov_b32_e32 v15, 0
	s_waitcnt vmcnt(0)
	v_cmp_gt_u32_e64 s[42:43], s82, v10
	s_and_saveexec_b64 s[2:3], s[42:43]
	s_cbranch_execz .LBB55_37
; %bb.36:                               ;   in Loop: Header=BB55_13 Depth=1
	global_load_ushort v15, v[0:1], off offset:1408
.LBB55_37:                              ;   in Loop: Header=BB55_13 Depth=1
	s_or_b64 exec, exec, s[2:3]
	scratch_load_dword v10, off, off offset:224 ; 4-byte Folded Reload
	s_waitcnt vmcnt(0)
	v_cmp_gt_u32_e64 s[44:45], s82, v10
	s_and_saveexec_b64 s[2:3], s[44:45]
	s_cbranch_execz .LBB55_39
; %bb.38:                               ;   in Loop: Header=BB55_13 Depth=1
	global_load_ushort v14, v[0:1], off offset:1536
.LBB55_39:                              ;   in Loop: Header=BB55_13 Depth=1
	s_or_b64 exec, exec, s[2:3]
	scratch_load_dword v10, off, off offset:228 ; 4-byte Folded Reload
	v_mov_b32_e32 v18, 0
	v_mov_b32_e32 v19, 0
	s_waitcnt vmcnt(0)
	v_cmp_gt_u32_e64 s[46:47], s82, v10
	s_and_saveexec_b64 s[2:3], s[46:47]
	s_cbranch_execz .LBB55_41
; %bb.40:                               ;   in Loop: Header=BB55_13 Depth=1
	global_load_ushort v19, v[0:1], off offset:1664
.LBB55_41:                              ;   in Loop: Header=BB55_13 Depth=1
	s_or_b64 exec, exec, s[2:3]
	scratch_load_dword v10, off, off offset:232 ; 4-byte Folded Reload
	s_waitcnt vmcnt(0)
	v_cmp_gt_u32_e64 s[48:49], s82, v10
	s_and_saveexec_b64 s[2:3], s[48:49]
	s_cbranch_execz .LBB55_43
; %bb.42:                               ;   in Loop: Header=BB55_13 Depth=1
	global_load_ushort v18, v[0:1], off offset:1792
.LBB55_43:                              ;   in Loop: Header=BB55_13 Depth=1
	s_or_b64 exec, exec, s[2:3]
	scratch_load_dword v10, off, off offset:236 ; 4-byte Folded Reload
	v_mov_b32_e32 v20, 0
	s_waitcnt vmcnt(0)
	v_cmp_gt_u32_e64 s[50:51], s82, v10
	v_mov_b32_e32 v10, 0
	s_and_saveexec_b64 s[2:3], s[50:51]
	s_cbranch_execz .LBB55_45
; %bb.44:                               ;   in Loop: Header=BB55_13 Depth=1
	global_load_ushort v20, v[0:1], off offset:1920
.LBB55_45:                              ;   in Loop: Header=BB55_13 Depth=1
	s_or_b64 exec, exec, s[2:3]
	scratch_load_dword v0, off, off offset:4 ; 4-byte Folded Reload
	v_readlane_b32 s0, v95, 4
	v_readlane_b32 s1, v95, 5
	s_waitcnt vmcnt(0)
	ds_write_b16 v0, v2
	scratch_load_dword v0, off, off offset:8 ; 4-byte Folded Reload
	s_waitcnt vmcnt(0)
	ds_write_b16 v0, v4 offset:128
	scratch_load_dword v0, off, off offset:12 ; 4-byte Folded Reload
	s_waitcnt vmcnt(0)
	ds_write_b16 v0, v3 offset:256
	;; [unrolled: 3-line block ×8, first 2 shown]
	scratch_load_dword v0, off, off offset:40 ; 4-byte Folded Reload
	v_lshl_add_u64 v[8:9], s[0:1], 0, v[16:17]
	s_waitcnt vmcnt(0)
	ds_write_b16 v0, v13 offset:1152
	scratch_load_dword v0, off, off offset:44 ; 4-byte Folded Reload
	s_waitcnt vmcnt(0)
	ds_write_b16 v0, v12 offset:1280
	scratch_load_dword v0, off, off offset:48 ; 4-byte Folded Reload
	;; [unrolled: 3-line block ×6, first 2 shown]
	s_waitcnt vmcnt(0)
	ds_write_b16 v0, v20 offset:1920
	; wave barrier
	scratch_load_dword v4, off, off         ; 4-byte Folded Reload
	s_waitcnt vmcnt(0)
	ds_read_b128 v[0:3], v4
	ds_read_b128 v[4:7], v4 offset:16
	s_waitcnt lgkmcnt(0)
	; wave barrier
	s_waitcnt lgkmcnt(0)
	s_and_saveexec_b64 s[2:3], s[18:19]
	s_cbranch_execz .LBB55_47
; %bb.46:                               ;   in Loop: Header=BB55_13 Depth=1
	global_load_ushort v10, v[8:9], off
.LBB55_47:                              ;   in Loop: Header=BB55_13 Depth=1
	s_or_b64 exec, exec, s[2:3]
	v_mov_b32_e32 v11, 0
	v_mov_b32_e32 v12, 0
	s_and_saveexec_b64 s[2:3], s[20:21]
	s_cbranch_execz .LBB55_49
; %bb.48:                               ;   in Loop: Header=BB55_13 Depth=1
	global_load_ushort v12, v[8:9], off offset:128
.LBB55_49:                              ;   in Loop: Header=BB55_13 Depth=1
	s_or_b64 exec, exec, s[2:3]
	s_and_saveexec_b64 s[2:3], s[22:23]
	s_cbranch_execz .LBB55_51
; %bb.50:                               ;   in Loop: Header=BB55_13 Depth=1
	global_load_ushort v11, v[8:9], off offset:256
.LBB55_51:                              ;   in Loop: Header=BB55_13 Depth=1
	s_or_b64 exec, exec, s[2:3]
	v_mov_b32_e32 v13, 0
	v_mov_b32_e32 v14, 0
	s_and_saveexec_b64 s[2:3], s[24:25]
	s_cbranch_execz .LBB55_53
; %bb.52:                               ;   in Loop: Header=BB55_13 Depth=1
	global_load_ushort v14, v[8:9], off offset:384
.LBB55_53:                              ;   in Loop: Header=BB55_13 Depth=1
	s_or_b64 exec, exec, s[2:3]
	s_and_saveexec_b64 s[2:3], s[26:27]
	s_cbranch_execz .LBB55_55
; %bb.54:                               ;   in Loop: Header=BB55_13 Depth=1
	global_load_ushort v13, v[8:9], off offset:512
.LBB55_55:                              ;   in Loop: Header=BB55_13 Depth=1
	s_or_b64 exec, exec, s[2:3]
	v_mov_b32_e32 v15, 0
	v_mov_b32_e32 v18, 0
	s_and_saveexec_b64 s[2:3], s[28:29]
	s_cbranch_execz .LBB55_57
; %bb.56:                               ;   in Loop: Header=BB55_13 Depth=1
	global_load_ushort v18, v[8:9], off offset:640
.LBB55_57:                              ;   in Loop: Header=BB55_13 Depth=1
	s_or_b64 exec, exec, s[2:3]
	s_and_saveexec_b64 s[2:3], s[30:31]
	s_cbranch_execz .LBB55_59
; %bb.58:                               ;   in Loop: Header=BB55_13 Depth=1
	global_load_ushort v15, v[8:9], off offset:768
.LBB55_59:                              ;   in Loop: Header=BB55_13 Depth=1
	s_or_b64 exec, exec, s[2:3]
	v_mov_b32_e32 v19, 0
	v_mov_b32_e32 v20, 0
	s_and_saveexec_b64 s[2:3], s[34:35]
	s_cbranch_execz .LBB55_61
; %bb.60:                               ;   in Loop: Header=BB55_13 Depth=1
	global_load_ushort v20, v[8:9], off offset:896
.LBB55_61:                              ;   in Loop: Header=BB55_13 Depth=1
	s_or_b64 exec, exec, s[2:3]
	s_and_saveexec_b64 s[2:3], s[36:37]
	s_cbranch_execz .LBB55_63
; %bb.62:                               ;   in Loop: Header=BB55_13 Depth=1
	global_load_ushort v19, v[8:9], off offset:1024
.LBB55_63:                              ;   in Loop: Header=BB55_13 Depth=1
	s_or_b64 exec, exec, s[2:3]
	v_mov_b32_e32 v21, 0
	v_mov_b32_e32 v22, 0
	s_and_saveexec_b64 s[2:3], s[38:39]
	s_cbranch_execz .LBB55_65
; %bb.64:                               ;   in Loop: Header=BB55_13 Depth=1
	global_load_ushort v22, v[8:9], off offset:1152
.LBB55_65:                              ;   in Loop: Header=BB55_13 Depth=1
	s_or_b64 exec, exec, s[2:3]
	s_and_saveexec_b64 s[2:3], s[40:41]
	s_cbranch_execz .LBB55_67
; %bb.66:                               ;   in Loop: Header=BB55_13 Depth=1
	global_load_ushort v21, v[8:9], off offset:1280
.LBB55_67:                              ;   in Loop: Header=BB55_13 Depth=1
	s_or_b64 exec, exec, s[2:3]
	v_mov_b32_e32 v23, 0
	v_mov_b32_e32 v24, 0
	s_and_saveexec_b64 s[2:3], s[42:43]
	s_cbranch_execz .LBB55_69
; %bb.68:                               ;   in Loop: Header=BB55_13 Depth=1
	global_load_ushort v24, v[8:9], off offset:1408
.LBB55_69:                              ;   in Loop: Header=BB55_13 Depth=1
	s_or_b64 exec, exec, s[2:3]
	s_and_saveexec_b64 s[2:3], s[44:45]
	s_cbranch_execz .LBB55_71
; %bb.70:                               ;   in Loop: Header=BB55_13 Depth=1
	global_load_ushort v23, v[8:9], off offset:1536
.LBB55_71:                              ;   in Loop: Header=BB55_13 Depth=1
	s_or_b64 exec, exec, s[2:3]
	v_mov_b32_e32 v25, 0
	v_mov_b32_e32 v26, 0
	s_and_saveexec_b64 s[2:3], s[46:47]
	s_cbranch_execnz .LBB55_216
; %bb.72:                               ;   in Loop: Header=BB55_13 Depth=1
	s_or_b64 exec, exec, s[2:3]
	s_and_saveexec_b64 s[2:3], s[48:49]
	s_cbranch_execnz .LBB55_217
.LBB55_73:                              ;   in Loop: Header=BB55_13 Depth=1
	s_or_b64 exec, exec, s[2:3]
	v_mov_b32_e32 v27, 0
	s_and_saveexec_b64 s[2:3], s[50:51]
	s_cbranch_execz .LBB55_75
.LBB55_74:                              ;   in Loop: Header=BB55_13 Depth=1
	global_load_ushort v27, v[8:9], off offset:1920
.LBB55_75:                              ;   in Loop: Header=BB55_13 Depth=1
	s_or_b64 exec, exec, s[2:3]
	scratch_load_dword v8, off, off offset:4 ; 4-byte Folded Reload
	v_readlane_b32 s0, v95, 2
	s_waitcnt vmcnt(0)
	ds_write_b16 v8, v10
	scratch_load_dword v8, off, off offset:8 ; 4-byte Folded Reload
	s_waitcnt vmcnt(0)
	ds_write_b16 v8, v12 offset:128
	scratch_load_dword v8, off, off offset:12 ; 4-byte Folded Reload
	s_waitcnt vmcnt(0)
	ds_write_b16 v8, v11 offset:256
	;; [unrolled: 3-line block ×15, first 2 shown]
	; wave barrier
	scratch_load_dword v8, off, off         ; 4-byte Folded Reload
	s_waitcnt vmcnt(0)
	ds_read_b128 v[12:15], v8
	ds_read_b128 v[8:11], v8 offset:16
	s_waitcnt lgkmcnt(1)
	v_lshlrev_b32_e32 v18, 16, v12
	v_add_f32_e32 v19, s0, v18
	v_cmp_ge_f32_e32 vcc, s6, v19
	s_and_b64 s[2:3], s[4:5], vcc
	s_and_saveexec_b64 s[52:53], s[2:3]
	s_cbranch_execz .LBB55_77
; %bb.76:                               ;   in Loop: Header=BB55_13 Depth=1
	v_mul_f32_e32 v18, 0x3fb8aa3b, v19
	v_rndne_f32_e32 v20, v18
	v_sub_f32_e32 v21, v18, v20
	v_fma_f32 v18, v19, s7, -v18
	v_fmac_f32_e32 v18, 0x32a5705f, v19
	v_add_f32_e32 v18, v21, v18
	v_cvt_i32_f32_e32 v20, v20
	v_exp_f32_e32 v18, v18
	v_cmp_ngt_f32_e32 vcc, s8, v19
	v_ldexp_f32 v18, v18, v20
	s_nop 0
	v_cndmask_b32_e32 v18, 0, v18, vcc
	v_cmp_nlt_f32_e32 vcc, s9, v19
	s_nop 1
	v_cndmask_b32_e32 v34, v41, v18, vcc
	v_add_f32_e32 v20, 1.0, v34
	v_add_f32_e32 v18, -1.0, v20
	v_sub_f32_e32 v19, v18, v20
	v_add_f32_e32 v19, 1.0, v19
	v_sub_f32_e32 v18, v34, v18
	v_add_f32_e32 v21, v18, v19
	v_frexp_mant_f32_e32 v22, v20
	v_cvt_f64_f32_e32 v[18:19], v20
	v_frexp_exp_i32_f64_e32 v18, v[18:19]
	v_cmp_gt_f32_e32 vcc, s11, v22
	v_cmp_gt_f32_e64 s[2:3], s54, v34
	s_nop 0
	v_subbrev_co_u32_e32 v26, vcc, 0, v18, vcc
	v_sub_u32_e32 v18, 0, v26
	v_ldexp_f32 v19, v20, v18
	v_add_f32_e32 v20, -1.0, v19
	v_add_f32_e32 v22, 1.0, v19
	v_ldexp_f32 v18, v21, v18
	v_add_f32_e32 v21, 1.0, v20
	v_add_f32_e32 v23, -1.0, v22
	v_sub_f32_e32 v21, v19, v21
	v_sub_f32_e32 v19, v19, v23
	v_add_f32_e32 v21, v18, v21
	v_add_f32_e32 v18, v18, v19
	;; [unrolled: 1-line block ×3, first 2 shown]
	v_rcp_f32_e32 v29, v27
	v_sub_f32_e32 v19, v22, v27
	v_add_f32_e32 v28, v18, v19
	v_add_f32_e32 v19, v20, v21
	v_mul_f32_e32 v31, v19, v29
	v_sub_f32_e32 v18, v20, v19
	v_mul_f32_e32 v20, v27, v31
	v_fma_f32 v22, v31, v27, -v20
	v_fmac_f32_e32 v22, v31, v28
	v_add_f32_e32 v30, v21, v18
	v_add_f32_e32 v18, v20, v22
	v_sub_f32_e32 v21, v19, v18
	v_pk_add_f32 v[24:25], v[18:19], v[20:21] neg_lo:[0,1] neg_hi:[0,1]
	v_mov_b32_e32 v23, v18
	v_pk_add_f32 v[18:19], v[24:25], v[22:23] neg_lo:[0,1] neg_hi:[0,1]
	v_cmp_eq_f32_e32 vcc, s10, v34
	v_add_f32_e32 v19, v30, v19
	v_add_f32_e32 v18, v18, v19
	;; [unrolled: 1-line block ×3, first 2 shown]
	v_mul_f32_e32 v30, v29, v19
	v_mul_f32_e32 v20, v27, v30
	v_fma_f32 v22, v30, v27, -v20
	v_fmac_f32_e32 v22, v30, v28
	v_sub_f32_e32 v21, v21, v19
	v_add_f32_e32 v27, v18, v21
	v_add_f32_e32 v18, v20, v22
	v_sub_f32_e32 v21, v19, v18
	v_pk_add_f32 v[24:25], v[18:19], v[20:21] neg_lo:[0,1] neg_hi:[0,1]
	v_mov_b32_e32 v23, v18
	v_pk_add_f32 v[18:19], v[24:25], v[22:23] neg_lo:[0,1] neg_hi:[0,1]
	s_or_b64 vcc, s[2:3], vcc
	v_add_f32_e32 v19, v27, v19
	v_add_f32_e32 v18, v18, v19
	;; [unrolled: 1-line block ×4, first 2 shown]
	v_sub_f32_e32 v20, v19, v31
	v_mul_f32_e32 v18, v29, v18
	v_sub_f32_e32 v20, v30, v20
	v_add_f32_e32 v20, v20, v18
	v_add_f32_e32 v22, v19, v20
	v_mul_f32_e32 v23, v22, v22
	v_fmamk_f32 v18, v23, 0x3e9b6dac, v40
	v_fmaak_f32 v43, v23, v18, 0x3f2aaada
	v_cvt_f32_i32_e32 v18, v26
	v_sub_f32_e32 v19, v22, v19
	v_sub_f32_e32 v19, v20, v19
	v_ldexp_f32 v24, v19, 1
	v_mul_f32_e32 v19, v22, v23
	v_ldexp_f32 v21, v22, 1
	v_pk_mul_f32 v[22:23], v[18:19], v[42:43]
	s_nop 0
	v_fma_f32 v20, v18, s33, -v22
	v_fmac_f32_e32 v20, 0xb102e308, v18
	v_pk_add_f32 v[18:19], v[22:23], v[20:21]
	s_nop 0
	v_sub_f32_e32 v21, v19, v21
	v_sub_f32_e32 v21, v23, v21
	v_add_f32_e32 v25, v24, v21
	v_mov_b32_e32 v24, v22
	v_pk_add_f32 v[22:23], v[18:19], v[22:23] neg_lo:[0,1] neg_hi:[0,1]
	v_pk_add_f32 v[26:27], v[18:19], v[24:25]
	v_mov_b32_e32 v21, v18
	v_mov_b32_e32 v23, v27
	v_pk_add_f32 v[28:29], v[20:21], v[22:23] neg_lo:[0,1] neg_hi:[0,1]
	v_pk_add_f32 v[20:21], v[20:21], v[22:23]
	v_mov_b32_e32 v24, v25
	v_mov_b32_e32 v22, v21
	v_pk_add_f32 v[30:31], v[22:23], v[18:19] neg_lo:[0,1] neg_hi:[0,1]
	v_mov_b32_e32 v20, v27
	v_mov_b32_e32 v23, v30
	v_pk_add_f32 v[32:33], v[26:27], v[22:23] neg_lo:[0,1] neg_hi:[0,1]
	v_mov_b32_e32 v26, v19
	v_mov_b32_e32 v27, v30
	v_mov_b32_e32 v29, v21
	v_pk_add_f32 v[20:21], v[20:21], v[26:27] neg_lo:[0,1] neg_hi:[0,1]
	v_mov_b32_e32 v25, v18
	v_pk_add_f32 v[18:19], v[24:25], v[20:21] neg_lo:[0,1] neg_hi:[0,1]
	v_mov_b32_e32 v32, v28
	v_pk_add_f32 v[20:21], v[32:33], v[18:19]
	s_nop 0
	v_mov_b32_e32 v24, v21
	v_pk_add_f32 v[24:25], v[20:21], v[24:25]
	s_nop 0
	v_pk_add_f32 v[22:23], v[22:23], v[24:25]
	v_mov_b32_e32 v19, v24
	v_mov_b32_e32 v21, v22
	v_pk_add_f32 v[26:27], v[20:21], v[28:29] neg_lo:[0,1] neg_hi:[0,1]
	s_nop 0
	v_sub_f32_e32 v20, v20, v26
	v_pk_add_f32 v[18:19], v[18:19], v[26:27] neg_lo:[0,1] neg_hi:[0,1]
	v_sub_f32_e32 v20, v28, v20
	v_add_f32_e32 v18, v18, v20
	v_add_f32_e32 v18, v18, v19
	;; [unrolled: 1-line block ×3, first 2 shown]
	v_cndmask_b32_e32 v19, v18, v34, vcc
.LBB55_77:                              ;   in Loop: Header=BB55_13 Depth=1
	s_or_b64 exec, exec, s[52:53]
	v_and_b32_e32 v12, 0xffff0000, v12
	v_readlane_b32 s0, v95, 2
	s_nop 1
	v_add_f32_e32 v20, s0, v12
	v_cmp_ge_f32_e32 vcc, s6, v20
	s_and_b64 s[2:3], s[4:5], vcc
	s_and_saveexec_b64 s[52:53], s[2:3]
	s_cbranch_execz .LBB55_79
; %bb.78:                               ;   in Loop: Header=BB55_13 Depth=1
	v_mul_f32_e32 v12, 0x3fb8aa3b, v20
	v_rndne_f32_e32 v18, v12
	v_sub_f32_e32 v21, v12, v18
	v_fma_f32 v12, v20, s7, -v12
	v_fmac_f32_e32 v12, 0x32a5705f, v20
	v_add_f32_e32 v12, v21, v12
	v_cvt_i32_f32_e32 v18, v18
	v_exp_f32_e32 v12, v12
	v_cmp_ngt_f32_e32 vcc, s8, v20
	v_ldexp_f32 v12, v12, v18
	s_nop 0
	v_cndmask_b32_e32 v12, 0, v12, vcc
	v_cmp_nlt_f32_e32 vcc, s9, v20
	s_nop 1
	v_cndmask_b32_e32 v34, v41, v12, vcc
	v_add_f32_e32 v12, 1.0, v34
	v_add_f32_e32 v18, -1.0, v12
	v_sub_f32_e32 v20, v18, v12
	v_add_f32_e32 v20, 1.0, v20
	v_sub_f32_e32 v18, v34, v18
	v_add_f32_e32 v18, v18, v20
	v_frexp_mant_f32_e32 v22, v12
	v_cvt_f64_f32_e32 v[20:21], v12
	v_frexp_exp_i32_f64_e32 v20, v[20:21]
	v_cmp_gt_f32_e32 vcc, s11, v22
	v_cmp_gt_f32_e64 s[2:3], s54, v34
	s_nop 0
	v_subbrev_co_u32_e32 v28, vcc, 0, v20, vcc
	v_sub_u32_e32 v20, 0, v28
	v_ldexp_f32 v12, v12, v20
	v_ldexp_f32 v18, v18, v20
	v_add_f32_e32 v20, -1.0, v12
	v_add_f32_e32 v21, 1.0, v20
	v_sub_f32_e32 v21, v12, v21
	v_add_f32_e32 v22, v18, v21
	v_add_f32_e32 v21, 1.0, v12
	v_add_f32_e32 v23, -1.0, v21
	v_sub_f32_e32 v12, v12, v23
	v_add_f32_e32 v12, v18, v12
	v_add_f32_e32 v18, v21, v12
	v_rcp_f32_e32 v29, v18
	v_sub_f32_e32 v21, v21, v18
	v_add_f32_e32 v12, v12, v21
	v_add_f32_e32 v21, v20, v22
	v_sub_f32_e32 v20, v20, v21
	v_mul_f32_e32 v31, v21, v29
	v_add_f32_e32 v30, v22, v20
	v_mul_f32_e32 v22, v18, v31
	v_fma_f32 v24, v31, v18, -v22
	v_fmac_f32_e32 v24, v31, v12
	v_add_f32_e32 v20, v22, v24
	v_sub_f32_e32 v23, v21, v20
	v_pk_add_f32 v[26:27], v[20:21], v[22:23] neg_lo:[0,1] neg_hi:[0,1]
	v_mov_b32_e32 v25, v20
	v_pk_add_f32 v[20:21], v[26:27], v[24:25] neg_lo:[0,1] neg_hi:[0,1]
	v_cmp_eq_f32_e32 vcc, s10, v34
	v_add_f32_e32 v21, v30, v21
	v_add_f32_e32 v20, v20, v21
	;; [unrolled: 1-line block ×3, first 2 shown]
	v_mul_f32_e32 v30, v29, v21
	v_mul_f32_e32 v22, v18, v30
	v_fma_f32 v24, v30, v18, -v22
	v_fmac_f32_e32 v24, v30, v12
	v_sub_f32_e32 v12, v23, v21
	v_add_f32_e32 v12, v20, v12
	v_add_f32_e32 v20, v22, v24
	v_sub_f32_e32 v23, v21, v20
	v_pk_add_f32 v[26:27], v[20:21], v[22:23] neg_lo:[0,1] neg_hi:[0,1]
	v_mov_b32_e32 v25, v20
	v_pk_add_f32 v[20:21], v[26:27], v[24:25] neg_lo:[0,1] neg_hi:[0,1]
	v_add_f32_e32 v18, v31, v30
	v_add_f32_e32 v12, v12, v21
	;; [unrolled: 1-line block ×4, first 2 shown]
	v_sub_f32_e32 v20, v18, v31
	v_mul_f32_e32 v12, v29, v12
	v_sub_f32_e32 v20, v30, v20
	v_add_f32_e32 v12, v20, v12
	v_add_f32_e32 v21, v18, v12
	v_mul_f32_e32 v22, v21, v21
	v_fmamk_f32 v20, v22, 0x3e9b6dac, v40
	v_fmaak_f32 v43, v22, v20, 0x3f2aaada
	v_cvt_f32_i32_e32 v20, v28
	v_sub_f32_e32 v18, v21, v18
	v_ldexp_f32 v23, v21, 1
	v_mul_f32_e32 v21, v21, v22
	v_pk_mul_f32 v[24:25], v[20:21], v[42:43]
	v_sub_f32_e32 v12, v12, v18
	v_fma_f32 v22, v20, s33, -v24
	v_fmac_f32_e32 v22, 0xb102e308, v20
	v_pk_add_f32 v[20:21], v[24:25], v[22:23]
	v_ldexp_f32 v12, v12, 1
	v_sub_f32_e32 v18, v21, v23
	v_sub_f32_e32 v18, v25, v18
	v_add_f32_e32 v27, v12, v18
	v_mov_b32_e32 v26, v24
	v_pk_add_f32 v[24:25], v[20:21], v[24:25] neg_lo:[0,1] neg_hi:[0,1]
	v_pk_add_f32 v[28:29], v[20:21], v[26:27]
	v_mov_b32_e32 v23, v20
	v_mov_b32_e32 v25, v29
	v_pk_add_f32 v[30:31], v[22:23], v[24:25] neg_lo:[0,1] neg_hi:[0,1]
	v_pk_add_f32 v[22:23], v[22:23], v[24:25]
	s_or_b64 vcc, s[2:3], vcc
	v_mov_b32_e32 v12, v23
	v_pk_add_f32 v[24:25], v[12:13], v[20:21] neg_lo:[0,1] neg_hi:[0,1]
	v_mov_b32_e32 v22, v29
	v_mov_b32_e32 v25, v24
	v_pk_add_f32 v[32:33], v[28:29], v[24:25] neg_lo:[0,1] neg_hi:[0,1]
	v_mov_b32_e32 v28, v21
	v_mov_b32_e32 v29, v24
	;; [unrolled: 1-line block ×3, first 2 shown]
	v_pk_add_f32 v[22:23], v[22:23], v[28:29] neg_lo:[0,1] neg_hi:[0,1]
	v_mov_b32_e32 v24, v27
	v_mov_b32_e32 v25, v20
	v_pk_add_f32 v[20:21], v[24:25], v[22:23] neg_lo:[0,1] neg_hi:[0,1]
	v_mov_b32_e32 v32, v30
	v_pk_add_f32 v[22:23], v[32:33], v[20:21]
	s_nop 0
	v_mov_b32_e32 v18, v23
	v_pk_add_f32 v[24:25], v[22:23], v[18:19]
	s_nop 0
	v_pk_add_f32 v[26:27], v[12:13], v[24:25]
	v_mov_b32_e32 v21, v24
	v_mov_b32_e32 v23, v26
	v_pk_add_f32 v[28:29], v[22:23], v[30:31] neg_lo:[0,1] neg_hi:[0,1]
	s_nop 0
	v_sub_f32_e32 v12, v22, v28
	v_pk_add_f32 v[20:21], v[20:21], v[28:29] neg_lo:[0,1] neg_hi:[0,1]
	v_sub_f32_e32 v12, v30, v12
	v_add_f32_e32 v12, v20, v12
	v_add_f32_e32 v12, v12, v21
	;; [unrolled: 1-line block ×3, first 2 shown]
	v_cndmask_b32_e32 v20, v12, v34, vcc
.LBB55_79:                              ;   in Loop: Header=BB55_13 Depth=1
	s_or_b64 exec, exec, s[52:53]
	v_lshlrev_b32_e32 v12, 16, v13
	v_readlane_b32 s0, v95, 2
	s_nop 1
	v_add_f32_e32 v21, s0, v12
	v_cmp_ge_f32_e32 vcc, s6, v21
	s_and_b64 s[2:3], s[4:5], vcc
	s_and_saveexec_b64 s[52:53], s[2:3]
	s_cbranch_execz .LBB55_81
; %bb.80:                               ;   in Loop: Header=BB55_13 Depth=1
	v_mul_f32_e32 v12, 0x3fb8aa3b, v21
	v_rndne_f32_e32 v18, v12
	v_sub_f32_e32 v22, v12, v18
	v_fma_f32 v12, v21, s7, -v12
	v_fmac_f32_e32 v12, 0x32a5705f, v21
	v_add_f32_e32 v12, v22, v12
	v_cvt_i32_f32_e32 v18, v18
	v_exp_f32_e32 v12, v12
	v_cmp_ngt_f32_e32 vcc, s8, v21
	v_ldexp_f32 v12, v12, v18
	s_nop 0
	v_cndmask_b32_e32 v12, 0, v12, vcc
	v_cmp_nlt_f32_e32 vcc, s9, v21
	s_nop 1
	v_cndmask_b32_e32 v36, v41, v12, vcc
	v_add_f32_e32 v12, 1.0, v36
	v_add_f32_e32 v18, -1.0, v12
	v_sub_f32_e32 v21, v18, v12
	v_add_f32_e32 v21, 1.0, v21
	v_sub_f32_e32 v18, v36, v18
	v_add_f32_e32 v18, v18, v21
	v_frexp_mant_f32_e32 v21, v12
	v_cvt_f64_f32_e32 v[22:23], v12
	v_frexp_exp_i32_f64_e32 v22, v[22:23]
	v_cmp_gt_f32_e32 vcc, s11, v21
	v_cmp_gt_f32_e64 s[2:3], s54, v36
	s_nop 0
	v_subbrev_co_u32_e32 v21, vcc, 0, v22, vcc
	v_sub_u32_e32 v22, 0, v21
	v_ldexp_f32 v12, v12, v22
	v_ldexp_f32 v18, v18, v22
	v_add_f32_e32 v22, -1.0, v12
	v_add_f32_e32 v23, 1.0, v22
	v_sub_f32_e32 v23, v12, v23
	v_add_f32_e32 v24, v18, v23
	v_add_f32_e32 v23, 1.0, v12
	v_add_f32_e32 v25, -1.0, v23
	v_sub_f32_e32 v12, v12, v25
	v_add_f32_e32 v12, v18, v12
	v_add_f32_e32 v18, v23, v12
	v_rcp_f32_e32 v30, v18
	v_sub_f32_e32 v23, v23, v18
	v_add_f32_e32 v12, v12, v23
	v_add_f32_e32 v23, v22, v24
	v_sub_f32_e32 v22, v22, v23
	v_mul_f32_e32 v32, v23, v30
	v_add_f32_e32 v31, v24, v22
	v_mul_f32_e32 v24, v18, v32
	v_fma_f32 v26, v32, v18, -v24
	v_fmac_f32_e32 v26, v32, v12
	v_add_f32_e32 v22, v24, v26
	v_sub_f32_e32 v25, v23, v22
	v_pk_add_f32 v[28:29], v[22:23], v[24:25] neg_lo:[0,1] neg_hi:[0,1]
	v_mov_b32_e32 v27, v22
	v_pk_add_f32 v[22:23], v[28:29], v[26:27] neg_lo:[0,1] neg_hi:[0,1]
	v_cmp_eq_f32_e32 vcc, s10, v36
	v_add_f32_e32 v23, v31, v23
	v_add_f32_e32 v22, v22, v23
	;; [unrolled: 1-line block ×3, first 2 shown]
	v_mul_f32_e32 v31, v30, v23
	v_mul_f32_e32 v24, v18, v31
	v_fma_f32 v26, v31, v18, -v24
	v_fmac_f32_e32 v26, v31, v12
	v_sub_f32_e32 v12, v25, v23
	v_add_f32_e32 v12, v22, v12
	v_add_f32_e32 v22, v24, v26
	v_sub_f32_e32 v25, v23, v22
	v_pk_add_f32 v[28:29], v[22:23], v[24:25] neg_lo:[0,1] neg_hi:[0,1]
	v_mov_b32_e32 v27, v22
	v_pk_add_f32 v[22:23], v[28:29], v[26:27] neg_lo:[0,1] neg_hi:[0,1]
	v_add_f32_e32 v18, v32, v31
	v_add_f32_e32 v12, v12, v23
	;; [unrolled: 1-line block ×4, first 2 shown]
	v_sub_f32_e32 v22, v18, v32
	v_mul_f32_e32 v12, v30, v12
	v_sub_f32_e32 v22, v31, v22
	v_add_f32_e32 v12, v22, v12
	v_add_f32_e32 v23, v18, v12
	v_mul_f32_e32 v24, v23, v23
	v_fmamk_f32 v22, v24, 0x3e9b6dac, v40
	v_fmaak_f32 v43, v24, v22, 0x3f2aaada
	v_cvt_f32_i32_e32 v22, v21
	v_sub_f32_e32 v18, v23, v18
	v_ldexp_f32 v25, v23, 1
	v_mul_f32_e32 v23, v23, v24
	v_pk_mul_f32 v[26:27], v[22:23], v[42:43]
	v_sub_f32_e32 v12, v12, v18
	v_fma_f32 v24, v22, s33, -v26
	v_fmac_f32_e32 v24, 0xb102e308, v22
	v_pk_add_f32 v[22:23], v[26:27], v[24:25]
	v_ldexp_f32 v12, v12, 1
	v_sub_f32_e32 v18, v23, v25
	v_sub_f32_e32 v18, v27, v18
	v_add_f32_e32 v29, v12, v18
	v_mov_b32_e32 v28, v26
	v_pk_add_f32 v[26:27], v[22:23], v[26:27] neg_lo:[0,1] neg_hi:[0,1]
	v_pk_add_f32 v[30:31], v[22:23], v[28:29]
	v_mov_b32_e32 v25, v22
	v_mov_b32_e32 v27, v31
	v_pk_add_f32 v[32:33], v[24:25], v[26:27] neg_lo:[0,1] neg_hi:[0,1]
	v_pk_add_f32 v[24:25], v[24:25], v[26:27]
	s_or_b64 vcc, s[2:3], vcc
	v_mov_b32_e32 v12, v25
	v_pk_add_f32 v[26:27], v[12:13], v[22:23] neg_lo:[0,1] neg_hi:[0,1]
	v_mov_b32_e32 v24, v31
	v_mov_b32_e32 v21, v26
	v_pk_add_f32 v[34:35], v[30:31], v[20:21] neg_lo:[0,1] neg_hi:[0,1]
	v_mov_b32_e32 v30, v23
	v_mov_b32_e32 v31, v26
	;; [unrolled: 1-line block ×3, first 2 shown]
	v_pk_add_f32 v[24:25], v[24:25], v[30:31] neg_lo:[0,1] neg_hi:[0,1]
	v_mov_b32_e32 v26, v29
	v_mov_b32_e32 v27, v22
	v_pk_add_f32 v[22:23], v[26:27], v[24:25] neg_lo:[0,1] neg_hi:[0,1]
	v_mov_b32_e32 v34, v32
	v_pk_add_f32 v[24:25], v[34:35], v[22:23]
	s_nop 0
	v_mov_b32_e32 v18, v25
	v_pk_add_f32 v[26:27], v[24:25], v[18:19]
	s_nop 0
	v_pk_add_f32 v[28:29], v[12:13], v[26:27]
	v_mov_b32_e32 v23, v26
	v_mov_b32_e32 v25, v28
	v_pk_add_f32 v[30:31], v[24:25], v[32:33] neg_lo:[0,1] neg_hi:[0,1]
	s_nop 0
	v_sub_f32_e32 v12, v24, v30
	v_pk_add_f32 v[22:23], v[22:23], v[30:31] neg_lo:[0,1] neg_hi:[0,1]
	v_sub_f32_e32 v12, v32, v12
	v_add_f32_e32 v12, v22, v12
	v_add_f32_e32 v12, v12, v23
	;; [unrolled: 1-line block ×3, first 2 shown]
	v_cndmask_b32_e32 v21, v12, v36, vcc
.LBB55_81:                              ;   in Loop: Header=BB55_13 Depth=1
	s_or_b64 exec, exec, s[52:53]
	v_and_b32_e32 v12, 0xffff0000, v13
	v_readlane_b32 s0, v95, 2
	s_nop 1
	v_add_f32_e32 v18, s0, v12
	v_cmp_ge_f32_e32 vcc, s6, v18
	s_and_b64 s[2:3], s[4:5], vcc
	s_and_saveexec_b64 s[52:53], s[2:3]
	s_cbranch_execz .LBB55_83
; %bb.82:                               ;   in Loop: Header=BB55_13 Depth=1
	v_mul_f32_e32 v12, 0x3fb8aa3b, v18
	v_rndne_f32_e32 v13, v12
	v_sub_f32_e32 v22, v12, v13
	v_fma_f32 v12, v18, s7, -v12
	v_fmac_f32_e32 v12, 0x32a5705f, v18
	v_add_f32_e32 v12, v22, v12
	v_cvt_i32_f32_e32 v13, v13
	v_exp_f32_e32 v12, v12
	v_cmp_ngt_f32_e32 vcc, s8, v18
	v_ldexp_f32 v12, v12, v13
	s_nop 0
	v_cndmask_b32_e32 v12, 0, v12, vcc
	v_cmp_nlt_f32_e32 vcc, s9, v18
	s_nop 1
	v_cndmask_b32_e32 v34, v41, v12, vcc
	v_add_f32_e32 v18, 1.0, v34
	v_add_f32_e32 v12, -1.0, v18
	v_sub_f32_e32 v13, v12, v18
	v_add_f32_e32 v13, 1.0, v13
	v_sub_f32_e32 v12, v34, v12
	v_add_f32_e32 v22, v12, v13
	v_frexp_mant_f32_e32 v23, v18
	v_cvt_f64_f32_e32 v[12:13], v18
	v_frexp_exp_i32_f64_e32 v12, v[12:13]
	v_cmp_gt_f32_e32 vcc, s11, v23
	v_cmp_gt_f32_e64 s[2:3], s54, v34
	s_nop 0
	v_subbrev_co_u32_e32 v28, vcc, 0, v12, vcc
	v_sub_u32_e32 v12, 0, v28
	v_ldexp_f32 v13, v18, v12
	v_add_f32_e32 v18, -1.0, v13
	v_add_f32_e32 v23, 1.0, v13
	v_ldexp_f32 v12, v22, v12
	v_add_f32_e32 v22, 1.0, v18
	v_add_f32_e32 v24, -1.0, v23
	v_sub_f32_e32 v22, v13, v22
	v_sub_f32_e32 v13, v13, v24
	v_add_f32_e32 v22, v12, v22
	v_add_f32_e32 v12, v12, v13
	;; [unrolled: 1-line block ×3, first 2 shown]
	v_rcp_f32_e32 v31, v29
	v_sub_f32_e32 v13, v23, v29
	v_add_f32_e32 v30, v12, v13
	v_add_f32_e32 v13, v18, v22
	v_sub_f32_e32 v12, v18, v13
	v_mul_f32_e32 v32, v13, v31
	v_add_f32_e32 v18, v22, v12
	v_mul_f32_e32 v22, v29, v32
	v_fma_f32 v24, v32, v29, -v22
	v_fmac_f32_e32 v24, v32, v30
	v_add_f32_e32 v12, v22, v24
	v_sub_f32_e32 v23, v13, v12
	v_pk_add_f32 v[26:27], v[12:13], v[22:23] neg_lo:[0,1] neg_hi:[0,1]
	v_mov_b32_e32 v25, v12
	v_pk_add_f32 v[12:13], v[26:27], v[24:25] neg_lo:[0,1] neg_hi:[0,1]
	v_cmp_eq_f32_e32 vcc, s10, v34
	v_add_f32_e32 v13, v18, v13
	v_add_f32_e32 v12, v12, v13
	;; [unrolled: 1-line block ×3, first 2 shown]
	v_mul_f32_e32 v18, v31, v13
	v_mul_f32_e32 v22, v29, v18
	v_fma_f32 v24, v18, v29, -v22
	v_fmac_f32_e32 v24, v18, v30
	v_sub_f32_e32 v23, v23, v13
	v_add_f32_e32 v29, v12, v23
	v_add_f32_e32 v12, v22, v24
	v_sub_f32_e32 v23, v13, v12
	v_pk_add_f32 v[26:27], v[12:13], v[22:23] neg_lo:[0,1] neg_hi:[0,1]
	v_mov_b32_e32 v25, v12
	v_pk_add_f32 v[12:13], v[26:27], v[24:25] neg_lo:[0,1] neg_hi:[0,1]
	s_or_b64 vcc, s[2:3], vcc
	v_add_f32_e32 v13, v29, v13
	v_add_f32_e32 v12, v12, v13
	;; [unrolled: 1-line block ×4, first 2 shown]
	v_sub_f32_e32 v22, v13, v32
	v_mul_f32_e32 v12, v31, v12
	v_sub_f32_e32 v18, v18, v22
	v_add_f32_e32 v18, v18, v12
	v_add_f32_e32 v22, v13, v18
	v_mul_f32_e32 v24, v22, v22
	v_fmamk_f32 v12, v24, 0x3e9b6dac, v40
	v_fmaak_f32 v43, v24, v12, 0x3f2aaada
	v_cvt_f32_i32_e32 v12, v28
	v_sub_f32_e32 v13, v22, v13
	v_sub_f32_e32 v13, v18, v13
	v_ldexp_f32 v18, v13, 1
	v_mul_f32_e32 v13, v22, v24
	v_pk_mul_f32 v[24:25], v[12:13], v[42:43]
	v_ldexp_f32 v23, v22, 1
	v_fma_f32 v22, v12, s33, -v24
	v_fmac_f32_e32 v22, 0xb102e308, v12
	v_pk_add_f32 v[12:13], v[24:25], v[22:23]
	v_mov_b32_e32 v26, v24
	v_sub_f32_e32 v23, v13, v23
	v_sub_f32_e32 v23, v25, v23
	v_add_f32_e32 v27, v18, v23
	v_pk_add_f32 v[24:25], v[12:13], v[24:25] neg_lo:[0,1] neg_hi:[0,1]
	v_pk_add_f32 v[28:29], v[12:13], v[26:27]
	v_mov_b32_e32 v23, v12
	v_mov_b32_e32 v25, v29
	v_pk_add_f32 v[30:31], v[22:23], v[24:25] neg_lo:[0,1] neg_hi:[0,1]
	v_pk_add_f32 v[22:23], v[22:23], v[24:25]
	s_nop 0
	v_mov_b32_e32 v18, v23
	v_pk_add_f32 v[24:25], v[18:19], v[12:13] neg_lo:[0,1] neg_hi:[0,1]
	v_mov_b32_e32 v22, v29
	v_mov_b32_e32 v25, v24
	v_pk_add_f32 v[32:33], v[28:29], v[24:25] neg_lo:[0,1] neg_hi:[0,1]
	v_mov_b32_e32 v28, v13
	v_mov_b32_e32 v29, v24
	;; [unrolled: 1-line block ×3, first 2 shown]
	v_pk_add_f32 v[22:23], v[22:23], v[28:29] neg_lo:[0,1] neg_hi:[0,1]
	v_mov_b32_e32 v24, v27
	v_mov_b32_e32 v25, v12
	v_pk_add_f32 v[12:13], v[24:25], v[22:23] neg_lo:[0,1] neg_hi:[0,1]
	v_mov_b32_e32 v32, v30
	v_pk_add_f32 v[22:23], v[32:33], v[12:13]
	s_nop 0
	v_mov_b32_e32 v24, v23
	v_pk_add_f32 v[24:25], v[22:23], v[24:25]
	s_nop 0
	v_pk_add_f32 v[26:27], v[18:19], v[24:25]
	v_mov_b32_e32 v13, v24
	v_mov_b32_e32 v23, v26
	v_pk_add_f32 v[28:29], v[22:23], v[30:31] neg_lo:[0,1] neg_hi:[0,1]
	s_nop 0
	v_sub_f32_e32 v18, v22, v28
	v_pk_add_f32 v[12:13], v[12:13], v[28:29] neg_lo:[0,1] neg_hi:[0,1]
	v_sub_f32_e32 v18, v30, v18
	v_add_f32_e32 v12, v12, v18
	v_add_f32_e32 v12, v12, v13
	;; [unrolled: 1-line block ×3, first 2 shown]
	v_cndmask_b32_e32 v18, v12, v34, vcc
.LBB55_83:                              ;   in Loop: Header=BB55_13 Depth=1
	s_or_b64 exec, exec, s[52:53]
	v_lshlrev_b32_e32 v12, 16, v14
	v_readlane_b32 s0, v95, 2
	s_nop 1
	v_add_f32_e32 v66, s0, v12
	v_cmp_ge_f32_e32 vcc, s6, v66
	s_and_b64 s[2:3], s[4:5], vcc
	s_and_saveexec_b64 s[52:53], s[2:3]
	s_cbranch_execz .LBB55_85
; %bb.84:                               ;   in Loop: Header=BB55_13 Depth=1
	v_mul_f32_e32 v12, 0x3fb8aa3b, v66
	v_rndne_f32_e32 v13, v12
	v_sub_f32_e32 v22, v12, v13
	v_fma_f32 v12, v66, s7, -v12
	v_fmac_f32_e32 v12, 0x32a5705f, v66
	v_add_f32_e32 v12, v22, v12
	v_cvt_i32_f32_e32 v13, v13
	v_exp_f32_e32 v12, v12
	v_cmp_ngt_f32_e32 vcc, s8, v66
	v_ldexp_f32 v12, v12, v13
	s_nop 0
	v_cndmask_b32_e32 v12, 0, v12, vcc
	v_cmp_nlt_f32_e32 vcc, s9, v66
	s_nop 1
	v_cndmask_b32_e32 v36, v41, v12, vcc
	v_add_f32_e32 v22, 1.0, v36
	v_add_f32_e32 v12, -1.0, v22
	v_sub_f32_e32 v13, v12, v22
	v_add_f32_e32 v13, 1.0, v13
	v_sub_f32_e32 v12, v36, v12
	v_add_f32_e32 v23, v12, v13
	v_frexp_mant_f32_e32 v24, v22
	v_cvt_f64_f32_e32 v[12:13], v22
	v_frexp_exp_i32_f64_e32 v12, v[12:13]
	v_cmp_gt_f32_e32 vcc, s11, v24
	v_cmp_gt_f32_e64 s[2:3], s54, v36
	s_nop 0
	v_subbrev_co_u32_e32 v28, vcc, 0, v12, vcc
	v_sub_u32_e32 v12, 0, v28
	v_ldexp_f32 v13, v22, v12
	v_add_f32_e32 v22, -1.0, v13
	v_add_f32_e32 v24, 1.0, v13
	v_ldexp_f32 v12, v23, v12
	v_add_f32_e32 v23, 1.0, v22
	v_add_f32_e32 v25, -1.0, v24
	v_sub_f32_e32 v23, v13, v23
	v_sub_f32_e32 v13, v13, v25
	v_add_f32_e32 v23, v12, v23
	v_add_f32_e32 v12, v12, v13
	;; [unrolled: 1-line block ×3, first 2 shown]
	v_rcp_f32_e32 v31, v29
	v_sub_f32_e32 v13, v24, v29
	v_add_f32_e32 v30, v12, v13
	v_add_f32_e32 v13, v22, v23
	v_mul_f32_e32 v33, v13, v31
	v_sub_f32_e32 v12, v22, v13
	v_mul_f32_e32 v22, v29, v33
	v_fma_f32 v24, v33, v29, -v22
	v_fmac_f32_e32 v24, v33, v30
	v_add_f32_e32 v32, v23, v12
	v_add_f32_e32 v12, v22, v24
	v_sub_f32_e32 v23, v13, v12
	v_pk_add_f32 v[26:27], v[12:13], v[22:23] neg_lo:[0,1] neg_hi:[0,1]
	v_mov_b32_e32 v25, v12
	v_pk_add_f32 v[12:13], v[26:27], v[24:25] neg_lo:[0,1] neg_hi:[0,1]
	v_cmp_eq_f32_e32 vcc, s10, v36
	v_add_f32_e32 v13, v32, v13
	v_add_f32_e32 v12, v12, v13
	;; [unrolled: 1-line block ×3, first 2 shown]
	v_mul_f32_e32 v32, v31, v13
	v_mul_f32_e32 v22, v29, v32
	v_fma_f32 v24, v32, v29, -v22
	v_fmac_f32_e32 v24, v32, v30
	v_sub_f32_e32 v23, v23, v13
	v_add_f32_e32 v29, v12, v23
	v_add_f32_e32 v12, v22, v24
	v_sub_f32_e32 v23, v13, v12
	v_pk_add_f32 v[26:27], v[12:13], v[22:23] neg_lo:[0,1] neg_hi:[0,1]
	v_mov_b32_e32 v25, v12
	v_pk_add_f32 v[12:13], v[26:27], v[24:25] neg_lo:[0,1] neg_hi:[0,1]
	s_or_b64 vcc, s[2:3], vcc
	v_add_f32_e32 v13, v29, v13
	v_add_f32_e32 v12, v12, v13
	;; [unrolled: 1-line block ×4, first 2 shown]
	v_sub_f32_e32 v22, v13, v33
	v_mul_f32_e32 v12, v31, v12
	v_sub_f32_e32 v22, v32, v22
	v_add_f32_e32 v22, v22, v12
	v_add_f32_e32 v24, v13, v22
	v_mul_f32_e32 v25, v24, v24
	v_fmamk_f32 v12, v25, 0x3e9b6dac, v40
	v_fmaak_f32 v43, v25, v12, 0x3f2aaada
	v_cvt_f32_i32_e32 v12, v28
	v_sub_f32_e32 v13, v24, v13
	v_sub_f32_e32 v13, v22, v13
	v_ldexp_f32 v26, v13, 1
	v_mul_f32_e32 v13, v24, v25
	v_ldexp_f32 v23, v24, 1
	v_pk_mul_f32 v[24:25], v[12:13], v[42:43]
	s_nop 0
	v_fma_f32 v22, v12, s33, -v24
	v_fmac_f32_e32 v22, 0xb102e308, v12
	v_pk_add_f32 v[12:13], v[24:25], v[22:23]
	s_nop 0
	v_sub_f32_e32 v23, v13, v23
	v_sub_f32_e32 v23, v25, v23
	v_add_f32_e32 v27, v26, v23
	v_mov_b32_e32 v26, v24
	v_pk_add_f32 v[24:25], v[12:13], v[24:25] neg_lo:[0,1] neg_hi:[0,1]
	v_pk_add_f32 v[28:29], v[12:13], v[26:27]
	v_mov_b32_e32 v23, v12
	v_mov_b32_e32 v25, v29
	v_pk_add_f32 v[30:31], v[22:23], v[24:25] neg_lo:[0,1] neg_hi:[0,1]
	v_pk_add_f32 v[22:23], v[22:23], v[24:25]
	v_mov_b32_e32 v26, v27
	v_mov_b32_e32 v24, v23
	v_pk_add_f32 v[32:33], v[24:25], v[12:13] neg_lo:[0,1] neg_hi:[0,1]
	v_mov_b32_e32 v22, v29
	v_mov_b32_e32 v25, v32
	v_pk_add_f32 v[34:35], v[28:29], v[24:25] neg_lo:[0,1] neg_hi:[0,1]
	v_mov_b32_e32 v28, v13
	v_mov_b32_e32 v29, v32
	;; [unrolled: 1-line block ×3, first 2 shown]
	v_pk_add_f32 v[22:23], v[22:23], v[28:29] neg_lo:[0,1] neg_hi:[0,1]
	v_mov_b32_e32 v27, v12
	v_pk_add_f32 v[12:13], v[26:27], v[22:23] neg_lo:[0,1] neg_hi:[0,1]
	v_mov_b32_e32 v34, v30
	v_pk_add_f32 v[22:23], v[34:35], v[12:13]
	s_nop 0
	v_mov_b32_e32 v26, v23
	v_pk_add_f32 v[26:27], v[22:23], v[26:27]
	s_nop 0
	v_pk_add_f32 v[24:25], v[24:25], v[26:27]
	v_mov_b32_e32 v13, v26
	v_mov_b32_e32 v23, v24
	v_pk_add_f32 v[28:29], v[22:23], v[30:31] neg_lo:[0,1] neg_hi:[0,1]
	s_nop 0
	v_sub_f32_e32 v22, v22, v28
	v_pk_add_f32 v[12:13], v[12:13], v[28:29] neg_lo:[0,1] neg_hi:[0,1]
	v_sub_f32_e32 v22, v30, v22
	v_add_f32_e32 v12, v12, v22
	v_add_f32_e32 v12, v12, v13
	;; [unrolled: 1-line block ×3, first 2 shown]
	v_cndmask_b32_e32 v66, v12, v36, vcc
.LBB55_85:                              ;   in Loop: Header=BB55_13 Depth=1
	s_or_b64 exec, exec, s[52:53]
	v_and_b32_e32 v12, 0xffff0000, v14
	v_readlane_b32 s0, v95, 2
	s_nop 1
	v_add_f32_e32 v67, s0, v12
	v_cmp_ge_f32_e32 vcc, s6, v67
	s_and_b64 s[2:3], s[4:5], vcc
	s_and_saveexec_b64 s[52:53], s[2:3]
	s_cbranch_execz .LBB55_87
; %bb.86:                               ;   in Loop: Header=BB55_13 Depth=1
	v_mul_f32_e32 v12, 0x3fb8aa3b, v67
	v_rndne_f32_e32 v13, v12
	v_sub_f32_e32 v14, v12, v13
	v_fma_f32 v12, v67, s7, -v12
	v_fmac_f32_e32 v12, 0x32a5705f, v67
	v_add_f32_e32 v12, v14, v12
	v_cvt_i32_f32_e32 v13, v13
	v_exp_f32_e32 v12, v12
	v_cmp_ngt_f32_e32 vcc, s8, v67
	v_ldexp_f32 v12, v12, v13
	s_nop 0
	v_cndmask_b32_e32 v12, 0, v12, vcc
	v_cmp_nlt_f32_e32 vcc, s9, v67
	s_nop 1
	v_cndmask_b32_e32 v34, v41, v12, vcc
	v_add_f32_e32 v14, 1.0, v34
	v_add_f32_e32 v12, -1.0, v14
	v_sub_f32_e32 v13, v12, v14
	v_add_f32_e32 v13, 1.0, v13
	v_sub_f32_e32 v12, v34, v12
	v_add_f32_e32 v22, v12, v13
	v_frexp_mant_f32_e32 v23, v14
	v_cvt_f64_f32_e32 v[12:13], v14
	v_frexp_exp_i32_f64_e32 v12, v[12:13]
	v_cmp_gt_f32_e32 vcc, s11, v23
	v_cmp_gt_f32_e64 s[2:3], s54, v34
	s_nop 0
	v_subbrev_co_u32_e32 v28, vcc, 0, v12, vcc
	v_sub_u32_e32 v12, 0, v28
	v_ldexp_f32 v13, v14, v12
	v_add_f32_e32 v14, -1.0, v13
	v_add_f32_e32 v23, 1.0, v13
	v_ldexp_f32 v12, v22, v12
	v_add_f32_e32 v22, 1.0, v14
	v_add_f32_e32 v24, -1.0, v23
	v_sub_f32_e32 v22, v13, v22
	v_sub_f32_e32 v13, v13, v24
	v_add_f32_e32 v22, v12, v22
	v_add_f32_e32 v12, v12, v13
	;; [unrolled: 1-line block ×3, first 2 shown]
	v_rcp_f32_e32 v31, v29
	v_sub_f32_e32 v13, v23, v29
	v_add_f32_e32 v30, v12, v13
	v_add_f32_e32 v13, v14, v22
	v_sub_f32_e32 v12, v14, v13
	v_mul_f32_e32 v32, v13, v31
	v_add_f32_e32 v14, v22, v12
	v_mul_f32_e32 v22, v29, v32
	v_fma_f32 v24, v32, v29, -v22
	v_fmac_f32_e32 v24, v32, v30
	v_add_f32_e32 v12, v22, v24
	v_sub_f32_e32 v23, v13, v12
	v_pk_add_f32 v[26:27], v[12:13], v[22:23] neg_lo:[0,1] neg_hi:[0,1]
	v_mov_b32_e32 v25, v12
	v_pk_add_f32 v[12:13], v[26:27], v[24:25] neg_lo:[0,1] neg_hi:[0,1]
	v_cmp_eq_f32_e32 vcc, s10, v34
	v_add_f32_e32 v13, v14, v13
	v_add_f32_e32 v12, v12, v13
	v_add_f32_e32 v13, v23, v12
	v_mul_f32_e32 v14, v31, v13
	v_mul_f32_e32 v22, v29, v14
	v_fma_f32 v24, v14, v29, -v22
	v_fmac_f32_e32 v24, v14, v30
	v_sub_f32_e32 v23, v23, v13
	v_add_f32_e32 v29, v12, v23
	v_add_f32_e32 v12, v22, v24
	v_sub_f32_e32 v23, v13, v12
	v_pk_add_f32 v[26:27], v[12:13], v[22:23] neg_lo:[0,1] neg_hi:[0,1]
	v_mov_b32_e32 v25, v12
	v_pk_add_f32 v[12:13], v[26:27], v[24:25] neg_lo:[0,1] neg_hi:[0,1]
	s_or_b64 vcc, s[2:3], vcc
	v_add_f32_e32 v13, v29, v13
	v_add_f32_e32 v12, v12, v13
	;; [unrolled: 1-line block ×4, first 2 shown]
	v_sub_f32_e32 v22, v13, v32
	v_mul_f32_e32 v12, v31, v12
	v_sub_f32_e32 v14, v14, v22
	v_add_f32_e32 v14, v14, v12
	v_add_f32_e32 v22, v13, v14
	v_mul_f32_e32 v24, v22, v22
	v_fmamk_f32 v12, v24, 0x3e9b6dac, v40
	v_fmaak_f32 v43, v24, v12, 0x3f2aaada
	v_cvt_f32_i32_e32 v12, v28
	v_sub_f32_e32 v13, v22, v13
	v_sub_f32_e32 v13, v14, v13
	v_ldexp_f32 v14, v13, 1
	v_mul_f32_e32 v13, v22, v24
	v_pk_mul_f32 v[24:25], v[12:13], v[42:43]
	v_ldexp_f32 v23, v22, 1
	v_fma_f32 v22, v12, s33, -v24
	v_fmac_f32_e32 v22, 0xb102e308, v12
	v_pk_add_f32 v[12:13], v[24:25], v[22:23]
	v_mov_b32_e32 v26, v24
	v_sub_f32_e32 v23, v13, v23
	v_sub_f32_e32 v23, v25, v23
	v_add_f32_e32 v27, v14, v23
	v_pk_add_f32 v[24:25], v[12:13], v[24:25] neg_lo:[0,1] neg_hi:[0,1]
	v_pk_add_f32 v[28:29], v[12:13], v[26:27]
	v_mov_b32_e32 v23, v12
	v_mov_b32_e32 v25, v29
	v_pk_add_f32 v[30:31], v[22:23], v[24:25] neg_lo:[0,1] neg_hi:[0,1]
	v_pk_add_f32 v[22:23], v[22:23], v[24:25]
	s_nop 0
	v_mov_b32_e32 v14, v23
	v_pk_add_f32 v[24:25], v[14:15], v[12:13] neg_lo:[0,1] neg_hi:[0,1]
	v_mov_b32_e32 v22, v29
	v_mov_b32_e32 v25, v24
	v_pk_add_f32 v[32:33], v[28:29], v[24:25] neg_lo:[0,1] neg_hi:[0,1]
	v_mov_b32_e32 v28, v13
	v_mov_b32_e32 v29, v24
	;; [unrolled: 1-line block ×3, first 2 shown]
	v_pk_add_f32 v[22:23], v[22:23], v[28:29] neg_lo:[0,1] neg_hi:[0,1]
	v_mov_b32_e32 v24, v27
	v_mov_b32_e32 v25, v12
	v_pk_add_f32 v[12:13], v[24:25], v[22:23] neg_lo:[0,1] neg_hi:[0,1]
	v_mov_b32_e32 v32, v30
	v_pk_add_f32 v[22:23], v[32:33], v[12:13]
	s_nop 0
	v_mov_b32_e32 v24, v23
	v_pk_add_f32 v[24:25], v[22:23], v[24:25]
	s_nop 0
	v_pk_add_f32 v[26:27], v[14:15], v[24:25]
	v_mov_b32_e32 v13, v24
	v_mov_b32_e32 v23, v26
	v_pk_add_f32 v[28:29], v[22:23], v[30:31] neg_lo:[0,1] neg_hi:[0,1]
	s_nop 0
	v_sub_f32_e32 v14, v22, v28
	v_pk_add_f32 v[12:13], v[12:13], v[28:29] neg_lo:[0,1] neg_hi:[0,1]
	v_sub_f32_e32 v14, v30, v14
	v_add_f32_e32 v12, v12, v14
	v_add_f32_e32 v12, v12, v13
	;; [unrolled: 1-line block ×3, first 2 shown]
	v_cndmask_b32_e32 v67, v12, v34, vcc
.LBB55_87:                              ;   in Loop: Header=BB55_13 Depth=1
	s_or_b64 exec, exec, s[52:53]
	v_lshlrev_b32_e32 v12, 16, v15
	v_readlane_b32 s0, v95, 2
	s_nop 1
	v_add_f32_e32 v70, s0, v12
	v_cmp_ge_f32_e32 vcc, s6, v70
	s_and_b64 s[2:3], s[4:5], vcc
	s_and_saveexec_b64 s[52:53], s[2:3]
	s_cbranch_execz .LBB55_89
; %bb.88:                               ;   in Loop: Header=BB55_13 Depth=1
	v_mul_f32_e32 v12, 0x3fb8aa3b, v70
	v_rndne_f32_e32 v13, v12
	v_sub_f32_e32 v14, v12, v13
	v_fma_f32 v12, v70, s7, -v12
	v_fmac_f32_e32 v12, 0x32a5705f, v70
	v_add_f32_e32 v12, v14, v12
	v_cvt_i32_f32_e32 v13, v13
	v_exp_f32_e32 v12, v12
	v_cmp_ngt_f32_e32 vcc, s8, v70
	v_ldexp_f32 v12, v12, v13
	s_nop 0
	v_cndmask_b32_e32 v12, 0, v12, vcc
	v_cmp_nlt_f32_e32 vcc, s9, v70
	s_nop 1
	v_cndmask_b32_e32 v34, v41, v12, vcc
	v_add_f32_e32 v14, 1.0, v34
	v_add_f32_e32 v12, -1.0, v14
	v_sub_f32_e32 v13, v12, v14
	v_add_f32_e32 v13, 1.0, v13
	v_sub_f32_e32 v12, v34, v12
	v_add_f32_e32 v22, v12, v13
	v_frexp_mant_f32_e32 v23, v14
	v_cvt_f64_f32_e32 v[12:13], v14
	v_frexp_exp_i32_f64_e32 v12, v[12:13]
	v_cmp_gt_f32_e32 vcc, s11, v23
	v_cmp_gt_f32_e64 s[2:3], s54, v34
	s_nop 0
	v_subbrev_co_u32_e32 v28, vcc, 0, v12, vcc
	v_sub_u32_e32 v12, 0, v28
	v_ldexp_f32 v13, v14, v12
	v_add_f32_e32 v14, -1.0, v13
	v_add_f32_e32 v23, 1.0, v13
	v_ldexp_f32 v12, v22, v12
	v_add_f32_e32 v22, 1.0, v14
	v_add_f32_e32 v24, -1.0, v23
	v_sub_f32_e32 v22, v13, v22
	v_sub_f32_e32 v13, v13, v24
	v_add_f32_e32 v22, v12, v22
	v_add_f32_e32 v12, v12, v13
	;; [unrolled: 1-line block ×3, first 2 shown]
	v_rcp_f32_e32 v31, v29
	v_sub_f32_e32 v13, v23, v29
	v_add_f32_e32 v30, v12, v13
	v_add_f32_e32 v13, v14, v22
	v_sub_f32_e32 v12, v14, v13
	v_mul_f32_e32 v32, v13, v31
	v_add_f32_e32 v14, v22, v12
	v_mul_f32_e32 v22, v29, v32
	v_fma_f32 v24, v32, v29, -v22
	v_fmac_f32_e32 v24, v32, v30
	v_add_f32_e32 v12, v22, v24
	v_sub_f32_e32 v23, v13, v12
	v_pk_add_f32 v[26:27], v[12:13], v[22:23] neg_lo:[0,1] neg_hi:[0,1]
	v_mov_b32_e32 v25, v12
	v_pk_add_f32 v[12:13], v[26:27], v[24:25] neg_lo:[0,1] neg_hi:[0,1]
	v_cmp_eq_f32_e32 vcc, s10, v34
	v_add_f32_e32 v13, v14, v13
	v_add_f32_e32 v12, v12, v13
	;; [unrolled: 1-line block ×3, first 2 shown]
	v_mul_f32_e32 v14, v31, v13
	v_mul_f32_e32 v22, v29, v14
	v_fma_f32 v24, v14, v29, -v22
	v_fmac_f32_e32 v24, v14, v30
	v_sub_f32_e32 v23, v23, v13
	v_add_f32_e32 v29, v12, v23
	v_add_f32_e32 v12, v22, v24
	v_sub_f32_e32 v23, v13, v12
	v_pk_add_f32 v[26:27], v[12:13], v[22:23] neg_lo:[0,1] neg_hi:[0,1]
	v_mov_b32_e32 v25, v12
	v_pk_add_f32 v[12:13], v[26:27], v[24:25] neg_lo:[0,1] neg_hi:[0,1]
	s_or_b64 vcc, s[2:3], vcc
	v_add_f32_e32 v13, v29, v13
	v_add_f32_e32 v12, v12, v13
	;; [unrolled: 1-line block ×4, first 2 shown]
	v_sub_f32_e32 v22, v13, v32
	v_mul_f32_e32 v12, v31, v12
	v_sub_f32_e32 v14, v14, v22
	v_add_f32_e32 v14, v14, v12
	v_add_f32_e32 v22, v13, v14
	v_mul_f32_e32 v24, v22, v22
	v_fmamk_f32 v12, v24, 0x3e9b6dac, v40
	v_fmaak_f32 v43, v24, v12, 0x3f2aaada
	v_cvt_f32_i32_e32 v12, v28
	v_sub_f32_e32 v13, v22, v13
	v_sub_f32_e32 v13, v14, v13
	v_ldexp_f32 v14, v13, 1
	v_mul_f32_e32 v13, v22, v24
	v_pk_mul_f32 v[24:25], v[12:13], v[42:43]
	v_ldexp_f32 v23, v22, 1
	v_fma_f32 v22, v12, s33, -v24
	v_fmac_f32_e32 v22, 0xb102e308, v12
	v_pk_add_f32 v[12:13], v[24:25], v[22:23]
	v_mov_b32_e32 v26, v24
	v_sub_f32_e32 v23, v13, v23
	v_sub_f32_e32 v23, v25, v23
	v_add_f32_e32 v27, v14, v23
	v_pk_add_f32 v[24:25], v[12:13], v[24:25] neg_lo:[0,1] neg_hi:[0,1]
	v_pk_add_f32 v[28:29], v[12:13], v[26:27]
	v_mov_b32_e32 v23, v12
	v_mov_b32_e32 v25, v29
	v_pk_add_f32 v[30:31], v[22:23], v[24:25] neg_lo:[0,1] neg_hi:[0,1]
	v_pk_add_f32 v[22:23], v[22:23], v[24:25]
	s_nop 0
	v_mov_b32_e32 v14, v23
	v_pk_add_f32 v[24:25], v[14:15], v[12:13] neg_lo:[0,1] neg_hi:[0,1]
	v_mov_b32_e32 v22, v29
	v_mov_b32_e32 v25, v24
	v_pk_add_f32 v[32:33], v[28:29], v[24:25] neg_lo:[0,1] neg_hi:[0,1]
	v_mov_b32_e32 v28, v13
	v_mov_b32_e32 v29, v24
	;; [unrolled: 1-line block ×3, first 2 shown]
	v_pk_add_f32 v[22:23], v[22:23], v[28:29] neg_lo:[0,1] neg_hi:[0,1]
	v_mov_b32_e32 v24, v27
	v_mov_b32_e32 v25, v12
	v_pk_add_f32 v[12:13], v[24:25], v[22:23] neg_lo:[0,1] neg_hi:[0,1]
	v_mov_b32_e32 v32, v30
	v_pk_add_f32 v[22:23], v[32:33], v[12:13]
	s_nop 0
	v_mov_b32_e32 v24, v23
	v_pk_add_f32 v[24:25], v[22:23], v[24:25]
	s_nop 0
	v_pk_add_f32 v[26:27], v[14:15], v[24:25]
	v_mov_b32_e32 v13, v24
	v_mov_b32_e32 v23, v26
	v_pk_add_f32 v[28:29], v[22:23], v[30:31] neg_lo:[0,1] neg_hi:[0,1]
	s_nop 0
	v_sub_f32_e32 v14, v22, v28
	v_pk_add_f32 v[12:13], v[12:13], v[28:29] neg_lo:[0,1] neg_hi:[0,1]
	v_sub_f32_e32 v14, v30, v14
	v_add_f32_e32 v12, v12, v14
	v_add_f32_e32 v12, v12, v13
	;; [unrolled: 1-line block ×3, first 2 shown]
	v_cndmask_b32_e32 v70, v12, v34, vcc
.LBB55_89:                              ;   in Loop: Header=BB55_13 Depth=1
	s_or_b64 exec, exec, s[52:53]
	v_and_b32_e32 v12, 0xffff0000, v15
	v_readlane_b32 s0, v95, 2
	s_nop 1
	v_add_f32_e32 v88, s0, v12
	v_cmp_ge_f32_e32 vcc, s6, v88
	s_and_b64 s[2:3], s[4:5], vcc
	s_and_saveexec_b64 s[52:53], s[2:3]
	s_cbranch_execz .LBB55_91
; %bb.90:                               ;   in Loop: Header=BB55_13 Depth=1
	v_mul_f32_e32 v12, 0x3fb8aa3b, v88
	v_rndne_f32_e32 v13, v12
	v_sub_f32_e32 v14, v12, v13
	v_fma_f32 v12, v88, s7, -v12
	v_fmac_f32_e32 v12, 0x32a5705f, v88
	v_add_f32_e32 v12, v14, v12
	v_cvt_i32_f32_e32 v13, v13
	v_exp_f32_e32 v12, v12
	v_cmp_ngt_f32_e32 vcc, s8, v88
	v_ldexp_f32 v12, v12, v13
	s_nop 0
	v_cndmask_b32_e32 v12, 0, v12, vcc
	v_cmp_nlt_f32_e32 vcc, s9, v88
	s_nop 1
	v_cndmask_b32_e32 v34, v41, v12, vcc
	v_add_f32_e32 v14, 1.0, v34
	v_add_f32_e32 v12, -1.0, v14
	v_sub_f32_e32 v13, v12, v14
	v_add_f32_e32 v13, 1.0, v13
	v_sub_f32_e32 v12, v34, v12
	v_add_f32_e32 v15, v12, v13
	v_frexp_mant_f32_e32 v22, v14
	v_cvt_f64_f32_e32 v[12:13], v14
	v_frexp_exp_i32_f64_e32 v12, v[12:13]
	v_cmp_gt_f32_e32 vcc, s11, v22
	v_cmp_gt_f32_e64 s[2:3], s54, v34
	s_nop 0
	v_subbrev_co_u32_e32 v26, vcc, 0, v12, vcc
	v_sub_u32_e32 v12, 0, v26
	v_ldexp_f32 v13, v14, v12
	v_add_f32_e32 v14, -1.0, v13
	v_add_f32_e32 v22, 1.0, v13
	v_ldexp_f32 v12, v15, v12
	v_add_f32_e32 v15, 1.0, v14
	v_add_f32_e32 v23, -1.0, v22
	v_sub_f32_e32 v15, v13, v15
	v_sub_f32_e32 v13, v13, v23
	v_add_f32_e32 v15, v12, v15
	v_add_f32_e32 v12, v12, v13
	;; [unrolled: 1-line block ×3, first 2 shown]
	v_rcp_f32_e32 v29, v27
	v_sub_f32_e32 v13, v22, v27
	v_add_f32_e32 v28, v12, v13
	v_add_f32_e32 v13, v14, v15
	v_mul_f32_e32 v31, v13, v29
	v_sub_f32_e32 v12, v14, v13
	v_mul_f32_e32 v14, v27, v31
	v_fma_f32 v22, v31, v27, -v14
	v_fmac_f32_e32 v22, v31, v28
	v_add_f32_e32 v30, v15, v12
	v_add_f32_e32 v12, v14, v22
	v_sub_f32_e32 v15, v13, v12
	v_pk_add_f32 v[24:25], v[12:13], v[14:15] neg_lo:[0,1] neg_hi:[0,1]
	v_mov_b32_e32 v23, v12
	v_pk_add_f32 v[12:13], v[24:25], v[22:23] neg_lo:[0,1] neg_hi:[0,1]
	v_cmp_eq_f32_e32 vcc, s10, v34
	v_add_f32_e32 v13, v30, v13
	v_add_f32_e32 v12, v12, v13
	;; [unrolled: 1-line block ×3, first 2 shown]
	v_mul_f32_e32 v30, v29, v13
	v_mul_f32_e32 v14, v27, v30
	v_fma_f32 v22, v30, v27, -v14
	v_fmac_f32_e32 v22, v30, v28
	v_sub_f32_e32 v15, v15, v13
	v_add_f32_e32 v27, v12, v15
	v_add_f32_e32 v12, v14, v22
	v_sub_f32_e32 v15, v13, v12
	v_pk_add_f32 v[24:25], v[12:13], v[14:15] neg_lo:[0,1] neg_hi:[0,1]
	v_mov_b32_e32 v23, v12
	v_pk_add_f32 v[12:13], v[24:25], v[22:23] neg_lo:[0,1] neg_hi:[0,1]
	s_or_b64 vcc, s[2:3], vcc
	v_add_f32_e32 v13, v27, v13
	v_add_f32_e32 v12, v12, v13
	;; [unrolled: 1-line block ×4, first 2 shown]
	v_sub_f32_e32 v14, v13, v31
	v_mul_f32_e32 v12, v29, v12
	v_sub_f32_e32 v14, v30, v14
	v_add_f32_e32 v14, v14, v12
	v_add_f32_e32 v22, v13, v14
	v_mul_f32_e32 v23, v22, v22
	v_fmamk_f32 v12, v23, 0x3e9b6dac, v40
	v_fmaak_f32 v43, v23, v12, 0x3f2aaada
	v_cvt_f32_i32_e32 v12, v26
	v_sub_f32_e32 v13, v22, v13
	v_sub_f32_e32 v13, v14, v13
	v_ldexp_f32 v24, v13, 1
	v_mul_f32_e32 v13, v22, v23
	v_ldexp_f32 v15, v22, 1
	v_pk_mul_f32 v[22:23], v[12:13], v[42:43]
	s_nop 0
	v_fma_f32 v14, v12, s33, -v22
	v_fmac_f32_e32 v14, 0xb102e308, v12
	v_pk_add_f32 v[12:13], v[22:23], v[14:15]
	s_nop 0
	v_sub_f32_e32 v15, v13, v15
	v_sub_f32_e32 v15, v23, v15
	v_add_f32_e32 v25, v24, v15
	v_mov_b32_e32 v24, v22
	v_pk_add_f32 v[22:23], v[12:13], v[22:23] neg_lo:[0,1] neg_hi:[0,1]
	v_pk_add_f32 v[26:27], v[12:13], v[24:25]
	v_mov_b32_e32 v15, v12
	v_mov_b32_e32 v23, v27
	v_pk_add_f32 v[28:29], v[14:15], v[22:23] neg_lo:[0,1] neg_hi:[0,1]
	v_pk_add_f32 v[14:15], v[14:15], v[22:23]
	v_mov_b32_e32 v24, v25
	v_mov_b32_e32 v22, v15
	v_pk_add_f32 v[30:31], v[22:23], v[12:13] neg_lo:[0,1] neg_hi:[0,1]
	v_mov_b32_e32 v14, v27
	v_mov_b32_e32 v23, v30
	v_pk_add_f32 v[32:33], v[26:27], v[22:23] neg_lo:[0,1] neg_hi:[0,1]
	v_mov_b32_e32 v26, v13
	v_mov_b32_e32 v27, v30
	;; [unrolled: 1-line block ×3, first 2 shown]
	v_pk_add_f32 v[14:15], v[14:15], v[26:27] neg_lo:[0,1] neg_hi:[0,1]
	v_mov_b32_e32 v25, v12
	v_pk_add_f32 v[12:13], v[24:25], v[14:15] neg_lo:[0,1] neg_hi:[0,1]
	v_mov_b32_e32 v32, v28
	v_pk_add_f32 v[14:15], v[32:33], v[12:13]
	s_nop 0
	v_mov_b32_e32 v24, v15
	v_pk_add_f32 v[24:25], v[14:15], v[24:25]
	s_nop 0
	v_pk_add_f32 v[22:23], v[22:23], v[24:25]
	v_mov_b32_e32 v13, v24
	v_mov_b32_e32 v15, v22
	v_pk_add_f32 v[26:27], v[14:15], v[28:29] neg_lo:[0,1] neg_hi:[0,1]
	s_nop 0
	v_sub_f32_e32 v14, v14, v26
	v_pk_add_f32 v[12:13], v[12:13], v[26:27] neg_lo:[0,1] neg_hi:[0,1]
	v_sub_f32_e32 v14, v28, v14
	v_add_f32_e32 v12, v12, v14
	v_add_f32_e32 v12, v12, v13
	;; [unrolled: 1-line block ×3, first 2 shown]
	v_cndmask_b32_e32 v88, v12, v34, vcc
.LBB55_91:                              ;   in Loop: Header=BB55_13 Depth=1
	s_or_b64 exec, exec, s[52:53]
	s_waitcnt lgkmcnt(0)
	v_lshlrev_b32_e32 v12, 16, v8
	v_readlane_b32 s0, v95, 2
	s_nop 1
	v_add_f32_e32 v89, s0, v12
	v_cmp_ge_f32_e32 vcc, s6, v89
	s_and_b64 s[2:3], s[4:5], vcc
	s_and_saveexec_b64 s[52:53], s[2:3]
	s_cbranch_execz .LBB55_93
; %bb.92:                               ;   in Loop: Header=BB55_13 Depth=1
	v_mul_f32_e32 v12, 0x3fb8aa3b, v89
	v_rndne_f32_e32 v13, v12
	v_sub_f32_e32 v14, v12, v13
	v_fma_f32 v12, v89, s7, -v12
	v_fmac_f32_e32 v12, 0x32a5705f, v89
	v_add_f32_e32 v12, v14, v12
	v_cvt_i32_f32_e32 v13, v13
	v_exp_f32_e32 v12, v12
	v_cmp_ngt_f32_e32 vcc, s8, v89
	v_ldexp_f32 v12, v12, v13
	s_nop 0
	v_cndmask_b32_e32 v12, 0, v12, vcc
	v_cmp_nlt_f32_e32 vcc, s9, v89
	s_nop 1
	v_cndmask_b32_e32 v34, v41, v12, vcc
	v_add_f32_e32 v14, 1.0, v34
	v_add_f32_e32 v12, -1.0, v14
	v_sub_f32_e32 v13, v12, v14
	v_add_f32_e32 v13, 1.0, v13
	v_sub_f32_e32 v12, v34, v12
	v_add_f32_e32 v15, v12, v13
	v_frexp_mant_f32_e32 v22, v14
	v_cvt_f64_f32_e32 v[12:13], v14
	v_frexp_exp_i32_f64_e32 v12, v[12:13]
	v_cmp_gt_f32_e32 vcc, s11, v22
	v_cmp_gt_f32_e64 s[2:3], s54, v34
	s_nop 0
	v_subbrev_co_u32_e32 v26, vcc, 0, v12, vcc
	v_sub_u32_e32 v12, 0, v26
	v_ldexp_f32 v13, v14, v12
	v_add_f32_e32 v14, -1.0, v13
	v_add_f32_e32 v22, 1.0, v13
	v_ldexp_f32 v12, v15, v12
	v_add_f32_e32 v15, 1.0, v14
	v_add_f32_e32 v23, -1.0, v22
	v_sub_f32_e32 v15, v13, v15
	v_sub_f32_e32 v13, v13, v23
	v_add_f32_e32 v15, v12, v15
	v_add_f32_e32 v12, v12, v13
	v_add_f32_e32 v27, v22, v12
	v_rcp_f32_e32 v29, v27
	v_sub_f32_e32 v13, v22, v27
	v_add_f32_e32 v28, v12, v13
	v_add_f32_e32 v13, v14, v15
	v_mul_f32_e32 v31, v13, v29
	v_sub_f32_e32 v12, v14, v13
	v_mul_f32_e32 v14, v27, v31
	v_fma_f32 v22, v31, v27, -v14
	v_fmac_f32_e32 v22, v31, v28
	v_add_f32_e32 v30, v15, v12
	v_add_f32_e32 v12, v14, v22
	v_sub_f32_e32 v15, v13, v12
	v_pk_add_f32 v[24:25], v[12:13], v[14:15] neg_lo:[0,1] neg_hi:[0,1]
	v_mov_b32_e32 v23, v12
	v_pk_add_f32 v[12:13], v[24:25], v[22:23] neg_lo:[0,1] neg_hi:[0,1]
	v_cmp_eq_f32_e32 vcc, s10, v34
	v_add_f32_e32 v13, v30, v13
	v_add_f32_e32 v12, v12, v13
	;; [unrolled: 1-line block ×3, first 2 shown]
	v_mul_f32_e32 v30, v29, v13
	v_mul_f32_e32 v14, v27, v30
	v_fma_f32 v22, v30, v27, -v14
	v_fmac_f32_e32 v22, v30, v28
	v_sub_f32_e32 v15, v15, v13
	v_add_f32_e32 v27, v12, v15
	v_add_f32_e32 v12, v14, v22
	v_sub_f32_e32 v15, v13, v12
	v_pk_add_f32 v[24:25], v[12:13], v[14:15] neg_lo:[0,1] neg_hi:[0,1]
	v_mov_b32_e32 v23, v12
	v_pk_add_f32 v[12:13], v[24:25], v[22:23] neg_lo:[0,1] neg_hi:[0,1]
	s_or_b64 vcc, s[2:3], vcc
	v_add_f32_e32 v13, v27, v13
	v_add_f32_e32 v12, v12, v13
	;; [unrolled: 1-line block ×4, first 2 shown]
	v_sub_f32_e32 v14, v13, v31
	v_mul_f32_e32 v12, v29, v12
	v_sub_f32_e32 v14, v30, v14
	v_add_f32_e32 v14, v14, v12
	v_add_f32_e32 v22, v13, v14
	v_mul_f32_e32 v23, v22, v22
	v_fmamk_f32 v12, v23, 0x3e9b6dac, v40
	v_fmaak_f32 v43, v23, v12, 0x3f2aaada
	v_cvt_f32_i32_e32 v12, v26
	v_sub_f32_e32 v13, v22, v13
	v_sub_f32_e32 v13, v14, v13
	v_ldexp_f32 v24, v13, 1
	v_mul_f32_e32 v13, v22, v23
	v_ldexp_f32 v15, v22, 1
	v_pk_mul_f32 v[22:23], v[12:13], v[42:43]
	s_nop 0
	v_fma_f32 v14, v12, s33, -v22
	v_fmac_f32_e32 v14, 0xb102e308, v12
	v_pk_add_f32 v[12:13], v[22:23], v[14:15]
	s_nop 0
	v_sub_f32_e32 v15, v13, v15
	v_sub_f32_e32 v15, v23, v15
	v_add_f32_e32 v25, v24, v15
	v_mov_b32_e32 v24, v22
	v_pk_add_f32 v[22:23], v[12:13], v[22:23] neg_lo:[0,1] neg_hi:[0,1]
	v_pk_add_f32 v[26:27], v[12:13], v[24:25]
	v_mov_b32_e32 v15, v12
	v_mov_b32_e32 v23, v27
	v_pk_add_f32 v[28:29], v[14:15], v[22:23] neg_lo:[0,1] neg_hi:[0,1]
	v_pk_add_f32 v[14:15], v[14:15], v[22:23]
	v_mov_b32_e32 v24, v25
	v_mov_b32_e32 v22, v15
	v_pk_add_f32 v[30:31], v[22:23], v[12:13] neg_lo:[0,1] neg_hi:[0,1]
	v_mov_b32_e32 v14, v27
	v_mov_b32_e32 v23, v30
	v_pk_add_f32 v[32:33], v[26:27], v[22:23] neg_lo:[0,1] neg_hi:[0,1]
	v_mov_b32_e32 v26, v13
	v_mov_b32_e32 v27, v30
	v_mov_b32_e32 v29, v15
	v_pk_add_f32 v[14:15], v[14:15], v[26:27] neg_lo:[0,1] neg_hi:[0,1]
	v_mov_b32_e32 v25, v12
	v_pk_add_f32 v[12:13], v[24:25], v[14:15] neg_lo:[0,1] neg_hi:[0,1]
	v_mov_b32_e32 v32, v28
	v_pk_add_f32 v[14:15], v[32:33], v[12:13]
	s_nop 0
	v_mov_b32_e32 v24, v15
	v_pk_add_f32 v[24:25], v[14:15], v[24:25]
	s_nop 0
	v_pk_add_f32 v[22:23], v[22:23], v[24:25]
	v_mov_b32_e32 v13, v24
	v_mov_b32_e32 v15, v22
	v_pk_add_f32 v[26:27], v[14:15], v[28:29] neg_lo:[0,1] neg_hi:[0,1]
	s_nop 0
	v_sub_f32_e32 v14, v14, v26
	v_pk_add_f32 v[12:13], v[12:13], v[26:27] neg_lo:[0,1] neg_hi:[0,1]
	v_sub_f32_e32 v14, v28, v14
	v_add_f32_e32 v12, v12, v14
	v_add_f32_e32 v12, v12, v13
	;; [unrolled: 1-line block ×3, first 2 shown]
	v_cndmask_b32_e32 v89, v12, v34, vcc
.LBB55_93:                              ;   in Loop: Header=BB55_13 Depth=1
	s_or_b64 exec, exec, s[52:53]
	v_and_b32_e32 v8, 0xffff0000, v8
	v_readlane_b32 s0, v95, 2
	s_nop 1
	v_add_f32_e32 v90, s0, v8
	v_cmp_ge_f32_e32 vcc, s6, v90
	s_and_b64 s[2:3], s[4:5], vcc
	s_and_saveexec_b64 s[52:53], s[2:3]
	s_cbranch_execz .LBB55_95
; %bb.94:                               ;   in Loop: Header=BB55_13 Depth=1
	v_mul_f32_e32 v8, 0x3fb8aa3b, v90
	v_rndne_f32_e32 v12, v8
	v_sub_f32_e32 v13, v8, v12
	v_fma_f32 v8, v90, s7, -v8
	v_fmac_f32_e32 v8, 0x32a5705f, v90
	v_add_f32_e32 v8, v13, v8
	v_cvt_i32_f32_e32 v12, v12
	v_exp_f32_e32 v8, v8
	v_cmp_ngt_f32_e32 vcc, s8, v90
	v_ldexp_f32 v8, v8, v12
	s_nop 0
	v_cndmask_b32_e32 v8, 0, v8, vcc
	v_cmp_nlt_f32_e32 vcc, s9, v90
	s_nop 1
	v_cndmask_b32_e32 v32, v41, v8, vcc
	v_add_f32_e32 v8, 1.0, v32
	v_add_f32_e32 v12, -1.0, v8
	v_sub_f32_e32 v13, v12, v8
	v_add_f32_e32 v13, 1.0, v13
	v_sub_f32_e32 v12, v32, v12
	v_add_f32_e32 v14, v12, v13
	v_frexp_mant_f32_e32 v15, v8
	v_cvt_f64_f32_e32 v[12:13], v8
	v_frexp_exp_i32_f64_e32 v12, v[12:13]
	v_cmp_gt_f32_e32 vcc, s11, v15
	v_cmp_gt_f32_e64 s[2:3], s54, v32
	s_nop 0
	v_subbrev_co_u32_e32 v26, vcc, 0, v12, vcc
	v_sub_u32_e32 v12, 0, v26
	v_ldexp_f32 v8, v8, v12
	v_ldexp_f32 v12, v14, v12
	v_add_f32_e32 v14, -1.0, v8
	v_add_f32_e32 v13, 1.0, v14
	v_sub_f32_e32 v13, v8, v13
	v_add_f32_e32 v15, v12, v13
	v_add_f32_e32 v13, 1.0, v8
	v_add_f32_e32 v22, -1.0, v13
	v_sub_f32_e32 v8, v8, v22
	v_add_f32_e32 v8, v12, v8
	v_add_f32_e32 v27, v13, v8
	v_rcp_f32_e32 v28, v27
	v_sub_f32_e32 v12, v13, v27
	v_add_f32_e32 v13, v14, v15
	v_add_f32_e32 v8, v8, v12
	v_mul_f32_e32 v30, v13, v28
	v_sub_f32_e32 v12, v14, v13
	v_mul_f32_e32 v14, v27, v30
	v_fma_f32 v22, v30, v27, -v14
	v_fmac_f32_e32 v22, v30, v8
	v_add_f32_e32 v29, v15, v12
	v_add_f32_e32 v12, v14, v22
	v_sub_f32_e32 v15, v13, v12
	v_pk_add_f32 v[24:25], v[12:13], v[14:15] neg_lo:[0,1] neg_hi:[0,1]
	v_mov_b32_e32 v23, v12
	v_pk_add_f32 v[12:13], v[24:25], v[22:23] neg_lo:[0,1] neg_hi:[0,1]
	v_cmp_eq_f32_e32 vcc, s10, v32
	v_add_f32_e32 v13, v29, v13
	v_add_f32_e32 v12, v12, v13
	;; [unrolled: 1-line block ×3, first 2 shown]
	v_mul_f32_e32 v29, v28, v13
	v_mul_f32_e32 v14, v27, v29
	v_fma_f32 v22, v29, v27, -v14
	v_fmac_f32_e32 v22, v29, v8
	v_sub_f32_e32 v8, v15, v13
	v_add_f32_e32 v8, v12, v8
	v_add_f32_e32 v12, v14, v22
	v_sub_f32_e32 v15, v13, v12
	v_pk_add_f32 v[24:25], v[12:13], v[14:15] neg_lo:[0,1] neg_hi:[0,1]
	v_mov_b32_e32 v23, v12
	v_pk_add_f32 v[12:13], v[24:25], v[22:23] neg_lo:[0,1] neg_hi:[0,1]
	s_or_b64 vcc, s[2:3], vcc
	v_add_f32_e32 v8, v8, v13
	v_add_f32_e32 v8, v12, v8
	v_add_f32_e32 v13, v30, v29
	v_add_f32_e32 v8, v15, v8
	v_sub_f32_e32 v12, v13, v30
	v_mul_f32_e32 v8, v28, v8
	v_sub_f32_e32 v12, v29, v12
	v_add_f32_e32 v8, v12, v8
	v_add_f32_e32 v14, v13, v8
	v_mul_f32_e32 v22, v14, v14
	v_fmamk_f32 v12, v22, 0x3e9b6dac, v40
	v_fmaak_f32 v43, v22, v12, 0x3f2aaada
	v_cvt_f32_i32_e32 v12, v26
	v_sub_f32_e32 v13, v14, v13
	v_sub_f32_e32 v8, v8, v13
	v_mul_f32_e32 v13, v14, v22
	v_pk_mul_f32 v[22:23], v[12:13], v[42:43]
	v_ldexp_f32 v15, v14, 1
	v_fma_f32 v14, v12, s33, -v22
	v_fmac_f32_e32 v14, 0xb102e308, v12
	v_pk_add_f32 v[12:13], v[22:23], v[14:15]
	v_ldexp_f32 v8, v8, 1
	v_sub_f32_e32 v15, v13, v15
	v_sub_f32_e32 v15, v23, v15
	v_add_f32_e32 v25, v8, v15
	v_mov_b32_e32 v24, v22
	v_pk_add_f32 v[22:23], v[12:13], v[22:23] neg_lo:[0,1] neg_hi:[0,1]
	v_pk_add_f32 v[26:27], v[12:13], v[24:25]
	v_mov_b32_e32 v15, v12
	v_mov_b32_e32 v23, v27
	v_pk_add_f32 v[28:29], v[14:15], v[22:23] neg_lo:[0,1] neg_hi:[0,1]
	v_pk_add_f32 v[14:15], v[14:15], v[22:23]
	s_nop 0
	v_mov_b32_e32 v8, v15
	v_pk_add_f32 v[22:23], v[8:9], v[12:13] neg_lo:[0,1] neg_hi:[0,1]
	v_mov_b32_e32 v14, v27
	v_mov_b32_e32 v23, v22
	v_pk_add_f32 v[30:31], v[26:27], v[22:23] neg_lo:[0,1] neg_hi:[0,1]
	v_mov_b32_e32 v26, v13
	v_mov_b32_e32 v27, v22
	;; [unrolled: 1-line block ×3, first 2 shown]
	v_pk_add_f32 v[14:15], v[14:15], v[26:27] neg_lo:[0,1] neg_hi:[0,1]
	v_mov_b32_e32 v22, v25
	v_mov_b32_e32 v23, v12
	v_pk_add_f32 v[12:13], v[22:23], v[14:15] neg_lo:[0,1] neg_hi:[0,1]
	v_mov_b32_e32 v30, v28
	v_pk_add_f32 v[14:15], v[30:31], v[12:13]
	s_nop 0
	v_mov_b32_e32 v22, v15
	v_pk_add_f32 v[22:23], v[14:15], v[22:23]
	s_nop 0
	v_pk_add_f32 v[24:25], v[8:9], v[22:23]
	v_mov_b32_e32 v13, v22
	v_mov_b32_e32 v15, v24
	v_pk_add_f32 v[26:27], v[14:15], v[28:29] neg_lo:[0,1] neg_hi:[0,1]
	s_nop 0
	v_sub_f32_e32 v8, v14, v26
	v_pk_add_f32 v[12:13], v[12:13], v[26:27] neg_lo:[0,1] neg_hi:[0,1]
	v_sub_f32_e32 v8, v28, v8
	v_add_f32_e32 v8, v12, v8
	v_add_f32_e32 v8, v8, v13
	;; [unrolled: 1-line block ×3, first 2 shown]
	v_cndmask_b32_e32 v90, v8, v32, vcc
.LBB55_95:                              ;   in Loop: Header=BB55_13 Depth=1
	s_or_b64 exec, exec, s[52:53]
	v_lshlrev_b32_e32 v8, 16, v9
	v_readlane_b32 s0, v95, 2
	s_nop 1
	v_add_f32_e32 v91, s0, v8
	v_cmp_ge_f32_e32 vcc, s6, v91
	s_and_b64 s[2:3], s[4:5], vcc
	s_and_saveexec_b64 s[52:53], s[2:3]
	s_cbranch_execz .LBB55_97
; %bb.96:                               ;   in Loop: Header=BB55_13 Depth=1
	v_mul_f32_e32 v8, 0x3fb8aa3b, v91
	v_rndne_f32_e32 v12, v8
	v_sub_f32_e32 v13, v8, v12
	v_fma_f32 v8, v91, s7, -v8
	v_fmac_f32_e32 v8, 0x32a5705f, v91
	v_add_f32_e32 v8, v13, v8
	v_cvt_i32_f32_e32 v12, v12
	v_exp_f32_e32 v8, v8
	v_cmp_ngt_f32_e32 vcc, s8, v91
	v_ldexp_f32 v8, v8, v12
	s_nop 0
	v_cndmask_b32_e32 v8, 0, v8, vcc
	v_cmp_nlt_f32_e32 vcc, s9, v91
	s_nop 1
	v_cndmask_b32_e32 v32, v41, v8, vcc
	v_add_f32_e32 v8, 1.0, v32
	v_add_f32_e32 v12, -1.0, v8
	v_sub_f32_e32 v13, v12, v8
	v_add_f32_e32 v13, 1.0, v13
	v_sub_f32_e32 v12, v32, v12
	v_add_f32_e32 v14, v12, v13
	v_frexp_mant_f32_e32 v15, v8
	v_cvt_f64_f32_e32 v[12:13], v8
	v_frexp_exp_i32_f64_e32 v12, v[12:13]
	v_cmp_gt_f32_e32 vcc, s11, v15
	v_cmp_gt_f32_e64 s[2:3], s54, v32
	s_nop 0
	v_subbrev_co_u32_e32 v26, vcc, 0, v12, vcc
	v_sub_u32_e32 v12, 0, v26
	v_ldexp_f32 v8, v8, v12
	v_ldexp_f32 v12, v14, v12
	v_add_f32_e32 v14, -1.0, v8
	v_add_f32_e32 v13, 1.0, v14
	v_sub_f32_e32 v13, v8, v13
	v_add_f32_e32 v15, v12, v13
	v_add_f32_e32 v13, 1.0, v8
	v_add_f32_e32 v22, -1.0, v13
	v_sub_f32_e32 v8, v8, v22
	v_add_f32_e32 v8, v12, v8
	v_add_f32_e32 v27, v13, v8
	v_rcp_f32_e32 v28, v27
	v_sub_f32_e32 v12, v13, v27
	v_add_f32_e32 v13, v14, v15
	v_add_f32_e32 v8, v8, v12
	v_mul_f32_e32 v30, v13, v28
	v_sub_f32_e32 v12, v14, v13
	v_mul_f32_e32 v14, v27, v30
	v_fma_f32 v22, v30, v27, -v14
	v_fmac_f32_e32 v22, v30, v8
	v_add_f32_e32 v29, v15, v12
	v_add_f32_e32 v12, v14, v22
	v_sub_f32_e32 v15, v13, v12
	v_pk_add_f32 v[24:25], v[12:13], v[14:15] neg_lo:[0,1] neg_hi:[0,1]
	v_mov_b32_e32 v23, v12
	v_pk_add_f32 v[12:13], v[24:25], v[22:23] neg_lo:[0,1] neg_hi:[0,1]
	v_cmp_eq_f32_e32 vcc, s10, v32
	v_add_f32_e32 v13, v29, v13
	v_add_f32_e32 v12, v12, v13
	;; [unrolled: 1-line block ×3, first 2 shown]
	v_mul_f32_e32 v29, v28, v13
	v_mul_f32_e32 v14, v27, v29
	v_fma_f32 v22, v29, v27, -v14
	v_fmac_f32_e32 v22, v29, v8
	v_sub_f32_e32 v8, v15, v13
	v_add_f32_e32 v8, v12, v8
	v_add_f32_e32 v12, v14, v22
	v_sub_f32_e32 v15, v13, v12
	v_pk_add_f32 v[24:25], v[12:13], v[14:15] neg_lo:[0,1] neg_hi:[0,1]
	v_mov_b32_e32 v23, v12
	v_pk_add_f32 v[12:13], v[24:25], v[22:23] neg_lo:[0,1] neg_hi:[0,1]
	s_or_b64 vcc, s[2:3], vcc
	v_add_f32_e32 v8, v8, v13
	v_add_f32_e32 v8, v12, v8
	;; [unrolled: 1-line block ×4, first 2 shown]
	v_sub_f32_e32 v12, v13, v30
	v_mul_f32_e32 v8, v28, v8
	v_sub_f32_e32 v12, v29, v12
	v_add_f32_e32 v8, v12, v8
	v_add_f32_e32 v14, v13, v8
	v_mul_f32_e32 v22, v14, v14
	v_fmamk_f32 v12, v22, 0x3e9b6dac, v40
	v_fmaak_f32 v43, v22, v12, 0x3f2aaada
	v_cvt_f32_i32_e32 v12, v26
	v_sub_f32_e32 v13, v14, v13
	v_sub_f32_e32 v8, v8, v13
	v_mul_f32_e32 v13, v14, v22
	v_pk_mul_f32 v[22:23], v[12:13], v[42:43]
	v_ldexp_f32 v15, v14, 1
	v_fma_f32 v14, v12, s33, -v22
	v_fmac_f32_e32 v14, 0xb102e308, v12
	v_pk_add_f32 v[12:13], v[22:23], v[14:15]
	v_ldexp_f32 v8, v8, 1
	v_sub_f32_e32 v15, v13, v15
	v_sub_f32_e32 v15, v23, v15
	v_add_f32_e32 v25, v8, v15
	v_mov_b32_e32 v24, v22
	v_pk_add_f32 v[22:23], v[12:13], v[22:23] neg_lo:[0,1] neg_hi:[0,1]
	v_pk_add_f32 v[26:27], v[12:13], v[24:25]
	v_mov_b32_e32 v15, v12
	v_mov_b32_e32 v23, v27
	v_pk_add_f32 v[28:29], v[14:15], v[22:23] neg_lo:[0,1] neg_hi:[0,1]
	v_pk_add_f32 v[14:15], v[14:15], v[22:23]
	s_nop 0
	v_mov_b32_e32 v8, v15
	v_pk_add_f32 v[22:23], v[8:9], v[12:13] neg_lo:[0,1] neg_hi:[0,1]
	v_mov_b32_e32 v14, v27
	v_mov_b32_e32 v23, v22
	v_pk_add_f32 v[30:31], v[26:27], v[22:23] neg_lo:[0,1] neg_hi:[0,1]
	v_mov_b32_e32 v26, v13
	v_mov_b32_e32 v27, v22
	;; [unrolled: 1-line block ×3, first 2 shown]
	v_pk_add_f32 v[14:15], v[14:15], v[26:27] neg_lo:[0,1] neg_hi:[0,1]
	v_mov_b32_e32 v22, v25
	v_mov_b32_e32 v23, v12
	v_pk_add_f32 v[12:13], v[22:23], v[14:15] neg_lo:[0,1] neg_hi:[0,1]
	v_mov_b32_e32 v30, v28
	v_pk_add_f32 v[14:15], v[30:31], v[12:13]
	s_nop 0
	v_mov_b32_e32 v22, v15
	v_pk_add_f32 v[22:23], v[14:15], v[22:23]
	s_nop 0
	v_pk_add_f32 v[24:25], v[8:9], v[22:23]
	v_mov_b32_e32 v13, v22
	v_mov_b32_e32 v15, v24
	v_pk_add_f32 v[26:27], v[14:15], v[28:29] neg_lo:[0,1] neg_hi:[0,1]
	s_nop 0
	v_sub_f32_e32 v8, v14, v26
	v_pk_add_f32 v[12:13], v[12:13], v[26:27] neg_lo:[0,1] neg_hi:[0,1]
	v_sub_f32_e32 v8, v28, v8
	v_add_f32_e32 v8, v12, v8
	v_add_f32_e32 v8, v8, v13
	;; [unrolled: 1-line block ×3, first 2 shown]
	v_cndmask_b32_e32 v91, v8, v32, vcc
.LBB55_97:                              ;   in Loop: Header=BB55_13 Depth=1
	s_or_b64 exec, exec, s[52:53]
	v_and_b32_e32 v8, 0xffff0000, v9
	v_readlane_b32 s0, v95, 2
	s_nop 1
	v_add_f32_e32 v92, s0, v8
	v_cmp_ge_f32_e32 vcc, s6, v92
	s_and_b64 s[2:3], s[4:5], vcc
	s_and_saveexec_b64 s[52:53], s[2:3]
	s_cbranch_execz .LBB55_99
; %bb.98:                               ;   in Loop: Header=BB55_13 Depth=1
	v_mul_f32_e32 v8, 0x3fb8aa3b, v92
	v_rndne_f32_e32 v9, v8
	v_sub_f32_e32 v12, v8, v9
	v_fma_f32 v8, v92, s7, -v8
	v_fmac_f32_e32 v8, 0x32a5705f, v92
	v_add_f32_e32 v8, v12, v8
	v_cvt_i32_f32_e32 v9, v9
	v_exp_f32_e32 v8, v8
	v_cmp_ngt_f32_e32 vcc, s8, v92
	v_ldexp_f32 v8, v8, v9
	s_nop 0
	v_cndmask_b32_e32 v8, 0, v8, vcc
	v_cmp_nlt_f32_e32 vcc, s9, v92
	s_nop 1
	v_cndmask_b32_e32 v32, v41, v8, vcc
	v_add_f32_e32 v12, 1.0, v32
	v_add_f32_e32 v8, -1.0, v12
	v_sub_f32_e32 v9, v8, v12
	v_add_f32_e32 v9, 1.0, v9
	v_sub_f32_e32 v8, v32, v8
	v_add_f32_e32 v13, v8, v9
	v_frexp_mant_f32_e32 v14, v12
	v_cvt_f64_f32_e32 v[8:9], v12
	v_frexp_exp_i32_f64_e32 v8, v[8:9]
	v_cmp_gt_f32_e32 vcc, s11, v14
	v_cmp_gt_f32_e64 s[2:3], s54, v32
	s_nop 0
	v_subbrev_co_u32_e32 v24, vcc, 0, v8, vcc
	v_sub_u32_e32 v8, 0, v24
	v_ldexp_f32 v9, v12, v8
	v_add_f32_e32 v12, -1.0, v9
	v_add_f32_e32 v14, 1.0, v9
	v_ldexp_f32 v8, v13, v8
	v_add_f32_e32 v13, 1.0, v12
	v_add_f32_e32 v15, -1.0, v14
	v_sub_f32_e32 v13, v9, v13
	v_sub_f32_e32 v9, v9, v15
	v_add_f32_e32 v13, v8, v13
	v_add_f32_e32 v8, v8, v9
	;; [unrolled: 1-line block ×3, first 2 shown]
	v_rcp_f32_e32 v27, v25
	v_sub_f32_e32 v9, v14, v25
	v_add_f32_e32 v26, v8, v9
	v_add_f32_e32 v9, v12, v13
	v_mul_f32_e32 v29, v9, v27
	v_sub_f32_e32 v8, v12, v9
	v_mul_f32_e32 v12, v25, v29
	v_fma_f32 v14, v29, v25, -v12
	v_fmac_f32_e32 v14, v29, v26
	v_add_f32_e32 v28, v13, v8
	v_add_f32_e32 v8, v12, v14
	v_sub_f32_e32 v13, v9, v8
	v_pk_add_f32 v[22:23], v[8:9], v[12:13] neg_lo:[0,1] neg_hi:[0,1]
	v_mov_b32_e32 v15, v8
	v_pk_add_f32 v[8:9], v[22:23], v[14:15] neg_lo:[0,1] neg_hi:[0,1]
	v_cmp_eq_f32_e32 vcc, s10, v32
	v_add_f32_e32 v9, v28, v9
	v_add_f32_e32 v8, v8, v9
	;; [unrolled: 1-line block ×3, first 2 shown]
	v_mul_f32_e32 v28, v27, v9
	v_mul_f32_e32 v12, v25, v28
	v_fma_f32 v14, v28, v25, -v12
	v_fmac_f32_e32 v14, v28, v26
	v_sub_f32_e32 v13, v13, v9
	v_add_f32_e32 v25, v8, v13
	v_add_f32_e32 v8, v12, v14
	v_sub_f32_e32 v13, v9, v8
	v_pk_add_f32 v[22:23], v[8:9], v[12:13] neg_lo:[0,1] neg_hi:[0,1]
	v_mov_b32_e32 v15, v8
	v_pk_add_f32 v[8:9], v[22:23], v[14:15] neg_lo:[0,1] neg_hi:[0,1]
	s_or_b64 vcc, s[2:3], vcc
	v_add_f32_e32 v9, v25, v9
	v_add_f32_e32 v8, v8, v9
	;; [unrolled: 1-line block ×4, first 2 shown]
	v_sub_f32_e32 v12, v9, v29
	v_mul_f32_e32 v8, v27, v8
	v_sub_f32_e32 v12, v28, v12
	v_add_f32_e32 v12, v12, v8
	v_add_f32_e32 v14, v9, v12
	v_mul_f32_e32 v15, v14, v14
	v_fmamk_f32 v8, v15, 0x3e9b6dac, v40
	v_fmaak_f32 v43, v15, v8, 0x3f2aaada
	v_cvt_f32_i32_e32 v8, v24
	v_sub_f32_e32 v9, v14, v9
	v_sub_f32_e32 v9, v12, v9
	v_ldexp_f32 v22, v9, 1
	v_mul_f32_e32 v9, v14, v15
	v_ldexp_f32 v13, v14, 1
	v_pk_mul_f32 v[14:15], v[8:9], v[42:43]
	s_nop 0
	v_fma_f32 v12, v8, s33, -v14
	v_fmac_f32_e32 v12, 0xb102e308, v8
	v_pk_add_f32 v[8:9], v[14:15], v[12:13]
	s_nop 0
	v_sub_f32_e32 v13, v9, v13
	v_sub_f32_e32 v13, v15, v13
	v_add_f32_e32 v23, v22, v13
	v_mov_b32_e32 v22, v14
	v_pk_add_f32 v[14:15], v[8:9], v[14:15] neg_lo:[0,1] neg_hi:[0,1]
	v_pk_add_f32 v[24:25], v[8:9], v[22:23]
	v_mov_b32_e32 v13, v8
	v_mov_b32_e32 v15, v25
	v_pk_add_f32 v[26:27], v[12:13], v[14:15] neg_lo:[0,1] neg_hi:[0,1]
	v_pk_add_f32 v[12:13], v[12:13], v[14:15]
	v_mov_b32_e32 v22, v23
	v_mov_b32_e32 v14, v13
	v_pk_add_f32 v[28:29], v[14:15], v[8:9] neg_lo:[0,1] neg_hi:[0,1]
	v_mov_b32_e32 v12, v25
	v_mov_b32_e32 v15, v28
	v_pk_add_f32 v[30:31], v[24:25], v[14:15] neg_lo:[0,1] neg_hi:[0,1]
	v_mov_b32_e32 v24, v9
	v_mov_b32_e32 v25, v28
	;; [unrolled: 1-line block ×3, first 2 shown]
	v_pk_add_f32 v[12:13], v[12:13], v[24:25] neg_lo:[0,1] neg_hi:[0,1]
	v_mov_b32_e32 v23, v8
	v_pk_add_f32 v[8:9], v[22:23], v[12:13] neg_lo:[0,1] neg_hi:[0,1]
	v_mov_b32_e32 v30, v26
	v_pk_add_f32 v[12:13], v[30:31], v[8:9]
	s_nop 0
	v_mov_b32_e32 v22, v13
	v_pk_add_f32 v[22:23], v[12:13], v[22:23]
	s_nop 0
	v_pk_add_f32 v[14:15], v[14:15], v[22:23]
	v_mov_b32_e32 v9, v22
	v_mov_b32_e32 v13, v14
	v_pk_add_f32 v[24:25], v[12:13], v[26:27] neg_lo:[0,1] neg_hi:[0,1]
	s_nop 0
	v_sub_f32_e32 v12, v12, v24
	v_pk_add_f32 v[8:9], v[8:9], v[24:25] neg_lo:[0,1] neg_hi:[0,1]
	v_sub_f32_e32 v12, v26, v12
	v_add_f32_e32 v8, v8, v12
	v_add_f32_e32 v8, v8, v9
	;; [unrolled: 1-line block ×3, first 2 shown]
	v_cndmask_b32_e32 v92, v8, v32, vcc
.LBB55_99:                              ;   in Loop: Header=BB55_13 Depth=1
	s_or_b64 exec, exec, s[52:53]
	v_lshlrev_b32_e32 v8, 16, v10
	v_readlane_b32 s0, v95, 2
	s_nop 1
	v_add_f32_e32 v93, s0, v8
	v_cmp_ge_f32_e32 vcc, s6, v93
	s_and_b64 s[2:3], s[4:5], vcc
	s_and_saveexec_b64 s[52:53], s[2:3]
	s_cbranch_execz .LBB55_101
; %bb.100:                              ;   in Loop: Header=BB55_13 Depth=1
	v_mul_f32_e32 v8, 0x3fb8aa3b, v93
	v_rndne_f32_e32 v9, v8
	v_sub_f32_e32 v12, v8, v9
	v_fma_f32 v8, v93, s7, -v8
	v_fmac_f32_e32 v8, 0x32a5705f, v93
	v_add_f32_e32 v8, v12, v8
	v_cvt_i32_f32_e32 v9, v9
	v_exp_f32_e32 v8, v8
	v_cmp_ngt_f32_e32 vcc, s8, v93
	v_ldexp_f32 v8, v8, v9
	s_nop 0
	v_cndmask_b32_e32 v8, 0, v8, vcc
	v_cmp_nlt_f32_e32 vcc, s9, v93
	s_nop 1
	v_cndmask_b32_e32 v32, v41, v8, vcc
	v_add_f32_e32 v12, 1.0, v32
	v_add_f32_e32 v8, -1.0, v12
	v_sub_f32_e32 v9, v8, v12
	v_add_f32_e32 v9, 1.0, v9
	v_sub_f32_e32 v8, v32, v8
	v_add_f32_e32 v13, v8, v9
	v_frexp_mant_f32_e32 v14, v12
	v_cvt_f64_f32_e32 v[8:9], v12
	v_frexp_exp_i32_f64_e32 v8, v[8:9]
	v_cmp_gt_f32_e32 vcc, s11, v14
	v_cmp_gt_f32_e64 s[2:3], s54, v32
	s_nop 0
	v_subbrev_co_u32_e32 v24, vcc, 0, v8, vcc
	v_sub_u32_e32 v8, 0, v24
	v_ldexp_f32 v9, v12, v8
	v_add_f32_e32 v12, -1.0, v9
	v_add_f32_e32 v14, 1.0, v9
	v_ldexp_f32 v8, v13, v8
	v_add_f32_e32 v13, 1.0, v12
	v_add_f32_e32 v15, -1.0, v14
	v_sub_f32_e32 v13, v9, v13
	v_sub_f32_e32 v9, v9, v15
	v_add_f32_e32 v13, v8, v13
	v_add_f32_e32 v8, v8, v9
	;; [unrolled: 1-line block ×3, first 2 shown]
	v_rcp_f32_e32 v27, v25
	v_sub_f32_e32 v9, v14, v25
	v_add_f32_e32 v26, v8, v9
	v_add_f32_e32 v9, v12, v13
	v_mul_f32_e32 v29, v9, v27
	v_sub_f32_e32 v8, v12, v9
	v_mul_f32_e32 v12, v25, v29
	v_fma_f32 v14, v29, v25, -v12
	v_fmac_f32_e32 v14, v29, v26
	v_add_f32_e32 v28, v13, v8
	v_add_f32_e32 v8, v12, v14
	v_sub_f32_e32 v13, v9, v8
	v_pk_add_f32 v[22:23], v[8:9], v[12:13] neg_lo:[0,1] neg_hi:[0,1]
	v_mov_b32_e32 v15, v8
	v_pk_add_f32 v[8:9], v[22:23], v[14:15] neg_lo:[0,1] neg_hi:[0,1]
	v_cmp_eq_f32_e32 vcc, s10, v32
	v_add_f32_e32 v9, v28, v9
	v_add_f32_e32 v8, v8, v9
	;; [unrolled: 1-line block ×3, first 2 shown]
	v_mul_f32_e32 v28, v27, v9
	v_mul_f32_e32 v12, v25, v28
	v_fma_f32 v14, v28, v25, -v12
	v_fmac_f32_e32 v14, v28, v26
	v_sub_f32_e32 v13, v13, v9
	v_add_f32_e32 v25, v8, v13
	v_add_f32_e32 v8, v12, v14
	v_sub_f32_e32 v13, v9, v8
	v_pk_add_f32 v[22:23], v[8:9], v[12:13] neg_lo:[0,1] neg_hi:[0,1]
	v_mov_b32_e32 v15, v8
	v_pk_add_f32 v[8:9], v[22:23], v[14:15] neg_lo:[0,1] neg_hi:[0,1]
	s_or_b64 vcc, s[2:3], vcc
	v_add_f32_e32 v9, v25, v9
	v_add_f32_e32 v8, v8, v9
	;; [unrolled: 1-line block ×4, first 2 shown]
	v_sub_f32_e32 v12, v9, v29
	v_mul_f32_e32 v8, v27, v8
	v_sub_f32_e32 v12, v28, v12
	v_add_f32_e32 v12, v12, v8
	v_add_f32_e32 v14, v9, v12
	v_mul_f32_e32 v15, v14, v14
	v_fmamk_f32 v8, v15, 0x3e9b6dac, v40
	v_fmaak_f32 v43, v15, v8, 0x3f2aaada
	v_cvt_f32_i32_e32 v8, v24
	v_sub_f32_e32 v9, v14, v9
	v_sub_f32_e32 v9, v12, v9
	v_ldexp_f32 v22, v9, 1
	v_mul_f32_e32 v9, v14, v15
	v_ldexp_f32 v13, v14, 1
	v_pk_mul_f32 v[14:15], v[8:9], v[42:43]
	s_nop 0
	v_fma_f32 v12, v8, s33, -v14
	v_fmac_f32_e32 v12, 0xb102e308, v8
	v_pk_add_f32 v[8:9], v[14:15], v[12:13]
	s_nop 0
	v_sub_f32_e32 v13, v9, v13
	v_sub_f32_e32 v13, v15, v13
	v_add_f32_e32 v23, v22, v13
	v_mov_b32_e32 v22, v14
	v_pk_add_f32 v[14:15], v[8:9], v[14:15] neg_lo:[0,1] neg_hi:[0,1]
	v_pk_add_f32 v[24:25], v[8:9], v[22:23]
	v_mov_b32_e32 v13, v8
	v_mov_b32_e32 v15, v25
	v_pk_add_f32 v[26:27], v[12:13], v[14:15] neg_lo:[0,1] neg_hi:[0,1]
	v_pk_add_f32 v[12:13], v[12:13], v[14:15]
	v_mov_b32_e32 v22, v23
	v_mov_b32_e32 v14, v13
	v_pk_add_f32 v[28:29], v[14:15], v[8:9] neg_lo:[0,1] neg_hi:[0,1]
	v_mov_b32_e32 v12, v25
	v_mov_b32_e32 v15, v28
	v_pk_add_f32 v[30:31], v[24:25], v[14:15] neg_lo:[0,1] neg_hi:[0,1]
	v_mov_b32_e32 v24, v9
	v_mov_b32_e32 v25, v28
	v_mov_b32_e32 v27, v13
	v_pk_add_f32 v[12:13], v[12:13], v[24:25] neg_lo:[0,1] neg_hi:[0,1]
	v_mov_b32_e32 v23, v8
	v_pk_add_f32 v[8:9], v[22:23], v[12:13] neg_lo:[0,1] neg_hi:[0,1]
	v_mov_b32_e32 v30, v26
	v_pk_add_f32 v[12:13], v[30:31], v[8:9]
	s_nop 0
	v_mov_b32_e32 v22, v13
	v_pk_add_f32 v[22:23], v[12:13], v[22:23]
	s_nop 0
	v_pk_add_f32 v[14:15], v[14:15], v[22:23]
	v_mov_b32_e32 v9, v22
	v_mov_b32_e32 v13, v14
	v_pk_add_f32 v[24:25], v[12:13], v[26:27] neg_lo:[0,1] neg_hi:[0,1]
	s_nop 0
	v_sub_f32_e32 v12, v12, v24
	v_pk_add_f32 v[8:9], v[8:9], v[24:25] neg_lo:[0,1] neg_hi:[0,1]
	v_sub_f32_e32 v12, v26, v12
	v_add_f32_e32 v8, v8, v12
	v_add_f32_e32 v8, v8, v9
	;; [unrolled: 1-line block ×3, first 2 shown]
	v_cndmask_b32_e32 v93, v8, v32, vcc
.LBB55_101:                             ;   in Loop: Header=BB55_13 Depth=1
	s_or_b64 exec, exec, s[52:53]
	v_and_b32_e32 v8, 0xffff0000, v10
	v_readlane_b32 s0, v95, 2
	s_nop 1
	v_add_f32_e32 v94, s0, v8
	v_cmp_ge_f32_e32 vcc, s6, v94
	s_and_b64 s[2:3], s[4:5], vcc
	s_and_saveexec_b64 s[52:53], s[2:3]
	s_cbranch_execz .LBB55_103
; %bb.102:                              ;   in Loop: Header=BB55_13 Depth=1
	v_mul_f32_e32 v8, 0x3fb8aa3b, v94
	v_rndne_f32_e32 v9, v8
	v_sub_f32_e32 v10, v8, v9
	v_fma_f32 v8, v94, s7, -v8
	v_fmac_f32_e32 v8, 0x32a5705f, v94
	v_add_f32_e32 v8, v10, v8
	v_cvt_i32_f32_e32 v9, v9
	v_exp_f32_e32 v8, v8
	v_cmp_ngt_f32_e32 vcc, s8, v94
	v_ldexp_f32 v8, v8, v9
	s_nop 0
	v_cndmask_b32_e32 v8, 0, v8, vcc
	v_cmp_nlt_f32_e32 vcc, s9, v94
	s_nop 1
	v_cndmask_b32_e32 v30, v41, v8, vcc
	v_add_f32_e32 v10, 1.0, v30
	v_add_f32_e32 v8, -1.0, v10
	v_sub_f32_e32 v9, v8, v10
	v_add_f32_e32 v9, 1.0, v9
	v_sub_f32_e32 v8, v30, v8
	v_add_f32_e32 v12, v8, v9
	v_frexp_mant_f32_e32 v13, v10
	v_cvt_f64_f32_e32 v[8:9], v10
	v_frexp_exp_i32_f64_e32 v8, v[8:9]
	v_cmp_gt_f32_e32 vcc, s11, v13
	v_cmp_gt_f32_e64 s[2:3], s54, v30
	s_nop 0
	v_subbrev_co_u32_e32 v24, vcc, 0, v8, vcc
	v_sub_u32_e32 v8, 0, v24
	v_ldexp_f32 v9, v10, v8
	v_add_f32_e32 v10, -1.0, v9
	v_add_f32_e32 v13, 1.0, v9
	v_ldexp_f32 v8, v12, v8
	v_add_f32_e32 v12, 1.0, v10
	v_add_f32_e32 v14, -1.0, v13
	v_sub_f32_e32 v12, v9, v12
	v_sub_f32_e32 v9, v9, v14
	v_add_f32_e32 v12, v8, v12
	v_add_f32_e32 v8, v8, v9
	;; [unrolled: 1-line block ×3, first 2 shown]
	v_rcp_f32_e32 v27, v25
	v_sub_f32_e32 v9, v13, v25
	v_add_f32_e32 v26, v8, v9
	v_add_f32_e32 v9, v10, v12
	v_sub_f32_e32 v8, v10, v9
	v_mul_f32_e32 v28, v9, v27
	v_add_f32_e32 v10, v12, v8
	v_mul_f32_e32 v12, v25, v28
	v_fma_f32 v14, v28, v25, -v12
	v_fmac_f32_e32 v14, v28, v26
	v_add_f32_e32 v8, v12, v14
	v_sub_f32_e32 v13, v9, v8
	v_pk_add_f32 v[22:23], v[8:9], v[12:13] neg_lo:[0,1] neg_hi:[0,1]
	v_mov_b32_e32 v15, v8
	v_pk_add_f32 v[8:9], v[22:23], v[14:15] neg_lo:[0,1] neg_hi:[0,1]
	v_cmp_eq_f32_e32 vcc, s10, v30
	v_add_f32_e32 v9, v10, v9
	v_add_f32_e32 v8, v8, v9
	;; [unrolled: 1-line block ×3, first 2 shown]
	v_mul_f32_e32 v10, v27, v9
	v_mul_f32_e32 v12, v25, v10
	v_fma_f32 v14, v10, v25, -v12
	v_fmac_f32_e32 v14, v10, v26
	v_sub_f32_e32 v13, v13, v9
	v_add_f32_e32 v25, v8, v13
	v_add_f32_e32 v8, v12, v14
	v_sub_f32_e32 v13, v9, v8
	v_pk_add_f32 v[22:23], v[8:9], v[12:13] neg_lo:[0,1] neg_hi:[0,1]
	v_mov_b32_e32 v15, v8
	v_pk_add_f32 v[8:9], v[22:23], v[14:15] neg_lo:[0,1] neg_hi:[0,1]
	s_or_b64 vcc, s[2:3], vcc
	v_add_f32_e32 v9, v25, v9
	v_add_f32_e32 v8, v8, v9
	;; [unrolled: 1-line block ×4, first 2 shown]
	v_sub_f32_e32 v12, v9, v28
	v_mul_f32_e32 v8, v27, v8
	v_sub_f32_e32 v10, v10, v12
	v_add_f32_e32 v10, v10, v8
	v_add_f32_e32 v12, v9, v10
	v_mul_f32_e32 v14, v12, v12
	v_fmamk_f32 v8, v14, 0x3e9b6dac, v40
	v_fmaak_f32 v43, v14, v8, 0x3f2aaada
	v_cvt_f32_i32_e32 v8, v24
	v_sub_f32_e32 v9, v12, v9
	v_sub_f32_e32 v9, v10, v9
	v_ldexp_f32 v10, v9, 1
	v_mul_f32_e32 v9, v12, v14
	v_pk_mul_f32 v[14:15], v[8:9], v[42:43]
	v_ldexp_f32 v13, v12, 1
	v_fma_f32 v12, v8, s33, -v14
	v_fmac_f32_e32 v12, 0xb102e308, v8
	v_pk_add_f32 v[8:9], v[14:15], v[12:13]
	v_mov_b32_e32 v22, v14
	v_sub_f32_e32 v13, v9, v13
	v_sub_f32_e32 v13, v15, v13
	v_add_f32_e32 v23, v10, v13
	v_pk_add_f32 v[14:15], v[8:9], v[14:15] neg_lo:[0,1] neg_hi:[0,1]
	v_pk_add_f32 v[24:25], v[8:9], v[22:23]
	v_mov_b32_e32 v13, v8
	v_mov_b32_e32 v15, v25
	v_pk_add_f32 v[26:27], v[12:13], v[14:15] neg_lo:[0,1] neg_hi:[0,1]
	v_pk_add_f32 v[12:13], v[12:13], v[14:15]
	s_nop 0
	v_mov_b32_e32 v10, v13
	v_pk_add_f32 v[14:15], v[10:11], v[8:9] neg_lo:[0,1] neg_hi:[0,1]
	v_mov_b32_e32 v12, v25
	v_mov_b32_e32 v15, v14
	v_pk_add_f32 v[28:29], v[24:25], v[14:15] neg_lo:[0,1] neg_hi:[0,1]
	v_mov_b32_e32 v24, v9
	v_mov_b32_e32 v25, v14
	;; [unrolled: 1-line block ×3, first 2 shown]
	v_pk_add_f32 v[12:13], v[12:13], v[24:25] neg_lo:[0,1] neg_hi:[0,1]
	v_mov_b32_e32 v14, v23
	v_mov_b32_e32 v15, v8
	v_pk_add_f32 v[8:9], v[14:15], v[12:13] neg_lo:[0,1] neg_hi:[0,1]
	v_mov_b32_e32 v28, v26
	v_pk_add_f32 v[12:13], v[28:29], v[8:9]
	s_nop 0
	v_mov_b32_e32 v14, v13
	v_pk_add_f32 v[14:15], v[12:13], v[14:15]
	s_nop 0
	v_pk_add_f32 v[22:23], v[10:11], v[14:15]
	v_mov_b32_e32 v9, v14
	v_mov_b32_e32 v13, v22
	v_pk_add_f32 v[24:25], v[12:13], v[26:27] neg_lo:[0,1] neg_hi:[0,1]
	s_nop 0
	v_sub_f32_e32 v10, v12, v24
	v_pk_add_f32 v[8:9], v[8:9], v[24:25] neg_lo:[0,1] neg_hi:[0,1]
	v_sub_f32_e32 v10, v26, v10
	v_add_f32_e32 v8, v8, v10
	v_add_f32_e32 v8, v8, v9
	;; [unrolled: 1-line block ×3, first 2 shown]
	v_cndmask_b32_e32 v94, v8, v30, vcc
.LBB55_103:                             ;   in Loop: Header=BB55_13 Depth=1
	s_or_b64 exec, exec, s[52:53]
	v_lshlrev_b32_e32 v8, 16, v11
	v_readlane_b32 s0, v95, 2
	s_nop 1
	v_add_f32_e32 v56, s0, v8
	v_cmp_ge_f32_e32 vcc, s6, v56
	s_and_b64 s[2:3], s[4:5], vcc
	s_and_saveexec_b64 s[52:53], s[2:3]
	s_cbranch_execz .LBB55_105
; %bb.104:                              ;   in Loop: Header=BB55_13 Depth=1
	v_mul_f32_e32 v8, 0x3fb8aa3b, v56
	v_rndne_f32_e32 v9, v8
	v_sub_f32_e32 v10, v8, v9
	v_fma_f32 v8, v56, s7, -v8
	v_fmac_f32_e32 v8, 0x32a5705f, v56
	v_add_f32_e32 v8, v10, v8
	v_cvt_i32_f32_e32 v9, v9
	v_exp_f32_e32 v8, v8
	v_cmp_ngt_f32_e32 vcc, s8, v56
	v_ldexp_f32 v8, v8, v9
	s_nop 0
	v_cndmask_b32_e32 v8, 0, v8, vcc
	v_cmp_nlt_f32_e32 vcc, s9, v56
	s_nop 1
	v_cndmask_b32_e32 v30, v41, v8, vcc
	v_add_f32_e32 v10, 1.0, v30
	v_add_f32_e32 v8, -1.0, v10
	v_sub_f32_e32 v9, v8, v10
	v_add_f32_e32 v9, 1.0, v9
	v_sub_f32_e32 v8, v30, v8
	v_add_f32_e32 v12, v8, v9
	v_frexp_mant_f32_e32 v13, v10
	v_cvt_f64_f32_e32 v[8:9], v10
	v_frexp_exp_i32_f64_e32 v8, v[8:9]
	v_cmp_gt_f32_e32 vcc, s11, v13
	v_cmp_gt_f32_e64 s[2:3], s54, v30
	s_nop 0
	v_subbrev_co_u32_e32 v24, vcc, 0, v8, vcc
	v_sub_u32_e32 v8, 0, v24
	v_ldexp_f32 v9, v10, v8
	v_add_f32_e32 v10, -1.0, v9
	v_add_f32_e32 v13, 1.0, v9
	v_ldexp_f32 v8, v12, v8
	v_add_f32_e32 v12, 1.0, v10
	v_add_f32_e32 v14, -1.0, v13
	v_sub_f32_e32 v12, v9, v12
	v_sub_f32_e32 v9, v9, v14
	v_add_f32_e32 v12, v8, v12
	v_add_f32_e32 v8, v8, v9
	;; [unrolled: 1-line block ×3, first 2 shown]
	v_rcp_f32_e32 v27, v25
	v_sub_f32_e32 v9, v13, v25
	v_add_f32_e32 v26, v8, v9
	v_add_f32_e32 v9, v10, v12
	v_sub_f32_e32 v8, v10, v9
	v_mul_f32_e32 v28, v9, v27
	v_add_f32_e32 v10, v12, v8
	v_mul_f32_e32 v12, v25, v28
	v_fma_f32 v14, v28, v25, -v12
	v_fmac_f32_e32 v14, v28, v26
	v_add_f32_e32 v8, v12, v14
	v_sub_f32_e32 v13, v9, v8
	v_pk_add_f32 v[22:23], v[8:9], v[12:13] neg_lo:[0,1] neg_hi:[0,1]
	v_mov_b32_e32 v15, v8
	v_pk_add_f32 v[8:9], v[22:23], v[14:15] neg_lo:[0,1] neg_hi:[0,1]
	v_cmp_eq_f32_e32 vcc, s10, v30
	v_add_f32_e32 v9, v10, v9
	v_add_f32_e32 v8, v8, v9
	;; [unrolled: 1-line block ×3, first 2 shown]
	v_mul_f32_e32 v10, v27, v9
	v_mul_f32_e32 v12, v25, v10
	v_fma_f32 v14, v10, v25, -v12
	v_fmac_f32_e32 v14, v10, v26
	v_sub_f32_e32 v13, v13, v9
	v_add_f32_e32 v25, v8, v13
	v_add_f32_e32 v8, v12, v14
	v_sub_f32_e32 v13, v9, v8
	v_pk_add_f32 v[22:23], v[8:9], v[12:13] neg_lo:[0,1] neg_hi:[0,1]
	v_mov_b32_e32 v15, v8
	v_pk_add_f32 v[8:9], v[22:23], v[14:15] neg_lo:[0,1] neg_hi:[0,1]
	s_or_b64 vcc, s[2:3], vcc
	v_add_f32_e32 v9, v25, v9
	v_add_f32_e32 v8, v8, v9
	v_add_f32_e32 v9, v28, v10
	v_add_f32_e32 v8, v13, v8
	v_sub_f32_e32 v12, v9, v28
	v_mul_f32_e32 v8, v27, v8
	v_sub_f32_e32 v10, v10, v12
	v_add_f32_e32 v10, v10, v8
	v_add_f32_e32 v12, v9, v10
	v_mul_f32_e32 v14, v12, v12
	v_fmamk_f32 v8, v14, 0x3e9b6dac, v40
	v_fmaak_f32 v43, v14, v8, 0x3f2aaada
	v_cvt_f32_i32_e32 v8, v24
	v_sub_f32_e32 v9, v12, v9
	v_sub_f32_e32 v9, v10, v9
	v_ldexp_f32 v10, v9, 1
	v_mul_f32_e32 v9, v12, v14
	v_pk_mul_f32 v[14:15], v[8:9], v[42:43]
	v_ldexp_f32 v13, v12, 1
	v_fma_f32 v12, v8, s33, -v14
	v_fmac_f32_e32 v12, 0xb102e308, v8
	v_pk_add_f32 v[8:9], v[14:15], v[12:13]
	v_mov_b32_e32 v22, v14
	v_sub_f32_e32 v13, v9, v13
	v_sub_f32_e32 v13, v15, v13
	v_add_f32_e32 v23, v10, v13
	v_pk_add_f32 v[14:15], v[8:9], v[14:15] neg_lo:[0,1] neg_hi:[0,1]
	v_pk_add_f32 v[24:25], v[8:9], v[22:23]
	v_mov_b32_e32 v13, v8
	v_mov_b32_e32 v15, v25
	v_pk_add_f32 v[26:27], v[12:13], v[14:15] neg_lo:[0,1] neg_hi:[0,1]
	v_pk_add_f32 v[12:13], v[12:13], v[14:15]
	s_nop 0
	v_mov_b32_e32 v10, v13
	v_pk_add_f32 v[14:15], v[10:11], v[8:9] neg_lo:[0,1] neg_hi:[0,1]
	v_mov_b32_e32 v12, v25
	v_mov_b32_e32 v15, v14
	v_pk_add_f32 v[28:29], v[24:25], v[14:15] neg_lo:[0,1] neg_hi:[0,1]
	v_mov_b32_e32 v24, v9
	v_mov_b32_e32 v25, v14
	;; [unrolled: 1-line block ×3, first 2 shown]
	v_pk_add_f32 v[12:13], v[12:13], v[24:25] neg_lo:[0,1] neg_hi:[0,1]
	v_mov_b32_e32 v14, v23
	v_mov_b32_e32 v15, v8
	v_pk_add_f32 v[8:9], v[14:15], v[12:13] neg_lo:[0,1] neg_hi:[0,1]
	v_mov_b32_e32 v28, v26
	v_pk_add_f32 v[12:13], v[28:29], v[8:9]
	s_nop 0
	v_mov_b32_e32 v14, v13
	v_pk_add_f32 v[14:15], v[12:13], v[14:15]
	s_nop 0
	v_pk_add_f32 v[22:23], v[10:11], v[14:15]
	v_mov_b32_e32 v9, v14
	v_mov_b32_e32 v13, v22
	v_pk_add_f32 v[24:25], v[12:13], v[26:27] neg_lo:[0,1] neg_hi:[0,1]
	s_nop 0
	v_sub_f32_e32 v10, v12, v24
	v_pk_add_f32 v[8:9], v[8:9], v[24:25] neg_lo:[0,1] neg_hi:[0,1]
	v_sub_f32_e32 v10, v26, v10
	v_add_f32_e32 v8, v8, v10
	v_add_f32_e32 v8, v8, v9
	;; [unrolled: 1-line block ×3, first 2 shown]
	v_cndmask_b32_e32 v56, v8, v30, vcc
.LBB55_105:                             ;   in Loop: Header=BB55_13 Depth=1
	s_or_b64 exec, exec, s[52:53]
	v_and_b32_e32 v8, 0xffff0000, v11
	v_readlane_b32 s0, v95, 2
	s_nop 1
	v_add_f32_e32 v23, s0, v8
	v_cmp_ge_f32_e32 vcc, s6, v23
	s_and_b64 s[2:3], s[4:5], vcc
	s_and_saveexec_b64 s[52:53], s[2:3]
	s_cbranch_execz .LBB55_107
; %bb.106:                              ;   in Loop: Header=BB55_13 Depth=1
	v_mul_f32_e32 v8, 0x3fb8aa3b, v23
	v_rndne_f32_e32 v9, v8
	v_sub_f32_e32 v10, v8, v9
	v_fma_f32 v8, v23, s7, -v8
	v_fmac_f32_e32 v8, 0x32a5705f, v23
	v_add_f32_e32 v8, v10, v8
	v_cvt_i32_f32_e32 v9, v9
	v_exp_f32_e32 v8, v8
	v_cmp_ngt_f32_e32 vcc, s8, v23
	v_ldexp_f32 v8, v8, v9
	s_nop 0
	v_cndmask_b32_e32 v8, 0, v8, vcc
	v_cmp_nlt_f32_e32 vcc, s9, v23
	s_nop 1
	v_cndmask_b32_e32 v30, v41, v8, vcc
	v_add_f32_e32 v10, 1.0, v30
	v_add_f32_e32 v8, -1.0, v10
	v_sub_f32_e32 v9, v8, v10
	v_add_f32_e32 v9, 1.0, v9
	v_sub_f32_e32 v8, v30, v8
	v_add_f32_e32 v11, v8, v9
	v_frexp_mant_f32_e32 v12, v10
	v_cvt_f64_f32_e32 v[8:9], v10
	v_frexp_exp_i32_f64_e32 v8, v[8:9]
	v_cmp_gt_f32_e32 vcc, s11, v12
	v_cmp_gt_f32_e64 s[2:3], s54, v30
	s_nop 0
	v_subbrev_co_u32_e32 v22, vcc, 0, v8, vcc
	v_sub_u32_e32 v8, 0, v22
	v_ldexp_f32 v9, v10, v8
	v_add_f32_e32 v10, -1.0, v9
	v_add_f32_e32 v12, 1.0, v9
	v_ldexp_f32 v8, v11, v8
	v_add_f32_e32 v11, 1.0, v10
	v_add_f32_e32 v13, -1.0, v12
	v_sub_f32_e32 v11, v9, v11
	v_sub_f32_e32 v9, v9, v13
	v_add_f32_e32 v11, v8, v11
	v_add_f32_e32 v8, v8, v9
	;; [unrolled: 1-line block ×3, first 2 shown]
	v_rcp_f32_e32 v25, v23
	v_sub_f32_e32 v9, v12, v23
	v_add_f32_e32 v24, v8, v9
	v_add_f32_e32 v9, v10, v11
	v_mul_f32_e32 v27, v9, v25
	v_sub_f32_e32 v8, v10, v9
	v_mul_f32_e32 v10, v23, v27
	v_fma_f32 v12, v27, v23, -v10
	v_fmac_f32_e32 v12, v27, v24
	v_add_f32_e32 v26, v11, v8
	v_add_f32_e32 v8, v10, v12
	v_sub_f32_e32 v11, v9, v8
	v_pk_add_f32 v[14:15], v[8:9], v[10:11] neg_lo:[0,1] neg_hi:[0,1]
	v_mov_b32_e32 v13, v8
	v_pk_add_f32 v[8:9], v[14:15], v[12:13] neg_lo:[0,1] neg_hi:[0,1]
	v_cmp_eq_f32_e32 vcc, s10, v30
	v_add_f32_e32 v9, v26, v9
	v_add_f32_e32 v8, v8, v9
	;; [unrolled: 1-line block ×3, first 2 shown]
	v_mul_f32_e32 v26, v25, v9
	v_mul_f32_e32 v10, v23, v26
	v_fma_f32 v12, v26, v23, -v10
	v_fmac_f32_e32 v12, v26, v24
	v_sub_f32_e32 v11, v11, v9
	v_add_f32_e32 v23, v8, v11
	v_add_f32_e32 v8, v10, v12
	v_sub_f32_e32 v11, v9, v8
	v_pk_add_f32 v[14:15], v[8:9], v[10:11] neg_lo:[0,1] neg_hi:[0,1]
	v_mov_b32_e32 v13, v8
	v_pk_add_f32 v[8:9], v[14:15], v[12:13] neg_lo:[0,1] neg_hi:[0,1]
	s_or_b64 vcc, s[2:3], vcc
	v_add_f32_e32 v9, v23, v9
	v_add_f32_e32 v8, v8, v9
	;; [unrolled: 1-line block ×4, first 2 shown]
	v_sub_f32_e32 v10, v9, v27
	v_mul_f32_e32 v8, v25, v8
	v_sub_f32_e32 v10, v26, v10
	v_add_f32_e32 v10, v10, v8
	v_add_f32_e32 v12, v9, v10
	v_mul_f32_e32 v13, v12, v12
	v_fmamk_f32 v8, v13, 0x3e9b6dac, v40
	v_fmaak_f32 v43, v13, v8, 0x3f2aaada
	v_cvt_f32_i32_e32 v8, v22
	v_sub_f32_e32 v9, v12, v9
	v_sub_f32_e32 v9, v10, v9
	v_ldexp_f32 v14, v9, 1
	v_mul_f32_e32 v9, v12, v13
	v_ldexp_f32 v11, v12, 1
	v_pk_mul_f32 v[12:13], v[8:9], v[42:43]
	s_nop 0
	v_fma_f32 v10, v8, s33, -v12
	v_fmac_f32_e32 v10, 0xb102e308, v8
	v_pk_add_f32 v[8:9], v[12:13], v[10:11]
	s_nop 0
	v_sub_f32_e32 v11, v9, v11
	v_sub_f32_e32 v11, v13, v11
	v_add_f32_e32 v15, v14, v11
	v_mov_b32_e32 v14, v12
	v_pk_add_f32 v[12:13], v[8:9], v[12:13] neg_lo:[0,1] neg_hi:[0,1]
	v_pk_add_f32 v[22:23], v[8:9], v[14:15]
	v_mov_b32_e32 v11, v8
	v_mov_b32_e32 v13, v23
	v_pk_add_f32 v[24:25], v[10:11], v[12:13] neg_lo:[0,1] neg_hi:[0,1]
	v_pk_add_f32 v[10:11], v[10:11], v[12:13]
	v_mov_b32_e32 v14, v15
	v_mov_b32_e32 v12, v11
	v_pk_add_f32 v[26:27], v[12:13], v[8:9] neg_lo:[0,1] neg_hi:[0,1]
	v_mov_b32_e32 v10, v23
	v_mov_b32_e32 v13, v26
	v_pk_add_f32 v[28:29], v[22:23], v[12:13] neg_lo:[0,1] neg_hi:[0,1]
	v_mov_b32_e32 v22, v9
	v_mov_b32_e32 v23, v26
	;; [unrolled: 1-line block ×3, first 2 shown]
	v_pk_add_f32 v[10:11], v[10:11], v[22:23] neg_lo:[0,1] neg_hi:[0,1]
	v_mov_b32_e32 v15, v8
	v_pk_add_f32 v[8:9], v[14:15], v[10:11] neg_lo:[0,1] neg_hi:[0,1]
	v_mov_b32_e32 v28, v24
	v_pk_add_f32 v[10:11], v[28:29], v[8:9]
	s_nop 0
	v_mov_b32_e32 v14, v11
	v_pk_add_f32 v[14:15], v[10:11], v[14:15]
	s_nop 0
	v_pk_add_f32 v[12:13], v[12:13], v[14:15]
	v_mov_b32_e32 v9, v14
	v_mov_b32_e32 v11, v12
	v_pk_add_f32 v[22:23], v[10:11], v[24:25] neg_lo:[0,1] neg_hi:[0,1]
	s_nop 0
	v_sub_f32_e32 v10, v10, v22
	v_pk_add_f32 v[8:9], v[8:9], v[22:23] neg_lo:[0,1] neg_hi:[0,1]
	v_sub_f32_e32 v10, v24, v10
	v_add_f32_e32 v8, v8, v10
	v_add_f32_e32 v8, v8, v9
	;; [unrolled: 1-line block ×3, first 2 shown]
	v_cndmask_b32_e32 v23, v8, v30, vcc
.LBB55_107:                             ;   in Loop: Header=BB55_13 Depth=1
	s_or_b64 exec, exec, s[52:53]
	v_lshlrev_b32_e32 v8, 16, v7
	v_readlane_b32 s0, v95, 3
	v_and_b32_e32 v13, 0xffff0000, v7
	v_and_b32_e32 v7, 0xffff0000, v6
	v_lshlrev_b32_e32 v6, 16, v6
	v_and_b32_e32 v9, 0xffff0000, v5
	v_lshlrev_b32_e32 v5, 16, v5
	;; [unrolled: 2-line block ×7, first 2 shown]
	v_mul_f32_e32 v24, s0, v8
	v_mul_f32_e32 v27, s0, v7
	;; [unrolled: 1-line block ×16, first 2 shown]
	v_readlane_b32 s0, v95, 29
	v_readlane_b32 s1, v95, 30
	s_and_b64 vcc, exec, s[0:1]
	s_waitcnt lgkmcnt(0)
	; wave barrier
	s_cbranch_vccz .LBB55_200
; %bb.108:                              ;   in Loop: Header=BB55_13 Depth=1
	v_mul_f32_e32 v78, v19, v0
	scratch_load_dword v0, off, off offset:248 ; 4-byte Folded Reload
	v_readlane_b32 s0, v95, 7
	v_readlane_b32 s1, v95, 8
	scratch_store_dwordx2 off, v[42:43], off offset:164 ; 8-byte Folded Spill
	v_mul_f32_e32 v6, v93, v6
	v_lshl_add_u64 v[40:41], s[0:1], 0, v[16:17]
	v_readlane_b32 s0, v95, 21
	v_readlane_b32 s1, v95, 22
	v_mul_f32_e32 v5, v91, v5
	s_mov_b32 s88, 0
	v_lshl_add_u64 v[42:43], s[0:1], 0, v[16:17]
	v_readlane_b32 s1, v95, 51
	s_cmp_lg_u32 s1, 0
	v_readlane_b32 s0, v95, 44
	s_cselect_b64 s[2:3], -1, 0
	s_cmp_eq_u32 s1, s0
	v_readlane_b32 s0, v95, 33
	v_readlane_b32 s1, v95, 34
	s_cselect_b64 s[94:95], -1, 0
	v_mul_f32_e32 v13, v23, v13
	v_mul_f32_e32 v8, v56, v8
	;; [unrolled: 1-line block ×3, first 2 shown]
	scratch_store_dword off, v6, off offset:80 ; 4-byte Folded Spill
	v_mul_f32_e32 v6, v92, v9
	scratch_store_dword off, v5, off offset:88 ; 4-byte Folded Spill
	v_mul_f32_e32 v5, v90, v10
	v_mul_f32_e32 v63, v89, v4
	;; [unrolled: 1-line block ×9, first 2 shown]
	s_mov_b32 s86, s88
	s_mov_b32 s98, s88
	;; [unrolled: 1-line block ×3, first 2 shown]
	v_readlane_b32 s90, v95, 47
	scratch_store_dword off, v13, off offset:68 ; 4-byte Folded Spill
	scratch_store_dword off, v8, off offset:72 ; 4-byte Folded Spill
	;; [unrolled: 1-line block ×5, first 2 shown]
	s_waitcnt vmcnt(8)
	v_cmp_gt_u32_e32 vcc, s82, v0
	scratch_load_dword v0, off, off offset:252 ; 4-byte Folded Reload
	s_or_b64 s[52:53], s[0:1], vcc
	s_waitcnt vmcnt(0)
	v_cmp_gt_u32_e32 vcc, s82, v0
	scratch_load_dword v0, off, off offset:256 ; 4-byte Folded Reload
	s_or_b64 s[54:55], s[0:1], vcc
	;; [unrolled: 4-line block ×15, first 2 shown]
	s_waitcnt vmcnt(0)
	v_cmp_gt_u32_e32 vcc, s82, v0
	s_or_b64 s[82:83], s[0:1], vcc
	v_readlane_b32 s0, v95, 31
	v_readlane_b32 s1, v95, 32
	s_mov_b32 s33, s1
	s_branch .LBB55_110
.LBB55_109:                             ;   in Loop: Header=BB55_110 Depth=2
	s_or_b64 exec, exec, s[92:93]
	v_mul_f32_e32 v44, v79, v60
	v_fma_f32 v45, v79, v61, v8
	v_cndmask_b32_e64 v8, v45, v8, s[16:17]
	v_cndmask_b32_e64 v44, v44, v79, s[16:17]
	s_waitcnt lgkmcnt(0)
	v_fmac_f32_e32 v8, v54, v44
	v_fmac_f32_e32 v9, v8, v80
	;; [unrolled: 1-line block ×10, first 2 shown]
	v_readlane_b32 s4, v95, 23
	v_fmac_f32_e32 v50, v49, v22
	v_readlane_b32 s5, v95, 24
	v_readlane_b32 s6, v95, 25
	;; [unrolled: 1-line block ×3, first 2 shown]
	v_fmac_f32_e32 v51, v50, v87
	s_add_i32 s96, s96, s6
	v_readlane_b32 s4, v95, 17
	v_fmac_f32_e32 v14, v51, v57
	v_readlane_b32 s5, v95, 18
	v_readlane_b32 s6, v95, 19
	;; [unrolled: 1-line block ×3, first 2 shown]
	v_fmac_f32_e32 v15, v14, v16
	s_add_i32 s98, s98, s4
	v_readlane_b32 s4, v95, 9
	v_fmac_f32_e32 v52, v15, v58
	v_readlane_b32 s5, v95, 10
	v_readlane_b32 s8, v95, 13
	v_fmac_f32_e32 v53, v52, v59
	v_and_b32_e32 v45, 0xffff0000, v4
	v_and_b32_e32 v55, 0xffff0000, v5
	v_lshlrev_b32_e32 v44, 16, v4
	v_lshlrev_b32_e32 v54, 16, v5
	v_and_b32_e32 v5, 0xffff0000, v6
	v_and_b32_e32 v59, 0xffff0000, v7
	v_lshlrev_b32_e32 v4, 16, v6
	v_lshlrev_b32_e32 v58, 16, v7
	;; [unrolled: 4-line block ×4, first 2 shown]
	s_add_i32 s90, s90, 8
	s_add_i32 s33, s33, -1
	s_add_i32 s86, s86, s8
	s_add_i32 s88, s88, s5
	v_pk_fma_f32 v[36:37], v[10:11], v[54:55], v[36:37]
	v_pk_fma_f32 v[38:39], v[8:9], v[44:45], v[38:39]
	;; [unrolled: 1-line block ×7, first 2 shown]
	s_cmp_eq_u32 s33, 0
	v_pk_fma_f32 v[26:27], v[14:15], v[0:1], v[26:27]
	v_readlane_b32 s6, v95, 11
	v_readlane_b32 s7, v95, 12
	;; [unrolled: 1-line block ×5, first 2 shown]
	s_cbranch_scc1 .LBB55_199
.LBB55_110:                             ;   Parent Loop BB55_13 Depth=1
                                        ; =>  This Inner Loop Header: Depth=2
	s_lshl_b64 s[92:93], s[88:89], 2
	s_add_u32 s92, s97, s92
	v_readlane_b32 s0, v95, 6
	s_addc_u32 s93, s0, s93
	global_load_dword v46, v17, s[92:93]
	s_mov_b32 s87, s89
	v_lshl_add_u64 v[0:1], s[86:87], 1, v[40:41]
	v_mov_b32_e32 v2, 0
	v_mov_b32_e32 v3, 0
	s_and_saveexec_b64 s[92:93], s[18:19]
	s_cbranch_execz .LBB55_112
; %bb.111:                              ;   in Loop: Header=BB55_110 Depth=2
	global_load_ushort v3, v[0:1], off
.LBB55_112:                             ;   in Loop: Header=BB55_110 Depth=2
	s_or_b64 exec, exec, s[92:93]
	s_and_saveexec_b64 s[92:93], s[20:21]
	s_cbranch_execz .LBB55_114
; %bb.113:                              ;   in Loop: Header=BB55_110 Depth=2
	global_load_ushort v2, v[0:1], off offset:128
.LBB55_114:                             ;   in Loop: Header=BB55_110 Depth=2
	s_or_b64 exec, exec, s[92:93]
	v_mov_b32_e32 v4, 0
	v_mov_b32_e32 v5, 0
	s_and_saveexec_b64 s[92:93], s[22:23]
	s_cbranch_execz .LBB55_116
; %bb.115:                              ;   in Loop: Header=BB55_110 Depth=2
	global_load_ushort v5, v[0:1], off offset:256
.LBB55_116:                             ;   in Loop: Header=BB55_110 Depth=2
	s_or_b64 exec, exec, s[92:93]
	s_and_saveexec_b64 s[92:93], s[24:25]
	s_cbranch_execz .LBB55_118
; %bb.117:                              ;   in Loop: Header=BB55_110 Depth=2
	global_load_ushort v4, v[0:1], off offset:384
.LBB55_118:                             ;   in Loop: Header=BB55_110 Depth=2
	s_or_b64 exec, exec, s[92:93]
	v_mov_b32_e32 v6, 0
	v_mov_b32_e32 v7, 0
	s_and_saveexec_b64 s[92:93], s[26:27]
	s_cbranch_execz .LBB55_120
; %bb.119:                              ;   in Loop: Header=BB55_110 Depth=2
	global_load_ushort v7, v[0:1], off offset:512
.LBB55_120:                             ;   in Loop: Header=BB55_110 Depth=2
	;; [unrolled: 14-line block ×7, first 2 shown]
	s_or_b64 exec, exec, s[92:93]
	s_and_saveexec_b64 s[92:93], s[50:51]
	s_cbranch_execz .LBB55_142
; %bb.141:                              ;   in Loop: Header=BB55_110 Depth=2
	global_load_ushort v16, v[0:1], off offset:1920
.LBB55_142:                             ;   in Loop: Header=BB55_110 Depth=2
	s_or_b64 exec, exec, s[92:93]
	scratch_load_dword v0, off, off offset:4 ; 4-byte Folded Reload
	s_mov_b32 s99, s89
	s_waitcnt vmcnt(0)
	ds_write_b16 v0, v3
	scratch_load_dword v0, off, off offset:8 ; 4-byte Folded Reload
	v_mov_b32_e32 v3, 0
	s_waitcnt vmcnt(0)
	ds_write_b16 v0, v2 offset:128
	scratch_load_dword v0, off, off offset:12 ; 4-byte Folded Reload
	v_mov_b32_e32 v2, 0
	s_waitcnt vmcnt(0)
	ds_write_b16 v0, v5 offset:256
	scratch_load_dword v0, off, off offset:16 ; 4-byte Folded Reload
	s_waitcnt vmcnt(0)
	ds_write_b16 v0, v4 offset:384
	scratch_load_dword v0, off, off offset:20 ; 4-byte Folded Reload
	;; [unrolled: 3-line block ×13, first 2 shown]
	s_waitcnt vmcnt(0)
	ds_write_b16 v0, v16 offset:1920
	; wave barrier
	scratch_load_dword v0, off, off         ; 4-byte Folded Reload
	s_waitcnt vmcnt(0)
	ds_read_b128 v[12:15], v0
	ds_read_b128 v[8:11], v0 offset:16
	v_lshl_add_u64 v[0:1], s[98:99], 1, v[42:43]
	s_and_saveexec_b64 s[92:93], s[18:19]
	s_cbranch_execz .LBB55_144
; %bb.143:                              ;   in Loop: Header=BB55_110 Depth=2
	global_load_ushort v3, v[0:1], off
.LBB55_144:                             ;   in Loop: Header=BB55_110 Depth=2
	s_or_b64 exec, exec, s[92:93]
	s_and_saveexec_b64 s[92:93], s[20:21]
	s_cbranch_execz .LBB55_146
; %bb.145:                              ;   in Loop: Header=BB55_110 Depth=2
	global_load_ushort v2, v[0:1], off offset:128
.LBB55_146:                             ;   in Loop: Header=BB55_110 Depth=2
	s_or_b64 exec, exec, s[92:93]
	v_mov_b32_e32 v4, 0
	v_mov_b32_e32 v5, 0
	s_and_saveexec_b64 s[92:93], s[22:23]
	s_cbranch_execz .LBB55_148
; %bb.147:                              ;   in Loop: Header=BB55_110 Depth=2
	global_load_ushort v5, v[0:1], off offset:256
.LBB55_148:                             ;   in Loop: Header=BB55_110 Depth=2
	s_or_b64 exec, exec, s[92:93]
	s_and_saveexec_b64 s[92:93], s[24:25]
	s_cbranch_execz .LBB55_150
; %bb.149:                              ;   in Loop: Header=BB55_110 Depth=2
	global_load_ushort v4, v[0:1], off offset:384
.LBB55_150:                             ;   in Loop: Header=BB55_110 Depth=2
	s_or_b64 exec, exec, s[92:93]
	v_mov_b32_e32 v6, 0
	v_mov_b32_e32 v7, 0
	s_and_saveexec_b64 s[92:93], s[26:27]
	s_cbranch_execz .LBB55_152
; %bb.151:                              ;   in Loop: Header=BB55_110 Depth=2
	global_load_ushort v7, v[0:1], off offset:512
.LBB55_152:                             ;   in Loop: Header=BB55_110 Depth=2
	;; [unrolled: 14-line block ×7, first 2 shown]
	s_or_b64 exec, exec, s[92:93]
	s_and_saveexec_b64 s[92:93], s[50:51]
	s_cbranch_execz .LBB55_174
; %bb.173:                              ;   in Loop: Header=BB55_110 Depth=2
	global_load_ushort v51, v[0:1], off offset:1920
.LBB55_174:                             ;   in Loop: Header=BB55_110 Depth=2
	s_or_b64 exec, exec, s[92:93]
	scratch_load_dword v0, off, off offset:4 ; 4-byte Folded Reload
	s_andn2_b64 vcc, exec, s[2:3]
	s_waitcnt vmcnt(0)
	ds_write_b16 v0, v3 offset:2112
	scratch_load_dword v0, off, off offset:96 ; 4-byte Folded Reload
	s_waitcnt vmcnt(0)
	ds_write_b16 v0, v2 offset:128
	scratch_load_dword v0, off, off offset:100 ; 4-byte Folded Reload
	;; [unrolled: 3-line block ×15, first 2 shown]
	s_waitcnt vmcnt(0)
	ds_write_b16 v0, v51 offset:1920
	; wave barrier
	scratch_load_dword v0, off, off         ; 4-byte Folded Reload
	s_waitcnt vmcnt(0)
	ds_read_b128 v[4:7], v0 offset:2112
	scratch_load_dword v0, off, off offset:156 ; 4-byte Folded Reload
	s_waitcnt vmcnt(0)
	ds_read_b128 v[0:3], v0 offset:16
	s_cbranch_vccnz .LBB55_176
; %bb.175:                              ;   in Loop: Header=BB55_110 Depth=2
	v_mov_b32_e32 v16, s90
	ds_read_b64 v[44:45], v16
	s_cbranch_execz .LBB55_177
	s_branch .LBB55_180
.LBB55_176:                             ;   in Loop: Header=BB55_110 Depth=2
                                        ; implicit-def: $vgpr45
.LBB55_177:                             ;   in Loop: Header=BB55_110 Depth=2
	v_readlane_b32 s0, v95, 0
	v_readlane_b32 s1, v95, 1
	s_andn2_b64 vcc, exec, s[0:1]
	s_waitcnt lgkmcnt(0)
	v_mov_b32_e32 v45, 0
	s_cbranch_vccnz .LBB55_179
; %bb.178:                              ;   in Loop: Header=BB55_110 Depth=2
	s_mov_b32 s97, s89
	s_lshl_b64 s[92:93], s[96:97], 2
	v_readlane_b32 s0, v95, 27
	s_add_u32 s92, s0, s92
	v_readlane_b32 s0, v95, 28
	s_addc_u32 s93, s0, s93
	global_load_dword v45, v17, s[92:93]
	v_readlane_b32 s97, v95, 48
.LBB55_179:                             ;   in Loop: Header=BB55_110 Depth=2
	v_mov_b32_e32 v44, 1.0
.LBB55_180:                             ;   in Loop: Header=BB55_110 Depth=2
	v_mul_f32_e32 v52, 0x3fb8aa3b, v46
	s_waitcnt lgkmcnt(14)
	v_lshlrev_b32_e32 v49, 16, v8
	v_and_b32_e32 v50, 0xffff0000, v8
	v_mul_f32_e32 v8, v52, v19
	v_cmp_gt_f32_e32 vcc, s91, v8
	v_lshlrev_b32_e32 v55, 16, v10
	v_and_b32_e32 v58, 0xffff0000, v10
	v_cndmask_b32_e32 v8, 0, v68, vcc
	v_mul_f32_e32 v10, v52, v20
	v_lshlrev_b32_e32 v51, 16, v9
	v_and_b32_e32 v54, 0xffff0000, v9
	v_fmac_f32_e32 v8, v52, v19
	v_cndmask_b32_e32 v9, 1.0, v69, vcc
	v_cmp_gt_f32_e32 vcc, s91, v10
	v_exp_f32_e32 v8, v8
	v_lshlrev_b32_e32 v59, 16, v11
	v_cndmask_b32_e32 v10, 0, v68, vcc
	v_fmac_f32_e32 v10, v52, v20
	v_exp_f32_e32 v10, v10
	v_and_b32_e32 v53, 0xffff0000, v11
	v_mul_f32_e32 v9, v8, v9
	v_mul_f32_e32 v11, v52, v21
	v_lshlrev_b32_e32 v16, 16, v12
	v_and_b32_e32 v12, 0xffff0000, v12
	v_cndmask_b32_e64 v79, 1.0, v9, s[52:53]
	v_cndmask_b32_e32 v9, 1.0, v69, vcc
	v_cmp_gt_f32_e32 vcc, s91, v11
	v_mul_f32_e32 v10, v10, v9
	v_mul_f32_e32 v9, v77, v12
	v_cndmask_b32_e32 v11, 0, v68, vcc
	v_mul_f32_e32 v12, v52, v18
	v_fmac_f32_e32 v11, v52, v21
	v_cndmask_b32_e64 v80, 1.0, v10, s[54:55]
	v_cndmask_b32_e32 v10, 1.0, v69, vcc
	v_cmp_gt_f32_e32 vcc, s91, v12
	v_exp_f32_e32 v11, v11
	v_lshlrev_b32_e32 v22, 16, v13
	v_cndmask_b32_e32 v12, 0, v68, vcc
	v_fmac_f32_e32 v12, v52, v18
	v_exp_f32_e32 v12, v12
	v_mul_f32_e32 v11, v11, v10
	v_and_b32_e32 v13, 0xffff0000, v13
	v_cndmask_b32_e64 v81, 1.0, v11, s[56:57]
	v_cndmask_b32_e32 v11, 1.0, v69, vcc
	v_mul_f32_e32 v12, v12, v11
	v_mul_f32_e32 v11, v75, v13
	;; [unrolled: 1-line block ×3, first 2 shown]
	v_cmp_gt_f32_e32 vcc, s91, v13
	v_mul_f32_e32 v8, v78, v16
	v_mul_f32_e32 v16, v52, v67
	v_cndmask_b32_e32 v13, 0, v68, vcc
	v_fmac_f32_e32 v13, v52, v66
	v_cndmask_b32_e64 v82, 1.0, v12, s[58:59]
	v_cndmask_b32_e32 v12, 1.0, v69, vcc
	v_cmp_gt_f32_e32 vcc, s91, v16
	v_exp_f32_e32 v13, v13
	v_lshlrev_b32_e32 v47, 16, v14
	v_cndmask_b32_e32 v16, 0, v68, vcc
	v_fmac_f32_e32 v16, v52, v67
	v_exp_f32_e32 v16, v16
	v_mul_f32_e32 v13, v13, v12
	v_and_b32_e32 v14, 0xffff0000, v14
	v_cndmask_b32_e64 v83, 1.0, v13, s[60:61]
	v_cndmask_b32_e32 v13, 1.0, v69, vcc
	v_mul_f32_e32 v16, v16, v13
	v_mul_f32_e32 v13, v73, v14
	;; [unrolled: 1-line block ×3, first 2 shown]
	v_cmp_gt_f32_e32 vcc, s91, v14
	v_lshlrev_b32_e32 v48, 16, v15
	v_and_b32_e32 v15, 0xffff0000, v15
	v_cndmask_b32_e32 v14, 0, v68, vcc
	v_fmac_f32_e32 v14, v52, v70
	v_exp_f32_e32 v14, v14
	v_mul_f32_e32 v15, v64, v15
	v_mul_f32_e32 v12, v74, v47
	v_cndmask_b32_e64 v84, 1.0, v16, s[62:63]
	v_cndmask_b32_e32 v16, 1.0, v69, vcc
	v_cndmask_b32_e64 v47, 0, v15, s[66:67]
	v_mul_f32_e32 v15, v63, v49
	v_mul_f32_e32 v14, v14, v16
	;; [unrolled: 1-line block ×3, first 2 shown]
	v_cndmask_b32_e64 v48, 0, v15, s[68:69]
	scratch_load_dword v15, off, off offset:92 ; 4-byte Folded Reload
	v_mul_f32_e32 v10, v76, v22
	v_mul_f32_e32 v22, v52, v88
	v_cmp_gt_f32_e32 vcc, s91, v22
	v_cndmask_b32_e64 v46, 0, v16, s[64:65]
	v_mul_f32_e32 v16, v52, v89
	v_cndmask_b32_e32 v22, 0, v68, vcc
	v_fmac_f32_e32 v22, v52, v88
	v_cndmask_b32_e64 v85, 1.0, v14, s[64:65]
	v_cndmask_b32_e32 v14, 1.0, v69, vcc
	v_cmp_gt_f32_e32 vcc, s91, v16
	v_exp_f32_e32 v22, v22
	v_cndmask_b32_e64 v8, 0, v8, s[52:53]
	v_cndmask_b32_e32 v16, 0, v68, vcc
	v_fmac_f32_e32 v16, v52, v89
	v_exp_f32_e32 v16, v16
	v_mul_f32_e32 v14, v22, v14
	v_cndmask_b32_e64 v86, 1.0, v14, s[66:67]
	v_cndmask_b32_e32 v14, 1.0, v69, vcc
	v_mul_f32_e32 v14, v16, v14
	v_mul_f32_e32 v16, v52, v90
	v_cmp_gt_f32_e32 vcc, s91, v16
	v_cndmask_b32_e64 v65, 1.0, v14, s[68:69]
	v_cndmask_b32_e64 v9, 0, v9, s[54:55]
	v_cndmask_b32_e32 v16, 0, v68, vcc
	v_fmac_f32_e32 v16, v52, v90
	v_exp_f32_e32 v16, v16
	v_cndmask_b32_e32 v14, 1.0, v69, vcc
	v_cndmask_b32_e64 v10, 0, v10, s[56:57]
	v_cndmask_b32_e64 v11, 0, v11, s[58:59]
	v_mul_f32_e32 v14, v16, v14
	v_mul_f32_e32 v16, v52, v91
	v_cmp_gt_f32_e32 vcc, s91, v16
	v_cndmask_b32_e64 v71, 1.0, v14, s[70:71]
	v_cndmask_b32_e64 v12, 0, v12, s[60:61]
	v_cndmask_b32_e32 v16, 0, v68, vcc
	v_fmac_f32_e32 v16, v52, v91
	v_exp_f32_e32 v16, v16
	v_cndmask_b32_e32 v14, 1.0, v69, vcc
	v_cndmask_b32_e64 v13, 0, v13, s[62:63]
	v_readlane_b32 s0, v95, 35
	v_mul_f32_e32 v14, v16, v14
	v_mul_f32_e32 v16, v52, v92
	v_cmp_gt_f32_e32 vcc, s91, v16
	v_cndmask_b32_e64 v22, 1.0, v14, s[72:73]
	v_readlane_b32 s1, v95, 36
	v_cndmask_b32_e32 v16, 0, v68, vcc
	v_fmac_f32_e32 v16, v52, v92
	v_exp_f32_e32 v16, v16
	v_cndmask_b32_e32 v14, 1.0, v69, vcc
	v_mul_f32_e32 v14, v16, v14
	v_mul_f32_e32 v16, v52, v93
	v_cmp_gt_f32_e32 vcc, s91, v16
	v_cndmask_b32_e64 v87, 1.0, v14, s[74:75]
	s_waitcnt vmcnt(0)
	v_mul_f32_e32 v15, v15, v50
	v_cndmask_b32_e64 v49, 0, v15, s[70:71]
	scratch_load_dword v15, off, off offset:88 ; 4-byte Folded Reload
	v_cndmask_b32_e32 v16, 0, v68, vcc
	v_fmac_f32_e32 v16, v52, v93
	v_exp_f32_e32 v16, v16
	v_cndmask_b32_e32 v14, 1.0, v69, vcc
	s_waitcnt vmcnt(0)
	v_mul_f32_e32 v15, v15, v51
	v_cndmask_b32_e64 v50, 0, v15, s[72:73]
	scratch_load_dword v15, off, off offset:84 ; 4-byte Folded Reload
	s_waitcnt vmcnt(0)
	v_mul_f32_e32 v15, v15, v54
	v_cndmask_b32_e64 v51, 0, v15, s[74:75]
	v_mul_f32_e32 v15, v16, v14
	scratch_load_dword v14, off, off offset:80 ; 4-byte Folded Reload
	v_mul_f32_e32 v16, v52, v94
	v_cmp_gt_f32_e32 vcc, s91, v16
	v_mul_f32_e32 v54, v52, v56
	v_cndmask_b32_e64 v57, 1.0, v15, s[76:77]
	v_cndmask_b32_e32 v16, 0, v68, vcc
	v_fmac_f32_e32 v16, v52, v94
	v_cndmask_b32_e32 v15, 1.0, v69, vcc
	v_cmp_gt_f32_e32 vcc, s91, v54
	v_exp_f32_e32 v16, v16
	s_nop 0
	v_cndmask_b32_e32 v54, 0, v68, vcc
	v_fmac_f32_e32 v54, v52, v56
	v_exp_f32_e32 v54, v54
	v_mul_f32_e32 v16, v16, v15
	scratch_load_dword v15, off, off offset:76 ; 4-byte Folded Reload
	v_cndmask_b32_e64 v16, 1.0, v16, s[78:79]
	s_waitcnt vmcnt(1)
	v_mul_f32_e32 v14, v14, v55
	v_cndmask_b32_e32 v55, 1.0, v69, vcc
	v_mul_f32_e32 v54, v54, v55
	scratch_load_dword v55, off, off offset:72 ; 4-byte Folded Reload
	v_cndmask_b32_e64 v14, 0, v14, s[76:77]
	s_waitcnt vmcnt(1)
	v_mul_f32_e32 v15, v15, v58
	v_mul_f32_e32 v58, v52, v23
	v_cmp_gt_f32_e32 vcc, s91, v58
	v_cndmask_b32_e64 v15, 0, v15, s[78:79]
	s_waitcnt vmcnt(0)
	v_mul_f32_e32 v55, v55, v59
	v_cndmask_b32_e32 v58, 0, v68, vcc
	v_fmac_f32_e32 v58, v52, v23
	v_cndmask_b32_e64 v52, 0, v55, s[80:81]
	scratch_load_dword v55, off, off offset:68 ; 4-byte Folded Reload
	v_exp_f32_e32 v59, v58
	v_cndmask_b32_e64 v58, 1.0, v54, s[80:81]
	v_cndmask_b32_e32 v54, 1.0, v69, vcc
	v_mul_f32_e32 v54, v59, v54
	v_cndmask_b32_e64 v59, 1.0, v54, s[82:83]
	v_mul_f32_e32 v54, v80, v79
	v_mul_f32_e32 v54, v54, v81
	;; [unrolled: 1-line block ×15, first 2 shown]
	s_waitcnt vmcnt(0)
	v_mul_f32_e32 v53, v55, v53
	v_fma_f32 v55, v80, v8, v9
	v_fma_f32 v55, v55, v81, v10
	;; [unrolled: 1-line block ×13, first 2 shown]
	v_cndmask_b32_e64 v53, 0, v53, s[82:83]
	v_fma_f32 v55, v55, v58, v52
	v_fma_f32 v62, v55, v59, v53
	v_mov_b32_dpp v61, v54 row_shr:1 row_mask:0xf bank_mask:0xf
	s_nop 0
	v_mov_b32_dpp v60, v62 row_shr:1 row_mask:0xf bank_mask:0xf
	s_and_saveexec_b64 s[92:93], s[0:1]
; %bb.181:                              ;   in Loop: Header=BB55_110 Depth=2
	v_mul_f32_e32 v61, v54, v61
	v_fmac_f32_e32 v62, v54, v60
	v_mov_b32_e32 v54, v61
; %bb.182:                              ;   in Loop: Header=BB55_110 Depth=2
	s_or_b64 exec, exec, s[92:93]
	v_readlane_b32 s0, v95, 37
	v_mov_b32_dpp v60, v54 row_shr:2 row_mask:0xf bank_mask:0xf
	v_mov_b32_dpp v61, v62 row_shr:2 row_mask:0xf bank_mask:0xf
	v_readlane_b32 s1, v95, 38
	s_and_saveexec_b64 s[92:93], s[0:1]
; %bb.183:                              ;   in Loop: Header=BB55_110 Depth=2
	v_fmac_f32_e32 v62, v54, v61
	v_mul_f32_e32 v54, v54, v60
; %bb.184:                              ;   in Loop: Header=BB55_110 Depth=2
	s_or_b64 exec, exec, s[92:93]
	s_nop 0
	v_mov_b32_dpp v60, v54 row_shr:4 row_mask:0xf bank_mask:0xf
	v_mov_b32_dpp v61, v62 row_shr:4 row_mask:0xf bank_mask:0xf
	s_and_saveexec_b64 s[92:93], s[84:85]
; %bb.185:                              ;   in Loop: Header=BB55_110 Depth=2
	v_fmac_f32_e32 v62, v54, v61
	v_mul_f32_e32 v54, v54, v60
; %bb.186:                              ;   in Loop: Header=BB55_110 Depth=2
	s_or_b64 exec, exec, s[92:93]
	v_readlane_b32 s0, v95, 39
	v_mov_b32_dpp v60, v54 row_shr:8 row_mask:0xf bank_mask:0xf
	v_mov_b32_dpp v61, v62 row_shr:8 row_mask:0xf bank_mask:0xf
	v_readlane_b32 s1, v95, 40
	s_and_saveexec_b64 s[92:93], s[0:1]
; %bb.187:                              ;   in Loop: Header=BB55_110 Depth=2
	v_fmac_f32_e32 v62, v54, v61
	v_mul_f32_e32 v54, v54, v60
; %bb.188:                              ;   in Loop: Header=BB55_110 Depth=2
	s_or_b64 exec, exec, s[92:93]
	v_readlane_b32 s0, v95, 41
	v_mov_b32_dpp v60, v54 row_bcast:15 row_mask:0xf bank_mask:0xf
	v_mov_b32_dpp v61, v62 row_bcast:15 row_mask:0xf bank_mask:0xf
	v_readlane_b32 s1, v95, 42
	s_and_saveexec_b64 s[92:93], s[0:1]
; %bb.189:                              ;   in Loop: Header=BB55_110 Depth=2
	v_fmac_f32_e32 v62, v54, v61
	v_mul_f32_e32 v54, v54, v60
; %bb.190:                              ;   in Loop: Header=BB55_110 Depth=2
	s_or_b64 exec, exec, s[92:93]
	s_nop 0
	v_mov_b32_dpp v60, v54 row_bcast:31 row_mask:0xf bank_mask:0xf
	v_mov_b32_dpp v61, v62 row_bcast:31 row_mask:0xf bank_mask:0xf
	v_mov_b32_e32 v55, v62
	v_mul_f32_e32 v60, v54, v60
	v_fmac_f32_e32 v55, v54, v61
	v_readlane_b32 s0, v95, 45
	v_cndmask_b32_e64 v54, v54, v60, s[12:13]
	v_cndmask_b32_e64 v55, v62, v55, s[12:13]
	v_readlane_b32 s1, v95, 46
	s_and_saveexec_b64 s[92:93], s[0:1]
	s_cbranch_execz .LBB55_192
; %bb.191:                              ;   in Loop: Header=BB55_110 Depth=2
	ds_write_b64 v17, v[54:55] offset:4224
.LBB55_192:                             ;   in Loop: Header=BB55_110 Depth=2
	s_or_b64 exec, exec, s[92:93]
	scratch_load_dword v61, off, off offset:160 ; 4-byte Folded Reload
	s_waitcnt lgkmcnt(0)
	; wave barrier
	s_waitcnt vmcnt(0) lgkmcnt(0)
	ds_bpermute_b32 v60, v61, v54
	ds_bpermute_b32 v61, v61, v55
	v_mov_b32_e32 v55, v45
	s_and_saveexec_b64 s[92:93], s[14:15]
	s_cbranch_execz .LBB55_196
; %bb.193:                              ;   in Loop: Header=BB55_110 Depth=2
	ds_read_b64 v[54:55], v17 offset:4224
	s_and_saveexec_b64 vcc, s[16:17]
	s_cbranch_execz .LBB55_195
; %bb.194:                              ;   in Loop: Header=BB55_110 Depth=2
	ds_write_b64 v17, v[44:45] offset:4224
.LBB55_195:                             ;   in Loop: Header=BB55_110 Depth=2
	s_or_b64 exec, exec, vcc
	s_waitcnt lgkmcnt(0)
	v_fmac_f32_e32 v55, v45, v54
	v_mul_f32_e32 v44, v44, v54
	v_mov_b32_e32 v45, v55
.LBB55_196:                             ;   in Loop: Header=BB55_110 Depth=2
	s_or_b64 exec, exec, s[92:93]
	s_waitcnt lgkmcnt(0)
	; wave barrier
	s_waitcnt lgkmcnt(0)
	ds_read_b32 v54, v17 offset:4228
	s_and_saveexec_b64 s[92:93], s[16:17]
	s_cbranch_execz .LBB55_109
; %bb.197:                              ;   in Loop: Header=BB55_110 Depth=2
	v_mov_b32_e32 v62, s90
	s_andn2_b64 vcc, exec, s[94:95]
	ds_write_b64 v62, v[44:45]
	s_cbranch_vccnz .LBB55_109
; %bb.198:                              ;   in Loop: Header=BB55_110 Depth=2
	s_mov_b32 s97, s89
	s_lshl_b64 s[0:1], s[96:97], 2
	v_readlane_b32 s4, v95, 27
	s_add_u32 s0, s4, s0
	v_readlane_b32 s4, v95, 28
	v_readlane_b32 s97, v95, 48
	s_addc_u32 s1, s4, s1
	global_store_dword v17, v55, s[0:1]
	s_branch .LBB55_109
.LBB55_199:                             ;   in Loop: Header=BB55_13 Depth=1
	scratch_load_dwordx2 v[42:43], off, off offset:164 ; 8-byte Folded Reload
	v_readlane_b32 s4, v95, 49
	v_readlane_b32 s5, v95, 50
	s_mov_b32 s6, 0x41a00000
	s_mov_b32 s7, 0x3fb8aa3b
	s_mov_b32 s8, 0xc2ce8ed0
	s_mov_b32 s9, 0x42b17218
	s_mov_b32 s10, 0x7f800000
	s_mov_b32 s11, 0x3f2aaaab
	s_mov_b32 s33, 0x3f317218
	s_mov_b32 s54, 0x33800000
	v_mov_b32_e32 v40, 0x3ecc95a3
	v_mov_b32_e32 v41, 0x7f800000
.LBB55_200:                             ;   in Loop: Header=BB55_13 Depth=1
	s_waitcnt lgkmcnt(0)
	; wave barrier
	scratch_load_dword v9, off, off         ; 4-byte Folded Reload
	v_bfe_u32 v0, v38, 16, 1
	s_movk_i32 s0, 0x7fff
	v_bfe_u32 v1, v39, 16, 1
	v_add3_u32 v0, v38, v0, s0
	v_bfe_u32 v2, v36, 16, 1
	v_add3_u32 v1, v39, v1, s0
	v_lshrrev_b32_e32 v0, 16, v0
	v_cmp_o_f32_e32 vcc, v38, v38
	v_mov_b32_e32 v10, 0x7fc0
	v_bfe_u32 v3, v37, 16, 1
	v_add3_u32 v2, v36, v2, s0
	v_lshrrev_b32_e32 v1, 16, v1
	v_cndmask_b32_e32 v0, v10, v0, vcc
	v_cmp_o_f32_e32 vcc, v39, v39
	v_add3_u32 v3, v37, v3, s0
	v_lshrrev_b32_e32 v2, 16, v2
	v_cndmask_b32_e32 v4, v10, v1, vcc
	v_cmp_o_f32_e32 vcc, v36, v36
	v_lshrrev_b32_e32 v3, 16, v3
	v_bfe_u32 v6, v32, 16, 1
	v_cndmask_b32_e32 v1, v10, v2, vcc
	v_cmp_o_f32_e32 vcc, v37, v37
	v_bfe_u32 v2, v34, 16, 1
	v_add3_u32 v2, v34, v2, s0
	v_cndmask_b32_e32 v5, v10, v3, vcc
	v_bfe_u32 v3, v35, 16, 1
	v_add3_u32 v3, v35, v3, s0
	v_lshrrev_b32_e32 v2, 16, v2
	v_cmp_o_f32_e32 vcc, v34, v34
	v_bfe_u32 v7, v33, 16, 1
	v_add3_u32 v6, v32, v6, s0
	v_lshrrev_b32_e32 v3, 16, v3
	v_cndmask_b32_e32 v2, v10, v2, vcc
	v_cmp_o_f32_e32 vcc, v35, v35
	v_add3_u32 v7, v33, v7, s0
	v_lshrrev_b32_e32 v6, 16, v6
	v_cndmask_b32_e32 v8, v10, v3, vcc
	v_cmp_o_f32_e32 vcc, v32, v32
	v_lshrrev_b32_e32 v7, 16, v7
	s_mov_b32 s1, 0x5040100
	v_cndmask_b32_e32 v3, v10, v6, vcc
	v_cmp_o_f32_e32 vcc, v33, v33
	v_perm_b32 v2, v8, v2, s1
	v_perm_b32 v1, v5, v1, s1
	v_cndmask_b32_e32 v6, v10, v7, vcc
	v_perm_b32 v3, v6, v3, s1
	v_perm_b32 v0, v4, v0, s1
	v_cmp_o_f32_e32 vcc, v30, v30
	v_bfe_u32 v6, v24, 16, 1
	v_bfe_u32 v7, v25, 16, 1
	v_add3_u32 v6, v24, v6, s0
	v_add3_u32 v7, v25, v7, s0
	v_lshrrev_b32_e32 v6, 16, v6
	v_lshrrev_b32_e32 v7, 16, v7
	s_waitcnt vmcnt(0)
	ds_write_b128 v9, v[0:3]
	v_bfe_u32 v0, v30, 16, 1
	v_bfe_u32 v1, v31, 16, 1
	v_add3_u32 v0, v30, v0, s0
	v_bfe_u32 v2, v28, 16, 1
	v_add3_u32 v1, v31, v1, s0
	v_lshrrev_b32_e32 v0, 16, v0
	v_bfe_u32 v3, v29, 16, 1
	v_add3_u32 v2, v28, v2, s0
	v_lshrrev_b32_e32 v1, 16, v1
	v_cndmask_b32_e32 v0, v10, v0, vcc
	v_cmp_o_f32_e32 vcc, v31, v31
	v_add3_u32 v3, v29, v3, s0
	v_lshrrev_b32_e32 v2, 16, v2
	v_cndmask_b32_e32 v4, v10, v1, vcc
	v_cmp_o_f32_e32 vcc, v28, v28
	v_lshrrev_b32_e32 v3, 16, v3
	v_perm_b32 v0, v4, v0, s1
	v_cndmask_b32_e32 v1, v10, v2, vcc
	v_cmp_o_f32_e32 vcc, v29, v29
	v_bfe_u32 v2, v26, 16, 1
	v_add3_u32 v2, v26, v2, s0
	v_cndmask_b32_e32 v5, v10, v3, vcc
	v_bfe_u32 v3, v27, 16, 1
	v_add3_u32 v3, v27, v3, s0
	v_lshrrev_b32_e32 v2, 16, v2
	v_cmp_o_f32_e32 vcc, v26, v26
	v_lshrrev_b32_e32 v3, 16, v3
	v_perm_b32 v1, v5, v1, s1
	v_cndmask_b32_e32 v2, v10, v2, vcc
	v_cmp_o_f32_e32 vcc, v27, v27
	s_nop 1
	v_cndmask_b32_e32 v8, v10, v3, vcc
	v_cmp_o_f32_e32 vcc, v24, v24
	v_perm_b32 v2, v8, v2, s1
	s_nop 0
	v_cndmask_b32_e32 v3, v10, v6, vcc
	v_cmp_o_f32_e32 vcc, v25, v25
	s_nop 1
	v_cndmask_b32_e32 v6, v10, v7, vcc
	v_perm_b32 v3, v6, v3, s1
	ds_write_b128 v9, v[0:3] offset:16
	; wave barrier
	scratch_load_dword v0, off, off offset:8 ; 4-byte Folded Reload
	v_readlane_b32 s0, v95, 52
	v_readlane_b32 s1, v95, 53
	s_mov_b32 s1, s89
	s_waitcnt vmcnt(0)
	ds_read_u16 v16, v0 offset:128
	scratch_load_dword v0, off, off offset:12 ; 4-byte Folded Reload
	s_waitcnt vmcnt(0)
	ds_read_u16 v15, v0 offset:256
	scratch_load_dword v0, off, off offset:16 ; 4-byte Folded Reload
	;; [unrolled: 3-line block ×14, first 2 shown]
	s_waitcnt vmcnt(0)
	ds_read_u16 v2, v0 offset:1920
	scratch_load_dwordx2 v[0:1], off, off offset:240 ; 8-byte Folded Reload
	s_waitcnt vmcnt(0)
	v_lshl_add_u64 v[0:1], s[0:1], 1, v[0:1]
	s_and_saveexec_b64 s[2:3], s[18:19]
	s_cbranch_execnz .LBB55_218
; %bb.201:                              ;   in Loop: Header=BB55_13 Depth=1
	s_or_b64 exec, exec, s[2:3]
	s_and_saveexec_b64 s[2:3], s[20:21]
	s_cbranch_execnz .LBB55_219
.LBB55_202:                             ;   in Loop: Header=BB55_13 Depth=1
	s_or_b64 exec, exec, s[2:3]
	s_and_saveexec_b64 s[2:3], s[22:23]
	s_cbranch_execnz .LBB55_220
.LBB55_203:                             ;   in Loop: Header=BB55_13 Depth=1
	s_or_b64 exec, exec, s[2:3]
	s_and_saveexec_b64 s[2:3], s[24:25]
	s_cbranch_execnz .LBB55_221
.LBB55_204:                             ;   in Loop: Header=BB55_13 Depth=1
	s_or_b64 exec, exec, s[2:3]
	s_and_saveexec_b64 s[2:3], s[26:27]
	s_cbranch_execnz .LBB55_222
.LBB55_205:                             ;   in Loop: Header=BB55_13 Depth=1
	s_or_b64 exec, exec, s[2:3]
	s_and_saveexec_b64 s[2:3], s[28:29]
	s_cbranch_execnz .LBB55_223
.LBB55_206:                             ;   in Loop: Header=BB55_13 Depth=1
	s_or_b64 exec, exec, s[2:3]
	s_and_saveexec_b64 s[2:3], s[30:31]
	s_cbranch_execnz .LBB55_224
.LBB55_207:                             ;   in Loop: Header=BB55_13 Depth=1
	s_or_b64 exec, exec, s[2:3]
	s_and_saveexec_b64 s[2:3], s[34:35]
	s_cbranch_execnz .LBB55_225
.LBB55_208:                             ;   in Loop: Header=BB55_13 Depth=1
	s_or_b64 exec, exec, s[2:3]
	s_and_saveexec_b64 s[2:3], s[36:37]
	s_cbranch_execnz .LBB55_226
.LBB55_209:                             ;   in Loop: Header=BB55_13 Depth=1
	s_or_b64 exec, exec, s[2:3]
	s_and_saveexec_b64 s[2:3], s[38:39]
	s_cbranch_execnz .LBB55_227
.LBB55_210:                             ;   in Loop: Header=BB55_13 Depth=1
	s_or_b64 exec, exec, s[2:3]
	s_and_saveexec_b64 s[2:3], s[40:41]
	s_cbranch_execnz .LBB55_228
.LBB55_211:                             ;   in Loop: Header=BB55_13 Depth=1
	s_or_b64 exec, exec, s[2:3]
	s_and_saveexec_b64 s[2:3], s[42:43]
	s_cbranch_execnz .LBB55_229
.LBB55_212:                             ;   in Loop: Header=BB55_13 Depth=1
	s_or_b64 exec, exec, s[2:3]
	s_and_saveexec_b64 s[2:3], s[44:45]
	s_cbranch_execnz .LBB55_230
.LBB55_213:                             ;   in Loop: Header=BB55_13 Depth=1
	s_or_b64 exec, exec, s[2:3]
	s_and_saveexec_b64 s[2:3], s[46:47]
	s_cbranch_execnz .LBB55_231
.LBB55_214:                             ;   in Loop: Header=BB55_13 Depth=1
	s_or_b64 exec, exec, s[2:3]
	s_and_saveexec_b64 s[2:3], s[48:49]
	s_cbranch_execnz .LBB55_232
.LBB55_215:                             ;   in Loop: Header=BB55_13 Depth=1
	s_or_b64 exec, exec, s[2:3]
	s_and_saveexec_b64 s[2:3], s[50:51]
	s_cbranch_execz .LBB55_12
	s_branch .LBB55_233
.LBB55_216:                             ;   in Loop: Header=BB55_13 Depth=1
	global_load_ushort v26, v[8:9], off offset:1664
	s_or_b64 exec, exec, s[2:3]
	s_and_saveexec_b64 s[2:3], s[48:49]
	s_cbranch_execz .LBB55_73
.LBB55_217:                             ;   in Loop: Header=BB55_13 Depth=1
	global_load_ushort v25, v[8:9], off offset:1792
	s_or_b64 exec, exec, s[2:3]
	v_mov_b32_e32 v27, 0
	s_and_saveexec_b64 s[2:3], s[50:51]
	s_cbranch_execnz .LBB55_74
	s_branch .LBB55_75
.LBB55_218:                             ;   in Loop: Header=BB55_13 Depth=1
	scratch_load_dword v18, off, off offset:4 ; 4-byte Folded Reload
	s_waitcnt vmcnt(0)
	ds_read_u16 v18, v18
	s_waitcnt lgkmcnt(0)
	global_store_short v[0:1], v18, off
	s_or_b64 exec, exec, s[2:3]
	s_and_saveexec_b64 s[2:3], s[20:21]
	s_cbranch_execz .LBB55_202
.LBB55_219:                             ;   in Loop: Header=BB55_13 Depth=1
	s_waitcnt lgkmcnt(14)
	global_store_short v[0:1], v16, off offset:128
	s_or_b64 exec, exec, s[2:3]
	s_and_saveexec_b64 s[2:3], s[22:23]
	s_cbranch_execz .LBB55_203
.LBB55_220:                             ;   in Loop: Header=BB55_13 Depth=1
	s_waitcnt lgkmcnt(13)
	global_store_short v[0:1], v15, off offset:256
	s_or_b64 exec, exec, s[2:3]
	s_and_saveexec_b64 s[2:3], s[24:25]
	s_cbranch_execz .LBB55_204
.LBB55_221:                             ;   in Loop: Header=BB55_13 Depth=1
	s_waitcnt lgkmcnt(12)
	global_store_short v[0:1], v14, off offset:384
	s_or_b64 exec, exec, s[2:3]
	s_and_saveexec_b64 s[2:3], s[26:27]
	s_cbranch_execz .LBB55_205
.LBB55_222:                             ;   in Loop: Header=BB55_13 Depth=1
	s_waitcnt lgkmcnt(11)
	global_store_short v[0:1], v13, off offset:512
	s_or_b64 exec, exec, s[2:3]
	s_and_saveexec_b64 s[2:3], s[28:29]
	s_cbranch_execz .LBB55_206
.LBB55_223:                             ;   in Loop: Header=BB55_13 Depth=1
	s_waitcnt lgkmcnt(10)
	global_store_short v[0:1], v12, off offset:640
	s_or_b64 exec, exec, s[2:3]
	s_and_saveexec_b64 s[2:3], s[30:31]
	s_cbranch_execz .LBB55_207
.LBB55_224:                             ;   in Loop: Header=BB55_13 Depth=1
	s_waitcnt lgkmcnt(9)
	global_store_short v[0:1], v11, off offset:768
	s_or_b64 exec, exec, s[2:3]
	s_and_saveexec_b64 s[2:3], s[34:35]
	s_cbranch_execz .LBB55_208
.LBB55_225:                             ;   in Loop: Header=BB55_13 Depth=1
	s_waitcnt lgkmcnt(8)
	global_store_short v[0:1], v10, off offset:896
	s_or_b64 exec, exec, s[2:3]
	s_and_saveexec_b64 s[2:3], s[36:37]
	s_cbranch_execz .LBB55_209
.LBB55_226:                             ;   in Loop: Header=BB55_13 Depth=1
	s_waitcnt lgkmcnt(7)
	global_store_short v[0:1], v9, off offset:1024
	s_or_b64 exec, exec, s[2:3]
	s_and_saveexec_b64 s[2:3], s[38:39]
	s_cbranch_execz .LBB55_210
.LBB55_227:                             ;   in Loop: Header=BB55_13 Depth=1
	s_waitcnt lgkmcnt(6)
	global_store_short v[0:1], v8, off offset:1152
	s_or_b64 exec, exec, s[2:3]
	s_and_saveexec_b64 s[2:3], s[40:41]
	s_cbranch_execz .LBB55_211
.LBB55_228:                             ;   in Loop: Header=BB55_13 Depth=1
	s_waitcnt lgkmcnt(5)
	global_store_short v[0:1], v7, off offset:1280
	s_or_b64 exec, exec, s[2:3]
	s_and_saveexec_b64 s[2:3], s[42:43]
	s_cbranch_execz .LBB55_212
.LBB55_229:                             ;   in Loop: Header=BB55_13 Depth=1
	s_waitcnt lgkmcnt(4)
	global_store_short v[0:1], v6, off offset:1408
	s_or_b64 exec, exec, s[2:3]
	s_and_saveexec_b64 s[2:3], s[44:45]
	s_cbranch_execz .LBB55_213
.LBB55_230:                             ;   in Loop: Header=BB55_13 Depth=1
	s_waitcnt lgkmcnt(3)
	global_store_short v[0:1], v5, off offset:1536
	s_or_b64 exec, exec, s[2:3]
	s_and_saveexec_b64 s[2:3], s[46:47]
	s_cbranch_execz .LBB55_214
.LBB55_231:                             ;   in Loop: Header=BB55_13 Depth=1
	s_waitcnt lgkmcnt(2)
	global_store_short v[0:1], v4, off offset:1664
	s_or_b64 exec, exec, s[2:3]
	s_and_saveexec_b64 s[2:3], s[48:49]
	s_cbranch_execz .LBB55_215
.LBB55_232:                             ;   in Loop: Header=BB55_13 Depth=1
	s_waitcnt lgkmcnt(1)
	global_store_short v[0:1], v3, off offset:1792
	s_or_b64 exec, exec, s[2:3]
	s_and_saveexec_b64 s[2:3], s[50:51]
	s_cbranch_execz .LBB55_12
.LBB55_233:                             ;   in Loop: Header=BB55_13 Depth=1
	s_waitcnt lgkmcnt(0)
	global_store_short v[0:1], v2, off offset:1920
	s_branch .LBB55_12
.LBB55_234:
	s_endpgm
	.section	.rodata,"a",@progbits
	.p2align	6, 0x0
	.amdhsa_kernel _Z25selective_scan_fwd_kernelI32Selective_Scan_fwd_kernel_traitsILi64ELi16ELi1ELb0ELb1ELb1ELb0ELb0EN3c108BFloat16EffEEv13SSMParamsBase
		.amdhsa_group_segment_fixed_size 0
		.amdhsa_private_segment_fixed_size 316
		.amdhsa_kernarg_size 248
		.amdhsa_user_sgpr_count 2
		.amdhsa_user_sgpr_dispatch_ptr 0
		.amdhsa_user_sgpr_queue_ptr 0
		.amdhsa_user_sgpr_kernarg_segment_ptr 1
		.amdhsa_user_sgpr_dispatch_id 0
		.amdhsa_user_sgpr_kernarg_preload_length 0
		.amdhsa_user_sgpr_kernarg_preload_offset 0
		.amdhsa_user_sgpr_private_segment_size 0
		.amdhsa_uses_dynamic_stack 0
		.amdhsa_enable_private_segment 1
		.amdhsa_system_sgpr_workgroup_id_x 1
		.amdhsa_system_sgpr_workgroup_id_y 1
		.amdhsa_system_sgpr_workgroup_id_z 0
		.amdhsa_system_sgpr_workgroup_info 0
		.amdhsa_system_vgpr_workitem_id 0
		.amdhsa_next_free_vgpr 96
		.amdhsa_next_free_sgpr 100
		.amdhsa_accum_offset 96
		.amdhsa_reserve_vcc 1
		.amdhsa_float_round_mode_32 0
		.amdhsa_float_round_mode_16_64 0
		.amdhsa_float_denorm_mode_32 3
		.amdhsa_float_denorm_mode_16_64 3
		.amdhsa_dx10_clamp 1
		.amdhsa_ieee_mode 1
		.amdhsa_fp16_overflow 0
		.amdhsa_tg_split 0
		.amdhsa_exception_fp_ieee_invalid_op 0
		.amdhsa_exception_fp_denorm_src 0
		.amdhsa_exception_fp_ieee_div_zero 0
		.amdhsa_exception_fp_ieee_overflow 0
		.amdhsa_exception_fp_ieee_underflow 0
		.amdhsa_exception_fp_ieee_inexact 0
		.amdhsa_exception_int_div_zero 0
	.end_amdhsa_kernel
	.section	.text._Z25selective_scan_fwd_kernelI32Selective_Scan_fwd_kernel_traitsILi64ELi16ELi1ELb0ELb1ELb1ELb0ELb0EN3c108BFloat16EffEEv13SSMParamsBase,"axG",@progbits,_Z25selective_scan_fwd_kernelI32Selective_Scan_fwd_kernel_traitsILi64ELi16ELi1ELb0ELb1ELb1ELb0ELb0EN3c108BFloat16EffEEv13SSMParamsBase,comdat
.Lfunc_end55:
	.size	_Z25selective_scan_fwd_kernelI32Selective_Scan_fwd_kernel_traitsILi64ELi16ELi1ELb0ELb1ELb1ELb0ELb0EN3c108BFloat16EffEEv13SSMParamsBase, .Lfunc_end55-_Z25selective_scan_fwd_kernelI32Selective_Scan_fwd_kernel_traitsILi64ELi16ELi1ELb0ELb1ELb1ELb0ELb0EN3c108BFloat16EffEEv13SSMParamsBase
                                        ; -- End function
	.section	.AMDGPU.csdata,"",@progbits
; Kernel info:
; codeLenInByte = 22248
; NumSgprs: 106
; NumVgprs: 96
; NumAgprs: 0
; TotalNumVgprs: 96
; ScratchSize: 316
; MemoryBound: 0
; FloatMode: 240
; IeeeMode: 1
; LDSByteSize: 0 bytes/workgroup (compile time only)
; SGPRBlocks: 13
; VGPRBlocks: 11
; NumSGPRsForWavesPerEU: 106
; NumVGPRsForWavesPerEU: 96
; AccumOffset: 96
; Occupancy: 5
; WaveLimiterHint : 0
; COMPUTE_PGM_RSRC2:SCRATCH_EN: 1
; COMPUTE_PGM_RSRC2:USER_SGPR: 2
; COMPUTE_PGM_RSRC2:TRAP_HANDLER: 0
; COMPUTE_PGM_RSRC2:TGID_X_EN: 1
; COMPUTE_PGM_RSRC2:TGID_Y_EN: 1
; COMPUTE_PGM_RSRC2:TGID_Z_EN: 0
; COMPUTE_PGM_RSRC2:TIDIG_COMP_CNT: 0
; COMPUTE_PGM_RSRC3_GFX90A:ACCUM_OFFSET: 23
; COMPUTE_PGM_RSRC3_GFX90A:TG_SPLIT: 0
	.section	.text._Z25selective_scan_fwd_kernelI32Selective_Scan_fwd_kernel_traitsILi128ELi16ELi1ELb1ELb1ELb1ELb1ELb1EN3c108BFloat16EffEEv13SSMParamsBase,"axG",@progbits,_Z25selective_scan_fwd_kernelI32Selective_Scan_fwd_kernel_traitsILi128ELi16ELi1ELb1ELb1ELb1ELb1ELb1EN3c108BFloat16EffEEv13SSMParamsBase,comdat
	.protected	_Z25selective_scan_fwd_kernelI32Selective_Scan_fwd_kernel_traitsILi128ELi16ELi1ELb1ELb1ELb1ELb1ELb1EN3c108BFloat16EffEEv13SSMParamsBase ; -- Begin function _Z25selective_scan_fwd_kernelI32Selective_Scan_fwd_kernel_traitsILi128ELi16ELi1ELb1ELb1ELb1ELb1ELb1EN3c108BFloat16EffEEv13SSMParamsBase
	.globl	_Z25selective_scan_fwd_kernelI32Selective_Scan_fwd_kernel_traitsILi128ELi16ELi1ELb1ELb1ELb1ELb1ELb1EN3c108BFloat16EffEEv13SSMParamsBase
	.p2align	8
	.type	_Z25selective_scan_fwd_kernelI32Selective_Scan_fwd_kernel_traitsILi128ELi16ELi1ELb1ELb1ELb1ELb1ELb1EN3c108BFloat16EffEEv13SSMParamsBase,@function
_Z25selective_scan_fwd_kernelI32Selective_Scan_fwd_kernel_traitsILi128ELi16ELi1ELb1ELb1ELb1ELb1ELb1EN3c108BFloat16EffEEv13SSMParamsBase: ; @_Z25selective_scan_fwd_kernelI32Selective_Scan_fwd_kernel_traitsILi128ELi16ELi1ELb1ELb1ELb1ELb1ELb1EN3c108BFloat16EffEEv13SSMParamsBase
; %bb.0:
	s_load_dword s15, s[0:1], 0x18
	s_load_dwordx4 s[4:7], s[0:1], 0xe8
	s_load_dwordx8 s[20:27], s[0:1], 0xc8
	s_mov_b32 s8, s3
	s_ashr_i32 s3, s2, 31
	s_lshl_b64 s[12:13], s[2:3], 2
	s_waitcnt lgkmcnt(0)
	s_abs_i32 s14, s15
	v_cvt_f32_u32_e32 v1, s14
	s_add_u32 s10, s26, s12
	s_addc_u32 s11, s27, s13
	s_cmp_eq_u64 s[6:7], 0
	v_rcp_iflag_f32_e32 v1, v1
                                        ; implicit-def: $vgpr166 : SGPR spill to VGPR lane
	s_nop 0
	v_mul_f32_e32 v1, 0x4f7ffffe, v1
	v_cvt_u32_f32_e32 v1, v1
	s_nop 0
	v_readfirstlane_b32 s16, v1
	s_cbranch_scc1 .LBB56_2
; %bb.1:
	s_add_u32 s6, s6, s2
	s_addc_u32 s7, s7, s3
	v_mov_b32_e32 v1, 0
	global_load_ubyte v1, v1, s[6:7]
	s_waitcnt vmcnt(0)
	v_and_b32_e32 v1, 1, v1
	v_cmp_eq_u32_e64 s[6:7], 1, v1
	s_branch .LBB56_3
.LBB56_2:
	s_mov_b64 s[6:7], 0
.LBB56_3:
	s_nop 0
	v_writelane_b32 v166, s6, 0
	s_cmp_eq_u64 s[4:5], 0
	s_nop 0
	v_writelane_b32 v166, s7, 1
	s_load_dwordx2 s[6:7], s[0:1], 0x20
	s_cbranch_scc1 .LBB56_5
; %bb.4:
	s_add_u32 s2, s4, s12
	s_addc_u32 s3, s5, s13
	s_load_dword s2, s[2:3], 0x0
	s_waitcnt lgkmcnt(0)
	s_ashr_i32 s3, s2, 31
.LBB56_5:
	s_waitcnt lgkmcnt(0)
	s_cmp_eq_u64 s[6:7], s[2:3]
	s_cbranch_scc1 .LBB56_302
; %bb.6:
	s_load_dwordx16 s[36:51], s[0:1], 0x88
	s_load_dwordx2 s[4:5], s[10:11], 0x0
	s_mov_b32 s3, 0
	v_writelane_b32 v166, s3, 2
	v_writelane_b32 v166, s3, 3
	s_waitcnt lgkmcnt(0)
	s_cmp_eq_u64 s[42:43], 0
	s_cbranch_scc1 .LBB56_8
; %bb.7:
	s_ashr_i32 s9, s8, 31
	s_lshl_b64 s[6:7], s[8:9], 2
	s_add_u32 s6, s42, s6
	s_addc_u32 s7, s43, s7
	s_load_dword s3, s[6:7], 0x0
	s_waitcnt lgkmcnt(0)
	v_writelane_b32 v166, s3, 3
.LBB56_8:
	s_cmp_eq_u64 s[48:49], 0
	s_cbranch_scc1 .LBB56_10
; %bb.9:
	s_ashr_i32 s9, s8, 31
	s_lshl_b64 s[6:7], s[8:9], 2
	s_add_u32 s6, s48, s6
	s_addc_u32 s7, s49, s7
	s_load_dword s3, s[6:7], 0x0
	s_waitcnt lgkmcnt(0)
	v_writelane_b32 v166, s3, 2
.LBB56_10:
	s_sub_i32 s17, s5, s4
	s_cmp_lt_i32 s17, 1
	s_cbranch_scc1 .LBB56_302
; %bb.11:
	s_sub_i32 s3, 0, s14
	s_mul_i32 s3, s3, s16
	s_mul_hi_u32 s3, s16, s3
	s_add_i32 s16, s16, s3
	s_load_dword s3, s[0:1], 0x84
	s_abs_i32 s5, s8
	s_load_dwordx8 s[52:59], s[0:1], 0x2c
	s_load_dwordx2 s[10:11], s[0:1], 0x7c
	s_load_dwordx4 s[28:31], s[0:1], 0x6c
	s_load_dwordx8 s[60:67], s[0:1], 0x4c
	s_load_dword s13, s[0:1], 0xc
	s_load_dword s9, s[0:1], 0x28
	s_ashr_i32 s0, s8, 31
	s_waitcnt lgkmcnt(0)
	v_writelane_b32 v166, s3, 4
	s_mul_hi_u32 s3, s5, s16
	s_ashr_i32 s1, s15, 31
	s_xor_b32 s0, s0, s1
	s_mul_i32 s1, s3, s14
	s_sub_i32 s1, s5, s1
	s_add_i32 s5, s3, 1
	s_sub_i32 s6, s1, s14
	s_cmp_ge_u32 s1, s14
	s_cselect_b32 s3, s5, s3
	s_cselect_b32 s1, s6, s1
	s_add_i32 s5, s3, 1
	s_cmp_ge_u32 s1, s14
	s_cselect_b32 s1, s5, s3
	s_xor_b32 s1, s1, s0
	s_mul_i32 s6, s4, s62
	s_mov_b32 s7, 0
	s_sub_i32 s3, s1, s0
	s_lshl_b64 s[0:1], s[6:7], 1
	s_add_u32 s5, s44, s0
	s_mul_i32 s6, s63, s8
	s_addc_u32 s12, s45, s1
	s_lshl_b64 s[0:1], s[6:7], 1
	s_add_u32 s14, s5, s0
	s_mul_i32 s6, s4, s64
	s_addc_u32 s15, s12, s1
	;; [unrolled: 4-line block ×3, first 2 shown]
	s_lshl_b64 s[0:1], s[6:7], 1
	s_add_u32 s0, s5, s0
	s_addc_u32 s1, s12, s1
	v_writelane_b32 v166, s0, 5
	s_mul_i32 s6, s52, s8
	v_mbcnt_lo_u32_b32 v1, -1, 0
	v_writelane_b32 v166, s1, 6
	s_lshl_b64 s[0:1], s[6:7], 2
	s_add_u32 s0, s36, s0
	v_writelane_b32 v166, s0, 7
	s_addc_u32 s0, s37, s1
	s_mul_i32 s6, s4, s54
	v_writelane_b32 v166, s0, 8
	s_lshl_b64 s[0:1], s[6:7], 1
	s_add_u32 s5, s38, s0
	s_mul_i32 s6, s3, s57
	s_addc_u32 s12, s39, s1
	s_lshl_b64 s[0:1], s[6:7], 1
	s_add_u32 s0, s5, s0
	s_addc_u32 s1, s12, s1
	v_writelane_b32 v166, s0, 9
	v_lshlrev_b32_e32 v19, 4, v0
	v_mbcnt_hi_u32_b32 v18, -1, v1
	v_writelane_b32 v166, s1, 10
	v_writelane_b32 v166, s52, 11
	v_and_b32_e32 v2, 0x400, v19
	v_or_b32_e32 v72, v18, v2
	v_writelane_b32 v166, s53, 12
	v_writelane_b32 v166, s54, 13
	s_mul_i32 s6, s4, s58
	v_lshrrev_b32_e32 v1, 5, v72
	v_writelane_b32 v166, s55, 14
	s_lshl_b64 s[0:1], s[6:7], 1
	v_and_b32_e32 v1, 34, v1
	v_writelane_b32 v166, s56, 15
	s_add_u32 s5, s40, s0
	s_mul_i32 s6, s3, s61
	v_add_u32_e32 v3, 64, v72
	v_or_b32_e32 v4, 0x80, v72
	v_add_u32_e32 v5, 0xc0, v72
	v_add_u32_e32 v1, v1, v72
	v_writelane_b32 v166, s57, 16
	s_addc_u32 s12, s41, s1
	s_lshl_b64 s[0:1], s[6:7], 1
	v_lshl_add_u32 v88, v1, 1, 0
	v_lshrrev_b32_e32 v1, 5, v3
	v_lshrrev_b32_e32 v3, 5, v4
	;; [unrolled: 1-line block ×3, first 2 shown]
	v_writelane_b32 v166, s58, 17
	s_add_u32 s0, s5, s0
	v_or_b32_e32 v6, 0x100, v72
	v_and_b32_e32 v4, 46, v4
	v_writelane_b32 v166, s59, 18
	s_addc_u32 s1, s12, s1
	v_add_lshl_u32 v8, v4, v72, 1
	v_lshrrev_b32_e32 v4, 5, v6
	v_writelane_b32 v166, s0, 19
	s_mul_i32 s6, s2, s10
	v_add_u32_e32 v7, 0x140, v72
	v_and_b32_e32 v4, 42, v4
	v_writelane_b32 v166, s1, 20
	s_lshl_b64 s[0:1], s[6:7], 2
	v_add_lshl_u32 v9, v4, v72, 1
	v_lshrrev_b32_e32 v4, 5, v7
	s_add_u32 s2, s20, s0
	s_mul_i32 s6, s11, s8
	v_or_b32_e32 v78, 0x180, v72
	v_and_b32_e32 v4, 46, v4
	s_addc_u32 s3, s21, s1
	s_lshl_b64 s[0:1], s[6:7], 2
	v_add_lshl_u32 v10, v4, v72, 1
	v_lshrrev_b32_e32 v4, 5, v78
	s_add_u32 s0, s2, s0
	v_add_u32_e32 v79, 0x1c0, v72
	v_and_b32_e32 v4, 46, v4
	v_writelane_b32 v166, s0, 21
	s_addc_u32 s0, s3, s1
	v_add_lshl_u32 v11, v4, v72, 1
	v_lshrrev_b32_e32 v4, 5, v79
	v_writelane_b32 v166, s0, 22
	s_add_i32 s0, s17, 0x7ff
	v_or_b32_e32 v80, 0x200, v72
	v_and_b32_e32 v4, 62, v4
	s_lshr_b32 s0, s0, 11
	v_add_lshl_u32 v12, v4, v72, 1
	v_lshrrev_b32_e32 v4, 5, v80
	v_add_u32_e32 v81, 0x240, v72
	v_and_b32_e32 v4, 50, v4
	s_bitcmp1_b32 s9, 0
	v_add_lshl_u32 v13, v4, v72, 1
	v_lshrrev_b32_e32 v4, 5, v81
	s_cselect_b64 s[2:3], -1, 0
	v_or_b32_e32 v82, 0x280, v72
	v_and_b32_e32 v4, 54, v4
	v_writelane_b32 v166, s2, 23
	v_add_lshl_u32 v14, v4, v72, 1
	v_lshrrev_b32_e32 v4, 5, v82
	v_writelane_b32 v166, s3, 24
	s_cmp_gt_i32 s13, 0
	v_add_u32_e32 v83, 0x2c0, v72
	v_and_b32_e32 v4, 54, v4
	v_writelane_b32 v166, s13, 25
	s_cselect_b64 s[2:3], -1, 0
	v_add_lshl_u32 v15, v4, v72, 1
	v_lshrrev_b32_e32 v4, 5, v83
	v_writelane_b32 v166, s2, 26
	v_or_b32_e32 v84, 0x300, v72
	v_and_b32_e32 v4, 62, v4
	v_writelane_b32 v166, s3, 27
	v_add_lshl_u32 v26, v4, v72, 1
	v_lshrrev_b32_e32 v4, 5, v84
	v_writelane_b32 v166, s17, 28
	v_add_u32_e32 v85, 0x340, v72
	v_and_b32_e32 v4, 58, v4
	v_writelane_b32 v166, s0, 29
	s_add_i32 s0, s0, -1
	s_mul_i32 s6, s4, s28
	v_add_lshl_u32 v27, v4, v72, 1
	v_lshrrev_b32_e32 v4, 5, v85
	s_add_i32 s9, 0, 0x1080
	s_and_b32 s10, s17, 0x7ff
	v_writelane_b32 v166, s0, 30
	s_lshl_b64 s[0:1], s[6:7], 1
	v_or_b32_e32 v86, 0x380, v72
	v_and_b32_e32 v4, 62, v4
	s_add_u32 s2, s50, s0
	s_mul_i32 s6, s29, s8
	v_add_lshl_u32 v28, v4, v72, 1
	v_lshrrev_b32_e32 v4, 5, v86
	s_addc_u32 s3, s51, s1
	s_lshl_b64 s[0:1], s[6:7], 1
	s_mul_i32 s6, s4, s66
	v_writelane_b32 v166, s60, 31
	v_and_b32_e32 v4, 62, v4
	v_add_lshl_u32 v29, v4, v72, 1
	v_writelane_b32 v166, s61, 32
	v_and_b32_e32 v4, 64, v0
	v_writelane_b32 v166, s62, 33
	v_add_u16_e32 v6, v18, v4
	s_add_u32 s2, s2, s0
	v_writelane_b32 v166, s63, 34
	v_lshrrev_b16_e32 v6, 1, v6
	s_addc_u32 s3, s3, s1
	s_lshl_b64 s[0:1], s[6:7], 1
	v_writelane_b32 v166, s64, 35
	v_add_lshl_u32 v5, v18, v4, 4
	v_and_b32_e32 v6, 0x7e, v6
	s_add_u32 s5, s22, s0
	v_writelane_b32 v166, s65, 36
	s_mul_i32 s6, s67, s8
	v_add_lshl_u32 v30, v6, v5, 1
	s_addc_u32 s11, s23, s1
	v_writelane_b32 v166, s66, 37
	s_lshl_b64 s[0:1], s[6:7], 1
	v_and_b32_e32 v5, 15, v18
	v_writelane_b32 v166, s67, 38
	s_add_u32 s12, s5, s0
	s_mul_i32 s6, s4, s30
	v_cmp_lt_u32_e64 s[16:17], 1, v5
	s_addc_u32 s13, s11, s1
	s_lshl_b64 s[0:1], s[6:7], 1
	v_writelane_b32 v166, s16, 39
	s_add_u32 s4, s24, s0
	s_mul_i32 s6, s31, s8
	v_writelane_b32 v166, s17, 40
	v_cmp_lt_u32_e64 s[16:17], 3, v5
	s_addc_u32 s5, s25, s1
	s_lshl_b64 s[0:1], s[6:7], 1
	v_writelane_b32 v166, s16, 41
	s_add_u32 s4, s4, s0
	s_addc_u32 s5, s5, s1
	v_writelane_b32 v166, s17, 42
	v_cmp_lt_u32_e64 s[16:17], 7, v5
	v_cmp_eq_u32_e64 s[0:1], 0, v5
	v_and_b32_e32 v5, 16, v18
	v_writelane_b32 v166, s16, 43
	v_or_b32_e32 v4, 63, v4
	v_mov_b32_e32 v17, 0
	v_writelane_b32 v166, s17, 44
	v_cmp_ne_u32_e64 s[16:17], 0, v5
	v_lshlrev_b32_e32 v16, 1, v18
	s_cmp_eq_u32 s10, 0
	v_writelane_b32 v166, s16, 45
	v_lshlrev_b32_e32 v6, 1, v2
	v_mov_b32_e32 v7, v17
	v_writelane_b32 v166, s17, 46
	v_cmp_eq_u32_e64 s[16:17], v4, v0
	v_and_b32_e32 v4, 1, v18
	v_add_u32_e32 v87, 0x3c0, v72
	v_writelane_b32 v166, s16, 47
	v_and_b32_e32 v1, 38, v1
	v_add_lshl_u32 v1, v1, v72, 1
	v_writelane_b32 v166, s17, 48
	v_cmp_eq_u32_e64 s[16:17], 0, v4
	v_lshl_add_u64 v[4:5], s[2:3], 0, v[16:17]
	s_cselect_b64 s[2:3], -1, 0
	v_writelane_b32 v166, s16, 49
	v_lshl_add_u64 v[20:21], v[4:5], 0, v[6:7]
	v_lshl_add_u64 v[4:5], s[12:13], 0, v[16:17]
	v_writelane_b32 v166, s17, 50
	v_writelane_b32 v166, s2, 51
	v_lshl_add_u64 v[22:23], v[4:5], 0, v[6:7]
	v_lshl_add_u64 v[4:5], s[4:5], 0, v[16:17]
	v_writelane_b32 v166, s3, 52
	v_cmp_lt_u32_e64 s[2:3], 31, v18
	v_lshl_add_u64 v[24:25], v[4:5], 0, v[6:7]
	v_add_u32_e32 v4, -1, v18
	v_writelane_b32 v166, s2, 53
	v_and_b32_e32 v5, 64, v18
	v_lshrrev_b32_e32 v6, 5, v87
	v_writelane_b32 v166, s3, 54
	v_cmp_gt_u32_e64 s[2:3], 2, v0
	v_add_u32_e32 v89, 0, v1
	v_and_b32_e32 v3, 38, v3
	v_writelane_b32 v166, s2, 55
	v_and_b32_e32 v6, 0x7e, v6
	v_add_u32_e32 v101, s9, v1
	v_writelane_b32 v166, s3, 56
	v_cmp_gt_u32_e64 s[2:3], 64, v0
	v_lshrrev_b32_e32 v1, 3, v0
	v_cmp_lt_i32_e32 vcc, v4, v5
	v_writelane_b32 v166, s2, 57
	v_add_lshl_u32 v3, v3, v72, 1
	v_add_lshl_u32 v6, v6, v72, 1
	v_and_b32_e32 v1, 8, v1
	v_writelane_b32 v166, s3, 58
	v_cmp_lt_u32_e64 s[20:21], 63, v0
	v_cmp_eq_u32_e64 s[22:23], 0, v0
	v_lshl_add_u32 v122, v0, 3, 0
	v_cndmask_b32_e32 v0, v4, v18, vcc
	s_add_i32 s2, 0, 0x2110
	v_add_u32_e32 v90, 0, v3
	v_add_u32_e32 v91, 0, v8
	v_add_u32_e32 v92, 0, v9
	v_add_u32_e32 v93, 0, v10
	v_add_u32_e32 v94, 0, v11
	v_add_u32_e32 v95, 0, v12
	v_add_u32_e32 v96, 0, v13
	v_add_u32_e32 v97, 0, v14
	v_add_u32_e32 v98, 0, v15
	v_add_u32_e32 v99, 0, v26
	v_add_u32_e32 v100, 0, v27
	v_add_u32_e32 v102, s9, v3
	v_add_u32_e32 v103, s9, v8
	v_add_u32_e32 v104, s9, v9
	v_add_u32_e32 v105, s9, v10
	v_add_u32_e32 v106, s9, v11
	v_add_u32_e32 v107, s9, v12
	v_add_u32_e32 v108, s9, v13
	v_add_u32_e32 v109, s9, v14
	v_add_u32_e32 v110, s9, v15
	v_add_u32_e32 v111, s9, v26
	v_add_u32_e32 v112, s9, v27
	v_add_u32_e32 v113, 0, v28
	v_add_u32_e32 v114, s9, v28
	v_add_u32_e32 v115, 0, v29
	v_add_u32_e32 v116, s9, v29
	v_add_u32_e32 v117, 0, v6
	v_add_u32_e32 v118, s9, v6
	v_add_u32_e32 v119, 0, v30
	v_add_u32_e32 v120, s9, v30
	v_add_u32_e32 v121, 0, v1
	v_lshlrev_b32_e32 v123, 2, v0
	v_cmp_eq_u32_e64 s[24:25], 0, v18
	v_lshlrev_b32_e32 v26, 1, v2
	s_mov_b32 s6, 0x41a00000
	s_mov_b32 s8, 0x3fb8aa3b
	;; [unrolled: 1-line block ×8, first 2 shown]
	v_writelane_b32 v166, s2, 59
	s_mov_b32 s33, 0xc2fc0000
	s_mov_b32 s3, 0
	v_mov_b32_e32 v139, 0x3ecc95a3
	v_mov_b32_e32 v140, 0x7f800000
	;; [unrolled: 1-line block ×6, first 2 shown]
                                        ; implicit-def: $vgpr0
	s_branch .LBB56_13
.LBB56_12:                              ;   in Loop: Header=BB56_13 Depth=1
	s_or_b64 exec, exec, s[2:3]
	v_readlane_b32 s2, v166, 5
	v_readlane_b32 s3, v166, 6
	s_add_u32 s2, s2, 0x1000
	s_addc_u32 s3, s3, 0
	v_writelane_b32 v166, s2, 5
	s_nop 1
	v_writelane_b32 v166, s3, 6
	s_nop 0
	v_readlane_b32 s14, v166, 63
	v_readlane_b32 s15, v167, 0
	s_add_u32 s14, s14, 0x1000
	s_addc_u32 s15, s15, 0
	v_readlane_b32 s2, v166, 9
	v_readlane_b32 s3, v166, 10
	s_add_u32 s2, s2, 0x1000
	s_addc_u32 s3, s3, 0
	v_writelane_b32 v166, s2, 9
	s_nop 1
	v_writelane_b32 v166, s3, 10
	s_nop 0
	v_readlane_b32 s2, v166, 19
	v_readlane_b32 s3, v166, 20
	s_add_u32 s2, s2, 0x1000
	s_addc_u32 s3, s3, 0
	v_writelane_b32 v166, s2, 19
	s_nop 1
	v_writelane_b32 v166, s3, 20
	s_nop 0
	v_readlane_b32 s3, v166, 60
	s_add_i32 s3, s3, 1
	v_readlane_b32 s2, v166, 29
	s_cmp_lg_u32 s3, s2
	s_cbranch_scc0 .LBB56_302
.LBB56_13:                              ; =>This Loop Header: Depth=1
                                        ;     Child Loop BB56_110 Depth 2
	s_lshl_b32 s18, s3, 11
	v_writelane_b32 v166, s3, 60
	s_mov_b32 s4, s18
	v_readlane_b32 s2, v166, 28
	v_writelane_b32 v166, s4, 61
	s_waitcnt lgkmcnt(14)
	v_lshlrev_b32_e32 v16, 1, v18
	s_sub_i32 s88, s2, s18
	v_writelane_b32 v166, s5, 62
                                        ; implicit-def: $vgpr167 : SGPR spill to VGPR lane
	v_writelane_b32 v166, s14, 63
	v_mov_b32_e32 v27, v17
	v_cmp_gt_u32_e64 s[26:27], s88, v72
	v_lshl_add_u64 v[0:1], s[14:15], 0, v[16:17]
	v_writelane_b32 v167, s15, 0
	v_lshl_add_u64 v[0:1], v[0:1], 0, v[26:27]
	s_waitcnt lgkmcnt(0)
	v_mov_b32_e32 v2, 0
	s_barrier
	s_and_saveexec_b64 s[2:3], s[26:27]
	s_cbranch_execz .LBB56_15
; %bb.14:                               ;   in Loop: Header=BB56_13 Depth=1
	global_load_ushort v2, v[0:1], off
.LBB56_15:                              ;   in Loop: Header=BB56_13 Depth=1
	s_or_b64 exec, exec, s[2:3]
	v_add_u32_e32 v3, 64, v72
	v_cmp_gt_u32_e64 s[28:29], s88, v3
	v_mov_b32_e32 v3, 0
	v_mov_b32_e32 v4, 0
	s_and_saveexec_b64 s[2:3], s[28:29]
	s_cbranch_execz .LBB56_17
; %bb.16:                               ;   in Loop: Header=BB56_13 Depth=1
	global_load_ushort v4, v[0:1], off offset:128
.LBB56_17:                              ;   in Loop: Header=BB56_13 Depth=1
	s_or_b64 exec, exec, s[2:3]
	v_or_b32_e32 v5, 0x80, v72
	v_cmp_gt_u32_e64 s[30:31], s88, v5
	s_and_saveexec_b64 s[2:3], s[30:31]
	s_cbranch_execz .LBB56_19
; %bb.18:                               ;   in Loop: Header=BB56_13 Depth=1
	global_load_ushort v3, v[0:1], off offset:256
.LBB56_19:                              ;   in Loop: Header=BB56_13 Depth=1
	s_or_b64 exec, exec, s[2:3]
	v_add_u32_e32 v5, 0xc0, v72
	v_cmp_gt_u32_e64 s[34:35], s88, v5
	v_mov_b32_e32 v5, 0
	v_mov_b32_e32 v6, 0
	s_and_saveexec_b64 s[2:3], s[34:35]
	s_cbranch_execz .LBB56_21
; %bb.20:                               ;   in Loop: Header=BB56_13 Depth=1
	global_load_ushort v6, v[0:1], off offset:384
.LBB56_21:                              ;   in Loop: Header=BB56_13 Depth=1
	s_or_b64 exec, exec, s[2:3]
	v_or_b32_e32 v7, 0x100, v72
	v_cmp_gt_u32_e64 s[36:37], s88, v7
	s_and_saveexec_b64 s[2:3], s[36:37]
	s_cbranch_execz .LBB56_23
; %bb.22:                               ;   in Loop: Header=BB56_13 Depth=1
	global_load_ushort v5, v[0:1], off offset:512
.LBB56_23:                              ;   in Loop: Header=BB56_13 Depth=1
	s_or_b64 exec, exec, s[2:3]
	v_add_u32_e32 v7, 0x140, v72
	v_cmp_gt_u32_e64 s[38:39], s88, v7
	v_mov_b32_e32 v7, 0
	v_mov_b32_e32 v8, 0
	s_and_saveexec_b64 s[2:3], s[38:39]
	s_cbranch_execz .LBB56_25
; %bb.24:                               ;   in Loop: Header=BB56_13 Depth=1
	global_load_ushort v8, v[0:1], off offset:640
.LBB56_25:                              ;   in Loop: Header=BB56_13 Depth=1
	s_or_b64 exec, exec, s[2:3]
	v_cmp_gt_u32_e64 s[40:41], s88, v78
	s_and_saveexec_b64 s[2:3], s[40:41]
	s_cbranch_execz .LBB56_27
; %bb.26:                               ;   in Loop: Header=BB56_13 Depth=1
	global_load_ushort v7, v[0:1], off offset:768
.LBB56_27:                              ;   in Loop: Header=BB56_13 Depth=1
	s_or_b64 exec, exec, s[2:3]
	v_cmp_gt_u32_e64 s[42:43], s88, v79
	v_mov_b32_e32 v9, 0
	v_mov_b32_e32 v11, 0
	s_and_saveexec_b64 s[2:3], s[42:43]
	s_cbranch_execz .LBB56_29
; %bb.28:                               ;   in Loop: Header=BB56_13 Depth=1
	global_load_ushort v11, v[0:1], off offset:896
.LBB56_29:                              ;   in Loop: Header=BB56_13 Depth=1
	s_or_b64 exec, exec, s[2:3]
	v_cmp_gt_u32_e64 s[44:45], s88, v80
	s_and_saveexec_b64 s[2:3], s[44:45]
	s_cbranch_execz .LBB56_31
; %bb.30:                               ;   in Loop: Header=BB56_13 Depth=1
	global_load_ushort v9, v[0:1], off offset:1024
.LBB56_31:                              ;   in Loop: Header=BB56_13 Depth=1
	s_or_b64 exec, exec, s[2:3]
	;; [unrolled: 16-line block ×5, first 2 shown]
	v_cmp_gt_u32_e64 s[58:59], s88, v87
	v_mov_b32_e32 v10, 0
	v_mov_b32_e32 v30, 0
	s_and_saveexec_b64 s[2:3], s[58:59]
	s_cbranch_execz .LBB56_45
; %bb.44:                               ;   in Loop: Header=BB56_13 Depth=1
	global_load_ushort v30, v[0:1], off offset:1920
.LBB56_45:                              ;   in Loop: Header=BB56_13 Depth=1
	s_or_b64 exec, exec, s[2:3]
	s_waitcnt vmcnt(0)
	ds_write_b16 v88, v2
	ds_write_b16 v89, v4 offset:128
	ds_write_b16 v90, v3 offset:256
	;; [unrolled: 1-line block ×15, first 2 shown]
	; wave barrier
	ds_read_b128 v[0:3], v119
	ds_read_b128 v[4:7], v119 offset:16
	v_readlane_b32 s2, v166, 5
	v_readlane_b32 s3, v166, 6
	v_mov_b32_e32 v27, v17
	s_waitcnt lgkmcnt(0)
	v_lshl_add_u64 v[8:9], s[2:3], 0, v[16:17]
	v_lshl_add_u64 v[8:9], v[8:9], 0, v[26:27]
	s_barrier
	s_and_saveexec_b64 s[2:3], s[26:27]
	s_cbranch_execz .LBB56_47
; %bb.46:                               ;   in Loop: Header=BB56_13 Depth=1
	global_load_ushort v10, v[8:9], off
.LBB56_47:                              ;   in Loop: Header=BB56_13 Depth=1
	s_or_b64 exec, exec, s[2:3]
	v_mov_b32_e32 v11, 0
	v_mov_b32_e32 v12, 0
	s_and_saveexec_b64 s[2:3], s[28:29]
	s_cbranch_execz .LBB56_49
; %bb.48:                               ;   in Loop: Header=BB56_13 Depth=1
	global_load_ushort v12, v[8:9], off offset:128
.LBB56_49:                              ;   in Loop: Header=BB56_13 Depth=1
	s_or_b64 exec, exec, s[2:3]
	s_and_saveexec_b64 s[2:3], s[30:31]
	s_cbranch_execz .LBB56_51
; %bb.50:                               ;   in Loop: Header=BB56_13 Depth=1
	global_load_ushort v11, v[8:9], off offset:256
.LBB56_51:                              ;   in Loop: Header=BB56_13 Depth=1
	s_or_b64 exec, exec, s[2:3]
	v_mov_b32_e32 v13, 0
	v_mov_b32_e32 v14, 0
	s_and_saveexec_b64 s[2:3], s[34:35]
	s_cbranch_execz .LBB56_53
; %bb.52:                               ;   in Loop: Header=BB56_13 Depth=1
	global_load_ushort v14, v[8:9], off offset:384
.LBB56_53:                              ;   in Loop: Header=BB56_13 Depth=1
	s_or_b64 exec, exec, s[2:3]
	s_and_saveexec_b64 s[2:3], s[36:37]
	s_cbranch_execz .LBB56_55
; %bb.54:                               ;   in Loop: Header=BB56_13 Depth=1
	global_load_ushort v13, v[8:9], off offset:512
.LBB56_55:                              ;   in Loop: Header=BB56_13 Depth=1
	;; [unrolled: 14-line block ×6, first 2 shown]
	s_or_b64 exec, exec, s[2:3]
	v_mov_b32_e32 v35, 0
	v_mov_b32_e32 v36, 0
	s_and_saveexec_b64 s[2:3], s[54:55]
	s_cbranch_execnz .LBB56_269
; %bb.72:                               ;   in Loop: Header=BB56_13 Depth=1
	s_or_b64 exec, exec, s[2:3]
	s_and_saveexec_b64 s[2:3], s[56:57]
	s_cbranch_execnz .LBB56_270
.LBB56_73:                              ;   in Loop: Header=BB56_13 Depth=1
	s_or_b64 exec, exec, s[2:3]
	v_mov_b32_e32 v37, 0
	s_and_saveexec_b64 s[2:3], s[58:59]
	s_cbranch_execz .LBB56_75
.LBB56_74:                              ;   in Loop: Header=BB56_13 Depth=1
	global_load_ushort v37, v[8:9], off offset:1920
.LBB56_75:                              ;   in Loop: Header=BB56_13 Depth=1
	s_or_b64 exec, exec, s[2:3]
	s_waitcnt vmcnt(0)
	ds_write_b16 v88, v10
	ds_write_b16 v89, v12 offset:128
	ds_write_b16 v90, v11 offset:256
	;; [unrolled: 1-line block ×15, first 2 shown]
	; wave barrier
	ds_read_b128 v[12:15], v119
	ds_read_b128 v[8:11], v119 offset:16
	v_readlane_b32 s2, v166, 2
	s_waitcnt lgkmcnt(1)
	v_lshlrev_b32_e32 v27, 16, v12
	v_add_f32_e32 v144, s2, v27
	v_readlane_b32 s2, v166, 23
	v_cmp_ge_f32_e32 vcc, s6, v144
	v_readlane_b32 s3, v166, 24
	s_and_b64 s[2:3], s[2:3], vcc
	s_and_saveexec_b64 s[4:5], s[2:3]
	s_cbranch_execz .LBB56_77
; %bb.76:                               ;   in Loop: Header=BB56_13 Depth=1
	v_mul_f32_e32 v27, 0x3fb8aa3b, v144
	v_rndne_f32_e32 v29, v27
	v_sub_f32_e32 v30, v27, v29
	v_fma_f32 v27, v144, s8, -v27
	v_fmac_f32_e32 v27, 0x32a5705f, v144
	v_add_f32_e32 v27, v30, v27
	v_cvt_i32_f32_e32 v29, v29
	v_exp_f32_e32 v27, v27
	v_cmp_ngt_f32_e32 vcc, s9, v144
	v_ldexp_f32 v27, v27, v29
	s_nop 0
	v_cndmask_b32_e32 v27, 0, v27, vcc
	v_cmp_nlt_f32_e32 vcc, s10, v144
	s_nop 1
	v_cndmask_b32_e32 v46, v140, v27, vcc
	v_add_f32_e32 v27, 1.0, v46
	v_add_f32_e32 v29, -1.0, v27
	v_sub_f32_e32 v30, v29, v27
	v_add_f32_e32 v30, 1.0, v30
	v_sub_f32_e32 v29, v46, v29
	v_add_f32_e32 v29, v29, v30
	v_frexp_mant_f32_e32 v32, v27
	v_cvt_f64_f32_e32 v[30:31], v27
	v_frexp_exp_i32_f64_e32 v30, v[30:31]
	v_cmp_gt_f32_e32 vcc, s12, v32
	v_cmp_gt_f32_e64 s[60:61], s16, v46
	s_nop 0
	v_subbrev_co_u32_e32 v38, vcc, 0, v30, vcc
	v_sub_u32_e32 v30, 0, v38
	v_ldexp_f32 v27, v27, v30
	v_ldexp_f32 v29, v29, v30
	v_add_f32_e32 v30, -1.0, v27
	v_add_f32_e32 v31, 1.0, v30
	v_sub_f32_e32 v31, v27, v31
	v_add_f32_e32 v32, v29, v31
	v_add_f32_e32 v31, 1.0, v27
	v_add_f32_e32 v33, -1.0, v31
	v_sub_f32_e32 v27, v27, v33
	v_add_f32_e32 v27, v29, v27
	v_add_f32_e32 v29, v31, v27
	v_rcp_f32_e32 v39, v29
	v_sub_f32_e32 v31, v31, v29
	v_add_f32_e32 v27, v27, v31
	v_add_f32_e32 v31, v30, v32
	v_sub_f32_e32 v30, v30, v31
	v_mul_f32_e32 v41, v31, v39
	v_add_f32_e32 v40, v32, v30
	v_mul_f32_e32 v32, v29, v41
	v_fma_f32 v34, v41, v29, -v32
	v_fmac_f32_e32 v34, v41, v27
	v_add_f32_e32 v30, v32, v34
	v_sub_f32_e32 v33, v31, v30
	v_pk_add_f32 v[36:37], v[30:31], v[32:33] neg_lo:[0,1] neg_hi:[0,1]
	v_mov_b32_e32 v35, v30
	v_pk_add_f32 v[30:31], v[36:37], v[34:35] neg_lo:[0,1] neg_hi:[0,1]
	v_cmp_eq_f32_e32 vcc, s11, v46
	v_add_f32_e32 v31, v40, v31
	v_add_f32_e32 v30, v30, v31
	;; [unrolled: 1-line block ×3, first 2 shown]
	v_mul_f32_e32 v40, v39, v31
	v_mul_f32_e32 v32, v29, v40
	v_fma_f32 v34, v40, v29, -v32
	v_fmac_f32_e32 v34, v40, v27
	v_sub_f32_e32 v27, v33, v31
	v_add_f32_e32 v27, v30, v27
	v_add_f32_e32 v30, v32, v34
	v_sub_f32_e32 v33, v31, v30
	v_pk_add_f32 v[36:37], v[30:31], v[32:33] neg_lo:[0,1] neg_hi:[0,1]
	v_mov_b32_e32 v35, v30
	v_pk_add_f32 v[30:31], v[36:37], v[34:35] neg_lo:[0,1] neg_hi:[0,1]
	s_or_b64 vcc, s[60:61], vcc
	v_add_f32_e32 v27, v27, v31
	v_add_f32_e32 v27, v30, v27
	;; [unrolled: 1-line block ×4, first 2 shown]
	v_sub_f32_e32 v29, v31, v41
	v_mul_f32_e32 v27, v39, v27
	v_sub_f32_e32 v29, v40, v29
	v_add_f32_e32 v27, v29, v27
	v_add_f32_e32 v32, v31, v27
	v_cvt_f32_i32_e32 v30, v38
	v_mul_f32_e32 v34, v32, v32
	v_fmamk_f32 v29, v34, 0x3e9b6dac, v139
	v_sub_f32_e32 v31, v32, v31
	v_fmaak_f32 v29, v34, v29, 0x3f2aaada
	v_sub_f32_e32 v27, v27, v31
	v_mul_f32_e32 v31, v32, v34
	v_pk_mul_f32 v[34:35], v[30:31], v[28:29]
	v_ldexp_f32 v33, v32, 1
	v_fma_f32 v32, v30, s13, -v34
	v_fmac_f32_e32 v32, 0xb102e308, v30
	v_pk_add_f32 v[30:31], v[34:35], v[32:33]
	v_ldexp_f32 v27, v27, 1
	v_sub_f32_e32 v29, v31, v33
	v_sub_f32_e32 v29, v35, v29
	v_add_f32_e32 v37, v27, v29
	v_mov_b32_e32 v36, v34
	v_pk_add_f32 v[34:35], v[30:31], v[34:35] neg_lo:[0,1] neg_hi:[0,1]
	v_pk_add_f32 v[38:39], v[30:31], v[36:37]
	v_mov_b32_e32 v33, v30
	v_mov_b32_e32 v35, v39
	v_pk_add_f32 v[40:41], v[32:33], v[34:35] neg_lo:[0,1] neg_hi:[0,1]
	v_pk_add_f32 v[32:33], v[32:33], v[34:35]
	v_mov_b32_e32 v36, v37
	v_mov_b32_e32 v34, v33
	v_pk_add_f32 v[42:43], v[34:35], v[30:31] neg_lo:[0,1] neg_hi:[0,1]
	v_mov_b32_e32 v32, v39
	v_mov_b32_e32 v27, v42
	v_pk_add_f32 v[44:45], v[38:39], v[26:27] neg_lo:[0,1] neg_hi:[0,1]
	v_mov_b32_e32 v38, v31
	v_mov_b32_e32 v39, v42
	;; [unrolled: 1-line block ×3, first 2 shown]
	v_pk_add_f32 v[32:33], v[32:33], v[38:39] neg_lo:[0,1] neg_hi:[0,1]
	v_mov_b32_e32 v37, v30
	v_pk_add_f32 v[30:31], v[36:37], v[32:33] neg_lo:[0,1] neg_hi:[0,1]
	v_mov_b32_e32 v44, v40
	v_pk_add_f32 v[32:33], v[44:45], v[30:31]
	s_nop 0
	v_mov_b32_e32 v36, v33
	v_pk_add_f32 v[36:37], v[32:33], v[36:37]
	s_nop 0
	v_pk_add_f32 v[34:35], v[34:35], v[36:37]
	v_mov_b32_e32 v31, v36
	v_mov_b32_e32 v33, v34
	v_pk_add_f32 v[38:39], v[32:33], v[40:41] neg_lo:[0,1] neg_hi:[0,1]
	s_nop 0
	v_sub_f32_e32 v27, v32, v38
	v_pk_add_f32 v[30:31], v[30:31], v[38:39] neg_lo:[0,1] neg_hi:[0,1]
	v_sub_f32_e32 v27, v40, v27
	v_add_f32_e32 v27, v30, v27
	v_add_f32_e32 v27, v27, v31
	;; [unrolled: 1-line block ×3, first 2 shown]
	v_cndmask_b32_e32 v144, v27, v46, vcc
.LBB56_77:                              ;   in Loop: Header=BB56_13 Depth=1
	s_or_b64 exec, exec, s[4:5]
	v_and_b32_e32 v12, 0xffff0000, v12
	v_readlane_b32 s2, v166, 2
	s_nop 1
	v_add_f32_e32 v145, s2, v12
	v_readlane_b32 s2, v166, 23
	v_cmp_ge_f32_e32 vcc, s6, v145
	v_readlane_b32 s3, v166, 24
	s_and_b64 s[2:3], s[2:3], vcc
	s_and_saveexec_b64 s[4:5], s[2:3]
	s_cbranch_execz .LBB56_79
; %bb.78:                               ;   in Loop: Header=BB56_13 Depth=1
	v_mul_f32_e32 v12, 0x3fb8aa3b, v145
	v_rndne_f32_e32 v27, v12
	v_sub_f32_e32 v29, v12, v27
	v_fma_f32 v12, v145, s8, -v12
	v_fmac_f32_e32 v12, 0x32a5705f, v145
	v_add_f32_e32 v12, v29, v12
	v_cvt_i32_f32_e32 v27, v27
	v_exp_f32_e32 v12, v12
	v_cmp_ngt_f32_e32 vcc, s9, v145
	v_ldexp_f32 v12, v12, v27
	s_nop 0
	v_cndmask_b32_e32 v12, 0, v12, vcc
	v_cmp_nlt_f32_e32 vcc, s10, v145
	s_nop 1
	v_cndmask_b32_e32 v44, v140, v12, vcc
	v_add_f32_e32 v12, 1.0, v44
	v_add_f32_e32 v27, -1.0, v12
	v_sub_f32_e32 v29, v27, v12
	v_add_f32_e32 v29, 1.0, v29
	v_sub_f32_e32 v27, v44, v27
	v_add_f32_e32 v27, v27, v29
	v_frexp_mant_f32_e32 v29, v12
	v_cvt_f64_f32_e32 v[30:31], v12
	v_frexp_exp_i32_f64_e32 v30, v[30:31]
	v_cmp_gt_f32_e32 vcc, s12, v29
	v_cmp_gt_f32_e64 s[60:61], s16, v44
	s_nop 0
	v_subbrev_co_u32_e32 v38, vcc, 0, v30, vcc
	v_sub_u32_e32 v29, 0, v38
	v_ldexp_f32 v12, v12, v29
	v_ldexp_f32 v27, v27, v29
	v_add_f32_e32 v29, -1.0, v12
	v_add_f32_e32 v31, 1.0, v12
	v_add_f32_e32 v30, 1.0, v29
	v_add_f32_e32 v32, -1.0, v31
	v_sub_f32_e32 v30, v12, v30
	v_sub_f32_e32 v12, v12, v32
	v_add_f32_e32 v12, v27, v12
	v_add_f32_e32 v30, v27, v30
	;; [unrolled: 1-line block ×3, first 2 shown]
	v_rcp_f32_e32 v39, v27
	v_sub_f32_e32 v31, v31, v27
	v_add_f32_e32 v12, v12, v31
	v_add_f32_e32 v31, v29, v30
	v_mul_f32_e32 v40, v31, v39
	v_mul_f32_e32 v32, v27, v40
	v_fma_f32 v34, v40, v27, -v32
	v_sub_f32_e32 v29, v29, v31
	v_fmac_f32_e32 v34, v40, v12
	v_add_f32_e32 v29, v30, v29
	v_add_f32_e32 v30, v32, v34
	v_sub_f32_e32 v33, v31, v30
	v_pk_add_f32 v[36:37], v[30:31], v[32:33] neg_lo:[0,1] neg_hi:[0,1]
	v_mov_b32_e32 v35, v30
	v_pk_add_f32 v[30:31], v[36:37], v[34:35] neg_lo:[0,1] neg_hi:[0,1]
	v_cmp_eq_f32_e32 vcc, s11, v44
	v_add_f32_e32 v29, v29, v31
	v_add_f32_e32 v29, v30, v29
	;; [unrolled: 1-line block ×3, first 2 shown]
	v_mul_f32_e32 v41, v39, v31
	v_mul_f32_e32 v32, v27, v41
	v_fma_f32 v34, v41, v27, -v32
	v_fmac_f32_e32 v34, v41, v12
	v_add_f32_e32 v30, v32, v34
	v_sub_f32_e32 v12, v33, v31
	v_sub_f32_e32 v33, v31, v30
	v_pk_add_f32 v[36:37], v[30:31], v[32:33] neg_lo:[0,1] neg_hi:[0,1]
	v_mov_b32_e32 v35, v30
	v_add_f32_e32 v12, v29, v12
	v_pk_add_f32 v[30:31], v[36:37], v[34:35] neg_lo:[0,1] neg_hi:[0,1]
	v_add_f32_e32 v27, v40, v41
	v_add_f32_e32 v12, v12, v31
	;; [unrolled: 1-line block ×4, first 2 shown]
	v_sub_f32_e32 v29, v27, v40
	v_mul_f32_e32 v12, v39, v12
	v_sub_f32_e32 v29, v41, v29
	v_add_f32_e32 v12, v29, v12
	v_add_f32_e32 v31, v27, v12
	v_cvt_f32_i32_e32 v30, v38
	v_mul_f32_e32 v32, v31, v31
	v_fmamk_f32 v29, v32, 0x3e9b6dac, v139
	v_fmaak_f32 v29, v32, v29, 0x3f2aaada
	v_sub_f32_e32 v27, v31, v27
	v_ldexp_f32 v33, v31, 1
	v_mul_f32_e32 v31, v31, v32
	v_pk_mul_f32 v[34:35], v[30:31], v[28:29]
	v_sub_f32_e32 v12, v12, v27
	v_fma_f32 v32, v30, s13, -v34
	v_fmac_f32_e32 v32, 0xb102e308, v30
	v_pk_add_f32 v[30:31], v[34:35], v[32:33]
	v_ldexp_f32 v12, v12, 1
	v_sub_f32_e32 v27, v31, v33
	v_sub_f32_e32 v27, v35, v27
	v_add_f32_e32 v37, v12, v27
	v_mov_b32_e32 v36, v34
	v_pk_add_f32 v[34:35], v[30:31], v[34:35] neg_lo:[0,1] neg_hi:[0,1]
	v_pk_add_f32 v[38:39], v[30:31], v[36:37]
	v_mov_b32_e32 v33, v30
	v_mov_b32_e32 v35, v39
	v_pk_add_f32 v[40:41], v[32:33], v[34:35] neg_lo:[0,1] neg_hi:[0,1]
	v_pk_add_f32 v[32:33], v[32:33], v[34:35]
	s_or_b64 vcc, s[60:61], vcc
	v_mov_b32_e32 v12, v33
	v_pk_add_f32 v[34:35], v[12:13], v[30:31] neg_lo:[0,1] neg_hi:[0,1]
	v_mov_b32_e32 v32, v39
	v_mov_b32_e32 v27, v34
	v_pk_add_f32 v[42:43], v[38:39], v[26:27] neg_lo:[0,1] neg_hi:[0,1]
	v_mov_b32_e32 v38, v31
	v_mov_b32_e32 v39, v34
	;; [unrolled: 1-line block ×3, first 2 shown]
	v_pk_add_f32 v[32:33], v[32:33], v[38:39] neg_lo:[0,1] neg_hi:[0,1]
	v_mov_b32_e32 v34, v37
	v_mov_b32_e32 v35, v30
	v_pk_add_f32 v[30:31], v[34:35], v[32:33] neg_lo:[0,1] neg_hi:[0,1]
	v_mov_b32_e32 v42, v40
	v_pk_add_f32 v[32:33], v[42:43], v[30:31]
	s_nop 0
	v_mov_b32_e32 v34, v33
	v_pk_add_f32 v[34:35], v[32:33], v[34:35]
	s_nop 0
	v_pk_add_f32 v[36:37], v[12:13], v[34:35]
	v_mov_b32_e32 v31, v34
	v_mov_b32_e32 v33, v36
	v_pk_add_f32 v[38:39], v[32:33], v[40:41] neg_lo:[0,1] neg_hi:[0,1]
	s_nop 0
	v_sub_f32_e32 v12, v32, v38
	v_pk_add_f32 v[30:31], v[30:31], v[38:39] neg_lo:[0,1] neg_hi:[0,1]
	v_sub_f32_e32 v12, v40, v12
	v_add_f32_e32 v12, v30, v12
	v_add_f32_e32 v12, v12, v31
	;; [unrolled: 1-line block ×3, first 2 shown]
	v_cndmask_b32_e32 v145, v12, v44, vcc
.LBB56_79:                              ;   in Loop: Header=BB56_13 Depth=1
	s_or_b64 exec, exec, s[4:5]
	v_lshlrev_b32_e32 v12, 16, v13
	v_readlane_b32 s2, v166, 2
	s_nop 1
	v_add_f32_e32 v146, s2, v12
	v_readlane_b32 s2, v166, 23
	v_cmp_ge_f32_e32 vcc, s6, v146
	v_readlane_b32 s3, v166, 24
	s_and_b64 s[2:3], s[2:3], vcc
	s_and_saveexec_b64 s[4:5], s[2:3]
	s_cbranch_execz .LBB56_81
; %bb.80:                               ;   in Loop: Header=BB56_13 Depth=1
	v_mul_f32_e32 v12, 0x3fb8aa3b, v146
	v_rndne_f32_e32 v27, v12
	v_sub_f32_e32 v29, v12, v27
	v_fma_f32 v12, v146, s8, -v12
	v_fmac_f32_e32 v12, 0x32a5705f, v146
	v_add_f32_e32 v12, v29, v12
	v_cvt_i32_f32_e32 v27, v27
	v_exp_f32_e32 v12, v12
	v_cmp_ngt_f32_e32 vcc, s9, v146
	v_ldexp_f32 v12, v12, v27
	s_nop 0
	v_cndmask_b32_e32 v12, 0, v12, vcc
	v_cmp_nlt_f32_e32 vcc, s10, v146
	s_nop 1
	v_cndmask_b32_e32 v44, v140, v12, vcc
	v_add_f32_e32 v12, 1.0, v44
	v_add_f32_e32 v27, -1.0, v12
	v_sub_f32_e32 v29, v27, v12
	v_add_f32_e32 v29, 1.0, v29
	v_sub_f32_e32 v27, v44, v27
	v_add_f32_e32 v27, v27, v29
	v_frexp_mant_f32_e32 v29, v12
	v_cvt_f64_f32_e32 v[30:31], v12
	v_frexp_exp_i32_f64_e32 v30, v[30:31]
	v_cmp_gt_f32_e32 vcc, s12, v29
	v_cmp_gt_f32_e64 s[60:61], s16, v44
	s_nop 0
	v_subbrev_co_u32_e32 v38, vcc, 0, v30, vcc
	v_sub_u32_e32 v29, 0, v38
	v_ldexp_f32 v12, v12, v29
	v_ldexp_f32 v27, v27, v29
	v_add_f32_e32 v29, -1.0, v12
	v_add_f32_e32 v31, 1.0, v12
	v_add_f32_e32 v30, 1.0, v29
	v_add_f32_e32 v32, -1.0, v31
	v_sub_f32_e32 v30, v12, v30
	v_sub_f32_e32 v12, v12, v32
	v_add_f32_e32 v12, v27, v12
	v_add_f32_e32 v30, v27, v30
	;; [unrolled: 1-line block ×3, first 2 shown]
	v_rcp_f32_e32 v39, v27
	v_sub_f32_e32 v31, v31, v27
	v_add_f32_e32 v12, v12, v31
	v_add_f32_e32 v31, v29, v30
	v_mul_f32_e32 v40, v31, v39
	v_mul_f32_e32 v32, v27, v40
	v_fma_f32 v34, v40, v27, -v32
	v_sub_f32_e32 v29, v29, v31
	v_fmac_f32_e32 v34, v40, v12
	v_add_f32_e32 v29, v30, v29
	v_add_f32_e32 v30, v32, v34
	v_sub_f32_e32 v33, v31, v30
	v_pk_add_f32 v[36:37], v[30:31], v[32:33] neg_lo:[0,1] neg_hi:[0,1]
	v_mov_b32_e32 v35, v30
	v_pk_add_f32 v[30:31], v[36:37], v[34:35] neg_lo:[0,1] neg_hi:[0,1]
	v_cmp_eq_f32_e32 vcc, s11, v44
	v_add_f32_e32 v29, v29, v31
	v_add_f32_e32 v29, v30, v29
	;; [unrolled: 1-line block ×3, first 2 shown]
	v_mul_f32_e32 v41, v39, v31
	v_mul_f32_e32 v32, v27, v41
	v_fma_f32 v34, v41, v27, -v32
	v_fmac_f32_e32 v34, v41, v12
	v_add_f32_e32 v30, v32, v34
	v_sub_f32_e32 v12, v33, v31
	v_sub_f32_e32 v33, v31, v30
	v_pk_add_f32 v[36:37], v[30:31], v[32:33] neg_lo:[0,1] neg_hi:[0,1]
	v_mov_b32_e32 v35, v30
	v_add_f32_e32 v12, v29, v12
	v_pk_add_f32 v[30:31], v[36:37], v[34:35] neg_lo:[0,1] neg_hi:[0,1]
	v_add_f32_e32 v27, v40, v41
	v_add_f32_e32 v12, v12, v31
	;; [unrolled: 1-line block ×4, first 2 shown]
	v_sub_f32_e32 v29, v27, v40
	v_mul_f32_e32 v12, v39, v12
	v_sub_f32_e32 v29, v41, v29
	v_add_f32_e32 v12, v29, v12
	v_add_f32_e32 v31, v27, v12
	v_cvt_f32_i32_e32 v30, v38
	v_mul_f32_e32 v32, v31, v31
	v_fmamk_f32 v29, v32, 0x3e9b6dac, v139
	v_fmaak_f32 v29, v32, v29, 0x3f2aaada
	v_sub_f32_e32 v27, v31, v27
	v_ldexp_f32 v33, v31, 1
	v_mul_f32_e32 v31, v31, v32
	v_pk_mul_f32 v[34:35], v[30:31], v[28:29]
	v_sub_f32_e32 v12, v12, v27
	v_fma_f32 v32, v30, s13, -v34
	v_fmac_f32_e32 v32, 0xb102e308, v30
	v_pk_add_f32 v[30:31], v[34:35], v[32:33]
	v_ldexp_f32 v12, v12, 1
	v_sub_f32_e32 v27, v31, v33
	v_sub_f32_e32 v27, v35, v27
	v_add_f32_e32 v37, v12, v27
	v_mov_b32_e32 v36, v34
	v_pk_add_f32 v[34:35], v[30:31], v[34:35] neg_lo:[0,1] neg_hi:[0,1]
	v_pk_add_f32 v[38:39], v[30:31], v[36:37]
	v_mov_b32_e32 v33, v30
	v_mov_b32_e32 v35, v39
	v_pk_add_f32 v[40:41], v[32:33], v[34:35] neg_lo:[0,1] neg_hi:[0,1]
	v_pk_add_f32 v[32:33], v[32:33], v[34:35]
	s_or_b64 vcc, s[60:61], vcc
	v_mov_b32_e32 v12, v33
	v_pk_add_f32 v[34:35], v[12:13], v[30:31] neg_lo:[0,1] neg_hi:[0,1]
	v_mov_b32_e32 v32, v39
	v_mov_b32_e32 v27, v34
	v_pk_add_f32 v[42:43], v[38:39], v[26:27] neg_lo:[0,1] neg_hi:[0,1]
	v_mov_b32_e32 v38, v31
	v_mov_b32_e32 v39, v34
	;; [unrolled: 1-line block ×3, first 2 shown]
	v_pk_add_f32 v[32:33], v[32:33], v[38:39] neg_lo:[0,1] neg_hi:[0,1]
	v_mov_b32_e32 v34, v37
	v_mov_b32_e32 v35, v30
	v_pk_add_f32 v[30:31], v[34:35], v[32:33] neg_lo:[0,1] neg_hi:[0,1]
	v_mov_b32_e32 v42, v40
	v_pk_add_f32 v[32:33], v[42:43], v[30:31]
	s_nop 0
	v_mov_b32_e32 v34, v33
	v_pk_add_f32 v[34:35], v[32:33], v[34:35]
	s_nop 0
	v_pk_add_f32 v[36:37], v[12:13], v[34:35]
	v_mov_b32_e32 v31, v34
	v_mov_b32_e32 v33, v36
	v_pk_add_f32 v[38:39], v[32:33], v[40:41] neg_lo:[0,1] neg_hi:[0,1]
	s_nop 0
	v_sub_f32_e32 v12, v32, v38
	v_pk_add_f32 v[30:31], v[30:31], v[38:39] neg_lo:[0,1] neg_hi:[0,1]
	v_sub_f32_e32 v12, v40, v12
	v_add_f32_e32 v12, v30, v12
	v_add_f32_e32 v12, v12, v31
	;; [unrolled: 1-line block ×3, first 2 shown]
	v_cndmask_b32_e32 v146, v12, v44, vcc
.LBB56_81:                              ;   in Loop: Header=BB56_13 Depth=1
	s_or_b64 exec, exec, s[4:5]
	v_and_b32_e32 v12, 0xffff0000, v13
	v_readlane_b32 s2, v166, 2
	s_nop 1
	v_add_f32_e32 v147, s2, v12
	v_readlane_b32 s2, v166, 23
	v_cmp_ge_f32_e32 vcc, s6, v147
	v_readlane_b32 s3, v166, 24
	s_and_b64 s[2:3], s[2:3], vcc
	s_and_saveexec_b64 s[4:5], s[2:3]
	s_cbranch_execz .LBB56_83
; %bb.82:                               ;   in Loop: Header=BB56_13 Depth=1
	v_mul_f32_e32 v12, 0x3fb8aa3b, v147
	v_rndne_f32_e32 v13, v12
	v_sub_f32_e32 v27, v12, v13
	v_fma_f32 v12, v147, s8, -v12
	v_fmac_f32_e32 v12, 0x32a5705f, v147
	v_add_f32_e32 v12, v27, v12
	v_cvt_i32_f32_e32 v13, v13
	v_exp_f32_e32 v12, v12
	v_cmp_ngt_f32_e32 vcc, s9, v147
	v_ldexp_f32 v12, v12, v13
	s_nop 0
	v_cndmask_b32_e32 v12, 0, v12, vcc
	v_cmp_nlt_f32_e32 vcc, s10, v147
	s_nop 1
	v_cndmask_b32_e32 v44, v140, v12, vcc
	v_add_f32_e32 v27, 1.0, v44
	v_add_f32_e32 v12, -1.0, v27
	v_sub_f32_e32 v13, v12, v27
	v_add_f32_e32 v13, 1.0, v13
	v_sub_f32_e32 v12, v44, v12
	v_add_f32_e32 v29, v12, v13
	v_frexp_mant_f32_e32 v30, v27
	v_cvt_f64_f32_e32 v[12:13], v27
	v_frexp_exp_i32_f64_e32 v12, v[12:13]
	v_cmp_gt_f32_e32 vcc, s12, v30
	v_cmp_gt_f32_e64 s[60:61], s16, v44
	s_nop 0
	v_subbrev_co_u32_e32 v36, vcc, 0, v12, vcc
	v_sub_u32_e32 v12, 0, v36
	v_ldexp_f32 v13, v27, v12
	v_add_f32_e32 v27, -1.0, v13
	v_add_f32_e32 v30, 1.0, v13
	v_ldexp_f32 v12, v29, v12
	v_add_f32_e32 v29, 1.0, v27
	v_add_f32_e32 v31, -1.0, v30
	v_sub_f32_e32 v29, v13, v29
	v_sub_f32_e32 v13, v13, v31
	v_add_f32_e32 v29, v12, v29
	v_add_f32_e32 v12, v12, v13
	;; [unrolled: 1-line block ×3, first 2 shown]
	v_rcp_f32_e32 v39, v37
	v_sub_f32_e32 v13, v30, v37
	v_add_f32_e32 v38, v12, v13
	v_add_f32_e32 v13, v27, v29
	v_sub_f32_e32 v12, v27, v13
	v_add_f32_e32 v27, v29, v12
	v_mul_f32_e32 v29, v13, v39
	v_mul_f32_e32 v30, v37, v29
	v_fma_f32 v32, v29, v37, -v30
	v_fmac_f32_e32 v32, v29, v38
	v_add_f32_e32 v12, v30, v32
	v_sub_f32_e32 v31, v13, v12
	v_pk_add_f32 v[34:35], v[12:13], v[30:31] neg_lo:[0,1] neg_hi:[0,1]
	v_mov_b32_e32 v33, v12
	v_pk_add_f32 v[12:13], v[34:35], v[32:33] neg_lo:[0,1] neg_hi:[0,1]
	v_cmp_eq_f32_e32 vcc, s11, v44
	v_add_f32_e32 v13, v27, v13
	v_add_f32_e32 v12, v12, v13
	;; [unrolled: 1-line block ×3, first 2 shown]
	v_mul_f32_e32 v27, v39, v13
	v_mul_f32_e32 v30, v37, v27
	v_fma_f32 v32, v27, v37, -v30
	v_fmac_f32_e32 v32, v27, v38
	v_sub_f32_e32 v31, v31, v13
	v_add_f32_e32 v37, v12, v31
	v_add_f32_e32 v12, v30, v32
	v_sub_f32_e32 v31, v13, v12
	v_pk_add_f32 v[34:35], v[12:13], v[30:31] neg_lo:[0,1] neg_hi:[0,1]
	v_mov_b32_e32 v33, v12
	v_pk_add_f32 v[12:13], v[34:35], v[32:33] neg_lo:[0,1] neg_hi:[0,1]
	s_or_b64 vcc, s[60:61], vcc
	v_add_f32_e32 v13, v37, v13
	v_add_f32_e32 v12, v12, v13
	;; [unrolled: 1-line block ×4, first 2 shown]
	v_sub_f32_e32 v29, v13, v29
	v_mul_f32_e32 v12, v39, v12
	v_sub_f32_e32 v27, v27, v29
	v_add_f32_e32 v27, v27, v12
	v_add_f32_e32 v30, v13, v27
	v_mul_f32_e32 v32, v30, v30
	v_fmamk_f32 v12, v32, 0x3e9b6dac, v139
	v_fmaak_f32 v29, v32, v12, 0x3f2aaada
	v_cvt_f32_i32_e32 v12, v36
	v_sub_f32_e32 v13, v30, v13
	v_sub_f32_e32 v13, v27, v13
	v_ldexp_f32 v27, v13, 1
	v_mul_f32_e32 v13, v30, v32
	v_pk_mul_f32 v[32:33], v[12:13], v[28:29]
	v_ldexp_f32 v31, v30, 1
	v_fma_f32 v30, v12, s13, -v32
	v_fmac_f32_e32 v30, 0xb102e308, v12
	v_pk_add_f32 v[12:13], v[32:33], v[30:31]
	v_mov_b32_e32 v34, v32
	v_sub_f32_e32 v29, v13, v31
	v_sub_f32_e32 v29, v33, v29
	v_add_f32_e32 v35, v27, v29
	v_pk_add_f32 v[32:33], v[12:13], v[32:33] neg_lo:[0,1] neg_hi:[0,1]
	v_pk_add_f32 v[36:37], v[12:13], v[34:35]
	v_mov_b32_e32 v31, v12
	v_mov_b32_e32 v33, v37
	v_pk_add_f32 v[38:39], v[30:31], v[32:33] neg_lo:[0,1] neg_hi:[0,1]
	v_pk_add_f32 v[30:31], v[30:31], v[32:33]
	v_mov_b32_e32 v34, v35
	v_mov_b32_e32 v32, v31
	v_pk_add_f32 v[40:41], v[32:33], v[12:13] neg_lo:[0,1] neg_hi:[0,1]
	v_mov_b32_e32 v30, v37
	v_mov_b32_e32 v27, v40
	v_pk_add_f32 v[42:43], v[36:37], v[26:27] neg_lo:[0,1] neg_hi:[0,1]
	v_mov_b32_e32 v36, v13
	v_mov_b32_e32 v37, v40
	;; [unrolled: 1-line block ×3, first 2 shown]
	v_pk_add_f32 v[30:31], v[30:31], v[36:37] neg_lo:[0,1] neg_hi:[0,1]
	v_mov_b32_e32 v35, v12
	v_pk_add_f32 v[12:13], v[34:35], v[30:31] neg_lo:[0,1] neg_hi:[0,1]
	v_mov_b32_e32 v42, v38
	v_pk_add_f32 v[30:31], v[42:43], v[12:13]
	s_nop 0
	v_mov_b32_e32 v34, v31
	v_pk_add_f32 v[34:35], v[30:31], v[34:35]
	s_nop 0
	v_pk_add_f32 v[32:33], v[32:33], v[34:35]
	v_mov_b32_e32 v13, v34
	v_mov_b32_e32 v31, v32
	v_pk_add_f32 v[36:37], v[30:31], v[38:39] neg_lo:[0,1] neg_hi:[0,1]
	s_nop 0
	v_sub_f32_e32 v27, v30, v36
	v_pk_add_f32 v[12:13], v[12:13], v[36:37] neg_lo:[0,1] neg_hi:[0,1]
	v_sub_f32_e32 v27, v38, v27
	v_add_f32_e32 v12, v12, v27
	v_add_f32_e32 v12, v12, v13
	;; [unrolled: 1-line block ×3, first 2 shown]
	v_cndmask_b32_e32 v147, v12, v44, vcc
.LBB56_83:                              ;   in Loop: Header=BB56_13 Depth=1
	s_or_b64 exec, exec, s[4:5]
	v_lshlrev_b32_e32 v12, 16, v14
	v_readlane_b32 s2, v166, 2
	s_nop 1
	v_add_f32_e32 v148, s2, v12
	v_readlane_b32 s2, v166, 23
	v_cmp_ge_f32_e32 vcc, s6, v148
	v_readlane_b32 s3, v166, 24
	s_and_b64 s[2:3], s[2:3], vcc
	s_and_saveexec_b64 s[4:5], s[2:3]
	s_cbranch_execz .LBB56_85
; %bb.84:                               ;   in Loop: Header=BB56_13 Depth=1
	v_mul_f32_e32 v12, 0x3fb8aa3b, v148
	v_rndne_f32_e32 v13, v12
	v_sub_f32_e32 v27, v12, v13
	v_fma_f32 v12, v148, s8, -v12
	v_fmac_f32_e32 v12, 0x32a5705f, v148
	v_add_f32_e32 v12, v27, v12
	v_cvt_i32_f32_e32 v13, v13
	v_exp_f32_e32 v12, v12
	v_cmp_ngt_f32_e32 vcc, s9, v148
	v_ldexp_f32 v12, v12, v13
	s_nop 0
	v_cndmask_b32_e32 v12, 0, v12, vcc
	v_cmp_nlt_f32_e32 vcc, s10, v148
	s_nop 1
	v_cndmask_b32_e32 v44, v140, v12, vcc
	v_add_f32_e32 v27, 1.0, v44
	v_add_f32_e32 v12, -1.0, v27
	v_sub_f32_e32 v13, v12, v27
	v_add_f32_e32 v13, 1.0, v13
	v_sub_f32_e32 v12, v44, v12
	v_add_f32_e32 v29, v12, v13
	v_frexp_mant_f32_e32 v30, v27
	v_cvt_f64_f32_e32 v[12:13], v27
	v_frexp_exp_i32_f64_e32 v12, v[12:13]
	v_cmp_gt_f32_e32 vcc, s12, v30
	v_cmp_gt_f32_e64 s[60:61], s16, v44
	s_nop 0
	v_subbrev_co_u32_e32 v36, vcc, 0, v12, vcc
	v_sub_u32_e32 v12, 0, v36
	v_ldexp_f32 v13, v27, v12
	v_add_f32_e32 v27, -1.0, v13
	v_add_f32_e32 v30, 1.0, v13
	v_ldexp_f32 v12, v29, v12
	v_add_f32_e32 v29, 1.0, v27
	v_add_f32_e32 v31, -1.0, v30
	v_sub_f32_e32 v29, v13, v29
	v_sub_f32_e32 v13, v13, v31
	v_add_f32_e32 v29, v12, v29
	v_add_f32_e32 v12, v12, v13
	;; [unrolled: 1-line block ×3, first 2 shown]
	v_rcp_f32_e32 v39, v37
	v_sub_f32_e32 v13, v30, v37
	v_add_f32_e32 v38, v12, v13
	v_add_f32_e32 v13, v27, v29
	v_sub_f32_e32 v12, v27, v13
	v_add_f32_e32 v27, v29, v12
	v_mul_f32_e32 v29, v13, v39
	v_mul_f32_e32 v30, v37, v29
	v_fma_f32 v32, v29, v37, -v30
	v_fmac_f32_e32 v32, v29, v38
	v_add_f32_e32 v12, v30, v32
	v_sub_f32_e32 v31, v13, v12
	v_pk_add_f32 v[34:35], v[12:13], v[30:31] neg_lo:[0,1] neg_hi:[0,1]
	v_mov_b32_e32 v33, v12
	v_pk_add_f32 v[12:13], v[34:35], v[32:33] neg_lo:[0,1] neg_hi:[0,1]
	v_cmp_eq_f32_e32 vcc, s11, v44
	v_add_f32_e32 v13, v27, v13
	v_add_f32_e32 v12, v12, v13
	;; [unrolled: 1-line block ×3, first 2 shown]
	v_mul_f32_e32 v27, v39, v13
	v_mul_f32_e32 v30, v37, v27
	v_fma_f32 v32, v27, v37, -v30
	v_fmac_f32_e32 v32, v27, v38
	v_sub_f32_e32 v31, v31, v13
	v_add_f32_e32 v37, v12, v31
	v_add_f32_e32 v12, v30, v32
	v_sub_f32_e32 v31, v13, v12
	v_pk_add_f32 v[34:35], v[12:13], v[30:31] neg_lo:[0,1] neg_hi:[0,1]
	v_mov_b32_e32 v33, v12
	v_pk_add_f32 v[12:13], v[34:35], v[32:33] neg_lo:[0,1] neg_hi:[0,1]
	s_or_b64 vcc, s[60:61], vcc
	v_add_f32_e32 v13, v37, v13
	v_add_f32_e32 v12, v12, v13
	;; [unrolled: 1-line block ×4, first 2 shown]
	v_sub_f32_e32 v29, v13, v29
	v_mul_f32_e32 v12, v39, v12
	v_sub_f32_e32 v27, v27, v29
	v_add_f32_e32 v27, v27, v12
	v_add_f32_e32 v30, v13, v27
	v_mul_f32_e32 v32, v30, v30
	v_fmamk_f32 v12, v32, 0x3e9b6dac, v139
	v_fmaak_f32 v29, v32, v12, 0x3f2aaada
	v_cvt_f32_i32_e32 v12, v36
	v_sub_f32_e32 v13, v30, v13
	v_sub_f32_e32 v13, v27, v13
	v_ldexp_f32 v27, v13, 1
	v_mul_f32_e32 v13, v30, v32
	v_pk_mul_f32 v[32:33], v[12:13], v[28:29]
	v_ldexp_f32 v31, v30, 1
	v_fma_f32 v30, v12, s13, -v32
	v_fmac_f32_e32 v30, 0xb102e308, v12
	v_pk_add_f32 v[12:13], v[32:33], v[30:31]
	v_mov_b32_e32 v34, v32
	v_sub_f32_e32 v29, v13, v31
	v_sub_f32_e32 v29, v33, v29
	v_add_f32_e32 v35, v27, v29
	v_pk_add_f32 v[32:33], v[12:13], v[32:33] neg_lo:[0,1] neg_hi:[0,1]
	v_pk_add_f32 v[36:37], v[12:13], v[34:35]
	v_mov_b32_e32 v31, v12
	v_mov_b32_e32 v33, v37
	v_pk_add_f32 v[38:39], v[30:31], v[32:33] neg_lo:[0,1] neg_hi:[0,1]
	v_pk_add_f32 v[30:31], v[30:31], v[32:33]
	v_mov_b32_e32 v34, v35
	v_mov_b32_e32 v32, v31
	v_pk_add_f32 v[40:41], v[32:33], v[12:13] neg_lo:[0,1] neg_hi:[0,1]
	v_mov_b32_e32 v30, v37
	v_mov_b32_e32 v27, v40
	v_pk_add_f32 v[42:43], v[36:37], v[26:27] neg_lo:[0,1] neg_hi:[0,1]
	v_mov_b32_e32 v36, v13
	v_mov_b32_e32 v37, v40
	;; [unrolled: 1-line block ×3, first 2 shown]
	v_pk_add_f32 v[30:31], v[30:31], v[36:37] neg_lo:[0,1] neg_hi:[0,1]
	v_mov_b32_e32 v35, v12
	v_pk_add_f32 v[12:13], v[34:35], v[30:31] neg_lo:[0,1] neg_hi:[0,1]
	v_mov_b32_e32 v42, v38
	v_pk_add_f32 v[30:31], v[42:43], v[12:13]
	s_nop 0
	v_mov_b32_e32 v34, v31
	v_pk_add_f32 v[34:35], v[30:31], v[34:35]
	s_nop 0
	v_pk_add_f32 v[32:33], v[32:33], v[34:35]
	v_mov_b32_e32 v13, v34
	v_mov_b32_e32 v31, v32
	v_pk_add_f32 v[36:37], v[30:31], v[38:39] neg_lo:[0,1] neg_hi:[0,1]
	s_nop 0
	v_sub_f32_e32 v27, v30, v36
	v_pk_add_f32 v[12:13], v[12:13], v[36:37] neg_lo:[0,1] neg_hi:[0,1]
	v_sub_f32_e32 v27, v38, v27
	v_add_f32_e32 v12, v12, v27
	v_add_f32_e32 v12, v12, v13
	;; [unrolled: 1-line block ×3, first 2 shown]
	v_cndmask_b32_e32 v148, v12, v44, vcc
.LBB56_85:                              ;   in Loop: Header=BB56_13 Depth=1
	s_or_b64 exec, exec, s[4:5]
	v_and_b32_e32 v12, 0xffff0000, v14
	v_readlane_b32 s2, v166, 2
	s_nop 1
	v_add_f32_e32 v149, s2, v12
	v_readlane_b32 s2, v166, 23
	v_cmp_ge_f32_e32 vcc, s6, v149
	v_readlane_b32 s3, v166, 24
	s_and_b64 s[2:3], s[2:3], vcc
	s_and_saveexec_b64 s[4:5], s[2:3]
	s_cbranch_execz .LBB56_87
; %bb.86:                               ;   in Loop: Header=BB56_13 Depth=1
	v_mul_f32_e32 v12, 0x3fb8aa3b, v149
	v_rndne_f32_e32 v13, v12
	v_sub_f32_e32 v14, v12, v13
	v_fma_f32 v12, v149, s8, -v12
	v_fmac_f32_e32 v12, 0x32a5705f, v149
	v_add_f32_e32 v12, v14, v12
	v_cvt_i32_f32_e32 v13, v13
	v_exp_f32_e32 v12, v12
	v_cmp_ngt_f32_e32 vcc, s9, v149
	v_ldexp_f32 v12, v12, v13
	s_nop 0
	v_cndmask_b32_e32 v12, 0, v12, vcc
	v_cmp_nlt_f32_e32 vcc, s10, v149
	s_nop 1
	v_cndmask_b32_e32 v42, v140, v12, vcc
	v_add_f32_e32 v14, 1.0, v42
	v_add_f32_e32 v12, -1.0, v14
	v_sub_f32_e32 v13, v12, v14
	v_add_f32_e32 v13, 1.0, v13
	v_sub_f32_e32 v12, v42, v12
	v_add_f32_e32 v27, v12, v13
	v_frexp_mant_f32_e32 v29, v14
	v_cvt_f64_f32_e32 v[12:13], v14
	v_frexp_exp_i32_f64_e32 v12, v[12:13]
	v_cmp_gt_f32_e32 vcc, s12, v29
	v_cmp_gt_f32_e64 s[60:61], s16, v42
	s_nop 0
	v_subbrev_co_u32_e32 v36, vcc, 0, v12, vcc
	v_sub_u32_e32 v12, 0, v36
	v_ldexp_f32 v13, v14, v12
	v_add_f32_e32 v14, -1.0, v13
	v_add_f32_e32 v29, 1.0, v13
	v_ldexp_f32 v12, v27, v12
	v_add_f32_e32 v27, 1.0, v14
	v_add_f32_e32 v30, -1.0, v29
	v_sub_f32_e32 v27, v13, v27
	v_sub_f32_e32 v13, v13, v30
	v_add_f32_e32 v27, v12, v27
	v_add_f32_e32 v12, v12, v13
	;; [unrolled: 1-line block ×3, first 2 shown]
	v_rcp_f32_e32 v38, v37
	v_sub_f32_e32 v13, v29, v37
	v_add_f32_e32 v29, v12, v13
	v_add_f32_e32 v13, v14, v27
	v_sub_f32_e32 v12, v14, v13
	v_add_f32_e32 v14, v27, v12
	v_mul_f32_e32 v27, v13, v38
	v_mul_f32_e32 v30, v37, v27
	v_fma_f32 v32, v27, v37, -v30
	v_fmac_f32_e32 v32, v27, v29
	v_add_f32_e32 v12, v30, v32
	v_sub_f32_e32 v31, v13, v12
	v_pk_add_f32 v[34:35], v[12:13], v[30:31] neg_lo:[0,1] neg_hi:[0,1]
	v_mov_b32_e32 v33, v12
	v_pk_add_f32 v[12:13], v[34:35], v[32:33] neg_lo:[0,1] neg_hi:[0,1]
	v_cmp_eq_f32_e32 vcc, s11, v42
	v_add_f32_e32 v13, v14, v13
	v_add_f32_e32 v12, v12, v13
	;; [unrolled: 1-line block ×3, first 2 shown]
	v_mul_f32_e32 v14, v38, v13
	v_mul_f32_e32 v30, v37, v14
	v_fma_f32 v32, v14, v37, -v30
	v_fmac_f32_e32 v32, v14, v29
	v_sub_f32_e32 v29, v31, v13
	v_add_f32_e32 v29, v12, v29
	v_add_f32_e32 v12, v30, v32
	v_sub_f32_e32 v31, v13, v12
	v_pk_add_f32 v[34:35], v[12:13], v[30:31] neg_lo:[0,1] neg_hi:[0,1]
	v_mov_b32_e32 v33, v12
	v_pk_add_f32 v[12:13], v[34:35], v[32:33] neg_lo:[0,1] neg_hi:[0,1]
	s_or_b64 vcc, s[60:61], vcc
	v_add_f32_e32 v13, v29, v13
	v_add_f32_e32 v12, v12, v13
	;; [unrolled: 1-line block ×4, first 2 shown]
	v_sub_f32_e32 v27, v13, v27
	v_mul_f32_e32 v12, v38, v12
	v_sub_f32_e32 v14, v14, v27
	v_add_f32_e32 v14, v14, v12
	v_add_f32_e32 v27, v13, v14
	v_mul_f32_e32 v30, v27, v27
	v_fmamk_f32 v12, v30, 0x3e9b6dac, v139
	v_fmaak_f32 v29, v30, v12, 0x3f2aaada
	v_cvt_f32_i32_e32 v12, v36
	v_sub_f32_e32 v13, v27, v13
	v_sub_f32_e32 v13, v14, v13
	v_ldexp_f32 v14, v13, 1
	v_mul_f32_e32 v13, v27, v30
	v_pk_mul_f32 v[32:33], v[12:13], v[28:29]
	v_ldexp_f32 v31, v27, 1
	v_fma_f32 v30, v12, s13, -v32
	v_fmac_f32_e32 v30, 0xb102e308, v12
	v_pk_add_f32 v[12:13], v[32:33], v[30:31]
	v_mov_b32_e32 v34, v32
	v_sub_f32_e32 v27, v13, v31
	v_sub_f32_e32 v27, v33, v27
	v_add_f32_e32 v35, v14, v27
	v_pk_add_f32 v[32:33], v[12:13], v[32:33] neg_lo:[0,1] neg_hi:[0,1]
	v_pk_add_f32 v[36:37], v[12:13], v[34:35]
	v_mov_b32_e32 v31, v12
	v_mov_b32_e32 v33, v37
	v_pk_add_f32 v[38:39], v[30:31], v[32:33] neg_lo:[0,1] neg_hi:[0,1]
	v_pk_add_f32 v[30:31], v[30:31], v[32:33]
	s_nop 0
	v_mov_b32_e32 v14, v31
	v_pk_add_f32 v[32:33], v[14:15], v[12:13] neg_lo:[0,1] neg_hi:[0,1]
	v_mov_b32_e32 v30, v37
	v_mov_b32_e32 v27, v32
	v_pk_add_f32 v[40:41], v[36:37], v[26:27] neg_lo:[0,1] neg_hi:[0,1]
	v_mov_b32_e32 v36, v13
	v_mov_b32_e32 v37, v32
	;; [unrolled: 1-line block ×3, first 2 shown]
	v_pk_add_f32 v[30:31], v[30:31], v[36:37] neg_lo:[0,1] neg_hi:[0,1]
	v_mov_b32_e32 v32, v35
	v_mov_b32_e32 v33, v12
	v_pk_add_f32 v[12:13], v[32:33], v[30:31] neg_lo:[0,1] neg_hi:[0,1]
	v_mov_b32_e32 v40, v38
	v_pk_add_f32 v[30:31], v[40:41], v[12:13]
	s_nop 0
	v_mov_b32_e32 v32, v31
	v_pk_add_f32 v[32:33], v[30:31], v[32:33]
	s_nop 0
	v_pk_add_f32 v[34:35], v[14:15], v[32:33]
	v_mov_b32_e32 v13, v32
	v_mov_b32_e32 v31, v34
	v_pk_add_f32 v[36:37], v[30:31], v[38:39] neg_lo:[0,1] neg_hi:[0,1]
	s_nop 0
	v_sub_f32_e32 v14, v30, v36
	v_pk_add_f32 v[12:13], v[12:13], v[36:37] neg_lo:[0,1] neg_hi:[0,1]
	v_sub_f32_e32 v14, v38, v14
	v_add_f32_e32 v12, v12, v14
	v_add_f32_e32 v12, v12, v13
	;; [unrolled: 1-line block ×3, first 2 shown]
	v_cndmask_b32_e32 v149, v12, v42, vcc
.LBB56_87:                              ;   in Loop: Header=BB56_13 Depth=1
	s_or_b64 exec, exec, s[4:5]
	v_lshlrev_b32_e32 v12, 16, v15
	v_readlane_b32 s2, v166, 2
	s_nop 1
	v_add_f32_e32 v150, s2, v12
	v_readlane_b32 s2, v166, 23
	v_cmp_ge_f32_e32 vcc, s6, v150
	v_readlane_b32 s3, v166, 24
	s_and_b64 s[2:3], s[2:3], vcc
	s_and_saveexec_b64 s[4:5], s[2:3]
	s_cbranch_execz .LBB56_89
; %bb.88:                               ;   in Loop: Header=BB56_13 Depth=1
	v_mul_f32_e32 v12, 0x3fb8aa3b, v150
	v_rndne_f32_e32 v13, v12
	v_sub_f32_e32 v14, v12, v13
	v_fma_f32 v12, v150, s8, -v12
	v_fmac_f32_e32 v12, 0x32a5705f, v150
	v_add_f32_e32 v12, v14, v12
	v_cvt_i32_f32_e32 v13, v13
	v_exp_f32_e32 v12, v12
	v_cmp_ngt_f32_e32 vcc, s9, v150
	v_ldexp_f32 v12, v12, v13
	s_nop 0
	v_cndmask_b32_e32 v12, 0, v12, vcc
	v_cmp_nlt_f32_e32 vcc, s10, v150
	s_nop 1
	v_cndmask_b32_e32 v42, v140, v12, vcc
	v_add_f32_e32 v14, 1.0, v42
	v_add_f32_e32 v12, -1.0, v14
	v_sub_f32_e32 v13, v12, v14
	v_add_f32_e32 v13, 1.0, v13
	v_sub_f32_e32 v12, v42, v12
	v_add_f32_e32 v27, v12, v13
	v_frexp_mant_f32_e32 v29, v14
	v_cvt_f64_f32_e32 v[12:13], v14
	v_frexp_exp_i32_f64_e32 v12, v[12:13]
	v_cmp_gt_f32_e32 vcc, s12, v29
	v_cmp_gt_f32_e64 s[60:61], s16, v42
	s_nop 0
	v_subbrev_co_u32_e32 v36, vcc, 0, v12, vcc
	v_sub_u32_e32 v12, 0, v36
	v_ldexp_f32 v13, v14, v12
	v_add_f32_e32 v14, -1.0, v13
	v_add_f32_e32 v29, 1.0, v13
	v_ldexp_f32 v12, v27, v12
	v_add_f32_e32 v27, 1.0, v14
	v_add_f32_e32 v30, -1.0, v29
	v_sub_f32_e32 v27, v13, v27
	v_sub_f32_e32 v13, v13, v30
	v_add_f32_e32 v27, v12, v27
	v_add_f32_e32 v12, v12, v13
	;; [unrolled: 1-line block ×3, first 2 shown]
	v_rcp_f32_e32 v38, v37
	v_sub_f32_e32 v13, v29, v37
	v_add_f32_e32 v29, v12, v13
	v_add_f32_e32 v13, v14, v27
	v_sub_f32_e32 v12, v14, v13
	v_add_f32_e32 v14, v27, v12
	v_mul_f32_e32 v27, v13, v38
	v_mul_f32_e32 v30, v37, v27
	v_fma_f32 v32, v27, v37, -v30
	v_fmac_f32_e32 v32, v27, v29
	v_add_f32_e32 v12, v30, v32
	v_sub_f32_e32 v31, v13, v12
	v_pk_add_f32 v[34:35], v[12:13], v[30:31] neg_lo:[0,1] neg_hi:[0,1]
	v_mov_b32_e32 v33, v12
	v_pk_add_f32 v[12:13], v[34:35], v[32:33] neg_lo:[0,1] neg_hi:[0,1]
	v_cmp_eq_f32_e32 vcc, s11, v42
	v_add_f32_e32 v13, v14, v13
	v_add_f32_e32 v12, v12, v13
	v_add_f32_e32 v13, v31, v12
	v_mul_f32_e32 v14, v38, v13
	v_mul_f32_e32 v30, v37, v14
	v_fma_f32 v32, v14, v37, -v30
	v_fmac_f32_e32 v32, v14, v29
	v_sub_f32_e32 v29, v31, v13
	v_add_f32_e32 v29, v12, v29
	v_add_f32_e32 v12, v30, v32
	v_sub_f32_e32 v31, v13, v12
	v_pk_add_f32 v[34:35], v[12:13], v[30:31] neg_lo:[0,1] neg_hi:[0,1]
	v_mov_b32_e32 v33, v12
	v_pk_add_f32 v[12:13], v[34:35], v[32:33] neg_lo:[0,1] neg_hi:[0,1]
	s_or_b64 vcc, s[60:61], vcc
	v_add_f32_e32 v13, v29, v13
	v_add_f32_e32 v12, v12, v13
	;; [unrolled: 1-line block ×4, first 2 shown]
	v_sub_f32_e32 v27, v13, v27
	v_mul_f32_e32 v12, v38, v12
	v_sub_f32_e32 v14, v14, v27
	v_add_f32_e32 v14, v14, v12
	v_add_f32_e32 v27, v13, v14
	v_mul_f32_e32 v30, v27, v27
	v_fmamk_f32 v12, v30, 0x3e9b6dac, v139
	v_fmaak_f32 v29, v30, v12, 0x3f2aaada
	v_cvt_f32_i32_e32 v12, v36
	v_sub_f32_e32 v13, v27, v13
	v_sub_f32_e32 v13, v14, v13
	v_ldexp_f32 v14, v13, 1
	v_mul_f32_e32 v13, v27, v30
	v_pk_mul_f32 v[32:33], v[12:13], v[28:29]
	v_ldexp_f32 v31, v27, 1
	v_fma_f32 v30, v12, s13, -v32
	v_fmac_f32_e32 v30, 0xb102e308, v12
	v_pk_add_f32 v[12:13], v[32:33], v[30:31]
	v_mov_b32_e32 v34, v32
	v_sub_f32_e32 v27, v13, v31
	v_sub_f32_e32 v27, v33, v27
	v_add_f32_e32 v35, v14, v27
	v_pk_add_f32 v[32:33], v[12:13], v[32:33] neg_lo:[0,1] neg_hi:[0,1]
	v_pk_add_f32 v[36:37], v[12:13], v[34:35]
	v_mov_b32_e32 v31, v12
	v_mov_b32_e32 v33, v37
	v_pk_add_f32 v[38:39], v[30:31], v[32:33] neg_lo:[0,1] neg_hi:[0,1]
	v_pk_add_f32 v[30:31], v[30:31], v[32:33]
	s_nop 0
	v_mov_b32_e32 v14, v31
	v_pk_add_f32 v[32:33], v[14:15], v[12:13] neg_lo:[0,1] neg_hi:[0,1]
	v_mov_b32_e32 v30, v37
	v_mov_b32_e32 v27, v32
	v_pk_add_f32 v[40:41], v[36:37], v[26:27] neg_lo:[0,1] neg_hi:[0,1]
	v_mov_b32_e32 v36, v13
	v_mov_b32_e32 v37, v32
	;; [unrolled: 1-line block ×3, first 2 shown]
	v_pk_add_f32 v[30:31], v[30:31], v[36:37] neg_lo:[0,1] neg_hi:[0,1]
	v_mov_b32_e32 v32, v35
	v_mov_b32_e32 v33, v12
	v_pk_add_f32 v[12:13], v[32:33], v[30:31] neg_lo:[0,1] neg_hi:[0,1]
	v_mov_b32_e32 v40, v38
	v_pk_add_f32 v[30:31], v[40:41], v[12:13]
	s_nop 0
	v_mov_b32_e32 v32, v31
	v_pk_add_f32 v[32:33], v[30:31], v[32:33]
	s_nop 0
	v_pk_add_f32 v[34:35], v[14:15], v[32:33]
	v_mov_b32_e32 v13, v32
	v_mov_b32_e32 v31, v34
	v_pk_add_f32 v[36:37], v[30:31], v[38:39] neg_lo:[0,1] neg_hi:[0,1]
	s_nop 0
	v_sub_f32_e32 v14, v30, v36
	v_pk_add_f32 v[12:13], v[12:13], v[36:37] neg_lo:[0,1] neg_hi:[0,1]
	v_sub_f32_e32 v14, v38, v14
	v_add_f32_e32 v12, v12, v14
	v_add_f32_e32 v12, v12, v13
	;; [unrolled: 1-line block ×3, first 2 shown]
	v_cndmask_b32_e32 v150, v12, v42, vcc
.LBB56_89:                              ;   in Loop: Header=BB56_13 Depth=1
	s_or_b64 exec, exec, s[4:5]
	v_and_b32_e32 v12, 0xffff0000, v15
	v_readlane_b32 s2, v166, 2
	s_nop 1
	v_add_f32_e32 v151, s2, v12
	v_readlane_b32 s2, v166, 23
	v_cmp_ge_f32_e32 vcc, s6, v151
	v_readlane_b32 s3, v166, 24
	s_and_b64 s[2:3], s[2:3], vcc
	s_and_saveexec_b64 s[4:5], s[2:3]
	s_cbranch_execz .LBB56_91
; %bb.90:                               ;   in Loop: Header=BB56_13 Depth=1
	v_mul_f32_e32 v12, 0x3fb8aa3b, v151
	v_rndne_f32_e32 v13, v12
	v_sub_f32_e32 v14, v12, v13
	v_fma_f32 v12, v151, s8, -v12
	v_fmac_f32_e32 v12, 0x32a5705f, v151
	v_add_f32_e32 v12, v14, v12
	v_cvt_i32_f32_e32 v13, v13
	v_exp_f32_e32 v12, v12
	v_cmp_ngt_f32_e32 vcc, s9, v151
	v_ldexp_f32 v12, v12, v13
	s_nop 0
	v_cndmask_b32_e32 v12, 0, v12, vcc
	v_cmp_nlt_f32_e32 vcc, s10, v151
	s_nop 1
	v_cndmask_b32_e32 v42, v140, v12, vcc
	v_add_f32_e32 v14, 1.0, v42
	v_add_f32_e32 v12, -1.0, v14
	v_sub_f32_e32 v13, v12, v14
	v_add_f32_e32 v13, 1.0, v13
	v_sub_f32_e32 v12, v42, v12
	v_add_f32_e32 v15, v12, v13
	v_frexp_mant_f32_e32 v27, v14
	v_cvt_f64_f32_e32 v[12:13], v14
	v_frexp_exp_i32_f64_e32 v12, v[12:13]
	v_cmp_gt_f32_e32 vcc, s12, v27
	v_cmp_gt_f32_e64 s[60:61], s16, v42
	s_nop 0
	v_subbrev_co_u32_e32 v27, vcc, 0, v12, vcc
	v_sub_u32_e32 v12, 0, v27
	v_ldexp_f32 v13, v14, v12
	v_add_f32_e32 v14, -1.0, v13
	v_add_f32_e32 v29, 1.0, v13
	v_ldexp_f32 v12, v15, v12
	v_add_f32_e32 v15, 1.0, v14
	v_add_f32_e32 v30, -1.0, v29
	v_sub_f32_e32 v15, v13, v15
	v_sub_f32_e32 v13, v13, v30
	v_add_f32_e32 v15, v12, v15
	v_add_f32_e32 v12, v12, v13
	v_add_f32_e32 v34, v29, v12
	v_rcp_f32_e32 v35, v34
	v_sub_f32_e32 v13, v29, v34
	v_add_f32_e32 v29, v12, v13
	v_add_f32_e32 v13, v14, v15
	v_mul_f32_e32 v37, v13, v35
	v_sub_f32_e32 v12, v14, v13
	v_mul_f32_e32 v14, v34, v37
	v_fma_f32 v30, v37, v34, -v14
	v_fmac_f32_e32 v30, v37, v29
	v_add_f32_e32 v36, v15, v12
	v_add_f32_e32 v12, v14, v30
	v_sub_f32_e32 v15, v13, v12
	v_pk_add_f32 v[32:33], v[12:13], v[14:15] neg_lo:[0,1] neg_hi:[0,1]
	v_mov_b32_e32 v31, v12
	v_pk_add_f32 v[12:13], v[32:33], v[30:31] neg_lo:[0,1] neg_hi:[0,1]
	v_cmp_eq_f32_e32 vcc, s11, v42
	v_add_f32_e32 v13, v36, v13
	v_add_f32_e32 v12, v12, v13
	;; [unrolled: 1-line block ×3, first 2 shown]
	v_mul_f32_e32 v36, v35, v13
	v_mul_f32_e32 v14, v34, v36
	v_fma_f32 v30, v36, v34, -v14
	v_fmac_f32_e32 v30, v36, v29
	v_sub_f32_e32 v15, v15, v13
	v_add_f32_e32 v29, v12, v15
	v_add_f32_e32 v12, v14, v30
	v_sub_f32_e32 v15, v13, v12
	v_pk_add_f32 v[32:33], v[12:13], v[14:15] neg_lo:[0,1] neg_hi:[0,1]
	v_mov_b32_e32 v31, v12
	v_pk_add_f32 v[12:13], v[32:33], v[30:31] neg_lo:[0,1] neg_hi:[0,1]
	s_or_b64 vcc, s[60:61], vcc
	v_add_f32_e32 v13, v29, v13
	v_add_f32_e32 v12, v12, v13
	;; [unrolled: 1-line block ×4, first 2 shown]
	v_sub_f32_e32 v14, v13, v37
	v_mul_f32_e32 v12, v35, v12
	v_sub_f32_e32 v14, v36, v14
	v_add_f32_e32 v14, v14, v12
	v_add_f32_e32 v30, v13, v14
	v_mul_f32_e32 v31, v30, v30
	v_fmamk_f32 v12, v31, 0x3e9b6dac, v139
	v_fmaak_f32 v29, v31, v12, 0x3f2aaada
	v_cvt_f32_i32_e32 v12, v27
	v_sub_f32_e32 v13, v30, v13
	v_sub_f32_e32 v13, v14, v13
	v_ldexp_f32 v27, v13, 1
	v_mul_f32_e32 v13, v30, v31
	v_ldexp_f32 v15, v30, 1
	v_pk_mul_f32 v[30:31], v[12:13], v[28:29]
	s_nop 0
	v_fma_f32 v14, v12, s13, -v30
	v_fmac_f32_e32 v14, 0xb102e308, v12
	v_pk_add_f32 v[12:13], v[30:31], v[14:15]
	v_mov_b32_e32 v32, v30
	v_sub_f32_e32 v15, v13, v15
	v_sub_f32_e32 v15, v31, v15
	v_add_f32_e32 v33, v27, v15
	v_pk_add_f32 v[30:31], v[12:13], v[30:31] neg_lo:[0,1] neg_hi:[0,1]
	v_pk_add_f32 v[34:35], v[12:13], v[32:33]
	v_mov_b32_e32 v15, v12
	v_mov_b32_e32 v31, v35
	v_pk_add_f32 v[36:37], v[14:15], v[30:31] neg_lo:[0,1] neg_hi:[0,1]
	v_pk_add_f32 v[14:15], v[14:15], v[30:31]
	v_mov_b32_e32 v32, v33
	v_mov_b32_e32 v30, v15
	v_pk_add_f32 v[38:39], v[30:31], v[12:13] neg_lo:[0,1] neg_hi:[0,1]
	v_mov_b32_e32 v14, v35
	v_mov_b32_e32 v27, v38
	v_pk_add_f32 v[40:41], v[34:35], v[26:27] neg_lo:[0,1] neg_hi:[0,1]
	v_mov_b32_e32 v34, v13
	v_mov_b32_e32 v35, v38
	v_mov_b32_e32 v37, v15
	v_pk_add_f32 v[14:15], v[14:15], v[34:35] neg_lo:[0,1] neg_hi:[0,1]
	v_mov_b32_e32 v33, v12
	v_pk_add_f32 v[12:13], v[32:33], v[14:15] neg_lo:[0,1] neg_hi:[0,1]
	v_mov_b32_e32 v40, v36
	v_pk_add_f32 v[14:15], v[40:41], v[12:13]
	s_nop 0
	v_mov_b32_e32 v32, v15
	v_pk_add_f32 v[32:33], v[14:15], v[32:33]
	s_nop 0
	v_pk_add_f32 v[30:31], v[30:31], v[32:33]
	v_mov_b32_e32 v13, v32
	v_mov_b32_e32 v15, v30
	v_pk_add_f32 v[34:35], v[14:15], v[36:37] neg_lo:[0,1] neg_hi:[0,1]
	s_nop 0
	v_sub_f32_e32 v14, v14, v34
	v_pk_add_f32 v[12:13], v[12:13], v[34:35] neg_lo:[0,1] neg_hi:[0,1]
	v_sub_f32_e32 v14, v36, v14
	v_add_f32_e32 v12, v12, v14
	v_add_f32_e32 v12, v12, v13
	;; [unrolled: 1-line block ×3, first 2 shown]
	v_cndmask_b32_e32 v151, v12, v42, vcc
.LBB56_91:                              ;   in Loop: Header=BB56_13 Depth=1
	s_or_b64 exec, exec, s[4:5]
	s_waitcnt lgkmcnt(0)
	v_lshlrev_b32_e32 v12, 16, v8
	v_readlane_b32 s2, v166, 2
	s_nop 1
	v_add_f32_e32 v152, s2, v12
	v_readlane_b32 s2, v166, 23
	v_cmp_ge_f32_e32 vcc, s6, v152
	v_readlane_b32 s3, v166, 24
	s_and_b64 s[2:3], s[2:3], vcc
	s_and_saveexec_b64 s[4:5], s[2:3]
	s_cbranch_execz .LBB56_93
; %bb.92:                               ;   in Loop: Header=BB56_13 Depth=1
	v_mul_f32_e32 v12, 0x3fb8aa3b, v152
	v_rndne_f32_e32 v13, v12
	v_sub_f32_e32 v14, v12, v13
	v_fma_f32 v12, v152, s8, -v12
	v_fmac_f32_e32 v12, 0x32a5705f, v152
	v_add_f32_e32 v12, v14, v12
	v_cvt_i32_f32_e32 v13, v13
	v_exp_f32_e32 v12, v12
	v_cmp_ngt_f32_e32 vcc, s9, v152
	v_ldexp_f32 v12, v12, v13
	s_nop 0
	v_cndmask_b32_e32 v12, 0, v12, vcc
	v_cmp_nlt_f32_e32 vcc, s10, v152
	s_nop 1
	v_cndmask_b32_e32 v42, v140, v12, vcc
	v_add_f32_e32 v14, 1.0, v42
	v_add_f32_e32 v12, -1.0, v14
	v_sub_f32_e32 v13, v12, v14
	v_add_f32_e32 v13, 1.0, v13
	v_sub_f32_e32 v12, v42, v12
	v_add_f32_e32 v15, v12, v13
	v_frexp_mant_f32_e32 v27, v14
	v_cvt_f64_f32_e32 v[12:13], v14
	v_frexp_exp_i32_f64_e32 v12, v[12:13]
	v_cmp_gt_f32_e32 vcc, s12, v27
	v_cmp_gt_f32_e64 s[60:61], s16, v42
	s_nop 0
	v_subbrev_co_u32_e32 v27, vcc, 0, v12, vcc
	v_sub_u32_e32 v12, 0, v27
	v_ldexp_f32 v13, v14, v12
	v_add_f32_e32 v14, -1.0, v13
	v_add_f32_e32 v29, 1.0, v13
	v_ldexp_f32 v12, v15, v12
	v_add_f32_e32 v15, 1.0, v14
	v_add_f32_e32 v30, -1.0, v29
	v_sub_f32_e32 v15, v13, v15
	v_sub_f32_e32 v13, v13, v30
	v_add_f32_e32 v15, v12, v15
	v_add_f32_e32 v12, v12, v13
	;; [unrolled: 1-line block ×3, first 2 shown]
	v_rcp_f32_e32 v35, v34
	v_sub_f32_e32 v13, v29, v34
	v_add_f32_e32 v29, v12, v13
	v_add_f32_e32 v13, v14, v15
	v_mul_f32_e32 v37, v13, v35
	v_sub_f32_e32 v12, v14, v13
	v_mul_f32_e32 v14, v34, v37
	v_fma_f32 v30, v37, v34, -v14
	v_fmac_f32_e32 v30, v37, v29
	v_add_f32_e32 v36, v15, v12
	v_add_f32_e32 v12, v14, v30
	v_sub_f32_e32 v15, v13, v12
	v_pk_add_f32 v[32:33], v[12:13], v[14:15] neg_lo:[0,1] neg_hi:[0,1]
	v_mov_b32_e32 v31, v12
	v_pk_add_f32 v[12:13], v[32:33], v[30:31] neg_lo:[0,1] neg_hi:[0,1]
	v_cmp_eq_f32_e32 vcc, s11, v42
	v_add_f32_e32 v13, v36, v13
	v_add_f32_e32 v12, v12, v13
	;; [unrolled: 1-line block ×3, first 2 shown]
	v_mul_f32_e32 v36, v35, v13
	v_mul_f32_e32 v14, v34, v36
	v_fma_f32 v30, v36, v34, -v14
	v_fmac_f32_e32 v30, v36, v29
	v_sub_f32_e32 v15, v15, v13
	v_add_f32_e32 v29, v12, v15
	v_add_f32_e32 v12, v14, v30
	v_sub_f32_e32 v15, v13, v12
	v_pk_add_f32 v[32:33], v[12:13], v[14:15] neg_lo:[0,1] neg_hi:[0,1]
	v_mov_b32_e32 v31, v12
	v_pk_add_f32 v[12:13], v[32:33], v[30:31] neg_lo:[0,1] neg_hi:[0,1]
	s_or_b64 vcc, s[60:61], vcc
	v_add_f32_e32 v13, v29, v13
	v_add_f32_e32 v12, v12, v13
	;; [unrolled: 1-line block ×4, first 2 shown]
	v_sub_f32_e32 v14, v13, v37
	v_mul_f32_e32 v12, v35, v12
	v_sub_f32_e32 v14, v36, v14
	v_add_f32_e32 v14, v14, v12
	v_add_f32_e32 v30, v13, v14
	v_mul_f32_e32 v31, v30, v30
	v_fmamk_f32 v12, v31, 0x3e9b6dac, v139
	v_fmaak_f32 v29, v31, v12, 0x3f2aaada
	v_cvt_f32_i32_e32 v12, v27
	v_sub_f32_e32 v13, v30, v13
	v_sub_f32_e32 v13, v14, v13
	v_ldexp_f32 v27, v13, 1
	v_mul_f32_e32 v13, v30, v31
	v_ldexp_f32 v15, v30, 1
	v_pk_mul_f32 v[30:31], v[12:13], v[28:29]
	s_nop 0
	v_fma_f32 v14, v12, s13, -v30
	v_fmac_f32_e32 v14, 0xb102e308, v12
	v_pk_add_f32 v[12:13], v[30:31], v[14:15]
	v_mov_b32_e32 v32, v30
	v_sub_f32_e32 v15, v13, v15
	v_sub_f32_e32 v15, v31, v15
	v_add_f32_e32 v33, v27, v15
	v_pk_add_f32 v[30:31], v[12:13], v[30:31] neg_lo:[0,1] neg_hi:[0,1]
	v_pk_add_f32 v[34:35], v[12:13], v[32:33]
	v_mov_b32_e32 v15, v12
	v_mov_b32_e32 v31, v35
	v_pk_add_f32 v[36:37], v[14:15], v[30:31] neg_lo:[0,1] neg_hi:[0,1]
	v_pk_add_f32 v[14:15], v[14:15], v[30:31]
	v_mov_b32_e32 v32, v33
	v_mov_b32_e32 v30, v15
	v_pk_add_f32 v[38:39], v[30:31], v[12:13] neg_lo:[0,1] neg_hi:[0,1]
	v_mov_b32_e32 v14, v35
	v_mov_b32_e32 v27, v38
	v_pk_add_f32 v[40:41], v[34:35], v[26:27] neg_lo:[0,1] neg_hi:[0,1]
	v_mov_b32_e32 v34, v13
	v_mov_b32_e32 v35, v38
	;; [unrolled: 1-line block ×3, first 2 shown]
	v_pk_add_f32 v[14:15], v[14:15], v[34:35] neg_lo:[0,1] neg_hi:[0,1]
	v_mov_b32_e32 v33, v12
	v_pk_add_f32 v[12:13], v[32:33], v[14:15] neg_lo:[0,1] neg_hi:[0,1]
	v_mov_b32_e32 v40, v36
	v_pk_add_f32 v[14:15], v[40:41], v[12:13]
	s_nop 0
	v_mov_b32_e32 v32, v15
	v_pk_add_f32 v[32:33], v[14:15], v[32:33]
	s_nop 0
	v_pk_add_f32 v[30:31], v[30:31], v[32:33]
	v_mov_b32_e32 v13, v32
	v_mov_b32_e32 v15, v30
	v_pk_add_f32 v[34:35], v[14:15], v[36:37] neg_lo:[0,1] neg_hi:[0,1]
	s_nop 0
	v_sub_f32_e32 v14, v14, v34
	v_pk_add_f32 v[12:13], v[12:13], v[34:35] neg_lo:[0,1] neg_hi:[0,1]
	v_sub_f32_e32 v14, v36, v14
	v_add_f32_e32 v12, v12, v14
	v_add_f32_e32 v12, v12, v13
	;; [unrolled: 1-line block ×3, first 2 shown]
	v_cndmask_b32_e32 v152, v12, v42, vcc
.LBB56_93:                              ;   in Loop: Header=BB56_13 Depth=1
	s_or_b64 exec, exec, s[4:5]
	v_and_b32_e32 v8, 0xffff0000, v8
	v_readlane_b32 s2, v166, 2
	s_nop 1
	v_add_f32_e32 v153, s2, v8
	v_readlane_b32 s2, v166, 23
	v_cmp_ge_f32_e32 vcc, s6, v153
	v_readlane_b32 s3, v166, 24
	s_and_b64 s[2:3], s[2:3], vcc
	s_and_saveexec_b64 s[4:5], s[2:3]
	s_cbranch_execz .LBB56_95
; %bb.94:                               ;   in Loop: Header=BB56_13 Depth=1
	v_mul_f32_e32 v8, 0x3fb8aa3b, v153
	v_rndne_f32_e32 v12, v8
	v_sub_f32_e32 v13, v8, v12
	v_fma_f32 v8, v153, s8, -v8
	v_fmac_f32_e32 v8, 0x32a5705f, v153
	v_add_f32_e32 v8, v13, v8
	v_cvt_i32_f32_e32 v12, v12
	v_exp_f32_e32 v8, v8
	v_cmp_ngt_f32_e32 vcc, s9, v153
	v_ldexp_f32 v8, v8, v12
	s_nop 0
	v_cndmask_b32_e32 v8, 0, v8, vcc
	v_cmp_nlt_f32_e32 vcc, s10, v153
	s_nop 1
	v_cndmask_b32_e32 v40, v140, v8, vcc
	v_add_f32_e32 v8, 1.0, v40
	v_add_f32_e32 v12, -1.0, v8
	v_sub_f32_e32 v13, v12, v8
	v_add_f32_e32 v13, 1.0, v13
	v_sub_f32_e32 v12, v40, v12
	v_add_f32_e32 v14, v12, v13
	v_frexp_mant_f32_e32 v15, v8
	v_cvt_f64_f32_e32 v[12:13], v8
	v_frexp_exp_i32_f64_e32 v12, v[12:13]
	v_cmp_gt_f32_e32 vcc, s12, v15
	v_cmp_gt_f32_e64 s[60:61], s16, v40
	s_nop 0
	v_subbrev_co_u32_e32 v27, vcc, 0, v12, vcc
	v_sub_u32_e32 v12, 0, v27
	v_ldexp_f32 v8, v8, v12
	v_ldexp_f32 v12, v14, v12
	v_add_f32_e32 v14, -1.0, v8
	v_add_f32_e32 v13, 1.0, v14
	v_sub_f32_e32 v13, v8, v13
	v_add_f32_e32 v15, v12, v13
	v_add_f32_e32 v13, 1.0, v8
	v_add_f32_e32 v29, -1.0, v13
	v_sub_f32_e32 v8, v8, v29
	v_add_f32_e32 v8, v12, v8
	v_add_f32_e32 v29, v13, v8
	v_rcp_f32_e32 v34, v29
	v_sub_f32_e32 v12, v13, v29
	v_add_f32_e32 v13, v14, v15
	v_add_f32_e32 v8, v8, v12
	v_mul_f32_e32 v36, v13, v34
	v_sub_f32_e32 v12, v14, v13
	v_mul_f32_e32 v14, v29, v36
	v_fma_f32 v30, v36, v29, -v14
	v_fmac_f32_e32 v30, v36, v8
	v_add_f32_e32 v35, v15, v12
	v_add_f32_e32 v12, v14, v30
	v_sub_f32_e32 v15, v13, v12
	v_pk_add_f32 v[32:33], v[12:13], v[14:15] neg_lo:[0,1] neg_hi:[0,1]
	v_mov_b32_e32 v31, v12
	v_pk_add_f32 v[12:13], v[32:33], v[30:31] neg_lo:[0,1] neg_hi:[0,1]
	v_cmp_eq_f32_e32 vcc, s11, v40
	v_add_f32_e32 v13, v35, v13
	v_add_f32_e32 v12, v12, v13
	;; [unrolled: 1-line block ×3, first 2 shown]
	v_mul_f32_e32 v35, v34, v13
	v_mul_f32_e32 v14, v29, v35
	v_fma_f32 v30, v35, v29, -v14
	v_fmac_f32_e32 v30, v35, v8
	v_sub_f32_e32 v8, v15, v13
	v_add_f32_e32 v8, v12, v8
	v_add_f32_e32 v12, v14, v30
	v_sub_f32_e32 v15, v13, v12
	v_pk_add_f32 v[32:33], v[12:13], v[14:15] neg_lo:[0,1] neg_hi:[0,1]
	v_mov_b32_e32 v31, v12
	v_pk_add_f32 v[12:13], v[32:33], v[30:31] neg_lo:[0,1] neg_hi:[0,1]
	s_or_b64 vcc, s[60:61], vcc
	v_add_f32_e32 v8, v8, v13
	v_add_f32_e32 v8, v12, v8
	;; [unrolled: 1-line block ×4, first 2 shown]
	v_sub_f32_e32 v12, v13, v36
	v_mul_f32_e32 v8, v34, v8
	v_sub_f32_e32 v12, v35, v12
	v_add_f32_e32 v8, v12, v8
	v_add_f32_e32 v14, v13, v8
	v_mul_f32_e32 v30, v14, v14
	v_fmamk_f32 v12, v30, 0x3e9b6dac, v139
	v_fmaak_f32 v29, v30, v12, 0x3f2aaada
	v_cvt_f32_i32_e32 v12, v27
	v_sub_f32_e32 v13, v14, v13
	v_sub_f32_e32 v8, v8, v13
	v_mul_f32_e32 v13, v14, v30
	v_pk_mul_f32 v[30:31], v[12:13], v[28:29]
	v_ldexp_f32 v15, v14, 1
	v_fma_f32 v14, v12, s13, -v30
	v_fmac_f32_e32 v14, 0xb102e308, v12
	v_pk_add_f32 v[12:13], v[30:31], v[14:15]
	v_ldexp_f32 v8, v8, 1
	v_sub_f32_e32 v15, v13, v15
	v_sub_f32_e32 v15, v31, v15
	v_add_f32_e32 v33, v8, v15
	v_mov_b32_e32 v32, v30
	v_pk_add_f32 v[30:31], v[12:13], v[30:31] neg_lo:[0,1] neg_hi:[0,1]
	v_pk_add_f32 v[34:35], v[12:13], v[32:33]
	v_mov_b32_e32 v15, v12
	v_mov_b32_e32 v31, v35
	v_pk_add_f32 v[36:37], v[14:15], v[30:31] neg_lo:[0,1] neg_hi:[0,1]
	v_pk_add_f32 v[14:15], v[14:15], v[30:31]
	s_nop 0
	v_mov_b32_e32 v8, v15
	v_pk_add_f32 v[30:31], v[8:9], v[12:13] neg_lo:[0,1] neg_hi:[0,1]
	v_mov_b32_e32 v14, v35
	v_mov_b32_e32 v27, v30
	v_pk_add_f32 v[38:39], v[34:35], v[26:27] neg_lo:[0,1] neg_hi:[0,1]
	v_mov_b32_e32 v34, v13
	v_mov_b32_e32 v35, v30
	;; [unrolled: 1-line block ×3, first 2 shown]
	v_pk_add_f32 v[14:15], v[14:15], v[34:35] neg_lo:[0,1] neg_hi:[0,1]
	v_mov_b32_e32 v30, v33
	v_mov_b32_e32 v31, v12
	v_pk_add_f32 v[12:13], v[30:31], v[14:15] neg_lo:[0,1] neg_hi:[0,1]
	v_mov_b32_e32 v38, v36
	v_pk_add_f32 v[14:15], v[38:39], v[12:13]
	s_nop 0
	v_mov_b32_e32 v30, v15
	v_pk_add_f32 v[30:31], v[14:15], v[30:31]
	s_nop 0
	v_pk_add_f32 v[32:33], v[8:9], v[30:31]
	v_mov_b32_e32 v13, v30
	v_mov_b32_e32 v15, v32
	v_pk_add_f32 v[34:35], v[14:15], v[36:37] neg_lo:[0,1] neg_hi:[0,1]
	s_nop 0
	v_sub_f32_e32 v8, v14, v34
	v_pk_add_f32 v[12:13], v[12:13], v[34:35] neg_lo:[0,1] neg_hi:[0,1]
	v_sub_f32_e32 v8, v36, v8
	v_add_f32_e32 v8, v12, v8
	v_add_f32_e32 v8, v8, v13
	;; [unrolled: 1-line block ×3, first 2 shown]
	v_cndmask_b32_e32 v153, v8, v40, vcc
.LBB56_95:                              ;   in Loop: Header=BB56_13 Depth=1
	s_or_b64 exec, exec, s[4:5]
	v_lshlrev_b32_e32 v8, 16, v9
	v_readlane_b32 s2, v166, 2
	s_nop 1
	v_add_f32_e32 v154, s2, v8
	v_readlane_b32 s2, v166, 23
	v_cmp_ge_f32_e32 vcc, s6, v154
	v_readlane_b32 s3, v166, 24
	s_and_b64 s[2:3], s[2:3], vcc
	s_and_saveexec_b64 s[4:5], s[2:3]
	s_cbranch_execz .LBB56_97
; %bb.96:                               ;   in Loop: Header=BB56_13 Depth=1
	v_mul_f32_e32 v8, 0x3fb8aa3b, v154
	v_rndne_f32_e32 v12, v8
	v_sub_f32_e32 v13, v8, v12
	v_fma_f32 v8, v154, s8, -v8
	v_fmac_f32_e32 v8, 0x32a5705f, v154
	v_add_f32_e32 v8, v13, v8
	v_cvt_i32_f32_e32 v12, v12
	v_exp_f32_e32 v8, v8
	v_cmp_ngt_f32_e32 vcc, s9, v154
	v_ldexp_f32 v8, v8, v12
	s_nop 0
	v_cndmask_b32_e32 v8, 0, v8, vcc
	v_cmp_nlt_f32_e32 vcc, s10, v154
	s_nop 1
	v_cndmask_b32_e32 v40, v140, v8, vcc
	v_add_f32_e32 v8, 1.0, v40
	v_add_f32_e32 v12, -1.0, v8
	v_sub_f32_e32 v13, v12, v8
	v_add_f32_e32 v13, 1.0, v13
	v_sub_f32_e32 v12, v40, v12
	v_add_f32_e32 v14, v12, v13
	v_frexp_mant_f32_e32 v15, v8
	v_cvt_f64_f32_e32 v[12:13], v8
	v_frexp_exp_i32_f64_e32 v12, v[12:13]
	v_cmp_gt_f32_e32 vcc, s12, v15
	v_cmp_gt_f32_e64 s[60:61], s16, v40
	s_nop 0
	v_subbrev_co_u32_e32 v27, vcc, 0, v12, vcc
	v_sub_u32_e32 v12, 0, v27
	v_ldexp_f32 v8, v8, v12
	v_ldexp_f32 v12, v14, v12
	v_add_f32_e32 v14, -1.0, v8
	v_add_f32_e32 v13, 1.0, v14
	v_sub_f32_e32 v13, v8, v13
	v_add_f32_e32 v15, v12, v13
	v_add_f32_e32 v13, 1.0, v8
	v_add_f32_e32 v29, -1.0, v13
	v_sub_f32_e32 v8, v8, v29
	v_add_f32_e32 v8, v12, v8
	v_add_f32_e32 v29, v13, v8
	v_rcp_f32_e32 v34, v29
	v_sub_f32_e32 v12, v13, v29
	v_add_f32_e32 v13, v14, v15
	v_add_f32_e32 v8, v8, v12
	v_mul_f32_e32 v36, v13, v34
	v_sub_f32_e32 v12, v14, v13
	v_mul_f32_e32 v14, v29, v36
	v_fma_f32 v30, v36, v29, -v14
	v_fmac_f32_e32 v30, v36, v8
	v_add_f32_e32 v35, v15, v12
	v_add_f32_e32 v12, v14, v30
	v_sub_f32_e32 v15, v13, v12
	v_pk_add_f32 v[32:33], v[12:13], v[14:15] neg_lo:[0,1] neg_hi:[0,1]
	v_mov_b32_e32 v31, v12
	v_pk_add_f32 v[12:13], v[32:33], v[30:31] neg_lo:[0,1] neg_hi:[0,1]
	v_cmp_eq_f32_e32 vcc, s11, v40
	v_add_f32_e32 v13, v35, v13
	v_add_f32_e32 v12, v12, v13
	;; [unrolled: 1-line block ×3, first 2 shown]
	v_mul_f32_e32 v35, v34, v13
	v_mul_f32_e32 v14, v29, v35
	v_fma_f32 v30, v35, v29, -v14
	v_fmac_f32_e32 v30, v35, v8
	v_sub_f32_e32 v8, v15, v13
	v_add_f32_e32 v8, v12, v8
	v_add_f32_e32 v12, v14, v30
	v_sub_f32_e32 v15, v13, v12
	v_pk_add_f32 v[32:33], v[12:13], v[14:15] neg_lo:[0,1] neg_hi:[0,1]
	v_mov_b32_e32 v31, v12
	v_pk_add_f32 v[12:13], v[32:33], v[30:31] neg_lo:[0,1] neg_hi:[0,1]
	s_or_b64 vcc, s[60:61], vcc
	v_add_f32_e32 v8, v8, v13
	v_add_f32_e32 v8, v12, v8
	v_add_f32_e32 v13, v36, v35
	v_add_f32_e32 v8, v15, v8
	v_sub_f32_e32 v12, v13, v36
	v_mul_f32_e32 v8, v34, v8
	v_sub_f32_e32 v12, v35, v12
	v_add_f32_e32 v8, v12, v8
	v_add_f32_e32 v14, v13, v8
	v_mul_f32_e32 v30, v14, v14
	v_fmamk_f32 v12, v30, 0x3e9b6dac, v139
	v_fmaak_f32 v29, v30, v12, 0x3f2aaada
	v_cvt_f32_i32_e32 v12, v27
	v_sub_f32_e32 v13, v14, v13
	v_sub_f32_e32 v8, v8, v13
	v_mul_f32_e32 v13, v14, v30
	v_pk_mul_f32 v[30:31], v[12:13], v[28:29]
	v_ldexp_f32 v15, v14, 1
	v_fma_f32 v14, v12, s13, -v30
	v_fmac_f32_e32 v14, 0xb102e308, v12
	v_pk_add_f32 v[12:13], v[30:31], v[14:15]
	v_ldexp_f32 v8, v8, 1
	v_sub_f32_e32 v15, v13, v15
	v_sub_f32_e32 v15, v31, v15
	v_add_f32_e32 v33, v8, v15
	v_mov_b32_e32 v32, v30
	v_pk_add_f32 v[30:31], v[12:13], v[30:31] neg_lo:[0,1] neg_hi:[0,1]
	v_pk_add_f32 v[34:35], v[12:13], v[32:33]
	v_mov_b32_e32 v15, v12
	v_mov_b32_e32 v31, v35
	v_pk_add_f32 v[36:37], v[14:15], v[30:31] neg_lo:[0,1] neg_hi:[0,1]
	v_pk_add_f32 v[14:15], v[14:15], v[30:31]
	s_nop 0
	v_mov_b32_e32 v8, v15
	v_pk_add_f32 v[30:31], v[8:9], v[12:13] neg_lo:[0,1] neg_hi:[0,1]
	v_mov_b32_e32 v14, v35
	v_mov_b32_e32 v27, v30
	v_pk_add_f32 v[38:39], v[34:35], v[26:27] neg_lo:[0,1] neg_hi:[0,1]
	v_mov_b32_e32 v34, v13
	v_mov_b32_e32 v35, v30
	v_mov_b32_e32 v37, v15
	v_pk_add_f32 v[14:15], v[14:15], v[34:35] neg_lo:[0,1] neg_hi:[0,1]
	v_mov_b32_e32 v30, v33
	v_mov_b32_e32 v31, v12
	v_pk_add_f32 v[12:13], v[30:31], v[14:15] neg_lo:[0,1] neg_hi:[0,1]
	v_mov_b32_e32 v38, v36
	v_pk_add_f32 v[14:15], v[38:39], v[12:13]
	s_nop 0
	v_mov_b32_e32 v30, v15
	v_pk_add_f32 v[30:31], v[14:15], v[30:31]
	s_nop 0
	v_pk_add_f32 v[32:33], v[8:9], v[30:31]
	v_mov_b32_e32 v13, v30
	v_mov_b32_e32 v15, v32
	v_pk_add_f32 v[34:35], v[14:15], v[36:37] neg_lo:[0,1] neg_hi:[0,1]
	s_nop 0
	v_sub_f32_e32 v8, v14, v34
	v_pk_add_f32 v[12:13], v[12:13], v[34:35] neg_lo:[0,1] neg_hi:[0,1]
	v_sub_f32_e32 v8, v36, v8
	v_add_f32_e32 v8, v12, v8
	v_add_f32_e32 v8, v8, v13
	;; [unrolled: 1-line block ×3, first 2 shown]
	v_cndmask_b32_e32 v154, v8, v40, vcc
.LBB56_97:                              ;   in Loop: Header=BB56_13 Depth=1
	s_or_b64 exec, exec, s[4:5]
	v_and_b32_e32 v8, 0xffff0000, v9
	v_readlane_b32 s2, v166, 2
	s_nop 1
	v_add_f32_e32 v155, s2, v8
	v_readlane_b32 s2, v166, 23
	v_cmp_ge_f32_e32 vcc, s6, v155
	v_readlane_b32 s3, v166, 24
	s_and_b64 s[2:3], s[2:3], vcc
	s_and_saveexec_b64 s[4:5], s[2:3]
	s_cbranch_execz .LBB56_99
; %bb.98:                               ;   in Loop: Header=BB56_13 Depth=1
	v_mul_f32_e32 v8, 0x3fb8aa3b, v155
	v_rndne_f32_e32 v9, v8
	v_sub_f32_e32 v12, v8, v9
	v_fma_f32 v8, v155, s8, -v8
	v_fmac_f32_e32 v8, 0x32a5705f, v155
	v_add_f32_e32 v8, v12, v8
	v_cvt_i32_f32_e32 v9, v9
	v_exp_f32_e32 v8, v8
	v_cmp_ngt_f32_e32 vcc, s9, v155
	v_ldexp_f32 v8, v8, v9
	s_nop 0
	v_cndmask_b32_e32 v8, 0, v8, vcc
	v_cmp_nlt_f32_e32 vcc, s10, v155
	s_nop 1
	v_cndmask_b32_e32 v27, v140, v8, vcc
	v_add_f32_e32 v12, 1.0, v27
	v_add_f32_e32 v8, -1.0, v12
	v_sub_f32_e32 v9, v8, v12
	v_add_f32_e32 v9, 1.0, v9
	v_sub_f32_e32 v8, v27, v8
	v_add_f32_e32 v13, v8, v9
	v_frexp_mant_f32_e32 v14, v12
	v_cvt_f64_f32_e32 v[8:9], v12
	v_frexp_exp_i32_f64_e32 v8, v[8:9]
	v_cmp_gt_f32_e32 vcc, s12, v14
	v_cmp_gt_f32_e64 s[60:61], s16, v27
	s_nop 0
	v_subbrev_co_u32_e32 v32, vcc, 0, v8, vcc
	v_sub_u32_e32 v8, 0, v32
	v_ldexp_f32 v9, v12, v8
	v_add_f32_e32 v12, -1.0, v9
	v_add_f32_e32 v14, 1.0, v9
	v_ldexp_f32 v8, v13, v8
	v_add_f32_e32 v13, 1.0, v12
	v_add_f32_e32 v15, -1.0, v14
	v_sub_f32_e32 v13, v9, v13
	v_sub_f32_e32 v9, v9, v15
	v_add_f32_e32 v13, v8, v13
	v_add_f32_e32 v8, v8, v9
	;; [unrolled: 1-line block ×3, first 2 shown]
	v_rcp_f32_e32 v34, v29
	v_sub_f32_e32 v9, v14, v29
	v_add_f32_e32 v33, v8, v9
	v_add_f32_e32 v9, v12, v13
	v_mul_f32_e32 v36, v9, v34
	v_sub_f32_e32 v8, v12, v9
	v_mul_f32_e32 v12, v29, v36
	v_fma_f32 v14, v36, v29, -v12
	v_fmac_f32_e32 v14, v36, v33
	v_add_f32_e32 v35, v13, v8
	v_add_f32_e32 v8, v12, v14
	v_sub_f32_e32 v13, v9, v8
	v_pk_add_f32 v[30:31], v[8:9], v[12:13] neg_lo:[0,1] neg_hi:[0,1]
	v_mov_b32_e32 v15, v8
	v_pk_add_f32 v[8:9], v[30:31], v[14:15] neg_lo:[0,1] neg_hi:[0,1]
	v_cmp_eq_f32_e32 vcc, s11, v27
	v_add_f32_e32 v9, v35, v9
	v_add_f32_e32 v8, v8, v9
	v_add_f32_e32 v9, v13, v8
	v_mul_f32_e32 v35, v34, v9
	v_mul_f32_e32 v12, v29, v35
	v_fma_f32 v14, v35, v29, -v12
	v_fmac_f32_e32 v14, v35, v33
	v_sub_f32_e32 v13, v13, v9
	v_add_f32_e32 v29, v8, v13
	v_add_f32_e32 v8, v12, v14
	v_sub_f32_e32 v13, v9, v8
	v_pk_add_f32 v[30:31], v[8:9], v[12:13] neg_lo:[0,1] neg_hi:[0,1]
	v_mov_b32_e32 v15, v8
	v_pk_add_f32 v[8:9], v[30:31], v[14:15] neg_lo:[0,1] neg_hi:[0,1]
	s_or_b64 vcc, s[60:61], vcc
	v_add_f32_e32 v9, v29, v9
	v_add_f32_e32 v8, v8, v9
	;; [unrolled: 1-line block ×4, first 2 shown]
	v_sub_f32_e32 v12, v9, v36
	v_mul_f32_e32 v8, v34, v8
	v_sub_f32_e32 v12, v35, v12
	v_add_f32_e32 v12, v12, v8
	v_add_f32_e32 v14, v9, v12
	v_mul_f32_e32 v15, v14, v14
	v_fmamk_f32 v8, v15, 0x3e9b6dac, v139
	v_fmaak_f32 v29, v15, v8, 0x3f2aaada
	v_cvt_f32_i32_e32 v8, v32
	v_sub_f32_e32 v9, v14, v9
	v_sub_f32_e32 v9, v12, v9
	v_ldexp_f32 v30, v9, 1
	v_mul_f32_e32 v9, v14, v15
	v_ldexp_f32 v13, v14, 1
	v_pk_mul_f32 v[14:15], v[8:9], v[28:29]
	s_nop 0
	v_fma_f32 v12, v8, s13, -v14
	v_fmac_f32_e32 v12, 0xb102e308, v8
	v_pk_add_f32 v[8:9], v[14:15], v[12:13]
	s_nop 0
	v_sub_f32_e32 v13, v9, v13
	v_sub_f32_e32 v13, v15, v13
	v_add_f32_e32 v31, v30, v13
	v_mov_b32_e32 v30, v14
	v_pk_add_f32 v[14:15], v[8:9], v[14:15] neg_lo:[0,1] neg_hi:[0,1]
	v_pk_add_f32 v[32:33], v[8:9], v[30:31]
	v_mov_b32_e32 v13, v8
	v_mov_b32_e32 v15, v33
	v_pk_add_f32 v[34:35], v[12:13], v[14:15] neg_lo:[0,1] neg_hi:[0,1]
	v_pk_add_f32 v[12:13], v[12:13], v[14:15]
	v_mov_b32_e32 v30, v31
	v_mov_b32_e32 v14, v13
	v_pk_add_f32 v[36:37], v[14:15], v[8:9] neg_lo:[0,1] neg_hi:[0,1]
	v_mov_b32_e32 v12, v33
	v_mov_b32_e32 v15, v36
	v_pk_add_f32 v[38:39], v[32:33], v[14:15] neg_lo:[0,1] neg_hi:[0,1]
	v_mov_b32_e32 v32, v9
	v_mov_b32_e32 v33, v36
	v_mov_b32_e32 v35, v13
	v_pk_add_f32 v[12:13], v[12:13], v[32:33] neg_lo:[0,1] neg_hi:[0,1]
	v_mov_b32_e32 v31, v8
	v_pk_add_f32 v[8:9], v[30:31], v[12:13] neg_lo:[0,1] neg_hi:[0,1]
	v_mov_b32_e32 v38, v34
	v_pk_add_f32 v[12:13], v[38:39], v[8:9]
	s_nop 0
	v_mov_b32_e32 v30, v13
	v_pk_add_f32 v[30:31], v[12:13], v[30:31]
	s_nop 0
	v_pk_add_f32 v[14:15], v[14:15], v[30:31]
	v_mov_b32_e32 v9, v30
	v_mov_b32_e32 v13, v14
	v_pk_add_f32 v[32:33], v[12:13], v[34:35] neg_lo:[0,1] neg_hi:[0,1]
	s_nop 0
	v_sub_f32_e32 v12, v12, v32
	v_pk_add_f32 v[8:9], v[8:9], v[32:33] neg_lo:[0,1] neg_hi:[0,1]
	v_sub_f32_e32 v12, v34, v12
	v_add_f32_e32 v8, v8, v12
	v_add_f32_e32 v8, v8, v9
	;; [unrolled: 1-line block ×3, first 2 shown]
	v_cndmask_b32_e32 v155, v8, v27, vcc
.LBB56_99:                              ;   in Loop: Header=BB56_13 Depth=1
	s_or_b64 exec, exec, s[4:5]
	v_lshlrev_b32_e32 v8, 16, v10
	v_readlane_b32 s2, v166, 2
	s_nop 1
	v_add_f32_e32 v156, s2, v8
	v_readlane_b32 s2, v166, 23
	v_cmp_ge_f32_e32 vcc, s6, v156
	v_readlane_b32 s3, v166, 24
	s_and_b64 s[2:3], s[2:3], vcc
	s_and_saveexec_b64 s[4:5], s[2:3]
	s_cbranch_execz .LBB56_101
; %bb.100:                              ;   in Loop: Header=BB56_13 Depth=1
	v_mul_f32_e32 v8, 0x3fb8aa3b, v156
	v_rndne_f32_e32 v9, v8
	v_sub_f32_e32 v12, v8, v9
	v_fma_f32 v8, v156, s8, -v8
	v_fmac_f32_e32 v8, 0x32a5705f, v156
	v_add_f32_e32 v8, v12, v8
	v_cvt_i32_f32_e32 v9, v9
	v_exp_f32_e32 v8, v8
	v_cmp_ngt_f32_e32 vcc, s9, v156
	v_ldexp_f32 v8, v8, v9
	s_nop 0
	v_cndmask_b32_e32 v8, 0, v8, vcc
	v_cmp_nlt_f32_e32 vcc, s10, v156
	s_nop 1
	v_cndmask_b32_e32 v27, v140, v8, vcc
	v_add_f32_e32 v12, 1.0, v27
	v_add_f32_e32 v8, -1.0, v12
	v_sub_f32_e32 v9, v8, v12
	v_add_f32_e32 v9, 1.0, v9
	v_sub_f32_e32 v8, v27, v8
	v_add_f32_e32 v13, v8, v9
	v_frexp_mant_f32_e32 v14, v12
	v_cvt_f64_f32_e32 v[8:9], v12
	v_frexp_exp_i32_f64_e32 v8, v[8:9]
	v_cmp_gt_f32_e32 vcc, s12, v14
	v_cmp_gt_f32_e64 s[60:61], s16, v27
	s_nop 0
	v_subbrev_co_u32_e32 v32, vcc, 0, v8, vcc
	v_sub_u32_e32 v8, 0, v32
	v_ldexp_f32 v9, v12, v8
	v_add_f32_e32 v12, -1.0, v9
	v_add_f32_e32 v14, 1.0, v9
	v_ldexp_f32 v8, v13, v8
	v_add_f32_e32 v13, 1.0, v12
	v_add_f32_e32 v15, -1.0, v14
	v_sub_f32_e32 v13, v9, v13
	v_sub_f32_e32 v9, v9, v15
	v_add_f32_e32 v13, v8, v13
	v_add_f32_e32 v8, v8, v9
	;; [unrolled: 1-line block ×3, first 2 shown]
	v_rcp_f32_e32 v34, v29
	v_sub_f32_e32 v9, v14, v29
	v_add_f32_e32 v33, v8, v9
	v_add_f32_e32 v9, v12, v13
	v_mul_f32_e32 v36, v9, v34
	v_sub_f32_e32 v8, v12, v9
	v_mul_f32_e32 v12, v29, v36
	v_fma_f32 v14, v36, v29, -v12
	v_fmac_f32_e32 v14, v36, v33
	v_add_f32_e32 v35, v13, v8
	v_add_f32_e32 v8, v12, v14
	v_sub_f32_e32 v13, v9, v8
	v_pk_add_f32 v[30:31], v[8:9], v[12:13] neg_lo:[0,1] neg_hi:[0,1]
	v_mov_b32_e32 v15, v8
	v_pk_add_f32 v[8:9], v[30:31], v[14:15] neg_lo:[0,1] neg_hi:[0,1]
	v_cmp_eq_f32_e32 vcc, s11, v27
	v_add_f32_e32 v9, v35, v9
	v_add_f32_e32 v8, v8, v9
	;; [unrolled: 1-line block ×3, first 2 shown]
	v_mul_f32_e32 v35, v34, v9
	v_mul_f32_e32 v12, v29, v35
	v_fma_f32 v14, v35, v29, -v12
	v_fmac_f32_e32 v14, v35, v33
	v_sub_f32_e32 v13, v13, v9
	v_add_f32_e32 v29, v8, v13
	v_add_f32_e32 v8, v12, v14
	v_sub_f32_e32 v13, v9, v8
	v_pk_add_f32 v[30:31], v[8:9], v[12:13] neg_lo:[0,1] neg_hi:[0,1]
	v_mov_b32_e32 v15, v8
	v_pk_add_f32 v[8:9], v[30:31], v[14:15] neg_lo:[0,1] neg_hi:[0,1]
	s_or_b64 vcc, s[60:61], vcc
	v_add_f32_e32 v9, v29, v9
	v_add_f32_e32 v8, v8, v9
	;; [unrolled: 1-line block ×4, first 2 shown]
	v_sub_f32_e32 v12, v9, v36
	v_mul_f32_e32 v8, v34, v8
	v_sub_f32_e32 v12, v35, v12
	v_add_f32_e32 v12, v12, v8
	v_add_f32_e32 v14, v9, v12
	v_mul_f32_e32 v15, v14, v14
	v_fmamk_f32 v8, v15, 0x3e9b6dac, v139
	v_fmaak_f32 v29, v15, v8, 0x3f2aaada
	v_cvt_f32_i32_e32 v8, v32
	v_sub_f32_e32 v9, v14, v9
	v_sub_f32_e32 v9, v12, v9
	v_ldexp_f32 v30, v9, 1
	v_mul_f32_e32 v9, v14, v15
	v_ldexp_f32 v13, v14, 1
	v_pk_mul_f32 v[14:15], v[8:9], v[28:29]
	s_nop 0
	v_fma_f32 v12, v8, s13, -v14
	v_fmac_f32_e32 v12, 0xb102e308, v8
	v_pk_add_f32 v[8:9], v[14:15], v[12:13]
	s_nop 0
	v_sub_f32_e32 v13, v9, v13
	v_sub_f32_e32 v13, v15, v13
	v_add_f32_e32 v31, v30, v13
	v_mov_b32_e32 v30, v14
	v_pk_add_f32 v[14:15], v[8:9], v[14:15] neg_lo:[0,1] neg_hi:[0,1]
	v_pk_add_f32 v[32:33], v[8:9], v[30:31]
	v_mov_b32_e32 v13, v8
	v_mov_b32_e32 v15, v33
	v_pk_add_f32 v[34:35], v[12:13], v[14:15] neg_lo:[0,1] neg_hi:[0,1]
	v_pk_add_f32 v[12:13], v[12:13], v[14:15]
	v_mov_b32_e32 v30, v31
	v_mov_b32_e32 v14, v13
	v_pk_add_f32 v[36:37], v[14:15], v[8:9] neg_lo:[0,1] neg_hi:[0,1]
	v_mov_b32_e32 v12, v33
	v_mov_b32_e32 v15, v36
	v_pk_add_f32 v[38:39], v[32:33], v[14:15] neg_lo:[0,1] neg_hi:[0,1]
	v_mov_b32_e32 v32, v9
	v_mov_b32_e32 v33, v36
	;; [unrolled: 1-line block ×3, first 2 shown]
	v_pk_add_f32 v[12:13], v[12:13], v[32:33] neg_lo:[0,1] neg_hi:[0,1]
	v_mov_b32_e32 v31, v8
	v_pk_add_f32 v[8:9], v[30:31], v[12:13] neg_lo:[0,1] neg_hi:[0,1]
	v_mov_b32_e32 v38, v34
	v_pk_add_f32 v[12:13], v[38:39], v[8:9]
	s_nop 0
	v_mov_b32_e32 v30, v13
	v_pk_add_f32 v[30:31], v[12:13], v[30:31]
	s_nop 0
	v_pk_add_f32 v[14:15], v[14:15], v[30:31]
	v_mov_b32_e32 v9, v30
	v_mov_b32_e32 v13, v14
	v_pk_add_f32 v[32:33], v[12:13], v[34:35] neg_lo:[0,1] neg_hi:[0,1]
	s_nop 0
	v_sub_f32_e32 v12, v12, v32
	v_pk_add_f32 v[8:9], v[8:9], v[32:33] neg_lo:[0,1] neg_hi:[0,1]
	v_sub_f32_e32 v12, v34, v12
	v_add_f32_e32 v8, v8, v12
	v_add_f32_e32 v8, v8, v9
	;; [unrolled: 1-line block ×3, first 2 shown]
	v_cndmask_b32_e32 v156, v8, v27, vcc
.LBB56_101:                             ;   in Loop: Header=BB56_13 Depth=1
	s_or_b64 exec, exec, s[4:5]
	v_and_b32_e32 v8, 0xffff0000, v10
	v_readlane_b32 s2, v166, 2
	s_nop 1
	v_add_f32_e32 v157, s2, v8
	v_readlane_b32 s2, v166, 23
	v_cmp_ge_f32_e32 vcc, s6, v157
	v_readlane_b32 s3, v166, 24
	s_and_b64 s[2:3], s[2:3], vcc
	s_and_saveexec_b64 s[4:5], s[2:3]
	s_cbranch_execz .LBB56_103
; %bb.102:                              ;   in Loop: Header=BB56_13 Depth=1
	v_mul_f32_e32 v8, 0x3fb8aa3b, v157
	v_rndne_f32_e32 v9, v8
	v_sub_f32_e32 v10, v8, v9
	v_fma_f32 v8, v157, s8, -v8
	v_fmac_f32_e32 v8, 0x32a5705f, v157
	v_add_f32_e32 v8, v10, v8
	v_cvt_i32_f32_e32 v9, v9
	v_exp_f32_e32 v8, v8
	v_cmp_ngt_f32_e32 vcc, s9, v157
	v_ldexp_f32 v8, v8, v9
	s_nop 0
	v_cndmask_b32_e32 v8, 0, v8, vcc
	v_cmp_nlt_f32_e32 vcc, s10, v157
	s_nop 1
	v_cndmask_b32_e32 v27, v140, v8, vcc
	v_add_f32_e32 v10, 1.0, v27
	v_add_f32_e32 v8, -1.0, v10
	v_sub_f32_e32 v9, v8, v10
	v_add_f32_e32 v9, 1.0, v9
	v_sub_f32_e32 v8, v27, v8
	v_add_f32_e32 v12, v8, v9
	v_frexp_mant_f32_e32 v13, v10
	v_cvt_f64_f32_e32 v[8:9], v10
	v_frexp_exp_i32_f64_e32 v8, v[8:9]
	v_cmp_gt_f32_e32 vcc, s12, v13
	v_cmp_gt_f32_e64 s[60:61], s16, v27
	s_nop 0
	v_subbrev_co_u32_e32 v32, vcc, 0, v8, vcc
	v_sub_u32_e32 v8, 0, v32
	v_ldexp_f32 v9, v10, v8
	v_add_f32_e32 v10, -1.0, v9
	v_add_f32_e32 v13, 1.0, v9
	v_ldexp_f32 v8, v12, v8
	v_add_f32_e32 v12, 1.0, v10
	v_add_f32_e32 v14, -1.0, v13
	v_sub_f32_e32 v12, v9, v12
	v_sub_f32_e32 v9, v9, v14
	v_add_f32_e32 v12, v8, v12
	v_add_f32_e32 v8, v8, v9
	;; [unrolled: 1-line block ×3, first 2 shown]
	v_rcp_f32_e32 v34, v29
	v_sub_f32_e32 v9, v13, v29
	v_add_f32_e32 v33, v8, v9
	v_add_f32_e32 v9, v10, v12
	v_sub_f32_e32 v8, v10, v9
	v_mul_f32_e32 v35, v9, v34
	v_add_f32_e32 v10, v12, v8
	v_mul_f32_e32 v12, v29, v35
	v_fma_f32 v14, v35, v29, -v12
	v_fmac_f32_e32 v14, v35, v33
	v_add_f32_e32 v8, v12, v14
	v_sub_f32_e32 v13, v9, v8
	v_pk_add_f32 v[30:31], v[8:9], v[12:13] neg_lo:[0,1] neg_hi:[0,1]
	v_mov_b32_e32 v15, v8
	v_pk_add_f32 v[8:9], v[30:31], v[14:15] neg_lo:[0,1] neg_hi:[0,1]
	v_cmp_eq_f32_e32 vcc, s11, v27
	v_add_f32_e32 v9, v10, v9
	v_add_f32_e32 v8, v8, v9
	;; [unrolled: 1-line block ×3, first 2 shown]
	v_mul_f32_e32 v10, v34, v9
	v_mul_f32_e32 v12, v29, v10
	v_fma_f32 v14, v10, v29, -v12
	v_fmac_f32_e32 v14, v10, v33
	v_sub_f32_e32 v13, v13, v9
	v_add_f32_e32 v29, v8, v13
	v_add_f32_e32 v8, v12, v14
	v_sub_f32_e32 v13, v9, v8
	v_pk_add_f32 v[30:31], v[8:9], v[12:13] neg_lo:[0,1] neg_hi:[0,1]
	v_mov_b32_e32 v15, v8
	v_pk_add_f32 v[8:9], v[30:31], v[14:15] neg_lo:[0,1] neg_hi:[0,1]
	s_or_b64 vcc, s[60:61], vcc
	v_add_f32_e32 v9, v29, v9
	v_add_f32_e32 v8, v8, v9
	;; [unrolled: 1-line block ×4, first 2 shown]
	v_sub_f32_e32 v12, v9, v35
	v_mul_f32_e32 v8, v34, v8
	v_sub_f32_e32 v10, v10, v12
	v_add_f32_e32 v10, v10, v8
	v_add_f32_e32 v12, v9, v10
	v_mul_f32_e32 v14, v12, v12
	v_fmamk_f32 v8, v14, 0x3e9b6dac, v139
	v_fmaak_f32 v29, v14, v8, 0x3f2aaada
	v_cvt_f32_i32_e32 v8, v32
	v_sub_f32_e32 v9, v12, v9
	v_sub_f32_e32 v9, v10, v9
	v_ldexp_f32 v10, v9, 1
	v_mul_f32_e32 v9, v12, v14
	v_pk_mul_f32 v[14:15], v[8:9], v[28:29]
	v_ldexp_f32 v13, v12, 1
	v_fma_f32 v12, v8, s13, -v14
	v_fmac_f32_e32 v12, 0xb102e308, v8
	v_pk_add_f32 v[8:9], v[14:15], v[12:13]
	v_mov_b32_e32 v30, v14
	v_sub_f32_e32 v13, v9, v13
	v_sub_f32_e32 v13, v15, v13
	v_add_f32_e32 v31, v10, v13
	v_pk_add_f32 v[14:15], v[8:9], v[14:15] neg_lo:[0,1] neg_hi:[0,1]
	v_pk_add_f32 v[32:33], v[8:9], v[30:31]
	v_mov_b32_e32 v13, v8
	v_mov_b32_e32 v15, v33
	v_pk_add_f32 v[34:35], v[12:13], v[14:15] neg_lo:[0,1] neg_hi:[0,1]
	v_pk_add_f32 v[12:13], v[12:13], v[14:15]
	s_nop 0
	v_mov_b32_e32 v10, v13
	v_pk_add_f32 v[14:15], v[10:11], v[8:9] neg_lo:[0,1] neg_hi:[0,1]
	v_mov_b32_e32 v12, v33
	v_mov_b32_e32 v15, v14
	v_pk_add_f32 v[36:37], v[32:33], v[14:15] neg_lo:[0,1] neg_hi:[0,1]
	v_mov_b32_e32 v32, v9
	v_mov_b32_e32 v33, v14
	;; [unrolled: 1-line block ×3, first 2 shown]
	v_pk_add_f32 v[12:13], v[12:13], v[32:33] neg_lo:[0,1] neg_hi:[0,1]
	v_mov_b32_e32 v14, v31
	v_mov_b32_e32 v15, v8
	v_pk_add_f32 v[8:9], v[14:15], v[12:13] neg_lo:[0,1] neg_hi:[0,1]
	v_mov_b32_e32 v36, v34
	v_pk_add_f32 v[12:13], v[36:37], v[8:9]
	s_nop 0
	v_mov_b32_e32 v14, v13
	v_pk_add_f32 v[14:15], v[12:13], v[14:15]
	s_nop 0
	v_pk_add_f32 v[30:31], v[10:11], v[14:15]
	v_mov_b32_e32 v9, v14
	v_mov_b32_e32 v13, v30
	v_pk_add_f32 v[32:33], v[12:13], v[34:35] neg_lo:[0,1] neg_hi:[0,1]
	s_nop 0
	v_sub_f32_e32 v10, v12, v32
	v_pk_add_f32 v[8:9], v[8:9], v[32:33] neg_lo:[0,1] neg_hi:[0,1]
	v_sub_f32_e32 v10, v34, v10
	v_add_f32_e32 v8, v8, v10
	v_add_f32_e32 v8, v8, v9
	;; [unrolled: 1-line block ×3, first 2 shown]
	v_cndmask_b32_e32 v157, v8, v27, vcc
.LBB56_103:                             ;   in Loop: Header=BB56_13 Depth=1
	s_or_b64 exec, exec, s[4:5]
	v_lshlrev_b32_e32 v8, 16, v11
	v_readlane_b32 s2, v166, 2
	s_nop 1
	v_add_f32_e32 v46, s2, v8
	v_readlane_b32 s2, v166, 23
	v_cmp_ge_f32_e32 vcc, s6, v46
	v_readlane_b32 s3, v166, 24
	s_and_b64 s[2:3], s[2:3], vcc
	s_and_saveexec_b64 s[4:5], s[2:3]
	s_cbranch_execz .LBB56_105
; %bb.104:                              ;   in Loop: Header=BB56_13 Depth=1
	v_mul_f32_e32 v8, 0x3fb8aa3b, v46
	v_rndne_f32_e32 v9, v8
	v_sub_f32_e32 v10, v8, v9
	v_fma_f32 v8, v46, s8, -v8
	v_fmac_f32_e32 v8, 0x32a5705f, v46
	v_add_f32_e32 v8, v10, v8
	v_cvt_i32_f32_e32 v9, v9
	v_exp_f32_e32 v8, v8
	v_cmp_ngt_f32_e32 vcc, s9, v46
	v_ldexp_f32 v8, v8, v9
	s_nop 0
	v_cndmask_b32_e32 v8, 0, v8, vcc
	v_cmp_nlt_f32_e32 vcc, s10, v46
	s_nop 1
	v_cndmask_b32_e32 v27, v140, v8, vcc
	v_add_f32_e32 v10, 1.0, v27
	v_add_f32_e32 v8, -1.0, v10
	v_sub_f32_e32 v9, v8, v10
	v_add_f32_e32 v9, 1.0, v9
	v_sub_f32_e32 v8, v27, v8
	v_add_f32_e32 v12, v8, v9
	v_frexp_mant_f32_e32 v13, v10
	v_cvt_f64_f32_e32 v[8:9], v10
	v_frexp_exp_i32_f64_e32 v8, v[8:9]
	v_cmp_gt_f32_e32 vcc, s12, v13
	v_cmp_gt_f32_e64 s[60:61], s16, v27
	s_nop 0
	v_subbrev_co_u32_e32 v32, vcc, 0, v8, vcc
	v_sub_u32_e32 v8, 0, v32
	v_ldexp_f32 v9, v10, v8
	v_add_f32_e32 v10, -1.0, v9
	v_add_f32_e32 v13, 1.0, v9
	v_ldexp_f32 v8, v12, v8
	v_add_f32_e32 v12, 1.0, v10
	v_add_f32_e32 v14, -1.0, v13
	v_sub_f32_e32 v12, v9, v12
	v_sub_f32_e32 v9, v9, v14
	v_add_f32_e32 v12, v8, v12
	v_add_f32_e32 v8, v8, v9
	;; [unrolled: 1-line block ×3, first 2 shown]
	v_rcp_f32_e32 v34, v29
	v_sub_f32_e32 v9, v13, v29
	v_add_f32_e32 v33, v8, v9
	v_add_f32_e32 v9, v10, v12
	v_sub_f32_e32 v8, v10, v9
	v_mul_f32_e32 v35, v9, v34
	v_add_f32_e32 v10, v12, v8
	v_mul_f32_e32 v12, v29, v35
	v_fma_f32 v14, v35, v29, -v12
	v_fmac_f32_e32 v14, v35, v33
	v_add_f32_e32 v8, v12, v14
	v_sub_f32_e32 v13, v9, v8
	v_pk_add_f32 v[30:31], v[8:9], v[12:13] neg_lo:[0,1] neg_hi:[0,1]
	v_mov_b32_e32 v15, v8
	v_pk_add_f32 v[8:9], v[30:31], v[14:15] neg_lo:[0,1] neg_hi:[0,1]
	v_cmp_eq_f32_e32 vcc, s11, v27
	v_add_f32_e32 v9, v10, v9
	v_add_f32_e32 v8, v8, v9
	;; [unrolled: 1-line block ×3, first 2 shown]
	v_mul_f32_e32 v10, v34, v9
	v_mul_f32_e32 v12, v29, v10
	v_fma_f32 v14, v10, v29, -v12
	v_fmac_f32_e32 v14, v10, v33
	v_sub_f32_e32 v13, v13, v9
	v_add_f32_e32 v29, v8, v13
	v_add_f32_e32 v8, v12, v14
	v_sub_f32_e32 v13, v9, v8
	v_pk_add_f32 v[30:31], v[8:9], v[12:13] neg_lo:[0,1] neg_hi:[0,1]
	v_mov_b32_e32 v15, v8
	v_pk_add_f32 v[8:9], v[30:31], v[14:15] neg_lo:[0,1] neg_hi:[0,1]
	s_or_b64 vcc, s[60:61], vcc
	v_add_f32_e32 v9, v29, v9
	v_add_f32_e32 v8, v8, v9
	;; [unrolled: 1-line block ×4, first 2 shown]
	v_sub_f32_e32 v12, v9, v35
	v_mul_f32_e32 v8, v34, v8
	v_sub_f32_e32 v10, v10, v12
	v_add_f32_e32 v10, v10, v8
	v_add_f32_e32 v12, v9, v10
	v_mul_f32_e32 v14, v12, v12
	v_fmamk_f32 v8, v14, 0x3e9b6dac, v139
	v_fmaak_f32 v29, v14, v8, 0x3f2aaada
	v_cvt_f32_i32_e32 v8, v32
	v_sub_f32_e32 v9, v12, v9
	v_sub_f32_e32 v9, v10, v9
	v_ldexp_f32 v10, v9, 1
	v_mul_f32_e32 v9, v12, v14
	v_pk_mul_f32 v[14:15], v[8:9], v[28:29]
	v_ldexp_f32 v13, v12, 1
	v_fma_f32 v12, v8, s13, -v14
	v_fmac_f32_e32 v12, 0xb102e308, v8
	v_pk_add_f32 v[8:9], v[14:15], v[12:13]
	v_mov_b32_e32 v30, v14
	v_sub_f32_e32 v13, v9, v13
	v_sub_f32_e32 v13, v15, v13
	v_add_f32_e32 v31, v10, v13
	v_pk_add_f32 v[14:15], v[8:9], v[14:15] neg_lo:[0,1] neg_hi:[0,1]
	v_pk_add_f32 v[32:33], v[8:9], v[30:31]
	v_mov_b32_e32 v13, v8
	v_mov_b32_e32 v15, v33
	v_pk_add_f32 v[34:35], v[12:13], v[14:15] neg_lo:[0,1] neg_hi:[0,1]
	v_pk_add_f32 v[12:13], v[12:13], v[14:15]
	s_nop 0
	v_mov_b32_e32 v10, v13
	v_pk_add_f32 v[14:15], v[10:11], v[8:9] neg_lo:[0,1] neg_hi:[0,1]
	v_mov_b32_e32 v12, v33
	v_mov_b32_e32 v15, v14
	v_pk_add_f32 v[36:37], v[32:33], v[14:15] neg_lo:[0,1] neg_hi:[0,1]
	v_mov_b32_e32 v32, v9
	v_mov_b32_e32 v33, v14
	;; [unrolled: 1-line block ×3, first 2 shown]
	v_pk_add_f32 v[12:13], v[12:13], v[32:33] neg_lo:[0,1] neg_hi:[0,1]
	v_mov_b32_e32 v14, v31
	v_mov_b32_e32 v15, v8
	v_pk_add_f32 v[8:9], v[14:15], v[12:13] neg_lo:[0,1] neg_hi:[0,1]
	v_mov_b32_e32 v36, v34
	v_pk_add_f32 v[12:13], v[36:37], v[8:9]
	s_nop 0
	v_mov_b32_e32 v14, v13
	v_pk_add_f32 v[14:15], v[12:13], v[14:15]
	s_nop 0
	v_pk_add_f32 v[30:31], v[10:11], v[14:15]
	v_mov_b32_e32 v9, v14
	v_mov_b32_e32 v13, v30
	v_pk_add_f32 v[32:33], v[12:13], v[34:35] neg_lo:[0,1] neg_hi:[0,1]
	s_nop 0
	v_sub_f32_e32 v10, v12, v32
	v_pk_add_f32 v[8:9], v[8:9], v[32:33] neg_lo:[0,1] neg_hi:[0,1]
	v_sub_f32_e32 v10, v34, v10
	v_add_f32_e32 v8, v8, v10
	v_add_f32_e32 v8, v8, v9
	;; [unrolled: 1-line block ×3, first 2 shown]
	v_cndmask_b32_e32 v46, v8, v27, vcc
.LBB56_105:                             ;   in Loop: Header=BB56_13 Depth=1
	s_or_b64 exec, exec, s[4:5]
	v_and_b32_e32 v8, 0xffff0000, v11
	v_readlane_b32 s2, v166, 2
	s_nop 1
	v_add_f32_e32 v47, s2, v8
	v_readlane_b32 s2, v166, 23
	v_cmp_ge_f32_e32 vcc, s6, v47
	v_readlane_b32 s3, v166, 24
	s_and_b64 s[2:3], s[2:3], vcc
	s_and_saveexec_b64 s[4:5], s[2:3]
	s_cbranch_execz .LBB56_107
; %bb.106:                              ;   in Loop: Header=BB56_13 Depth=1
	v_mul_f32_e32 v8, 0x3fb8aa3b, v47
	v_rndne_f32_e32 v9, v8
	v_sub_f32_e32 v10, v8, v9
	v_fma_f32 v8, v47, s8, -v8
	v_fmac_f32_e32 v8, 0x32a5705f, v47
	v_add_f32_e32 v8, v10, v8
	v_cvt_i32_f32_e32 v9, v9
	v_exp_f32_e32 v8, v8
	v_cmp_ngt_f32_e32 vcc, s9, v47
	v_ldexp_f32 v8, v8, v9
	s_nop 0
	v_cndmask_b32_e32 v8, 0, v8, vcc
	v_cmp_nlt_f32_e32 vcc, s10, v47
	s_nop 1
	v_cndmask_b32_e32 v27, v140, v8, vcc
	v_add_f32_e32 v10, 1.0, v27
	v_add_f32_e32 v8, -1.0, v10
	v_sub_f32_e32 v9, v8, v10
	v_add_f32_e32 v9, 1.0, v9
	v_sub_f32_e32 v8, v27, v8
	v_add_f32_e32 v11, v8, v9
	v_frexp_mant_f32_e32 v12, v10
	v_cvt_f64_f32_e32 v[8:9], v10
	v_frexp_exp_i32_f64_e32 v8, v[8:9]
	v_cmp_gt_f32_e32 vcc, s12, v12
	v_cmp_gt_f32_e64 s[60:61], s16, v27
	s_nop 0
	v_subbrev_co_u32_e32 v30, vcc, 0, v8, vcc
	v_sub_u32_e32 v8, 0, v30
	v_ldexp_f32 v9, v10, v8
	v_add_f32_e32 v10, -1.0, v9
	v_add_f32_e32 v12, 1.0, v9
	v_ldexp_f32 v8, v11, v8
	v_add_f32_e32 v11, 1.0, v10
	v_add_f32_e32 v13, -1.0, v12
	v_sub_f32_e32 v11, v9, v11
	v_sub_f32_e32 v9, v9, v13
	v_add_f32_e32 v11, v8, v11
	v_add_f32_e32 v8, v8, v9
	;; [unrolled: 1-line block ×3, first 2 shown]
	v_rcp_f32_e32 v32, v29
	v_sub_f32_e32 v9, v12, v29
	v_add_f32_e32 v31, v8, v9
	v_add_f32_e32 v9, v10, v11
	v_mul_f32_e32 v34, v9, v32
	v_sub_f32_e32 v8, v10, v9
	v_mul_f32_e32 v10, v29, v34
	v_fma_f32 v12, v34, v29, -v10
	v_fmac_f32_e32 v12, v34, v31
	v_add_f32_e32 v33, v11, v8
	v_add_f32_e32 v8, v10, v12
	v_sub_f32_e32 v11, v9, v8
	v_pk_add_f32 v[14:15], v[8:9], v[10:11] neg_lo:[0,1] neg_hi:[0,1]
	v_mov_b32_e32 v13, v8
	v_pk_add_f32 v[8:9], v[14:15], v[12:13] neg_lo:[0,1] neg_hi:[0,1]
	v_cmp_eq_f32_e32 vcc, s11, v27
	v_add_f32_e32 v9, v33, v9
	v_add_f32_e32 v8, v8, v9
	;; [unrolled: 1-line block ×3, first 2 shown]
	v_mul_f32_e32 v33, v32, v9
	v_mul_f32_e32 v10, v29, v33
	v_fma_f32 v12, v33, v29, -v10
	v_fmac_f32_e32 v12, v33, v31
	v_sub_f32_e32 v11, v11, v9
	v_add_f32_e32 v29, v8, v11
	v_add_f32_e32 v8, v10, v12
	v_sub_f32_e32 v11, v9, v8
	v_pk_add_f32 v[14:15], v[8:9], v[10:11] neg_lo:[0,1] neg_hi:[0,1]
	v_mov_b32_e32 v13, v8
	v_pk_add_f32 v[8:9], v[14:15], v[12:13] neg_lo:[0,1] neg_hi:[0,1]
	s_or_b64 vcc, s[60:61], vcc
	v_add_f32_e32 v9, v29, v9
	v_add_f32_e32 v8, v8, v9
	;; [unrolled: 1-line block ×4, first 2 shown]
	v_sub_f32_e32 v10, v9, v34
	v_mul_f32_e32 v8, v32, v8
	v_sub_f32_e32 v10, v33, v10
	v_add_f32_e32 v10, v10, v8
	v_add_f32_e32 v12, v9, v10
	v_mul_f32_e32 v13, v12, v12
	v_fmamk_f32 v8, v13, 0x3e9b6dac, v139
	v_fmaak_f32 v29, v13, v8, 0x3f2aaada
	v_cvt_f32_i32_e32 v8, v30
	v_sub_f32_e32 v9, v12, v9
	v_sub_f32_e32 v9, v10, v9
	v_ldexp_f32 v14, v9, 1
	v_mul_f32_e32 v9, v12, v13
	v_ldexp_f32 v11, v12, 1
	v_pk_mul_f32 v[12:13], v[8:9], v[28:29]
	s_nop 0
	v_fma_f32 v10, v8, s13, -v12
	v_fmac_f32_e32 v10, 0xb102e308, v8
	v_pk_add_f32 v[8:9], v[12:13], v[10:11]
	s_nop 0
	v_sub_f32_e32 v11, v9, v11
	v_sub_f32_e32 v11, v13, v11
	v_add_f32_e32 v15, v14, v11
	v_mov_b32_e32 v14, v12
	v_pk_add_f32 v[12:13], v[8:9], v[12:13] neg_lo:[0,1] neg_hi:[0,1]
	v_pk_add_f32 v[30:31], v[8:9], v[14:15]
	v_mov_b32_e32 v11, v8
	v_mov_b32_e32 v13, v31
	v_pk_add_f32 v[32:33], v[10:11], v[12:13] neg_lo:[0,1] neg_hi:[0,1]
	v_pk_add_f32 v[10:11], v[10:11], v[12:13]
	v_mov_b32_e32 v14, v15
	v_mov_b32_e32 v12, v11
	v_pk_add_f32 v[34:35], v[12:13], v[8:9] neg_lo:[0,1] neg_hi:[0,1]
	v_mov_b32_e32 v10, v31
	v_mov_b32_e32 v13, v34
	v_pk_add_f32 v[36:37], v[30:31], v[12:13] neg_lo:[0,1] neg_hi:[0,1]
	v_mov_b32_e32 v30, v9
	v_mov_b32_e32 v31, v34
	;; [unrolled: 1-line block ×3, first 2 shown]
	v_pk_add_f32 v[10:11], v[10:11], v[30:31] neg_lo:[0,1] neg_hi:[0,1]
	v_mov_b32_e32 v15, v8
	v_pk_add_f32 v[8:9], v[14:15], v[10:11] neg_lo:[0,1] neg_hi:[0,1]
	v_mov_b32_e32 v36, v32
	v_pk_add_f32 v[10:11], v[36:37], v[8:9]
	s_nop 0
	v_mov_b32_e32 v14, v11
	v_pk_add_f32 v[14:15], v[10:11], v[14:15]
	s_nop 0
	v_pk_add_f32 v[12:13], v[12:13], v[14:15]
	v_mov_b32_e32 v9, v14
	v_mov_b32_e32 v11, v12
	v_pk_add_f32 v[30:31], v[10:11], v[32:33] neg_lo:[0,1] neg_hi:[0,1]
	s_nop 0
	v_sub_f32_e32 v10, v10, v30
	v_pk_add_f32 v[8:9], v[8:9], v[30:31] neg_lo:[0,1] neg_hi:[0,1]
	v_sub_f32_e32 v10, v32, v10
	v_add_f32_e32 v8, v8, v10
	v_add_f32_e32 v8, v8, v9
	;; [unrolled: 1-line block ×3, first 2 shown]
	v_cndmask_b32_e32 v47, v8, v27, vcc
.LBB56_107:                             ;   in Loop: Header=BB56_13 Depth=1
	s_or_b64 exec, exec, s[4:5]
	v_lshlrev_b32_e32 v8, 16, v7
	v_readlane_b32 s2, v166, 3
	v_and_b32_e32 v15, 0xffff0000, v7
	v_and_b32_e32 v7, 0xffff0000, v6
	v_lshlrev_b32_e32 v6, 16, v6
	v_and_b32_e32 v9, 0xffff0000, v5
	v_lshlrev_b32_e32 v5, 16, v5
	;; [unrolled: 2-line block ×7, first 2 shown]
	v_mul_f32_e32 v30, s2, v8
	v_mul_f32_e32 v33, s2, v7
	;; [unrolled: 1-line block ×16, first 2 shown]
	v_readlane_b32 s2, v166, 26
	v_readlane_b32 s3, v166, 27
	s_and_b64 vcc, exec, s[2:3]
	s_barrier
	s_cbranch_vccz .LBB56_204
; %bb.108:                              ;   in Loop: Header=BB56_13 Depth=1
	v_readlane_b32 s2, v166, 9
	v_readlane_b32 s3, v166, 10
	v_mul_f32_e32 v128, v144, v0
	v_cmp_gt_u32_e32 vcc, s88, v19
	v_lshl_add_u64 v[48:49], s[2:3], 0, v[16:17]
	v_readlane_b32 s2, v166, 19
	v_readlane_b32 s3, v166, 20
	v_or_b32_e32 v0, 1, v19
	v_mov_b32_e32 v27, v17
	v_lshl_add_u64 v[50:51], s[2:3], 0, v[16:17]
	v_readlane_b32 s3, v166, 60
	s_cmp_lg_u32 s3, 0
	v_readlane_b32 s2, v166, 30
	s_cselect_b64 s[94:95], -1, 0
	s_cmp_eq_u32 s3, s2
	v_readlane_b32 s2, v166, 51
	v_readlane_b32 s3, v166, 52
	s_cselect_b64 s[96:97], -1, 0
	s_or_b64 s[60:61], s[2:3], vcc
	v_cmp_gt_u32_e32 vcc, s88, v0
	v_or_b32_e32 v0, 2, v19
	s_or_b64 s[62:63], s[2:3], vcc
	v_cmp_gt_u32_e32 vcc, s88, v0
	v_or_b32_e32 v0, 3, v19
	;; [unrolled: 3-line block ×14, first 2 shown]
	s_mov_b32 s6, 0
	v_cmp_gt_u32_e64 s[88:89], s88, v0
	v_mul_f32_e32 v29, v47, v15
	v_lshl_add_u64 v[48:49], v[48:49], 0, v[26:27]
	v_lshl_add_u64 v[50:51], v[50:51], 0, v[26:27]
	v_mul_f32_e32 v16, v46, v8
	v_mul_f32_e32 v27, v157, v7
	;; [unrolled: 1-line block ×14, first 2 shown]
	s_or_b64 s[88:89], s[2:3], s[88:89]
	s_or_b64 s[90:91], s[2:3], vcc
	s_mov_b32 s92, s6
	s_mov_b32 s98, s6
	;; [unrolled: 1-line block ×3, first 2 shown]
	v_readlane_b32 s8, v166, 25
	v_readlane_b32 s9, v166, 59
	s_branch .LBB56_110
.LBB56_109:                             ;   in Loop: Header=BB56_110 Depth=2
	s_or_b64 exec, exec, s[2:3]
	v_cndmask_b32_e64 v8, v8, v71, s[24:25]
	v_cndmask_b32_e64 v52, v62, v70, s[24:25]
	v_mul_f32_e32 v52, v52, v130
	v_fma_f32 v8, v8, v130, v129
	v_cndmask_b32_e64 v8, v8, v129, s[22:23]
	v_cndmask_b32_e64 v52, v52, v130, s[22:23]
	s_waitcnt lgkmcnt(0)
	v_fmac_f32_e32 v8, v65, v52
	v_fmac_f32_e32 v9, v8, v131
	;; [unrolled: 1-line block ×12, first 2 shown]
	v_readlane_b32 s12, v166, 31
	v_fmac_f32_e32 v56, v59, v64
	v_readlane_b32 s13, v166, 32
	v_readlane_b32 s14, v166, 33
	v_readlane_b32 s15, v166, 34
	v_readlane_b32 s16, v166, 35
	v_readlane_b32 s17, v166, 36
	v_readlane_b32 s18, v166, 37
	v_readlane_b32 s19, v166, 38
	v_fmac_f32_e32 v57, v56, v60
	s_add_i32 s98, s98, s12
	v_readlane_b32 s12, v166, 11
	v_fmac_f32_e32 v61, v57, v66
	v_readlane_b32 s2, v166, 4
	v_readlane_b32 s13, v166, 12
	;; [unrolled: 1-line block ×3, first 2 shown]
	v_fmac_f32_e32 v63, v61, v67
	v_and_b32_e32 v53, 0xffff0000, v4
	v_and_b32_e32 v65, 0xffff0000, v5
	v_lshlrev_b32_e32 v52, 16, v4
	v_lshlrev_b32_e32 v64, 16, v5
	v_and_b32_e32 v5, 0xffff0000, v6
	v_and_b32_e32 v67, 0xffff0000, v7
	v_lshlrev_b32_e32 v4, 16, v6
	v_lshlrev_b32_e32 v66, 16, v7
	;; [unrolled: 4-line block ×4, first 2 shown]
	v_mov_b32_e32 v62, v61
	s_add_i32 s9, s9, 8
	s_add_i32 s8, s8, -1
	s_add_i32 s4, s4, s2
	s_add_i32 s92, s92, s16
	;; [unrolled: 1-line block ×3, first 2 shown]
	v_pk_fma_f32 v[42:43], v[10:11], v[64:65], v[42:43]
	v_pk_fma_f32 v[44:45], v[8:9], v[52:53], v[44:45]
	;; [unrolled: 1-line block ×7, first 2 shown]
	s_cmp_eq_u32 s8, 0
	v_pk_fma_f32 v[32:33], v[56:57], v[0:1], v[32:33]
	v_readlane_b32 s14, v166, 13
	v_readlane_b32 s15, v166, 14
	;; [unrolled: 1-line block ×5, first 2 shown]
	s_cbranch_scc1 .LBB56_203
.LBB56_110:                             ;   Parent Loop BB56_13 Depth=1
                                        ; =>  This Inner Loop Header: Depth=2
	s_lshl_b64 s[2:3], s[6:7], 2
	v_readlane_b32 s5, v166, 7
	s_add_u32 s2, s5, s2
	v_readlane_b32 s5, v166, 8
	s_addc_u32 s3, s5, s3
	global_load_dword v54, v17, s[2:3]
	s_mov_b32 s93, s7
	v_lshl_add_u64 v[0:1], s[92:93], 1, v[48:49]
	v_mov_b32_e32 v2, 0
	v_mov_b32_e32 v3, 0
	s_and_saveexec_b64 s[2:3], s[26:27]
	s_cbranch_execz .LBB56_112
; %bb.111:                              ;   in Loop: Header=BB56_110 Depth=2
	global_load_ushort v3, v[0:1], off
.LBB56_112:                             ;   in Loop: Header=BB56_110 Depth=2
	s_or_b64 exec, exec, s[2:3]
	s_and_saveexec_b64 s[2:3], s[28:29]
	s_cbranch_execz .LBB56_114
; %bb.113:                              ;   in Loop: Header=BB56_110 Depth=2
	global_load_ushort v2, v[0:1], off offset:128
.LBB56_114:                             ;   in Loop: Header=BB56_110 Depth=2
	s_or_b64 exec, exec, s[2:3]
	v_mov_b32_e32 v4, 0
	v_mov_b32_e32 v5, 0
	s_and_saveexec_b64 s[2:3], s[30:31]
	s_cbranch_execz .LBB56_116
; %bb.115:                              ;   in Loop: Header=BB56_110 Depth=2
	global_load_ushort v5, v[0:1], off offset:256
.LBB56_116:                             ;   in Loop: Header=BB56_110 Depth=2
	s_or_b64 exec, exec, s[2:3]
	s_and_saveexec_b64 s[2:3], s[34:35]
	s_cbranch_execz .LBB56_118
; %bb.117:                              ;   in Loop: Header=BB56_110 Depth=2
	global_load_ushort v4, v[0:1], off offset:384
.LBB56_118:                             ;   in Loop: Header=BB56_110 Depth=2
	s_or_b64 exec, exec, s[2:3]
	v_mov_b32_e32 v6, 0
	v_mov_b32_e32 v7, 0
	s_and_saveexec_b64 s[2:3], s[36:37]
	s_cbranch_execz .LBB56_120
; %bb.119:                              ;   in Loop: Header=BB56_110 Depth=2
	global_load_ushort v7, v[0:1], off offset:512
.LBB56_120:                             ;   in Loop: Header=BB56_110 Depth=2
	;; [unrolled: 14-line block ×7, first 2 shown]
	s_or_b64 exec, exec, s[2:3]
	s_and_saveexec_b64 s[2:3], s[58:59]
	s_cbranch_execz .LBB56_142
; %bb.141:                              ;   in Loop: Header=BB56_110 Depth=2
	global_load_ushort v52, v[0:1], off offset:1920
.LBB56_142:                             ;   in Loop: Header=BB56_110 Depth=2
	s_or_b64 exec, exec, s[2:3]
	s_waitcnt vmcnt(0)
	ds_write_b16 v88, v3
	ds_write_b16 v89, v2 offset:128
	ds_write_b16 v90, v5 offset:256
	ds_write_b16 v91, v4 offset:384
	ds_write_b16 v92, v7 offset:512
	ds_write_b16 v93, v6 offset:640
	ds_write_b16 v94, v9 offset:768
	ds_write_b16 v95, v8 offset:896
	ds_write_b16 v96, v11 offset:1024
	ds_write_b16 v97, v10 offset:1152
	ds_write_b16 v98, v13 offset:1280
	ds_write_b16 v99, v12 offset:1408
	ds_write_b16 v100, v15 offset:1536
	ds_write_b16 v113, v14 offset:1664
	ds_write_b16 v115, v53 offset:1792
	ds_write_b16 v117, v52 offset:1920
	; wave barrier
	ds_read_b128 v[12:15], v119
	ds_read_b128 v[8:11], v119 offset:16
	s_mov_b32 s99, s7
	v_lshl_add_u64 v[0:1], s[98:99], 1, v[50:51]
	v_mov_b32_e32 v2, 0
	v_mov_b32_e32 v3, 0
	s_and_saveexec_b64 s[2:3], s[26:27]
	s_cbranch_execz .LBB56_144
; %bb.143:                              ;   in Loop: Header=BB56_110 Depth=2
	global_load_ushort v3, v[0:1], off
.LBB56_144:                             ;   in Loop: Header=BB56_110 Depth=2
	s_or_b64 exec, exec, s[2:3]
	s_and_saveexec_b64 s[2:3], s[28:29]
	s_cbranch_execz .LBB56_146
; %bb.145:                              ;   in Loop: Header=BB56_110 Depth=2
	global_load_ushort v2, v[0:1], off offset:128
.LBB56_146:                             ;   in Loop: Header=BB56_110 Depth=2
	s_or_b64 exec, exec, s[2:3]
	v_mov_b32_e32 v4, 0
	v_mov_b32_e32 v5, 0
	s_and_saveexec_b64 s[2:3], s[30:31]
	s_cbranch_execz .LBB56_148
; %bb.147:                              ;   in Loop: Header=BB56_110 Depth=2
	global_load_ushort v5, v[0:1], off offset:256
.LBB56_148:                             ;   in Loop: Header=BB56_110 Depth=2
	s_or_b64 exec, exec, s[2:3]
	s_and_saveexec_b64 s[2:3], s[34:35]
	s_cbranch_execz .LBB56_150
; %bb.149:                              ;   in Loop: Header=BB56_110 Depth=2
	global_load_ushort v4, v[0:1], off offset:384
.LBB56_150:                             ;   in Loop: Header=BB56_110 Depth=2
	s_or_b64 exec, exec, s[2:3]
	v_mov_b32_e32 v6, 0
	v_mov_b32_e32 v7, 0
	s_and_saveexec_b64 s[2:3], s[36:37]
	s_cbranch_execz .LBB56_152
; %bb.151:                              ;   in Loop: Header=BB56_110 Depth=2
	global_load_ushort v7, v[0:1], off offset:512
.LBB56_152:                             ;   in Loop: Header=BB56_110 Depth=2
	;; [unrolled: 14-line block ×7, first 2 shown]
	s_or_b64 exec, exec, s[2:3]
	s_and_saveexec_b64 s[2:3], s[58:59]
	s_cbranch_execz .LBB56_174
; %bb.173:                              ;   in Loop: Header=BB56_110 Depth=2
	global_load_ushort v61, v[0:1], off offset:1920
.LBB56_174:                             ;   in Loop: Header=BB56_110 Depth=2
	s_or_b64 exec, exec, s[2:3]
	s_waitcnt vmcnt(0)
	ds_write_b16 v88, v3 offset:4224
	ds_write_b16 v101, v2 offset:128
	;; [unrolled: 1-line block ×16, first 2 shown]
	; wave barrier
	ds_read_b128 v[4:7], v119 offset:4224
	ds_read_b128 v[0:3], v120 offset:16
	s_andn2_b64 vcc, exec, s[94:95]
	s_cbranch_vccnz .LBB56_176
; %bb.175:                              ;   in Loop: Header=BB56_110 Depth=2
	v_mov_b32_e32 v52, s9
	ds_read_b64 v[52:53], v52
	s_cbranch_execz .LBB56_177
	s_branch .LBB56_180
.LBB56_176:                             ;   in Loop: Header=BB56_110 Depth=2
                                        ; implicit-def: $vgpr53
.LBB56_177:                             ;   in Loop: Header=BB56_110 Depth=2
	v_readlane_b32 s2, v166, 0
	v_readlane_b32 s3, v166, 1
	s_andn2_b64 vcc, exec, s[2:3]
	s_waitcnt lgkmcnt(0)
	v_mov_b32_e32 v53, 0
	s_cbranch_vccnz .LBB56_179
; %bb.178:                              ;   in Loop: Header=BB56_110 Depth=2
	s_mov_b32 s5, s7
	s_lshl_b64 s[2:3], s[4:5], 2
	v_readlane_b32 s5, v166, 21
	s_add_u32 s2, s5, s2
	v_readlane_b32 s5, v166, 22
	s_addc_u32 s3, s5, s3
	global_load_dword v53, v17, s[2:3]
.LBB56_179:                             ;   in Loop: Header=BB56_110 Depth=2
	v_mov_b32_e32 v52, 1.0
.LBB56_180:                             ;   in Loop: Header=BB56_110 Depth=2
	s_waitcnt lgkmcnt(14)
	v_lshlrev_b32_e32 v59, 16, v8
	v_and_b32_e32 v60, 0xffff0000, v8
	v_mul_f32_e32 v8, 0x3fb8aa3b, v54
	v_lshlrev_b32_e32 v61, 16, v9
	v_and_b32_e32 v63, 0xffff0000, v9
	v_mul_f32_e32 v9, v8, v144
	v_cmp_gt_f32_e32 vcc, s33, v9
	v_lshlrev_b32_e32 v64, 16, v10
	v_and_b32_e32 v65, 0xffff0000, v10
	v_cndmask_b32_e32 v9, 0, v141, vcc
	v_fmac_f32_e32 v9, v8, v144
	v_exp_f32_e32 v9, v9
	v_cndmask_b32_e32 v10, 1.0, v142, vcc
	v_lshlrev_b32_e32 v55, 16, v12
	v_lshlrev_b32_e32 v68, 16, v11
	v_mul_f32_e32 v9, v9, v10
	v_cndmask_b32_e64 v130, 1.0, v9, s[60:61]
	v_mul_f32_e32 v9, v8, v145
	v_cmp_gt_f32_e32 vcc, s33, v9
	v_mul_f32_e32 v10, v128, v55
	v_cndmask_b32_e64 v129, 0, v10, s[60:61]
	v_cndmask_b32_e32 v9, 0, v141, vcc
	v_fmac_f32_e32 v9, v8, v145
	v_exp_f32_e32 v9, v9
	v_cndmask_b32_e32 v10, 1.0, v142, vcc
	v_and_b32_e32 v62, 0xffff0000, v11
	v_and_b32_e32 v12, 0xffff0000, v12
	v_mul_f32_e32 v10, v9, v10
	v_cndmask_b32_e64 v131, 1.0, v10, s[62:63]
	v_mul_f32_e32 v10, v8, v146
	v_cmp_gt_f32_e32 vcc, s33, v10
	v_mul_f32_e32 v9, v127, v12
	v_lshlrev_b32_e32 v56, 16, v13
	v_cndmask_b32_e32 v10, 0, v141, vcc
	v_fmac_f32_e32 v10, v8, v146
	v_exp_f32_e32 v10, v10
	v_cndmask_b32_e32 v11, 1.0, v142, vcc
	v_and_b32_e32 v13, 0xffff0000, v13
	v_lshlrev_b32_e32 v57, 16, v14
	v_mul_f32_e32 v11, v10, v11
	v_cndmask_b32_e64 v132, 1.0, v11, s[64:65]
	v_mul_f32_e32 v11, v8, v147
	v_cmp_gt_f32_e32 vcc, s33, v11
	v_and_b32_e32 v14, 0xffff0000, v14
	v_mul_f32_e32 v10, v126, v56
	v_cndmask_b32_e32 v11, 0, v141, vcc
	v_fmac_f32_e32 v11, v8, v147
	v_exp_f32_e32 v11, v11
	v_cndmask_b32_e32 v12, 1.0, v142, vcc
	v_lshlrev_b32_e32 v58, 16, v15
	v_cndmask_b32_e64 v9, 0, v9, s[62:63]
	v_mul_f32_e32 v12, v11, v12
	v_cndmask_b32_e64 v133, 1.0, v12, s[66:67]
	v_mul_f32_e32 v12, v8, v148
	v_cmp_gt_f32_e32 vcc, s33, v12
	v_mul_f32_e32 v11, v125, v13
	v_pk_mul_f32 v[66:67], v[8:9], v[46:47] op_sel_hi:[0,1]
	v_cndmask_b32_e32 v12, 0, v141, vcc
	v_fmac_f32_e32 v12, v8, v148
	v_exp_f32_e32 v12, v12
	v_cndmask_b32_e32 v13, 1.0, v142, vcc
	v_mul_f32_e32 v62, v29, v62
	v_cndmask_b32_e64 v10, 0, v10, s[64:65]
	v_mul_f32_e32 v13, v12, v13
	v_cndmask_b32_e64 v134, 1.0, v13, s[68:69]
	v_mul_f32_e32 v13, v8, v149
	v_cmp_gt_f32_e32 vcc, s33, v13
	v_mul_f32_e32 v12, v124, v57
	v_cndmask_b32_e64 v11, 0, v11, s[66:67]
	v_cndmask_b32_e32 v13, 0, v141, vcc
	v_fmac_f32_e32 v13, v8, v149
	v_exp_f32_e32 v13, v13
	v_cndmask_b32_e32 v54, 1.0, v142, vcc
	v_cndmask_b32_e64 v12, 0, v12, s[68:69]
	v_and_b32_e32 v15, 0xffff0000, v15
	v_mul_f32_e32 v54, v13, v54
	v_mul_f32_e32 v13, v165, v14
	;; [unrolled: 1-line block ×3, first 2 shown]
	v_cmp_gt_f32_e32 vcc, s33, v14
	v_cndmask_b32_e64 v135, 1.0, v54, s[70:71]
	v_cndmask_b32_e64 v13, 0, v13, s[70:71]
	v_cndmask_b32_e32 v14, 0, v141, vcc
	v_fmac_f32_e32 v14, v8, v150
	v_exp_f32_e32 v14, v14
	v_cndmask_b32_e32 v54, 1.0, v142, vcc
	v_mul_f32_e32 v15, v163, v15
	v_cndmask_b32_e64 v15, 0, v15, s[74:75]
	v_mul_f32_e32 v54, v14, v54
	v_cndmask_b32_e64 v136, 1.0, v54, s[72:73]
	v_mul_f32_e32 v54, v8, v151
	v_cmp_gt_f32_e32 vcc, s33, v54
	v_mul_f32_e32 v14, v164, v58
	v_cndmask_b32_e64 v14, 0, v14, s[72:73]
	v_cndmask_b32_e32 v54, 0, v141, vcc
	v_fmac_f32_e32 v54, v8, v151
	v_exp_f32_e32 v54, v54
	v_cndmask_b32_e32 v55, 1.0, v142, vcc
	v_readlane_b32 s10, v166, 39
	v_readlane_b32 s11, v166, 40
	v_mul_f32_e32 v54, v54, v55
	v_cndmask_b32_e64 v137, 1.0, v54, s[74:75]
	v_mul_f32_e32 v54, v8, v152
	v_cmp_gt_f32_e32 vcc, s33, v54
	s_nop 1
	v_cndmask_b32_e32 v54, 0, v141, vcc
	v_fmac_f32_e32 v54, v8, v152
	v_exp_f32_e32 v54, v54
	v_cndmask_b32_e32 v55, 1.0, v142, vcc
	v_mul_f32_e32 v55, v54, v55
	v_cndmask_b32_e64 v138, 1.0, v55, s[76:77]
	v_mul_f32_e32 v55, v8, v153
	v_cmp_gt_f32_e32 vcc, s33, v55
	v_mul_f32_e32 v54, v162, v59
	v_cndmask_b32_e64 v54, 0, v54, s[76:77]
	v_cndmask_b32_e32 v55, 0, v141, vcc
	v_fmac_f32_e32 v55, v8, v153
	v_exp_f32_e32 v55, v55
	v_cndmask_b32_e32 v56, 1.0, v142, vcc
	v_mul_f32_e32 v56, v55, v56
	v_cndmask_b32_e64 v73, 1.0, v56, s[78:79]
	v_mul_f32_e32 v56, v8, v154
	v_cmp_gt_f32_e32 vcc, s33, v56
	v_mul_f32_e32 v55, v161, v60
	v_cndmask_b32_e64 v55, 0, v55, s[78:79]
	;; [unrolled: 10-line block ×4, first 2 shown]
	v_cndmask_b32_e32 v56, 0, v141, vcc
	v_fmac_f32_e32 v56, v8, v156
	v_exp_f32_e32 v56, v56
	v_cndmask_b32_e32 v57, 1.0, v142, vcc
	v_mul_f32_e32 v57, v56, v57
	v_mul_f32_e32 v56, v158, v64
	v_cndmask_b32_e64 v64, 1.0, v57, s[84:85]
	v_mul_f32_e32 v57, v8, v157
	v_cmp_gt_f32_e32 vcc, s33, v57
	v_cndmask_b32_e64 v56, 0, v56, s[84:85]
	s_nop 0
	v_cndmask_b32_e32 v57, 0, v141, vcc
	v_fmac_f32_e32 v57, v8, v157
	v_cndmask_b32_e32 v60, 1.0, v142, vcc
	v_mul_f32_e32 v8, v16, v68
	v_cmp_gt_f32_e32 vcc, s33, v66
	v_cndmask_b32_e64 v61, 0, v8, s[90:91]
	v_exp_f32_e32 v57, v57
	v_cndmask_b32_e32 v8, 0, v141, vcc
	v_add_f32_e32 v8, v66, v8
	v_exp_f32_e32 v8, v8
	v_cndmask_b32_e32 v63, 1.0, v142, vcc
	v_cmp_gt_f32_e32 vcc, s33, v67
	v_mul_f32_e32 v60, v57, v60
	v_mul_f32_e32 v8, v8, v63
	v_cndmask_b32_e32 v63, 0, v141, vcc
	v_add_f32_e32 v63, v67, v63
	v_exp_f32_e32 v63, v63
	v_mul_f32_e32 v57, v27, v65
	v_cndmask_b32_e32 v65, 1.0, v142, vcc
	v_cndmask_b32_e64 v66, 1.0, v8, s[90:91]
	v_mul_f32_e32 v65, v63, v65
	v_cndmask_b32_e64 v63, 0, v62, s[88:89]
	v_mul_f32_e32 v8, v131, v130
	v_fma_f32 v62, v131, v129, v9
	v_mul_f32_e32 v8, v8, v132
	v_fma_f32 v62, v62, v132, v10
	;; [unrolled: 2-line block ×11, first 2 shown]
	v_cndmask_b32_e64 v57, 0, v57, s[86:87]
	v_cndmask_b32_e64 v60, 1.0, v60, s[86:87]
	v_fma_f32 v8, v8, v64, v56
	v_cndmask_b32_e64 v67, 1.0, v65, s[88:89]
	v_fma_f32 v69, v8, v60, v57
	v_mov_b32_e32 v65, v66
	v_pk_mul_f32 v[76:77], v[68:69], v[64:65]
	v_pk_fma_f32 v[68:69], v[68:69], v[64:65], v[60:61]
	v_pk_mul_f32 v[76:77], v[76:77], v[60:61]
	v_mov_b32_e32 v70, v67
	v_mov_b32_e32 v77, v69
	;; [unrolled: 1-line block ×3, first 2 shown]
	v_pk_mul_f32 v[68:69], v[76:77], v[66:67]
	v_mov_b32_e32 v62, v67
	v_pk_mul_f32 v[70:71], v[68:69], v[70:71]
	v_pk_fma_f32 v[68:69], v[76:77], v[66:67], v[62:63]
	s_nop 0
	v_mov_b32_dpp v8, v70 row_shr:1 row_mask:0xf bank_mask:0xf
	v_mov_b32_dpp v62, v69 row_shr:1 row_mask:0xf bank_mask:0xf
	v_mul_f32_e32 v65, v70, v8
	v_fma_f32 v62, v70, v62, v69
	v_cndmask_b32_e64 v68, v65, v70, s[0:1]
	v_cndmask_b32_e64 v71, v62, v69, s[0:1]
	;; [unrolled: 1-line block ×4, first 2 shown]
	v_mov_b32_dpp v65, v71 row_shr:2 row_mask:0xf bank_mask:0xf
	v_mov_b32_dpp v62, v70 row_shr:2 row_mask:0xf bank_mask:0xf
	s_and_saveexec_b64 s[2:3], s[10:11]
; %bb.181:                              ;   in Loop: Header=BB56_110 Depth=2
	v_fmac_f32_e32 v71, v70, v65
	v_mul_f32_e32 v70, v70, v62
	v_mov_b32_e32 v68, v70
	v_mov_b32_e32 v8, v71
; %bb.182:                              ;   in Loop: Header=BB56_110 Depth=2
	s_or_b64 exec, exec, s[2:3]
	v_readlane_b32 s10, v166, 41
	v_mov_b32_dpp v62, v70 row_shr:4 row_mask:0xf bank_mask:0xf
	v_mov_b32_dpp v65, v71 row_shr:4 row_mask:0xf bank_mask:0xf
	v_readlane_b32 s11, v166, 42
	s_and_saveexec_b64 s[2:3], s[10:11]
; %bb.183:                              ;   in Loop: Header=BB56_110 Depth=2
	v_fmac_f32_e32 v71, v70, v65
	v_mul_f32_e32 v70, v70, v62
	v_mov_b32_e32 v68, v70
	v_mov_b32_e32 v8, v71
; %bb.184:                              ;   in Loop: Header=BB56_110 Depth=2
	s_or_b64 exec, exec, s[2:3]
	v_readlane_b32 s10, v166, 43
	v_mov_b32_dpp v62, v70 row_shr:8 row_mask:0xf bank_mask:0xf
	v_mov_b32_dpp v65, v71 row_shr:8 row_mask:0xf bank_mask:0xf
	v_readlane_b32 s11, v166, 44
	s_and_saveexec_b64 s[2:3], s[10:11]
; %bb.185:                              ;   in Loop: Header=BB56_110 Depth=2
	v_fmac_f32_e32 v71, v70, v65
	v_mul_f32_e32 v70, v70, v62
	v_mov_b32_e32 v68, v70
	v_mov_b32_e32 v8, v71
; %bb.186:                              ;   in Loop: Header=BB56_110 Depth=2
	s_or_b64 exec, exec, s[2:3]
	v_readlane_b32 s10, v166, 45
	v_mov_b32_dpp v62, v70 row_bcast:15 row_mask:0xf bank_mask:0xf
	v_mov_b32_dpp v65, v71 row_bcast:15 row_mask:0xf bank_mask:0xf
	v_readlane_b32 s11, v166, 46
	s_and_saveexec_b64 s[2:3], s[10:11]
; %bb.187:                              ;   in Loop: Header=BB56_110 Depth=2
	v_fmac_f32_e32 v71, v70, v65
	v_mul_f32_e32 v70, v70, v62
	v_mov_b32_e32 v68, v70
	v_mov_b32_e32 v8, v71
; %bb.188:                              ;   in Loop: Header=BB56_110 Depth=2
	s_or_b64 exec, exec, s[2:3]
	v_readlane_b32 s10, v166, 53
	v_mov_b32_dpp v65, v70 row_bcast:31 row_mask:0xf bank_mask:0xf
	v_mov_b32_dpp v62, v71 row_bcast:31 row_mask:0xf bank_mask:0xf
	v_readlane_b32 s11, v166, 54
	s_and_saveexec_b64 s[2:3], s[10:11]
; %bb.189:                              ;   in Loop: Header=BB56_110 Depth=2
	v_fmac_f32_e32 v71, v70, v62
	v_mul_f32_e32 v68, v70, v65
	v_mov_b32_e32 v69, v71
	v_mov_b32_e32 v8, v71
	v_mov_b64_e32 v[70:71], v[68:69]
; %bb.190:                              ;   in Loop: Header=BB56_110 Depth=2
	s_or_b64 exec, exec, s[2:3]
	v_readlane_b32 s10, v166, 47
	v_readlane_b32 s11, v166, 48
	s_and_saveexec_b64 s[2:3], s[10:11]
	s_cbranch_execz .LBB56_192
; %bb.191:                              ;   in Loop: Header=BB56_110 Depth=2
	ds_write_b64 v121, v[70:71] offset:8448
.LBB56_192:                             ;   in Loop: Header=BB56_110 Depth=2
	s_or_b64 exec, exec, s[2:3]
	v_readlane_b32 s10, v166, 55
	v_readlane_b32 s11, v166, 56
	s_waitcnt lgkmcnt(0)
	s_barrier
	s_and_saveexec_b64 s[2:3], s[10:11]
	s_cbranch_execz .LBB56_194
; %bb.193:                              ;   in Loop: Header=BB56_110 Depth=2
	ds_read_b64 v[70:71], v122 offset:8448
	v_readlane_b32 s10, v166, 49
	v_readlane_b32 s11, v166, 50
	s_waitcnt lgkmcnt(0)
	v_mov_b32_dpp v62, v70 row_shr:1 row_mask:0xf bank_mask:0xf
	v_mov_b32_dpp v65, v71 row_shr:1 row_mask:0xf bank_mask:0xf
	v_fma_f32 v65, v70, v65, v71
	v_mul_f32_e32 v62, v70, v62
	v_cndmask_b32_e64 v70, v62, v70, s[10:11]
	v_cndmask_b32_e64 v71, v65, v71, s[10:11]
	ds_write_b64 v122, v[70:71] offset:8448
.LBB56_194:                             ;   in Loop: Header=BB56_110 Depth=2
	s_or_b64 exec, exec, s[2:3]
	s_waitcnt lgkmcnt(0)
	s_barrier
	s_waitcnt lgkmcnt(0)
                                        ; implicit-def: $vgpr70
	s_and_saveexec_b64 s[2:3], s[20:21]
	s_cbranch_execz .LBB56_196
; %bb.195:                              ;   in Loop: Header=BB56_110 Depth=2
	ds_read_b64 v[70:71], v121 offset:8440
	s_waitcnt lgkmcnt(0)
	v_mul_f32_e32 v62, v68, v70
	v_fmac_f32_e32 v8, v68, v71
	v_mov_b32_e32 v68, v62
.LBB56_196:                             ;   in Loop: Header=BB56_110 Depth=2
	s_or_b64 exec, exec, s[2:3]
	ds_bpermute_b32 v62, v123, v68
	ds_bpermute_b32 v8, v123, v8
	v_readlane_b32 s10, v166, 57
	s_waitcnt vmcnt(0)
	v_mov_b32_e32 v69, v53
	v_readlane_b32 s11, v166, 58
	s_and_saveexec_b64 s[2:3], s[10:11]
	s_cbranch_execz .LBB56_200
; %bb.197:                              ;   in Loop: Header=BB56_110 Depth=2
	ds_read_b64 v[68:69], v17 offset:8456
	s_and_saveexec_b64 vcc, s[22:23]
	s_cbranch_execz .LBB56_199
; %bb.198:                              ;   in Loop: Header=BB56_110 Depth=2
	ds_write_b64 v17, v[52:53] offset:8456
.LBB56_199:                             ;   in Loop: Header=BB56_110 Depth=2
	s_or_b64 exec, exec, vcc
	s_waitcnt lgkmcnt(0)
	v_fmac_f32_e32 v69, v53, v68
	v_mul_f32_e32 v52, v52, v68
	v_mov_b32_e32 v53, v69
.LBB56_200:                             ;   in Loop: Header=BB56_110 Depth=2
	s_or_b64 exec, exec, s[2:3]
	s_waitcnt lgkmcnt(0)
	s_barrier
	ds_read_b32 v65, v17 offset:8460
	s_and_saveexec_b64 s[2:3], s[22:23]
	s_cbranch_execz .LBB56_109
; %bb.201:                              ;   in Loop: Header=BB56_110 Depth=2
	v_mov_b32_e32 v68, s9
	s_andn2_b64 vcc, exec, s[96:97]
	ds_write_b64 v68, v[52:53]
	s_cbranch_vccnz .LBB56_109
; %bb.202:                              ;   in Loop: Header=BB56_110 Depth=2
	s_mov_b32 s5, s7
	s_lshl_b64 s[10:11], s[4:5], 2
	v_readlane_b32 s5, v166, 21
	s_add_u32 s10, s5, s10
	v_readlane_b32 s5, v166, 22
	s_addc_u32 s11, s5, s11
	global_store_dword v17, v69, s[10:11]
	s_branch .LBB56_109
.LBB56_203:                             ;   in Loop: Header=BB56_13 Depth=1
	s_mov_b32 s6, 0x41a00000
	s_mov_b32 s8, 0x3fb8aa3b
	;; [unrolled: 1-line block ×8, first 2 shown]
.LBB56_204:                             ;   in Loop: Header=BB56_13 Depth=1
	v_bfe_u32 v0, v44, 16, 1
	s_movk_i32 s2, 0x7fff
	v_bfe_u32 v1, v45, 16, 1
	v_add3_u32 v0, v44, v0, s2
	v_bfe_u32 v2, v42, 16, 1
	v_add3_u32 v1, v45, v1, s2
	v_lshrrev_b32_e32 v0, 16, v0
	v_cmp_o_f32_e32 vcc, v44, v44
	v_bfe_u32 v3, v43, 16, 1
	v_add3_u32 v2, v42, v2, s2
	v_lshrrev_b32_e32 v1, 16, v1
	v_cndmask_b32_e32 v0, v143, v0, vcc
	v_cmp_o_f32_e32 vcc, v45, v45
	v_add3_u32 v3, v43, v3, s2
	v_lshrrev_b32_e32 v2, 16, v2
	v_cndmask_b32_e32 v4, v143, v1, vcc
	v_cmp_o_f32_e32 vcc, v42, v42
	v_lshrrev_b32_e32 v3, 16, v3
	v_bfe_u32 v6, v38, 16, 1
	v_cndmask_b32_e32 v1, v143, v2, vcc
	v_cmp_o_f32_e32 vcc, v43, v43
	v_bfe_u32 v2, v40, 16, 1
	v_add3_u32 v2, v40, v2, s2
	v_cndmask_b32_e32 v5, v143, v3, vcc
	v_bfe_u32 v3, v41, 16, 1
	v_add3_u32 v3, v41, v3, s2
	v_lshrrev_b32_e32 v2, 16, v2
	v_cmp_o_f32_e32 vcc, v40, v40
	v_bfe_u32 v7, v39, 16, 1
	v_add3_u32 v6, v38, v6, s2
	v_lshrrev_b32_e32 v3, 16, v3
	v_cndmask_b32_e32 v2, v143, v2, vcc
	v_cmp_o_f32_e32 vcc, v41, v41
	v_add3_u32 v7, v39, v7, s2
	v_lshrrev_b32_e32 v6, 16, v6
	v_cndmask_b32_e32 v8, v143, v3, vcc
	v_cmp_o_f32_e32 vcc, v38, v38
	v_lshrrev_b32_e32 v7, 16, v7
	s_mov_b32 s3, 0x5040100
	v_cndmask_b32_e32 v3, v143, v6, vcc
	v_cmp_o_f32_e32 vcc, v39, v39
	v_perm_b32 v2, v8, v2, s3
	v_perm_b32 v1, v5, v1, s3
	v_cndmask_b32_e32 v6, v143, v7, vcc
	v_perm_b32 v3, v6, v3, s3
	v_perm_b32 v0, v4, v0, s3
	s_barrier
	ds_write_b128 v119, v[0:3]
	v_bfe_u32 v0, v36, 16, 1
	v_bfe_u32 v1, v37, 16, 1
	v_add3_u32 v0, v36, v0, s2
	v_bfe_u32 v2, v34, 16, 1
	v_add3_u32 v1, v37, v1, s2
	v_lshrrev_b32_e32 v0, 16, v0
	v_cmp_o_f32_e32 vcc, v36, v36
	v_bfe_u32 v3, v35, 16, 1
	v_add3_u32 v2, v34, v2, s2
	v_lshrrev_b32_e32 v1, 16, v1
	v_cndmask_b32_e32 v0, v143, v0, vcc
	v_cmp_o_f32_e32 vcc, v37, v37
	v_add3_u32 v3, v35, v3, s2
	v_lshrrev_b32_e32 v2, 16, v2
	v_cndmask_b32_e32 v4, v143, v1, vcc
	v_cmp_o_f32_e32 vcc, v34, v34
	v_lshrrev_b32_e32 v3, 16, v3
	v_bfe_u32 v6, v30, 16, 1
	v_cndmask_b32_e32 v1, v143, v2, vcc
	v_cmp_o_f32_e32 vcc, v35, v35
	v_bfe_u32 v2, v32, 16, 1
	v_add3_u32 v2, v32, v2, s2
	v_cndmask_b32_e32 v5, v143, v3, vcc
	v_bfe_u32 v3, v33, 16, 1
	v_add3_u32 v3, v33, v3, s2
	v_lshrrev_b32_e32 v2, 16, v2
	v_cmp_o_f32_e32 vcc, v32, v32
	v_bfe_u32 v7, v31, 16, 1
	v_add3_u32 v6, v30, v6, s2
	v_lshrrev_b32_e32 v3, 16, v3
	v_cndmask_b32_e32 v2, v143, v2, vcc
	v_cmp_o_f32_e32 vcc, v33, v33
	v_add3_u32 v7, v31, v7, s2
	v_lshrrev_b32_e32 v6, 16, v6
	v_cndmask_b32_e32 v8, v143, v3, vcc
	v_cmp_o_f32_e32 vcc, v30, v30
	v_lshrrev_b32_e32 v7, 16, v7
	v_perm_b32 v2, v8, v2, s3
	v_cndmask_b32_e32 v3, v143, v6, vcc
	v_cmp_o_f32_e32 vcc, v31, v31
	v_perm_b32 v1, v5, v1, s3
	v_perm_b32 v0, v4, v0, s3
	v_cndmask_b32_e32 v6, v143, v7, vcc
	v_perm_b32 v3, v6, v3, s3
	ds_write_b128 v119, v[0:3] offset:16
	; wave barrier
	ds_read_u16 v16, v89 offset:128
	ds_read_u16 v15, v90 offset:256
	;; [unrolled: 1-line block ×15, first 2 shown]
	v_readlane_b32 s2, v166, 61
	v_readlane_b32 s3, v166, 62
	s_mov_b32 s3, s7
	s_mov_b64 s[18:19], s[2:3]
	v_lshl_add_u64 v[0:1], s[2:3], 1, v[20:21]
	s_and_saveexec_b64 s[2:3], s[26:27]
	s_cbranch_execnz .LBB56_271
; %bb.205:                              ;   in Loop: Header=BB56_13 Depth=1
	s_or_b64 exec, exec, s[2:3]
	s_and_saveexec_b64 s[2:3], s[28:29]
	s_cbranch_execnz .LBB56_272
.LBB56_206:                             ;   in Loop: Header=BB56_13 Depth=1
	s_or_b64 exec, exec, s[2:3]
	s_and_saveexec_b64 s[2:3], s[30:31]
	s_cbranch_execnz .LBB56_273
.LBB56_207:                             ;   in Loop: Header=BB56_13 Depth=1
	s_or_b64 exec, exec, s[2:3]
	s_and_saveexec_b64 s[2:3], s[34:35]
	s_cbranch_execnz .LBB56_274
.LBB56_208:                             ;   in Loop: Header=BB56_13 Depth=1
	s_or_b64 exec, exec, s[2:3]
	s_and_saveexec_b64 s[2:3], s[36:37]
	s_cbranch_execnz .LBB56_275
.LBB56_209:                             ;   in Loop: Header=BB56_13 Depth=1
	s_or_b64 exec, exec, s[2:3]
	s_and_saveexec_b64 s[2:3], s[38:39]
	s_cbranch_execnz .LBB56_276
.LBB56_210:                             ;   in Loop: Header=BB56_13 Depth=1
	s_or_b64 exec, exec, s[2:3]
	s_and_saveexec_b64 s[2:3], s[40:41]
	s_cbranch_execnz .LBB56_277
.LBB56_211:                             ;   in Loop: Header=BB56_13 Depth=1
	s_or_b64 exec, exec, s[2:3]
	s_and_saveexec_b64 s[2:3], s[42:43]
	s_cbranch_execnz .LBB56_278
.LBB56_212:                             ;   in Loop: Header=BB56_13 Depth=1
	s_or_b64 exec, exec, s[2:3]
	s_and_saveexec_b64 s[2:3], s[44:45]
	s_cbranch_execnz .LBB56_279
.LBB56_213:                             ;   in Loop: Header=BB56_13 Depth=1
	s_or_b64 exec, exec, s[2:3]
	s_and_saveexec_b64 s[2:3], s[46:47]
	s_cbranch_execnz .LBB56_280
.LBB56_214:                             ;   in Loop: Header=BB56_13 Depth=1
	s_or_b64 exec, exec, s[2:3]
	s_and_saveexec_b64 s[2:3], s[48:49]
	s_cbranch_execnz .LBB56_281
.LBB56_215:                             ;   in Loop: Header=BB56_13 Depth=1
	s_or_b64 exec, exec, s[2:3]
	s_and_saveexec_b64 s[2:3], s[50:51]
	s_cbranch_execnz .LBB56_282
.LBB56_216:                             ;   in Loop: Header=BB56_13 Depth=1
	s_or_b64 exec, exec, s[2:3]
	s_and_saveexec_b64 s[2:3], s[52:53]
	s_cbranch_execnz .LBB56_283
.LBB56_217:                             ;   in Loop: Header=BB56_13 Depth=1
	s_or_b64 exec, exec, s[2:3]
	s_and_saveexec_b64 s[2:3], s[54:55]
	s_cbranch_execnz .LBB56_284
.LBB56_218:                             ;   in Loop: Header=BB56_13 Depth=1
	s_or_b64 exec, exec, s[2:3]
	s_and_saveexec_b64 s[2:3], s[56:57]
	s_cbranch_execnz .LBB56_285
.LBB56_219:                             ;   in Loop: Header=BB56_13 Depth=1
	s_or_b64 exec, exec, s[2:3]
	s_and_saveexec_b64 s[2:3], s[58:59]
	s_cbranch_execz .LBB56_221
.LBB56_220:                             ;   in Loop: Header=BB56_13 Depth=1
	s_waitcnt lgkmcnt(0)
	global_store_short v[0:1], v2, off offset:1920
.LBB56_221:                             ;   in Loop: Header=BB56_13 Depth=1
	s_or_b64 exec, exec, s[2:3]
	v_lshl_add_u64 v[0:1], s[18:19], 1, v[22:23]
	s_waitcnt lgkmcnt(0)
	v_mov_b32_e32 v2, 0
	v_mov_b32_e32 v3, 0
	s_barrier
	s_and_saveexec_b64 s[2:3], s[26:27]
	s_cbranch_execz .LBB56_223
; %bb.222:                              ;   in Loop: Header=BB56_13 Depth=1
	global_load_ushort v3, v[0:1], off
.LBB56_223:                             ;   in Loop: Header=BB56_13 Depth=1
	s_or_b64 exec, exec, s[2:3]
	s_and_saveexec_b64 s[2:3], s[28:29]
	s_cbranch_execz .LBB56_225
; %bb.224:                              ;   in Loop: Header=BB56_13 Depth=1
	global_load_ushort v2, v[0:1], off offset:128
.LBB56_225:                             ;   in Loop: Header=BB56_13 Depth=1
	s_or_b64 exec, exec, s[2:3]
	v_mov_b32_e32 v4, 0
	v_mov_b32_e32 v5, 0
	s_and_saveexec_b64 s[2:3], s[30:31]
	s_cbranch_execz .LBB56_227
; %bb.226:                              ;   in Loop: Header=BB56_13 Depth=1
	global_load_ushort v5, v[0:1], off offset:256
.LBB56_227:                             ;   in Loop: Header=BB56_13 Depth=1
	s_or_b64 exec, exec, s[2:3]
	s_and_saveexec_b64 s[2:3], s[34:35]
	s_cbranch_execz .LBB56_229
; %bb.228:                              ;   in Loop: Header=BB56_13 Depth=1
	global_load_ushort v4, v[0:1], off offset:384
.LBB56_229:                             ;   in Loop: Header=BB56_13 Depth=1
	s_or_b64 exec, exec, s[2:3]
	v_mov_b32_e32 v6, 0
	v_mov_b32_e32 v7, 0
	s_and_saveexec_b64 s[2:3], s[36:37]
	s_cbranch_execz .LBB56_231
; %bb.230:                              ;   in Loop: Header=BB56_13 Depth=1
	global_load_ushort v7, v[0:1], off offset:512
.LBB56_231:                             ;   in Loop: Header=BB56_13 Depth=1
	;; [unrolled: 14-line block ×7, first 2 shown]
	s_or_b64 exec, exec, s[2:3]
	s_and_saveexec_b64 s[2:3], s[58:59]
	s_cbranch_execz .LBB56_253
; %bb.252:                              ;   in Loop: Header=BB56_13 Depth=1
	global_load_ushort v16, v[0:1], off offset:1920
.LBB56_253:                             ;   in Loop: Header=BB56_13 Depth=1
	s_or_b64 exec, exec, s[2:3]
	s_waitcnt vmcnt(0)
	ds_write_b16 v88, v3
	ds_write_b16 v89, v2 offset:128
	ds_write_b16 v90, v5 offset:256
	;; [unrolled: 1-line block ×15, first 2 shown]
	; wave barrier
	ds_read_b128 v[4:7], v119
	ds_read_b128 v[0:3], v119 offset:16
	s_mov_b32 s5, 0xbfb8aa3b
	s_mov_b32 s14, 0x42ce8ed0
	;; [unrolled: 1-line block ×3, first 2 shown]
	s_waitcnt lgkmcnt(1)
	v_and_b32_e32 v11, 0xffff0000, v5
	v_and_b32_e32 v10, 0xffff0000, v4
	v_lshlrev_b32_e32 v12, 16, v4
	v_mul_f32_e32 v4, 0xbfb8aa3b, v11
	v_lshlrev_b32_e32 v13, 16, v5
	v_fma_f32 v5, v11, s5, -v4
	v_rndne_f32_e32 v8, v4
	v_fmac_f32_e32 v5, 0xb2a5705f, v11
	v_sub_f32_e32 v4, v4, v8
	v_add_f32_e32 v4, v4, v5
	v_exp_f32_e32 v4, v4
	v_cvt_i32_f32_e32 v5, v8
	v_cmp_nlt_f32_e32 vcc, s14, v11
	s_movk_i32 s4, 0x7fff
	s_waitcnt lgkmcnt(0)
	v_ldexp_f32 v4, v4, v5
	v_cndmask_b32_e32 v4, 0, v4, vcc
	v_cmp_ngt_f32_e32 vcc, s15, v11
	s_barrier
	s_nop 0
	v_cndmask_b32_e32 v5, v140, v4, vcc
	v_mul_f32_e32 v4, 0xbfb8aa3b, v10
	v_fma_f32 v8, v10, s5, -v4
	v_rndne_f32_e32 v9, v4
	v_fmac_f32_e32 v8, 0xb2a5705f, v10
	v_sub_f32_e32 v4, v4, v9
	v_add_f32_e32 v4, v4, v8
	v_exp_f32_e32 v4, v4
	v_cvt_i32_f32_e32 v8, v9
	v_cmp_nlt_f32_e32 vcc, s14, v10
	v_ldexp_f32 v4, v4, v8
	s_nop 0
	v_cndmask_b32_e32 v4, 0, v4, vcc
	v_cmp_ngt_f32_e32 vcc, s15, v10
	s_nop 1
	v_cndmask_b32_e32 v9, v140, v4, vcc
	v_mul_f32_e32 v4, 0xbfb8aa3b, v13
	v_rndne_f32_e32 v8, v4
	v_sub_f32_e32 v14, v4, v8
	v_fma_f32 v4, v13, s5, -v4
	v_fmac_f32_e32 v4, 0xb2a5705f, v13
	v_add_f32_e32 v4, v14, v4
	v_exp_f32_e32 v4, v4
	v_cvt_i32_f32_e32 v8, v8
	v_cmp_nlt_f32_e32 vcc, s14, v13
	v_ldexp_f32 v4, v4, v8
	v_mul_f32_e32 v8, 0xbfb8aa3b, v12
	v_rndne_f32_e32 v14, v8
	v_sub_f32_e32 v15, v8, v14
	v_fma_f32 v8, v12, s5, -v8
	v_fmac_f32_e32 v8, 0xb2a5705f, v12
	v_add_f32_e32 v8, v15, v8
	v_exp_f32_e32 v8, v8
	v_cvt_i32_f32_e32 v14, v14
	v_cndmask_b32_e32 v4, 0, v4, vcc
	v_cmp_ngt_f32_e32 vcc, s15, v13
	v_ldexp_f32 v8, v8, v14
	s_nop 0
	v_cndmask_b32_e32 v4, v140, v4, vcc
	v_pk_add_f32 v[4:5], v[4:5], 1.0 op_sel_hi:[1,0]
	v_cmp_nlt_f32_e32 vcc, s14, v12
	v_div_scale_f32 v14, s[2:3], v5, v5, v11
	v_rcp_f32_e32 v15, v14
	v_cndmask_b32_e32 v8, 0, v8, vcc
	v_cmp_ngt_f32_e32 vcc, s15, v12
	v_fma_f32 v16, -v14, v15, 1.0
	s_nop 0
	v_cndmask_b32_e32 v8, v140, v8, vcc
	v_fmac_f32_e32 v15, v16, v15
	v_div_scale_f32 v16, vcc, v11, v5, v11
	v_mul_f32_e32 v27, v16, v15
	v_fma_f32 v29, -v14, v27, v16
	v_fmac_f32_e32 v27, v29, v15
	v_fma_f32 v14, -v14, v27, v16
	v_div_fmas_f32 v14, v14, v15, v27
	v_div_fixup_f32 v5, v14, v5, v11
	v_div_scale_f32 v11, s[2:3], v4, v4, v13
	v_rcp_f32_e32 v14, v11
	v_pk_add_f32 v[8:9], v[8:9], 1.0 op_sel_hi:[1,0]
	v_fma_f32 v15, -v11, v14, 1.0
	v_fmac_f32_e32 v14, v15, v14
	v_div_scale_f32 v15, vcc, v13, v4, v13
	v_mul_f32_e32 v16, v15, v14
	v_fma_f32 v27, -v11, v16, v15
	v_fmac_f32_e32 v16, v27, v14
	v_fma_f32 v11, -v11, v16, v15
	v_div_fmas_f32 v11, v11, v14, v16
	v_div_fixup_f32 v4, v11, v4, v13
	v_div_scale_f32 v11, s[2:3], v9, v9, v10
	v_rcp_f32_e32 v13, v11
	s_nop 0
	v_fma_f32 v14, -v11, v13, 1.0
	v_fmac_f32_e32 v13, v14, v13
	v_div_scale_f32 v14, vcc, v10, v9, v10
	v_mul_f32_e32 v15, v14, v13
	v_fma_f32 v16, -v11, v15, v14
	v_fmac_f32_e32 v15, v16, v13
	v_fma_f32 v11, -v11, v15, v14
	v_div_fmas_f32 v11, v11, v13, v15
	v_div_fixup_f32 v9, v11, v9, v10
	v_div_scale_f32 v10, s[2:3], v8, v8, v12
	v_rcp_f32_e32 v11, v10
	s_nop 0
	v_fma_f32 v13, -v10, v11, 1.0
	v_fmac_f32_e32 v11, v13, v11
	v_div_scale_f32 v13, vcc, v12, v8, v12
	v_mul_f32_e32 v14, v13, v11
	v_fma_f32 v15, -v10, v14, v13
	v_fmac_f32_e32 v14, v15, v11
	v_fma_f32 v10, -v10, v14, v13
	v_div_fmas_f32 v10, v10, v11, v14
	v_div_fixup_f32 v8, v10, v8, v12
	v_pk_mul_f32 v[8:9], v[44:45], v[8:9]
	v_pk_mul_f32 v[10:11], v[42:43], v[4:5]
	v_bfe_u32 v4, v8, 16, 1
	v_bfe_u32 v5, v9, 16, 1
	v_add3_u32 v4, v8, v4, s4
	v_bfe_u32 v12, v10, 16, 1
	v_add3_u32 v5, v9, v5, s4
	v_lshrrev_b32_e32 v4, 16, v4
	v_cmp_o_f32_e32 vcc, v8, v8
	v_bfe_u32 v13, v11, 16, 1
	v_add3_u32 v12, v10, v12, s4
	v_lshrrev_b32_e32 v5, 16, v5
	v_cndmask_b32_e32 v4, v143, v4, vcc
	v_cmp_o_f32_e32 vcc, v9, v9
	v_add3_u32 v13, v11, v13, s4
	v_lshrrev_b32_e32 v12, 16, v12
	v_cndmask_b32_e32 v5, v143, v5, vcc
	v_cmp_o_f32_e32 vcc, v10, v10
	v_lshrrev_b32_e32 v13, 16, v13
	v_lshlrev_b32_e32 v14, 16, v6
	v_cndmask_b32_e32 v8, v143, v12, vcc
	v_cmp_o_f32_e32 vcc, v11, v11
	v_and_b32_e32 v12, 0xffff0000, v6
	v_lshlrev_b32_e32 v15, 16, v7
	v_cndmask_b32_e32 v9, v143, v13, vcc
	v_and_b32_e32 v13, 0xffff0000, v7
	v_mul_f32_e32 v6, 0xbfb8aa3b, v13
	v_fma_f32 v7, v13, s5, -v6
	v_rndne_f32_e32 v10, v6
	v_fmac_f32_e32 v7, 0xb2a5705f, v13
	v_sub_f32_e32 v6, v6, v10
	v_add_f32_e32 v6, v6, v7
	v_exp_f32_e32 v6, v6
	v_cvt_i32_f32_e32 v7, v10
	v_cmp_nlt_f32_e32 vcc, s14, v13
	v_ldexp_f32 v6, v6, v7
	s_nop 0
	v_cndmask_b32_e32 v6, 0, v6, vcc
	v_cmp_ngt_f32_e32 vcc, s15, v13
	s_nop 1
	v_cndmask_b32_e32 v7, v140, v6, vcc
	v_mul_f32_e32 v6, 0xbfb8aa3b, v12
	v_fma_f32 v10, v12, s5, -v6
	v_rndne_f32_e32 v11, v6
	v_fmac_f32_e32 v10, 0xb2a5705f, v12
	v_sub_f32_e32 v6, v6, v11
	v_add_f32_e32 v6, v6, v10
	v_exp_f32_e32 v6, v6
	v_cvt_i32_f32_e32 v10, v11
	v_cmp_nlt_f32_e32 vcc, s14, v12
	v_ldexp_f32 v6, v6, v10
	s_nop 0
	v_cndmask_b32_e32 v6, 0, v6, vcc
	v_cmp_ngt_f32_e32 vcc, s15, v12
	s_nop 1
	v_cndmask_b32_e32 v11, v140, v6, vcc
	v_mul_f32_e32 v6, 0xbfb8aa3b, v15
	v_rndne_f32_e32 v10, v6
	v_sub_f32_e32 v16, v6, v10
	v_fma_f32 v6, v15, s5, -v6
	v_fmac_f32_e32 v6, 0xb2a5705f, v15
	v_add_f32_e32 v6, v16, v6
	v_exp_f32_e32 v6, v6
	v_cvt_i32_f32_e32 v10, v10
	v_cmp_nlt_f32_e32 vcc, s14, v15
	v_ldexp_f32 v6, v6, v10
	v_mul_f32_e32 v10, 0xbfb8aa3b, v14
	v_rndne_f32_e32 v16, v10
	v_sub_f32_e32 v27, v10, v16
	v_fma_f32 v10, v14, s5, -v10
	v_fmac_f32_e32 v10, 0xb2a5705f, v14
	v_add_f32_e32 v10, v27, v10
	v_exp_f32_e32 v10, v10
	v_cvt_i32_f32_e32 v16, v16
	v_cndmask_b32_e32 v6, 0, v6, vcc
	v_cmp_ngt_f32_e32 vcc, s15, v15
	v_ldexp_f32 v10, v10, v16
	s_nop 0
	v_cndmask_b32_e32 v6, v140, v6, vcc
	v_pk_add_f32 v[6:7], v[6:7], 1.0 op_sel_hi:[1,0]
	v_cmp_nlt_f32_e32 vcc, s14, v14
	v_div_scale_f32 v16, s[2:3], v7, v7, v13
	v_rcp_f32_e32 v27, v16
	v_cndmask_b32_e32 v10, 0, v10, vcc
	v_cmp_ngt_f32_e32 vcc, s15, v14
	v_fma_f32 v29, -v16, v27, 1.0
	s_nop 0
	v_cndmask_b32_e32 v10, v140, v10, vcc
	v_fmac_f32_e32 v27, v29, v27
	v_div_scale_f32 v29, vcc, v13, v7, v13
	v_mul_f32_e32 v42, v29, v27
	v_fma_f32 v43, -v16, v42, v29
	v_fmac_f32_e32 v42, v43, v27
	v_fma_f32 v16, -v16, v42, v29
	v_div_fmas_f32 v16, v16, v27, v42
	v_div_fixup_f32 v7, v16, v7, v13
	v_div_scale_f32 v13, s[2:3], v6, v6, v15
	v_rcp_f32_e32 v16, v13
	v_pk_add_f32 v[10:11], v[10:11], 1.0 op_sel_hi:[1,0]
	v_fma_f32 v27, -v13, v16, 1.0
	v_fmac_f32_e32 v16, v27, v16
	v_div_scale_f32 v27, vcc, v15, v6, v15
	v_mul_f32_e32 v29, v27, v16
	v_fma_f32 v42, -v13, v29, v27
	v_fmac_f32_e32 v29, v42, v16
	v_fma_f32 v13, -v13, v29, v27
	v_div_fmas_f32 v13, v13, v16, v29
	v_div_fixup_f32 v6, v13, v6, v15
	v_div_scale_f32 v13, s[2:3], v11, v11, v12
	v_rcp_f32_e32 v15, v13
	s_nop 0
	v_fma_f32 v16, -v13, v15, 1.0
	v_fmac_f32_e32 v15, v16, v15
	v_div_scale_f32 v16, vcc, v12, v11, v12
	v_mul_f32_e32 v27, v16, v15
	v_fma_f32 v29, -v13, v27, v16
	v_fmac_f32_e32 v27, v29, v15
	v_fma_f32 v13, -v13, v27, v16
	v_div_fmas_f32 v13, v13, v15, v27
	v_div_fixup_f32 v11, v13, v11, v12
	v_div_scale_f32 v12, s[2:3], v10, v10, v14
	v_rcp_f32_e32 v13, v12
	s_nop 0
	v_fma_f32 v15, -v12, v13, 1.0
	v_fmac_f32_e32 v13, v15, v13
	v_div_scale_f32 v15, vcc, v14, v10, v14
	v_mul_f32_e32 v16, v15, v13
	v_fma_f32 v27, -v12, v16, v15
	v_fmac_f32_e32 v16, v27, v13
	v_fma_f32 v12, -v12, v16, v15
	v_div_fmas_f32 v12, v12, v13, v16
	v_div_fixup_f32 v10, v12, v10, v14
	v_pk_mul_f32 v[10:11], v[40:41], v[10:11]
	v_pk_mul_f32 v[12:13], v[38:39], v[6:7]
	v_bfe_u32 v6, v10, 16, 1
	v_bfe_u32 v7, v11, 16, 1
	v_add3_u32 v6, v10, v6, s4
	v_bfe_u32 v14, v12, 16, 1
	v_add3_u32 v7, v11, v7, s4
	v_lshrrev_b32_e32 v6, 16, v6
	v_cmp_o_f32_e32 vcc, v10, v10
	v_bfe_u32 v15, v13, 16, 1
	v_add3_u32 v14, v12, v14, s4
	v_lshrrev_b32_e32 v7, 16, v7
	v_cndmask_b32_e32 v6, v143, v6, vcc
	v_cmp_o_f32_e32 vcc, v11, v11
	v_add3_u32 v15, v13, v15, s4
	v_lshrrev_b32_e32 v14, 16, v14
	v_cndmask_b32_e32 v7, v143, v7, vcc
	v_cmp_o_f32_e32 vcc, v12, v12
	v_lshrrev_b32_e32 v15, 16, v15
	v_lshlrev_b32_e32 v16, 16, v0
	v_cndmask_b32_e32 v10, v143, v14, vcc
	v_cmp_o_f32_e32 vcc, v13, v13
	v_and_b32_e32 v14, 0xffff0000, v0
	v_lshlrev_b32_e32 v27, 16, v1
	v_cndmask_b32_e32 v11, v143, v15, vcc
	v_and_b32_e32 v15, 0xffff0000, v1
	v_mul_f32_e32 v0, 0xbfb8aa3b, v15
	v_fma_f32 v1, v15, s5, -v0
	v_rndne_f32_e32 v12, v0
	v_fmac_f32_e32 v1, 0xb2a5705f, v15
	v_sub_f32_e32 v0, v0, v12
	v_add_f32_e32 v0, v0, v1
	v_exp_f32_e32 v0, v0
	v_cvt_i32_f32_e32 v1, v12
	v_cmp_nlt_f32_e32 vcc, s14, v15
	v_ldexp_f32 v0, v0, v1
	s_nop 0
	v_cndmask_b32_e32 v0, 0, v0, vcc
	v_cmp_ngt_f32_e32 vcc, s15, v15
	s_nop 1
	v_cndmask_b32_e32 v1, v140, v0, vcc
	v_mul_f32_e32 v0, 0xbfb8aa3b, v14
	v_fma_f32 v12, v14, s5, -v0
	v_rndne_f32_e32 v13, v0
	v_fmac_f32_e32 v12, 0xb2a5705f, v14
	v_sub_f32_e32 v0, v0, v13
	v_add_f32_e32 v0, v0, v12
	v_exp_f32_e32 v0, v0
	v_cvt_i32_f32_e32 v12, v13
	v_cmp_nlt_f32_e32 vcc, s14, v14
	v_ldexp_f32 v0, v0, v12
	s_nop 0
	v_cndmask_b32_e32 v0, 0, v0, vcc
	v_cmp_ngt_f32_e32 vcc, s15, v14
	s_nop 1
	v_cndmask_b32_e32 v13, v140, v0, vcc
	v_mul_f32_e32 v0, 0xbfb8aa3b, v27
	v_rndne_f32_e32 v12, v0
	v_sub_f32_e32 v29, v0, v12
	v_fma_f32 v0, v27, s5, -v0
	v_fmac_f32_e32 v0, 0xb2a5705f, v27
	v_add_f32_e32 v0, v29, v0
	v_exp_f32_e32 v0, v0
	v_cvt_i32_f32_e32 v12, v12
	v_cmp_nlt_f32_e32 vcc, s14, v27
	v_ldexp_f32 v0, v0, v12
	v_mul_f32_e32 v12, 0xbfb8aa3b, v16
	v_rndne_f32_e32 v29, v12
	v_sub_f32_e32 v38, v12, v29
	v_fma_f32 v12, v16, s5, -v12
	v_fmac_f32_e32 v12, 0xb2a5705f, v16
	v_add_f32_e32 v12, v38, v12
	v_exp_f32_e32 v12, v12
	v_cvt_i32_f32_e32 v29, v29
	v_cndmask_b32_e32 v0, 0, v0, vcc
	v_cmp_ngt_f32_e32 vcc, s15, v27
	v_ldexp_f32 v12, v12, v29
	s_nop 0
	v_cndmask_b32_e32 v0, v140, v0, vcc
	v_pk_add_f32 v[0:1], v[0:1], 1.0 op_sel_hi:[1,0]
	v_cmp_nlt_f32_e32 vcc, s14, v16
	v_div_scale_f32 v29, s[2:3], v1, v1, v15
	v_rcp_f32_e32 v38, v29
	v_cndmask_b32_e32 v12, 0, v12, vcc
	v_cmp_ngt_f32_e32 vcc, s15, v16
	v_fma_f32 v39, -v29, v38, 1.0
	s_nop 0
	v_cndmask_b32_e32 v12, v140, v12, vcc
	v_fmac_f32_e32 v38, v39, v38
	v_div_scale_f32 v39, vcc, v15, v1, v15
	v_mul_f32_e32 v40, v39, v38
	v_fma_f32 v41, -v29, v40, v39
	v_fmac_f32_e32 v40, v41, v38
	v_fma_f32 v29, -v29, v40, v39
	v_div_fmas_f32 v29, v29, v38, v40
	v_div_fixup_f32 v1, v29, v1, v15
	v_div_scale_f32 v15, s[2:3], v0, v0, v27
	v_rcp_f32_e32 v29, v15
	v_pk_add_f32 v[12:13], v[12:13], 1.0 op_sel_hi:[1,0]
	v_fma_f32 v38, -v15, v29, 1.0
	v_fmac_f32_e32 v29, v38, v29
	v_div_scale_f32 v38, vcc, v27, v0, v27
	v_mul_f32_e32 v39, v38, v29
	v_fma_f32 v40, -v15, v39, v38
	v_fmac_f32_e32 v39, v40, v29
	v_fma_f32 v15, -v15, v39, v38
	v_div_fmas_f32 v15, v15, v29, v39
	v_div_fixup_f32 v0, v15, v0, v27
	v_div_scale_f32 v15, s[2:3], v13, v13, v14
	v_rcp_f32_e32 v27, v15
	s_nop 0
	v_fma_f32 v29, -v15, v27, 1.0
	v_fmac_f32_e32 v27, v29, v27
	v_div_scale_f32 v29, vcc, v14, v13, v14
	v_mul_f32_e32 v38, v29, v27
	v_fma_f32 v39, -v15, v38, v29
	v_fmac_f32_e32 v38, v39, v27
	v_fma_f32 v15, -v15, v38, v29
	v_div_fmas_f32 v15, v15, v27, v38
	v_div_fixup_f32 v13, v15, v13, v14
	v_div_scale_f32 v14, s[2:3], v12, v12, v16
	v_rcp_f32_e32 v15, v14
	s_nop 0
	v_fma_f32 v27, -v14, v15, 1.0
	v_fmac_f32_e32 v15, v27, v15
	v_div_scale_f32 v27, vcc, v16, v12, v16
	v_mul_f32_e32 v29, v27, v15
	v_fma_f32 v38, -v14, v29, v27
	v_fmac_f32_e32 v29, v38, v15
	v_fma_f32 v14, -v14, v29, v27
	v_div_fmas_f32 v14, v14, v15, v29
	v_div_fixup_f32 v12, v14, v12, v16
	v_pk_mul_f32 v[12:13], v[36:37], v[12:13]
	v_pk_mul_f32 v[14:15], v[34:35], v[0:1]
	v_bfe_u32 v0, v12, 16, 1
	v_bfe_u32 v1, v13, 16, 1
	v_add3_u32 v0, v12, v0, s4
	v_bfe_u32 v16, v14, 16, 1
	v_add3_u32 v1, v13, v1, s4
	v_lshrrev_b32_e32 v0, 16, v0
	v_cmp_o_f32_e32 vcc, v12, v12
	v_bfe_u32 v27, v15, 16, 1
	v_add3_u32 v16, v14, v16, s4
	v_lshrrev_b32_e32 v1, 16, v1
	v_cndmask_b32_e32 v0, v143, v0, vcc
	v_cmp_o_f32_e32 vcc, v13, v13
	v_add3_u32 v27, v15, v27, s4
	v_lshrrev_b32_e32 v16, 16, v16
	v_cndmask_b32_e32 v1, v143, v1, vcc
	v_cmp_o_f32_e32 vcc, v14, v14
	v_lshrrev_b32_e32 v27, 16, v27
	v_lshlrev_b32_e32 v29, 16, v2
	v_cndmask_b32_e32 v14, v143, v16, vcc
	v_cmp_o_f32_e32 vcc, v15, v15
	v_and_b32_e32 v16, 0xffff0000, v2
	v_lshlrev_b32_e32 v34, 16, v3
	v_cndmask_b32_e32 v15, v143, v27, vcc
	v_and_b32_e32 v27, 0xffff0000, v3
	v_mul_f32_e32 v2, 0xbfb8aa3b, v27
	v_fma_f32 v3, v27, s5, -v2
	v_rndne_f32_e32 v12, v2
	v_fmac_f32_e32 v3, 0xb2a5705f, v27
	v_sub_f32_e32 v2, v2, v12
	v_add_f32_e32 v2, v2, v3
	v_exp_f32_e32 v2, v2
	v_cvt_i32_f32_e32 v3, v12
	v_cmp_nlt_f32_e32 vcc, s14, v27
	v_ldexp_f32 v2, v2, v3
	s_nop 0
	v_cndmask_b32_e32 v2, 0, v2, vcc
	v_cmp_ngt_f32_e32 vcc, s15, v27
	s_nop 1
	v_cndmask_b32_e32 v3, v140, v2, vcc
	v_mul_f32_e32 v2, 0xbfb8aa3b, v16
	v_fma_f32 v12, v16, s5, -v2
	v_rndne_f32_e32 v13, v2
	v_fmac_f32_e32 v12, 0xb2a5705f, v16
	v_sub_f32_e32 v2, v2, v13
	v_add_f32_e32 v2, v2, v12
	v_exp_f32_e32 v2, v2
	v_cvt_i32_f32_e32 v12, v13
	v_cmp_nlt_f32_e32 vcc, s14, v16
	v_ldexp_f32 v2, v2, v12
	s_nop 0
	v_cndmask_b32_e32 v2, 0, v2, vcc
	v_cmp_ngt_f32_e32 vcc, s15, v16
	s_nop 1
	v_cndmask_b32_e32 v13, v140, v2, vcc
	v_mul_f32_e32 v2, 0xbfb8aa3b, v34
	v_rndne_f32_e32 v12, v2
	v_sub_f32_e32 v35, v2, v12
	v_fma_f32 v2, v34, s5, -v2
	v_fmac_f32_e32 v2, 0xb2a5705f, v34
	v_add_f32_e32 v2, v35, v2
	v_exp_f32_e32 v2, v2
	v_cvt_i32_f32_e32 v12, v12
	v_cmp_nlt_f32_e32 vcc, s14, v34
	v_ldexp_f32 v2, v2, v12
	v_mul_f32_e32 v12, 0xbfb8aa3b, v29
	v_rndne_f32_e32 v35, v12
	v_sub_f32_e32 v36, v12, v35
	v_fma_f32 v12, v29, s5, -v12
	v_fmac_f32_e32 v12, 0xb2a5705f, v29
	v_add_f32_e32 v12, v36, v12
	v_exp_f32_e32 v12, v12
	v_cvt_i32_f32_e32 v35, v35
	v_cndmask_b32_e32 v2, 0, v2, vcc
	v_cmp_ngt_f32_e32 vcc, s15, v34
	v_ldexp_f32 v12, v12, v35
	s_nop 0
	v_cndmask_b32_e32 v2, v140, v2, vcc
	v_pk_add_f32 v[2:3], v[2:3], 1.0 op_sel_hi:[1,0]
	v_cmp_nlt_f32_e32 vcc, s14, v29
	v_div_scale_f32 v35, s[2:3], v3, v3, v27
	v_rcp_f32_e32 v36, v35
	v_cndmask_b32_e32 v12, 0, v12, vcc
	v_cmp_ngt_f32_e32 vcc, s15, v29
	v_fma_f32 v37, -v35, v36, 1.0
	s_nop 0
	v_cndmask_b32_e32 v12, v140, v12, vcc
	v_fmac_f32_e32 v36, v37, v36
	v_div_scale_f32 v37, vcc, v27, v3, v27
	v_mul_f32_e32 v38, v37, v36
	v_fma_f32 v39, -v35, v38, v37
	v_fmac_f32_e32 v38, v39, v36
	v_fma_f32 v35, -v35, v38, v37
	v_div_fmas_f32 v35, v35, v36, v38
	v_div_fixup_f32 v3, v35, v3, v27
	v_div_scale_f32 v27, s[2:3], v2, v2, v34
	v_rcp_f32_e32 v35, v27
	v_pk_add_f32 v[12:13], v[12:13], 1.0 op_sel_hi:[1,0]
	v_fma_f32 v36, -v27, v35, 1.0
	v_fmac_f32_e32 v35, v36, v35
	v_div_scale_f32 v36, vcc, v34, v2, v34
	v_mul_f32_e32 v37, v36, v35
	v_fma_f32 v38, -v27, v37, v36
	v_fmac_f32_e32 v37, v38, v35
	v_fma_f32 v27, -v27, v37, v36
	v_div_fmas_f32 v27, v27, v35, v37
	v_div_fixup_f32 v2, v27, v2, v34
	v_div_scale_f32 v27, s[2:3], v13, v13, v16
	v_rcp_f32_e32 v34, v27
	v_pk_mul_f32 v[2:3], v[30:31], v[2:3]
	v_fma_f32 v35, -v27, v34, 1.0
	v_fmac_f32_e32 v34, v35, v34
	v_div_scale_f32 v35, vcc, v16, v13, v16
	v_mul_f32_e32 v36, v35, v34
	v_fma_f32 v37, -v27, v36, v35
	v_fmac_f32_e32 v36, v37, v34
	v_fma_f32 v27, -v27, v36, v35
	v_div_fmas_f32 v27, v27, v34, v36
	v_div_fixup_f32 v13, v27, v13, v16
	v_div_scale_f32 v16, s[2:3], v12, v12, v29
	v_rcp_f32_e32 v27, v16
	v_bfe_u32 v30, v3, 16, 1
	v_add3_u32 v30, v3, v30, s4
	v_lshrrev_b32_e32 v30, 16, v30
	v_fma_f32 v34, -v16, v27, 1.0
	v_fmac_f32_e32 v27, v34, v27
	v_div_scale_f32 v34, vcc, v29, v12, v29
	v_mul_f32_e32 v35, v34, v27
	v_fma_f32 v36, -v16, v35, v34
	v_fmac_f32_e32 v35, v36, v27
	v_fma_f32 v16, -v16, v35, v34
	v_div_fmas_f32 v16, v16, v27, v35
	v_div_fixup_f32 v12, v16, v12, v29
	v_pk_mul_f32 v[12:13], v[32:33], v[12:13]
	v_bfe_u32 v29, v2, 16, 1
	v_bfe_u32 v16, v12, 16, 1
	;; [unrolled: 1-line block ×3, first 2 shown]
	v_add3_u32 v16, v12, v16, s4
	v_add3_u32 v27, v13, v27, s4
	v_lshrrev_b32_e32 v16, 16, v16
	v_cmp_o_f32_e32 vcc, v12, v12
	v_add3_u32 v29, v2, v29, s4
	v_lshrrev_b32_e32 v27, 16, v27
	v_cndmask_b32_e32 v12, v143, v16, vcc
	v_cmp_o_f32_e32 vcc, v13, v13
	v_lshrrev_b32_e32 v29, 16, v29
	s_mov_b32 s2, 0x5040100
	v_cndmask_b32_e32 v13, v143, v27, vcc
	v_cmp_o_f32_e32 vcc, v2, v2
	v_perm_b32 v11, v11, v10, s2
	v_perm_b32 v10, v7, v6, s2
	v_cndmask_b32_e32 v2, v143, v29, vcc
	v_cmp_o_f32_e32 vcc, v3, v3
	v_perm_b32 v9, v9, v8, s2
	v_perm_b32 v8, v5, v4, s2
	v_cndmask_b32_e32 v3, v143, v30, vcc
	v_perm_b32 v5, v3, v2, s2
	v_perm_b32 v4, v13, v12, s2
	;; [unrolled: 1-line block ×4, first 2 shown]
	ds_write_b128 v119, v[8:11]
	ds_write_b128 v119, v[2:5] offset:16
	; wave barrier
	ds_read_u16 v16, v89 offset:128
	ds_read_u16 v15, v90 offset:256
	;; [unrolled: 1-line block ×15, first 2 shown]
	v_lshl_add_u64 v[0:1], s[18:19], 1, v[24:25]
	s_and_saveexec_b64 s[2:3], s[26:27]
	s_cbranch_execnz .LBB56_286
; %bb.254:                              ;   in Loop: Header=BB56_13 Depth=1
	s_or_b64 exec, exec, s[2:3]
	s_and_saveexec_b64 s[2:3], s[28:29]
	s_cbranch_execnz .LBB56_287
.LBB56_255:                             ;   in Loop: Header=BB56_13 Depth=1
	s_or_b64 exec, exec, s[2:3]
	s_and_saveexec_b64 s[2:3], s[30:31]
	s_cbranch_execnz .LBB56_288
.LBB56_256:                             ;   in Loop: Header=BB56_13 Depth=1
	s_or_b64 exec, exec, s[2:3]
	s_and_saveexec_b64 s[2:3], s[34:35]
	s_cbranch_execnz .LBB56_289
.LBB56_257:                             ;   in Loop: Header=BB56_13 Depth=1
	s_or_b64 exec, exec, s[2:3]
	s_and_saveexec_b64 s[2:3], s[36:37]
	s_cbranch_execnz .LBB56_290
.LBB56_258:                             ;   in Loop: Header=BB56_13 Depth=1
	s_or_b64 exec, exec, s[2:3]
	s_and_saveexec_b64 s[2:3], s[38:39]
	s_cbranch_execnz .LBB56_291
.LBB56_259:                             ;   in Loop: Header=BB56_13 Depth=1
	s_or_b64 exec, exec, s[2:3]
	s_and_saveexec_b64 s[2:3], s[40:41]
	s_cbranch_execnz .LBB56_292
.LBB56_260:                             ;   in Loop: Header=BB56_13 Depth=1
	s_or_b64 exec, exec, s[2:3]
	s_and_saveexec_b64 s[2:3], s[42:43]
	s_cbranch_execnz .LBB56_293
.LBB56_261:                             ;   in Loop: Header=BB56_13 Depth=1
	s_or_b64 exec, exec, s[2:3]
	s_and_saveexec_b64 s[2:3], s[44:45]
	s_cbranch_execnz .LBB56_294
.LBB56_262:                             ;   in Loop: Header=BB56_13 Depth=1
	s_or_b64 exec, exec, s[2:3]
	s_and_saveexec_b64 s[2:3], s[46:47]
	s_cbranch_execnz .LBB56_295
.LBB56_263:                             ;   in Loop: Header=BB56_13 Depth=1
	s_or_b64 exec, exec, s[2:3]
	s_and_saveexec_b64 s[2:3], s[48:49]
	s_cbranch_execnz .LBB56_296
.LBB56_264:                             ;   in Loop: Header=BB56_13 Depth=1
	s_or_b64 exec, exec, s[2:3]
	s_and_saveexec_b64 s[2:3], s[50:51]
	s_cbranch_execnz .LBB56_297
.LBB56_265:                             ;   in Loop: Header=BB56_13 Depth=1
	s_or_b64 exec, exec, s[2:3]
	s_and_saveexec_b64 s[2:3], s[52:53]
	s_cbranch_execnz .LBB56_298
.LBB56_266:                             ;   in Loop: Header=BB56_13 Depth=1
	s_or_b64 exec, exec, s[2:3]
	s_and_saveexec_b64 s[2:3], s[54:55]
	s_cbranch_execnz .LBB56_299
.LBB56_267:                             ;   in Loop: Header=BB56_13 Depth=1
	s_or_b64 exec, exec, s[2:3]
	s_and_saveexec_b64 s[2:3], s[56:57]
	s_cbranch_execnz .LBB56_300
.LBB56_268:                             ;   in Loop: Header=BB56_13 Depth=1
	s_or_b64 exec, exec, s[2:3]
	s_and_saveexec_b64 s[2:3], s[58:59]
	s_cbranch_execz .LBB56_12
	s_branch .LBB56_301
.LBB56_269:                             ;   in Loop: Header=BB56_13 Depth=1
	global_load_ushort v36, v[8:9], off offset:1664
	s_or_b64 exec, exec, s[2:3]
	s_and_saveexec_b64 s[2:3], s[56:57]
	s_cbranch_execz .LBB56_73
.LBB56_270:                             ;   in Loop: Header=BB56_13 Depth=1
	global_load_ushort v35, v[8:9], off offset:1792
	s_or_b64 exec, exec, s[2:3]
	v_mov_b32_e32 v37, 0
	s_and_saveexec_b64 s[2:3], s[58:59]
	s_cbranch_execnz .LBB56_74
	s_branch .LBB56_75
.LBB56_271:                             ;   in Loop: Header=BB56_13 Depth=1
	ds_read_u16 v27, v88
	s_waitcnt lgkmcnt(0)
	global_store_short v[0:1], v27, off
	s_or_b64 exec, exec, s[2:3]
	s_and_saveexec_b64 s[2:3], s[28:29]
	s_cbranch_execz .LBB56_206
.LBB56_272:                             ;   in Loop: Header=BB56_13 Depth=1
	s_waitcnt lgkmcnt(14)
	global_store_short v[0:1], v16, off offset:128
	s_or_b64 exec, exec, s[2:3]
	s_and_saveexec_b64 s[2:3], s[30:31]
	s_cbranch_execz .LBB56_207
.LBB56_273:                             ;   in Loop: Header=BB56_13 Depth=1
	s_waitcnt lgkmcnt(13)
	global_store_short v[0:1], v15, off offset:256
	s_or_b64 exec, exec, s[2:3]
	s_and_saveexec_b64 s[2:3], s[34:35]
	s_cbranch_execz .LBB56_208
.LBB56_274:                             ;   in Loop: Header=BB56_13 Depth=1
	s_waitcnt lgkmcnt(12)
	global_store_short v[0:1], v14, off offset:384
	s_or_b64 exec, exec, s[2:3]
	s_and_saveexec_b64 s[2:3], s[36:37]
	s_cbranch_execz .LBB56_209
.LBB56_275:                             ;   in Loop: Header=BB56_13 Depth=1
	s_waitcnt lgkmcnt(11)
	global_store_short v[0:1], v13, off offset:512
	s_or_b64 exec, exec, s[2:3]
	s_and_saveexec_b64 s[2:3], s[38:39]
	s_cbranch_execz .LBB56_210
.LBB56_276:                             ;   in Loop: Header=BB56_13 Depth=1
	s_waitcnt lgkmcnt(10)
	global_store_short v[0:1], v12, off offset:640
	s_or_b64 exec, exec, s[2:3]
	s_and_saveexec_b64 s[2:3], s[40:41]
	s_cbranch_execz .LBB56_211
.LBB56_277:                             ;   in Loop: Header=BB56_13 Depth=1
	s_waitcnt lgkmcnt(9)
	global_store_short v[0:1], v11, off offset:768
	s_or_b64 exec, exec, s[2:3]
	s_and_saveexec_b64 s[2:3], s[42:43]
	s_cbranch_execz .LBB56_212
.LBB56_278:                             ;   in Loop: Header=BB56_13 Depth=1
	s_waitcnt lgkmcnt(8)
	global_store_short v[0:1], v10, off offset:896
	s_or_b64 exec, exec, s[2:3]
	s_and_saveexec_b64 s[2:3], s[44:45]
	s_cbranch_execz .LBB56_213
.LBB56_279:                             ;   in Loop: Header=BB56_13 Depth=1
	s_waitcnt lgkmcnt(7)
	global_store_short v[0:1], v9, off offset:1024
	s_or_b64 exec, exec, s[2:3]
	s_and_saveexec_b64 s[2:3], s[46:47]
	s_cbranch_execz .LBB56_214
.LBB56_280:                             ;   in Loop: Header=BB56_13 Depth=1
	s_waitcnt lgkmcnt(6)
	global_store_short v[0:1], v8, off offset:1152
	s_or_b64 exec, exec, s[2:3]
	s_and_saveexec_b64 s[2:3], s[48:49]
	s_cbranch_execz .LBB56_215
.LBB56_281:                             ;   in Loop: Header=BB56_13 Depth=1
	s_waitcnt lgkmcnt(5)
	global_store_short v[0:1], v7, off offset:1280
	s_or_b64 exec, exec, s[2:3]
	s_and_saveexec_b64 s[2:3], s[50:51]
	s_cbranch_execz .LBB56_216
.LBB56_282:                             ;   in Loop: Header=BB56_13 Depth=1
	s_waitcnt lgkmcnt(4)
	global_store_short v[0:1], v6, off offset:1408
	s_or_b64 exec, exec, s[2:3]
	s_and_saveexec_b64 s[2:3], s[52:53]
	s_cbranch_execz .LBB56_217
.LBB56_283:                             ;   in Loop: Header=BB56_13 Depth=1
	s_waitcnt lgkmcnt(3)
	global_store_short v[0:1], v5, off offset:1536
	s_or_b64 exec, exec, s[2:3]
	s_and_saveexec_b64 s[2:3], s[54:55]
	s_cbranch_execz .LBB56_218
.LBB56_284:                             ;   in Loop: Header=BB56_13 Depth=1
	s_waitcnt lgkmcnt(2)
	global_store_short v[0:1], v4, off offset:1664
	s_or_b64 exec, exec, s[2:3]
	s_and_saveexec_b64 s[2:3], s[56:57]
	s_cbranch_execz .LBB56_219
.LBB56_285:                             ;   in Loop: Header=BB56_13 Depth=1
	s_waitcnt lgkmcnt(1)
	global_store_short v[0:1], v3, off offset:1792
	s_or_b64 exec, exec, s[2:3]
	s_and_saveexec_b64 s[2:3], s[58:59]
	s_cbranch_execnz .LBB56_220
	s_branch .LBB56_221
.LBB56_286:                             ;   in Loop: Header=BB56_13 Depth=1
	ds_read_u16 v27, v88
	s_waitcnt lgkmcnt(0)
	global_store_short v[0:1], v27, off
	s_or_b64 exec, exec, s[2:3]
	s_and_saveexec_b64 s[2:3], s[28:29]
	s_cbranch_execz .LBB56_255
.LBB56_287:                             ;   in Loop: Header=BB56_13 Depth=1
	s_waitcnt lgkmcnt(14)
	global_store_short v[0:1], v16, off offset:128
	s_or_b64 exec, exec, s[2:3]
	s_and_saveexec_b64 s[2:3], s[30:31]
	s_cbranch_execz .LBB56_256
.LBB56_288:                             ;   in Loop: Header=BB56_13 Depth=1
	s_waitcnt lgkmcnt(13)
	global_store_short v[0:1], v15, off offset:256
	s_or_b64 exec, exec, s[2:3]
	s_and_saveexec_b64 s[2:3], s[34:35]
	s_cbranch_execz .LBB56_257
.LBB56_289:                             ;   in Loop: Header=BB56_13 Depth=1
	s_waitcnt lgkmcnt(12)
	global_store_short v[0:1], v14, off offset:384
	s_or_b64 exec, exec, s[2:3]
	s_and_saveexec_b64 s[2:3], s[36:37]
	s_cbranch_execz .LBB56_258
.LBB56_290:                             ;   in Loop: Header=BB56_13 Depth=1
	s_waitcnt lgkmcnt(11)
	global_store_short v[0:1], v13, off offset:512
	s_or_b64 exec, exec, s[2:3]
	s_and_saveexec_b64 s[2:3], s[38:39]
	s_cbranch_execz .LBB56_259
.LBB56_291:                             ;   in Loop: Header=BB56_13 Depth=1
	s_waitcnt lgkmcnt(10)
	global_store_short v[0:1], v12, off offset:640
	s_or_b64 exec, exec, s[2:3]
	s_and_saveexec_b64 s[2:3], s[40:41]
	s_cbranch_execz .LBB56_260
.LBB56_292:                             ;   in Loop: Header=BB56_13 Depth=1
	s_waitcnt lgkmcnt(9)
	global_store_short v[0:1], v11, off offset:768
	s_or_b64 exec, exec, s[2:3]
	s_and_saveexec_b64 s[2:3], s[42:43]
	s_cbranch_execz .LBB56_261
.LBB56_293:                             ;   in Loop: Header=BB56_13 Depth=1
	s_waitcnt lgkmcnt(8)
	global_store_short v[0:1], v10, off offset:896
	s_or_b64 exec, exec, s[2:3]
	s_and_saveexec_b64 s[2:3], s[44:45]
	s_cbranch_execz .LBB56_262
.LBB56_294:                             ;   in Loop: Header=BB56_13 Depth=1
	s_waitcnt lgkmcnt(7)
	global_store_short v[0:1], v9, off offset:1024
	s_or_b64 exec, exec, s[2:3]
	s_and_saveexec_b64 s[2:3], s[46:47]
	s_cbranch_execz .LBB56_263
.LBB56_295:                             ;   in Loop: Header=BB56_13 Depth=1
	s_waitcnt lgkmcnt(6)
	global_store_short v[0:1], v8, off offset:1152
	s_or_b64 exec, exec, s[2:3]
	s_and_saveexec_b64 s[2:3], s[48:49]
	s_cbranch_execz .LBB56_264
.LBB56_296:                             ;   in Loop: Header=BB56_13 Depth=1
	s_waitcnt lgkmcnt(5)
	global_store_short v[0:1], v7, off offset:1280
	s_or_b64 exec, exec, s[2:3]
	s_and_saveexec_b64 s[2:3], s[50:51]
	s_cbranch_execz .LBB56_265
.LBB56_297:                             ;   in Loop: Header=BB56_13 Depth=1
	s_waitcnt lgkmcnt(4)
	global_store_short v[0:1], v6, off offset:1408
	s_or_b64 exec, exec, s[2:3]
	s_and_saveexec_b64 s[2:3], s[52:53]
	s_cbranch_execz .LBB56_266
.LBB56_298:                             ;   in Loop: Header=BB56_13 Depth=1
	s_waitcnt lgkmcnt(3)
	global_store_short v[0:1], v5, off offset:1536
	s_or_b64 exec, exec, s[2:3]
	s_and_saveexec_b64 s[2:3], s[54:55]
	s_cbranch_execz .LBB56_267
.LBB56_299:                             ;   in Loop: Header=BB56_13 Depth=1
	s_waitcnt lgkmcnt(2)
	global_store_short v[0:1], v4, off offset:1664
	s_or_b64 exec, exec, s[2:3]
	s_and_saveexec_b64 s[2:3], s[56:57]
	s_cbranch_execz .LBB56_268
.LBB56_300:                             ;   in Loop: Header=BB56_13 Depth=1
	s_waitcnt lgkmcnt(1)
	global_store_short v[0:1], v3, off offset:1792
	s_or_b64 exec, exec, s[2:3]
	s_and_saveexec_b64 s[2:3], s[58:59]
	s_cbranch_execz .LBB56_12
.LBB56_301:                             ;   in Loop: Header=BB56_13 Depth=1
	s_waitcnt lgkmcnt(0)
	global_store_short v[0:1], v2, off offset:1920
	s_branch .LBB56_12
.LBB56_302:
	s_endpgm
	.section	.rodata,"a",@progbits
	.p2align	6, 0x0
	.amdhsa_kernel _Z25selective_scan_fwd_kernelI32Selective_Scan_fwd_kernel_traitsILi128ELi16ELi1ELb1ELb1ELb1ELb1ELb1EN3c108BFloat16EffEEv13SSMParamsBase
		.amdhsa_group_segment_fixed_size 0
		.amdhsa_private_segment_fixed_size 0
		.amdhsa_kernarg_size 248
		.amdhsa_user_sgpr_count 2
		.amdhsa_user_sgpr_dispatch_ptr 0
		.amdhsa_user_sgpr_queue_ptr 0
		.amdhsa_user_sgpr_kernarg_segment_ptr 1
		.amdhsa_user_sgpr_dispatch_id 0
		.amdhsa_user_sgpr_kernarg_preload_length 0
		.amdhsa_user_sgpr_kernarg_preload_offset 0
		.amdhsa_user_sgpr_private_segment_size 0
		.amdhsa_uses_dynamic_stack 0
		.amdhsa_enable_private_segment 0
		.amdhsa_system_sgpr_workgroup_id_x 1
		.amdhsa_system_sgpr_workgroup_id_y 1
		.amdhsa_system_sgpr_workgroup_id_z 0
		.amdhsa_system_sgpr_workgroup_info 0
		.amdhsa_system_vgpr_workitem_id 0
		.amdhsa_next_free_vgpr 168
		.amdhsa_next_free_sgpr 100
		.amdhsa_accum_offset 168
		.amdhsa_reserve_vcc 1
		.amdhsa_float_round_mode_32 0
		.amdhsa_float_round_mode_16_64 0
		.amdhsa_float_denorm_mode_32 3
		.amdhsa_float_denorm_mode_16_64 3
		.amdhsa_dx10_clamp 1
		.amdhsa_ieee_mode 1
		.amdhsa_fp16_overflow 0
		.amdhsa_tg_split 0
		.amdhsa_exception_fp_ieee_invalid_op 0
		.amdhsa_exception_fp_denorm_src 0
		.amdhsa_exception_fp_ieee_div_zero 0
		.amdhsa_exception_fp_ieee_overflow 0
		.amdhsa_exception_fp_ieee_underflow 0
		.amdhsa_exception_fp_ieee_inexact 0
		.amdhsa_exception_int_div_zero 0
	.end_amdhsa_kernel
	.section	.text._Z25selective_scan_fwd_kernelI32Selective_Scan_fwd_kernel_traitsILi128ELi16ELi1ELb1ELb1ELb1ELb1ELb1EN3c108BFloat16EffEEv13SSMParamsBase,"axG",@progbits,_Z25selective_scan_fwd_kernelI32Selective_Scan_fwd_kernel_traitsILi128ELi16ELi1ELb1ELb1ELb1ELb1ELb1EN3c108BFloat16EffEEv13SSMParamsBase,comdat
.Lfunc_end56:
	.size	_Z25selective_scan_fwd_kernelI32Selective_Scan_fwd_kernel_traitsILi128ELi16ELi1ELb1ELb1ELb1ELb1ELb1EN3c108BFloat16EffEEv13SSMParamsBase, .Lfunc_end56-_Z25selective_scan_fwd_kernelI32Selective_Scan_fwd_kernel_traitsILi128ELi16ELi1ELb1ELb1ELb1ELb1ELb1EN3c108BFloat16EffEEv13SSMParamsBase
                                        ; -- End function
	.section	.AMDGPU.csdata,"",@progbits
; Kernel info:
; codeLenInByte = 25368
; NumSgprs: 106
; NumVgprs: 168
; NumAgprs: 0
; TotalNumVgprs: 168
; ScratchSize: 0
; MemoryBound: 0
; FloatMode: 240
; IeeeMode: 1
; LDSByteSize: 0 bytes/workgroup (compile time only)
; SGPRBlocks: 13
; VGPRBlocks: 20
; NumSGPRsForWavesPerEU: 106
; NumVGPRsForWavesPerEU: 168
; AccumOffset: 168
; Occupancy: 3
; WaveLimiterHint : 1
; COMPUTE_PGM_RSRC2:SCRATCH_EN: 0
; COMPUTE_PGM_RSRC2:USER_SGPR: 2
; COMPUTE_PGM_RSRC2:TRAP_HANDLER: 0
; COMPUTE_PGM_RSRC2:TGID_X_EN: 1
; COMPUTE_PGM_RSRC2:TGID_Y_EN: 1
; COMPUTE_PGM_RSRC2:TGID_Z_EN: 0
; COMPUTE_PGM_RSRC2:TIDIG_COMP_CNT: 0
; COMPUTE_PGM_RSRC3_GFX90A:ACCUM_OFFSET: 41
; COMPUTE_PGM_RSRC3_GFX90A:TG_SPLIT: 0
	.section	.text._Z25selective_scan_fwd_kernelI32Selective_Scan_fwd_kernel_traitsILi128ELi16ELi1ELb1ELb1ELb1ELb1ELb0EN3c108BFloat16EffEEv13SSMParamsBase,"axG",@progbits,_Z25selective_scan_fwd_kernelI32Selective_Scan_fwd_kernel_traitsILi128ELi16ELi1ELb1ELb1ELb1ELb1ELb0EN3c108BFloat16EffEEv13SSMParamsBase,comdat
	.protected	_Z25selective_scan_fwd_kernelI32Selective_Scan_fwd_kernel_traitsILi128ELi16ELi1ELb1ELb1ELb1ELb1ELb0EN3c108BFloat16EffEEv13SSMParamsBase ; -- Begin function _Z25selective_scan_fwd_kernelI32Selective_Scan_fwd_kernel_traitsILi128ELi16ELi1ELb1ELb1ELb1ELb1ELb0EN3c108BFloat16EffEEv13SSMParamsBase
	.globl	_Z25selective_scan_fwd_kernelI32Selective_Scan_fwd_kernel_traitsILi128ELi16ELi1ELb1ELb1ELb1ELb1ELb0EN3c108BFloat16EffEEv13SSMParamsBase
	.p2align	8
	.type	_Z25selective_scan_fwd_kernelI32Selective_Scan_fwd_kernel_traitsILi128ELi16ELi1ELb1ELb1ELb1ELb1ELb0EN3c108BFloat16EffEEv13SSMParamsBase,@function
_Z25selective_scan_fwd_kernelI32Selective_Scan_fwd_kernel_traitsILi128ELi16ELi1ELb1ELb1ELb1ELb1ELb0EN3c108BFloat16EffEEv13SSMParamsBase: ; @_Z25selective_scan_fwd_kernelI32Selective_Scan_fwd_kernel_traitsILi128ELi16ELi1ELb1ELb1ELb1ELb1ELb0EN3c108BFloat16EffEEv13SSMParamsBase
; %bb.0:
	s_load_dword s35, s[0:1], 0x18
	s_load_dwordx4 s[4:7], s[0:1], 0xe8
	s_mov_b32 s28, s3
                                        ; implicit-def: $vgpr167 : SGPR spill to VGPR lane
	s_waitcnt lgkmcnt(0)
	s_abs_i32 s34, s35
	v_cvt_f32_u32_e32 v1, s34
	s_cmp_eq_u64 s[6:7], 0
	v_rcp_iflag_f32_e32 v1, v1
	s_nop 0
	v_mul_f32_e32 v1, 0x4f7ffffe, v1
	v_cvt_u32_f32_e32 v1, v1
	s_nop 0
	v_readfirstlane_b32 s24, v1
	s_cbranch_scc1 .LBB57_2
; %bb.1:
	s_ashr_i32 s3, s2, 31
	s_add_u32 s6, s6, s2
	s_addc_u32 s7, s7, s3
	v_mov_b32_e32 v1, 0
	global_load_ubyte v1, v1, s[6:7]
	s_waitcnt vmcnt(0)
	v_and_b32_e32 v1, 1, v1
	v_cmp_eq_u32_e64 s[6:7], 1, v1
	s_branch .LBB57_3
.LBB57_2:
	s_mov_b64 s[6:7], 0
.LBB57_3:
	s_nop 0
	v_writelane_b32 v167, s6, 0
	s_cmp_eq_u64 s[4:5], 0
	s_nop 0
	v_writelane_b32 v167, s7, 1
	s_load_dwordx2 s[6:7], s[0:1], 0x20
	s_cbranch_scc1 .LBB57_5
; %bb.4:
	s_ashr_i32 s3, s2, 31
	s_lshl_b64 s[8:9], s[2:3], 2
	s_add_u32 s4, s4, s8
	s_addc_u32 s5, s5, s9
	s_load_dword s30, s[4:5], 0x0
	s_waitcnt lgkmcnt(0)
	s_ashr_i32 s31, s30, 31
	s_cmp_eq_u64 s[6:7], s[30:31]
	s_cbranch_scc0 .LBB57_6
	s_branch .LBB57_90
.LBB57_5:
	s_mov_b32 s30, s2
	s_ashr_i32 s31, s30, 31
	s_waitcnt lgkmcnt(0)
	s_cmp_eq_u64 s[6:7], s[30:31]
	s_cbranch_scc1 .LBB57_90
.LBB57_6:
	s_load_dwordx16 s[4:19], s[0:1], 0x88
	s_load_dwordx2 s[36:37], s[0:1], 0x8
	s_mov_b32 s33, 0
	s_mov_b32 s64, 0
	s_waitcnt lgkmcnt(0)
	s_cmp_eq_u64 s[10:11], 0
	s_cbranch_scc1 .LBB57_8
; %bb.7:
	s_ashr_i32 s29, s28, 31
	s_lshl_b64 s[20:21], s[28:29], 2
	s_add_u32 s10, s10, s20
	s_addc_u32 s11, s11, s21
	s_load_dword s64, s[10:11], 0x0
.LBB57_8:
	s_cmp_eq_u64 s[16:17], 0
	s_cbranch_scc1 .LBB57_10
; %bb.9:
	s_ashr_i32 s29, s28, 31
	s_lshl_b64 s[10:11], s[28:29], 2
	s_add_u32 s10, s16, s10
	s_addc_u32 s11, s17, s11
	s_load_dword s33, s[10:11], 0x0
.LBB57_10:
	s_cmp_lt_i32 s36, 1
	s_cbranch_scc1 .LBB57_90
; %bb.11:
	s_sub_i32 s3, 0, s34
	s_mul_i32 s3, s3, s24
	s_mul_hi_u32 s3, s24, s3
	s_abs_i32 s29, s28
	s_add_i32 s3, s24, s3
	s_load_dwordx8 s[68:75], s[0:1], 0x2c
	s_load_dwordx2 s[16:17], s[0:1], 0x7c
	s_load_dwordx4 s[20:23], s[0:1], 0x6c
	s_load_dwordx8 s[76:83], s[0:1], 0x4c
	s_load_dwordx2 s[10:11], s[0:1], 0xd8
	s_load_dwordx4 s[24:27], s[0:1], 0xc8
	s_load_dword s65, s[0:1], 0x84
	s_mul_hi_u32 s3, s29, s3
	s_load_dword s31, s[0:1], 0x28
	s_ashr_i32 s0, s28, 31
	s_ashr_i32 s1, s35, 31
	s_xor_b32 s0, s0, s1
	s_mul_i32 s1, s3, s34
	s_sub_i32 s1, s29, s1
	s_add_i32 s29, s3, 1
	s_sub_i32 s35, s1, s34
	s_cmp_ge_u32 s1, s34
	s_cselect_b32 s3, s29, s3
	s_cselect_b32 s1, s35, s1
	s_add_i32 s29, s3, 1
	s_cmp_ge_u32 s1, s34
	s_cselect_b32 s1, s29, s3
	s_xor_b32 s1, s1, s0
	s_waitcnt lgkmcnt(0)
	s_mul_i32 s92, s78, s2
	s_mov_b32 s93, 0
	s_sub_i32 s3, s1, s0
	s_lshl_b64 s[0:1], s[92:93], 1
	s_add_u32 s12, s12, s0
	s_mul_i32 s92, s79, s28
	s_addc_u32 s13, s13, s1
	s_lshl_b64 s[0:1], s[92:93], 1
	s_add_u32 s78, s12, s0
	s_mul_i32 s92, s80, s2
	s_addc_u32 s79, s13, s1
	;; [unrolled: 4-line block ×10, first 2 shown]
	s_lshl_b64 s[4:5], s[92:93], 2
	s_add_u32 s1, s1, s4
	s_addc_u32 s73, s3, s5
	s_add_i32 s3, s36, 0x7ff
	s_lshr_b32 s4, s3, 11
	s_bitcmp1_b32 s31, 0
	s_cselect_b64 s[88:89], -1, 0
	s_cmp_gt_i32 s37, 0
	s_cselect_b64 s[6:7], -1, 0
	v_writelane_b32 v167, s6, 2
	v_mbcnt_lo_u32_b32 v1, -1, 0
	v_mbcnt_hi_u32_b32 v2, -1, v1
	v_writelane_b32 v167, s7, 3
	v_writelane_b32 v167, s36, 4
	v_lshlrev_b32_e32 v1, 1, v0
	s_mul_i32 s92, s20, s2
	v_writelane_b32 v167, s37, 5
	v_writelane_b32 v167, s4, 6
	s_add_i32 s4, s4, -1
	v_and_b32_e32 v4, 0x80, v1
	s_add_i32 s6, 0, 0x1080
	s_and_b32 s7, s36, 0x7ff
	v_writelane_b32 v167, s4, 7
	s_lshl_b64 s[4:5], s[92:93], 1
	v_or_b32_e32 v1, v2, v4
	s_movk_i32 s3, 0x100
	s_add_u32 s8, s18, s4
	s_addc_u32 s9, s19, s5
	v_cmp_gt_u32_e64 s[4:5], s3, v1
	v_add_u32_e32 v3, 64, v1
	v_lshrrev_b32_e32 v5, 5, v1
	v_writelane_b32 v167, s4, 8
	s_mul_i32 s92, s21, s28
	v_add_u32_e32 v5, v5, v1
	v_writelane_b32 v167, s5, 9
	v_cmp_gt_u32_e64 s[4:5], s3, v3
	v_lshrrev_b32_e32 v3, 5, v3
	v_add_lshl_u32 v1, v3, v1, 4
	v_writelane_b32 v167, s4, 10
	v_and_b32_e32 v3, 64, v0
	v_lshl_add_u32 v96, v5, 4, 0
	v_writelane_b32 v167, s5, 11
	s_lshl_b64 s[4:5], s[92:93], 1
	v_add_u32_e32 v5, v2, v3
	s_add_u32 s30, s8, s4
	s_mul_i32 s92, s82, s2
	v_lshlrev_b32_e32 v6, 1, v5
	v_bfe_u32 v5, v5, 4, 27
	s_addc_u32 s31, s9, s5
	s_lshl_b64 s[4:5], s[92:93], 1
	v_add_lshl_u32 v5, v5, v6, 4
	s_add_u32 s3, s26, s4
	s_mul_i32 s92, s83, s28
	v_add_u32_e32 v99, s6, v1
	v_add_u32_e32 v100, s6, v5
	s_addc_u32 s6, s27, s5
	s_lshl_b64 s[4:5], s[92:93], 1
	s_add_u32 s34, s3, s4
	s_mul_i32 s92, s22, s2
	s_addc_u32 s35, s6, s5
	s_lshl_b64 s[2:3], s[92:93], 1
	s_add_u32 s4, s10, s2
	s_mul_i32 s92, s23, s28
	s_addc_u32 s5, s11, s3
	s_lshl_b64 s[2:3], s[92:93], 1
	s_add_u32 s2, s4, s2
	s_addc_u32 s3, s5, s3
	s_cmp_eq_u32 s7, 0
	s_cselect_b64 s[4:5], -1, 0
	v_add_u32_e32 v97, 0, v1
	v_writelane_b32 v167, s4, 12
	v_and_b32_e32 v1, 15, v2
	v_cmp_lt_u32_e64 s[6:7], 1, v1
	v_writelane_b32 v167, s5, 13
	v_cmp_eq_u32_e64 s[4:5], 0, v1
	v_cmp_lt_u32_e64 s[8:9], 3, v1
	v_cmp_lt_u32_e64 s[10:11], 7, v1
	v_and_b32_e32 v1, 16, v2
	v_cmp_ne_u32_e64 s[12:13], 0, v1
	v_or_b32_e32 v1, 63, v3
	v_cmp_eq_u32_e64 s[16:17], v1, v0
	v_lshrrev_b32_e32 v1, 3, v0
	v_and_b32_e32 v1, 8, v1
	v_add_u32_e32 v102, 0, v1
	v_and_b32_e32 v1, 1, v2
	v_cmp_eq_u32_e64 s[20:21], 0, v1
	v_add_u32_e32 v1, -1, v2
	v_and_b32_e32 v3, 64, v2
	v_cmp_lt_i32_e32 vcc, v1, v3
	v_mov_b32_e32 v41, 0
	v_lshlrev_b32_e32 v40, 4, v2
	v_cndmask_b32_e32 v1, v1, v2, vcc
	v_lshlrev_b32_e32 v101, 4, v0
	v_cmp_gt_u32_e64 s[18:19], 2, v0
	v_lshl_add_u32 v103, v0, 3, 0
	v_cmp_gt_u32_e64 s[22:23], 64, v0
	v_cmp_lt_u32_e64 s[24:25], 63, v0
	v_lshlrev_b32_e32 v104, 2, v1
	v_cmp_eq_u32_e64 s[26:27], 0, v0
	v_lshl_add_u64 v[0:1], s[30:31], 0, v[40:41]
	v_lshlrev_b32_e32 v6, 4, v4
	v_mov_b32_e32 v7, v41
	v_lshl_add_u64 v[42:43], v[0:1], 0, v[6:7]
	v_lshl_add_u64 v[0:1], s[34:35], 0, v[40:41]
	;; [unrolled: 1-line block ×4, first 2 shown]
	v_lshlrev_b32_e32 v48, 4, v4
	s_add_i32 s2, 0, 0x2110
	v_add_u32_e32 v98, 0, v5
	v_cmp_lt_u32_e64 s[14:15], 31, v2
	v_lshl_add_u64 v[46:47], v[0:1], 0, v[6:7]
	v_or_b32_e32 v105, 1, v101
	v_or_b32_e32 v165, 2, v101
	;; [unrolled: 1-line block ×12, first 2 shown]
	s_mov_b32 s34, 0x3fb8aa3b
	s_mov_b32 s35, 0xc2ce8ed0
	;; [unrolled: 1-line block ×5, first 2 shown]
                                        ; implicit-def: $vgpr0
	s_mov_b32 s39, 0x3f317218
	v_mov_b32_e32 v50, v48
	v_mov_b32_e32 v52, 0x3f317218
	s_mov_b32 s40, 0x33800000
	v_or_b32_e32 v117, 13, v101
	v_writelane_b32 v167, s2, 14
	v_or_b32_e32 v118, 14, v101
	s_mov_b32 s77, 0xc2fc0000
	v_or_b32_e32 v119, 15, v101
	s_movk_i32 s66, 0x7fff
	v_mov_b32_e32 v120, 0x3ecc95a3
	v_mov_b32_e32 v121, 0x7f800000
	;; [unrolled: 1-line block ×4, first 2 shown]
	v_lshlrev_b32_e32 v40, 4, v2
	v_mov_b32_e32 v51, v41
	v_mov_b32_e32 v124, 0x7fc0
	s_mov_b32 s41, 0
	v_cmp_eq_u32_e64 s[28:29], 0, v2
                                        ; implicit-def: $vgpr8_vgpr9
                                        ; implicit-def: $vgpr0_vgpr1
                                        ; implicit-def: $vgpr16_vgpr17
                                        ; implicit-def: $vgpr4_vgpr5
                                        ; implicit-def: $vgpr20_vgpr21
                                        ; implicit-def: $vgpr12_vgpr13
	s_branch .LBB57_13
.LBB57_12:                              ;   in Loop: Header=BB57_13 Depth=1
	s_or_b64 exec, exec, s[2:3]
	s_waitcnt vmcnt(0)
	ds_write_b128 v96, v[8:11]
	ds_write_b128 v97, v[0:3] offset:1024
	; wave barrier
	ds_read_b128 v[8:11], v98
	ds_read_b128 v[0:3], v98 offset:16
	s_mov_b32 s31, 0xbfb8aa3b
	s_mov_b32 s41, 0x42ce8ed0
	s_mov_b32 s42, 0xc2b17218
	s_waitcnt lgkmcnt(1)
	v_and_b32_e32 v28, 0xffff0000, v9
	v_mul_f32_e32 v24, 0xbfb8aa3b, v28
	v_fma_f32 v25, v28, s31, -v24
	v_rndne_f32_e32 v26, v24
	v_fmac_f32_e32 v25, 0xb2a5705f, v28
	v_sub_f32_e32 v24, v24, v26
	v_add_f32_e32 v24, v24, v25
	v_exp_f32_e32 v24, v24
	v_cvt_i32_f32_e32 v25, v26
	v_and_b32_e32 v29, 0xffff0000, v8
	v_cmp_nlt_f32_e32 vcc, s41, v28
	v_lshlrev_b32_e32 v31, 16, v9
	v_ldexp_f32 v24, v24, v25
	v_mul_f32_e32 v25, 0xbfb8aa3b, v29
	v_fma_f32 v26, v29, s31, -v25
	v_rndne_f32_e32 v27, v25
	v_fmac_f32_e32 v26, 0xb2a5705f, v29
	v_sub_f32_e32 v25, v25, v27
	v_add_f32_e32 v25, v25, v26
	v_exp_f32_e32 v26, v25
	v_cvt_i32_f32_e32 v27, v27
	v_cndmask_b32_e32 v24, 0, v24, vcc
	v_cmp_ngt_f32_e32 vcc, s42, v28
	v_lshlrev_b32_e32 v30, 16, v8
	s_mov_b32 s30, 0x5040100
	v_cndmask_b32_e32 v25, v121, v24, vcc
	v_ldexp_f32 v24, v26, v27
	v_mul_f32_e32 v26, 0xbfb8aa3b, v31
	v_rndne_f32_e32 v27, v26
	v_sub_f32_e32 v32, v26, v27
	v_fma_f32 v26, v31, s31, -v26
	v_fmac_f32_e32 v26, 0xb2a5705f, v31
	v_add_f32_e32 v26, v32, v26
	v_exp_f32_e32 v26, v26
	v_cvt_i32_f32_e32 v32, v27
	v_cmp_nlt_f32_e32 vcc, s41, v29
	s_waitcnt lgkmcnt(0)
	s_barrier
	v_cndmask_b32_e32 v24, 0, v24, vcc
	v_cmp_ngt_f32_e32 vcc, s42, v29
	s_add_u32 s80, s80, 0x1000
	s_nop 0
	v_cndmask_b32_e32 v27, v121, v24, vcc
	v_ldexp_f32 v24, v26, v32
	v_mul_f32_e32 v26, 0xbfb8aa3b, v30
	v_rndne_f32_e32 v32, v26
	v_sub_f32_e32 v33, v26, v32
	v_fma_f32 v26, v30, s31, -v26
	v_fmac_f32_e32 v26, 0xb2a5705f, v30
	v_add_f32_e32 v26, v33, v26
	v_exp_f32_e32 v26, v26
	v_cvt_i32_f32_e32 v32, v32
	v_cmp_nlt_f32_e32 vcc, s41, v31
	s_addc_u32 s81, s81, 0
	s_add_u32 s78, s78, 0x1000
	v_cndmask_b32_e32 v24, 0, v24, vcc
	v_cmp_ngt_f32_e32 vcc, s42, v31
	v_ldexp_f32 v26, v26, v32
	s_addc_u32 s79, s79, 0
	v_cndmask_b32_e32 v24, v121, v24, vcc
	v_pk_add_f32 v[24:25], v[24:25], 1.0 op_sel_hi:[1,0]
	v_cmp_nlt_f32_e32 vcc, s41, v30
	v_div_scale_f32 v32, s[2:3], v25, v25, v28
	v_rcp_f32_e32 v33, v32
	v_cndmask_b32_e32 v26, 0, v26, vcc
	v_cmp_ngt_f32_e32 vcc, s42, v30
	s_add_u32 s70, s70, 0x1000
	v_fma_f32 v34, -v32, v33, 1.0
	v_cndmask_b32_e32 v26, v121, v26, vcc
	v_fmac_f32_e32 v33, v34, v33
	v_div_scale_f32 v34, vcc, v28, v25, v28
	v_mul_f32_e32 v35, v34, v33
	v_fma_f32 v36, -v32, v35, v34
	v_fmac_f32_e32 v35, v36, v33
	v_fma_f32 v32, -v32, v35, v34
	v_div_scale_f32 v34, s[2:3], v24, v24, v31
	v_rcp_f32_e32 v36, v34
	v_div_fmas_f32 v32, v32, v33, v35
	v_div_fixup_f32 v25, v32, v25, v28
	v_pk_add_f32 v[26:27], v[26:27], 1.0 op_sel_hi:[1,0]
	v_fma_f32 v28, -v34, v36, 1.0
	v_fmac_f32_e32 v36, v28, v36
	v_div_scale_f32 v28, vcc, v31, v24, v31
	v_mul_f32_e32 v32, v28, v36
	v_fma_f32 v33, -v34, v32, v28
	v_fmac_f32_e32 v32, v33, v36
	v_div_scale_f32 v33, s[2:3], v27, v27, v29
	v_fma_f32 v28, -v34, v32, v28
	v_rcp_f32_e32 v34, v33
	v_div_fmas_f32 v28, v28, v36, v32
	v_div_fixup_f32 v24, v28, v24, v31
	v_pk_mul_f32 v[24:25], v[66:67], v[24:25]
	v_fma_f32 v28, -v33, v34, 1.0
	v_fmac_f32_e32 v34, v28, v34
	v_div_scale_f32 v28, vcc, v29, v27, v29
	v_mul_f32_e32 v31, v28, v34
	v_fma_f32 v32, -v33, v31, v28
	v_fmac_f32_e32 v31, v32, v34
	v_div_scale_f32 v32, s[2:3], v26, v26, v30
	v_fma_f32 v28, -v33, v31, v28
	v_rcp_f32_e32 v33, v32
	v_div_fmas_f32 v28, v28, v34, v31
	v_div_fixup_f32 v27, v28, v27, v29
	v_lshlrev_b32_e32 v35, 16, v11
	v_fma_f32 v28, -v32, v33, 1.0
	v_fmac_f32_e32 v33, v28, v33
	v_div_scale_f32 v28, vcc, v30, v26, v30
	v_mul_f32_e32 v29, v28, v33
	v_fma_f32 v31, -v32, v29, v28
	v_fmac_f32_e32 v29, v31, v33
	v_fma_f32 v28, -v32, v29, v28
	v_div_fmas_f32 v28, v28, v33, v29
	v_div_fixup_f32 v26, v28, v26, v30
	v_pk_mul_f32 v[26:27], v[68:69], v[26:27]
	v_bfe_u32 v30, v24, 16, 1
	v_bfe_u32 v28, v26, 16, 1
	;; [unrolled: 1-line block ×3, first 2 shown]
	v_add3_u32 v28, v26, v28, s66
	v_add3_u32 v29, v27, v29, s66
	v_lshrrev_b32_e32 v28, 16, v28
	v_cmp_o_f32_e32 vcc, v26, v26
	v_add3_u32 v30, v24, v30, s66
	v_lshrrev_b32_e32 v29, 16, v29
	v_cndmask_b32_e32 v28, v124, v28, vcc
	v_cmp_o_f32_e32 vcc, v27, v27
	v_and_b32_e32 v32, 0xffff0000, v11
	v_bfe_u32 v31, v25, 16, 1
	v_lshrrev_b32_e32 v30, 16, v30
	v_cndmask_b32_e32 v29, v124, v29, vcc
	v_cmp_o_f32_e32 vcc, v24, v24
	v_mul_f32_e32 v24, 0xbfb8aa3b, v32
	v_add3_u32 v31, v25, v31, s66
	v_cndmask_b32_e32 v30, v124, v30, vcc
	v_cmp_o_f32_e32 vcc, v25, v25
	v_fma_f32 v25, v32, s31, -v24
	v_rndne_f32_e32 v26, v24
	v_fmac_f32_e32 v25, 0xb2a5705f, v32
	v_sub_f32_e32 v24, v24, v26
	v_add_f32_e32 v24, v24, v25
	v_exp_f32_e32 v24, v24
	v_cvt_i32_f32_e32 v25, v26
	v_and_b32_e32 v33, 0xffff0000, v10
	v_lshrrev_b32_e32 v31, 16, v31
	v_cndmask_b32_e32 v31, v124, v31, vcc
	v_ldexp_f32 v24, v24, v25
	v_mul_f32_e32 v25, 0xbfb8aa3b, v33
	v_fma_f32 v26, v33, s31, -v25
	v_rndne_f32_e32 v27, v25
	v_fmac_f32_e32 v26, 0xb2a5705f, v33
	v_sub_f32_e32 v25, v25, v27
	v_add_f32_e32 v25, v25, v26
	v_exp_f32_e32 v26, v25
	v_cvt_i32_f32_e32 v27, v27
	v_cmp_nlt_f32_e32 vcc, s41, v32
	v_lshlrev_b32_e32 v34, 16, v10
	s_addc_u32 s71, s71, 0
	v_cndmask_b32_e32 v24, 0, v24, vcc
	v_cmp_ngt_f32_e32 vcc, s42, v32
	s_add_u32 s74, s74, 0x1000
	s_addc_u32 s75, s75, 0
	v_cndmask_b32_e32 v25, v121, v24, vcc
	v_ldexp_f32 v24, v26, v27
	v_mul_f32_e32 v26, 0xbfb8aa3b, v35
	v_rndne_f32_e32 v27, v26
	v_sub_f32_e32 v36, v26, v27
	v_fma_f32 v26, v35, s31, -v26
	v_fmac_f32_e32 v26, 0xb2a5705f, v35
	v_add_f32_e32 v26, v36, v26
	v_exp_f32_e32 v26, v26
	v_cvt_i32_f32_e32 v36, v27
	v_cmp_nlt_f32_e32 vcc, s41, v33
	s_nop 1
	v_cndmask_b32_e32 v24, 0, v24, vcc
	v_cmp_ngt_f32_e32 vcc, s42, v33
	s_nop 1
	v_cndmask_b32_e32 v27, v121, v24, vcc
	v_ldexp_f32 v24, v26, v36
	v_mul_f32_e32 v26, 0xbfb8aa3b, v34
	v_rndne_f32_e32 v36, v26
	v_sub_f32_e32 v37, v26, v36
	v_fma_f32 v26, v34, s31, -v26
	v_fmac_f32_e32 v26, 0xb2a5705f, v34
	v_add_f32_e32 v26, v37, v26
	v_exp_f32_e32 v26, v26
	v_cvt_i32_f32_e32 v36, v36
	v_cmp_nlt_f32_e32 vcc, s41, v35
	v_ldexp_f32 v26, v26, v36
	s_nop 0
	v_cndmask_b32_e32 v24, 0, v24, vcc
	v_cmp_ngt_f32_e32 vcc, s42, v35
	s_nop 1
	v_cndmask_b32_e32 v24, v121, v24, vcc
	v_pk_add_f32 v[24:25], v[24:25], 1.0 op_sel_hi:[1,0]
	v_cmp_nlt_f32_e32 vcc, s41, v34
	v_div_scale_f32 v36, s[2:3], v25, v25, v32
	v_rcp_f32_e32 v37, v36
	v_cndmask_b32_e32 v26, 0, v26, vcc
	v_cmp_ngt_f32_e32 vcc, s42, v34
	v_fma_f32 v38, -v36, v37, 1.0
	s_nop 0
	v_cndmask_b32_e32 v26, v121, v26, vcc
	v_fmac_f32_e32 v37, v38, v37
	v_div_scale_f32 v38, vcc, v32, v25, v32
	v_mul_f32_e32 v39, v38, v37
	v_fma_f32 v49, -v36, v39, v38
	v_fmac_f32_e32 v39, v49, v37
	v_fma_f32 v36, -v36, v39, v38
	v_div_scale_f32 v38, s[2:3], v24, v24, v35
	v_rcp_f32_e32 v49, v38
	v_div_fmas_f32 v36, v36, v37, v39
	v_div_fixup_f32 v25, v36, v25, v32
	v_pk_add_f32 v[26:27], v[26:27], 1.0 op_sel_hi:[1,0]
	v_fma_f32 v32, -v38, v49, 1.0
	v_fmac_f32_e32 v49, v32, v49
	v_div_scale_f32 v32, vcc, v35, v24, v35
	v_mul_f32_e32 v36, v32, v49
	v_fma_f32 v37, -v38, v36, v32
	v_fmac_f32_e32 v36, v37, v49
	v_div_scale_f32 v37, s[2:3], v27, v27, v33
	v_fma_f32 v32, -v38, v36, v32
	v_rcp_f32_e32 v38, v37
	v_div_fmas_f32 v32, v32, v49, v36
	v_div_fixup_f32 v24, v32, v24, v35
	v_pk_mul_f32 v[24:25], v[62:63], v[24:25]
	v_fma_f32 v32, -v37, v38, 1.0
	v_fmac_f32_e32 v38, v32, v38
	v_div_scale_f32 v32, vcc, v33, v27, v33
	v_mul_f32_e32 v35, v32, v38
	v_fma_f32 v36, -v37, v35, v32
	v_fmac_f32_e32 v35, v36, v38
	v_div_scale_f32 v36, s[2:3], v26, v26, v34
	v_fma_f32 v32, -v37, v35, v32
	v_rcp_f32_e32 v37, v36
	v_div_fmas_f32 v32, v32, v38, v35
	v_div_fixup_f32 v27, v32, v27, v33
	v_fma_f32 v32, -v36, v37, 1.0
	v_fmac_f32_e32 v37, v32, v37
	v_div_scale_f32 v32, vcc, v34, v26, v34
	v_mul_f32_e32 v33, v32, v37
	v_fma_f32 v35, -v36, v33, v32
	v_fmac_f32_e32 v33, v35, v37
	v_fma_f32 v32, -v36, v33, v32
	v_div_fmas_f32 v32, v32, v37, v33
	v_div_fixup_f32 v26, v32, v26, v34
	v_pk_mul_f32 v[26:27], v[64:65], v[26:27]
	v_bfe_u32 v34, v24, 16, 1
	v_bfe_u32 v32, v26, 16, 1
	;; [unrolled: 1-line block ×3, first 2 shown]
	v_add3_u32 v32, v26, v32, s66
	v_add3_u32 v33, v27, v33, s66
	v_lshrrev_b32_e32 v32, 16, v32
	v_cmp_o_f32_e32 vcc, v26, v26
	v_bfe_u32 v35, v25, 16, 1
	v_add3_u32 v34, v24, v34, s66
	v_lshrrev_b32_e32 v33, 16, v33
	v_cndmask_b32_e32 v26, v124, v32, vcc
	v_cmp_o_f32_e32 vcc, v27, v27
	v_add3_u32 v35, v25, v35, s66
	v_lshrrev_b32_e32 v34, 16, v34
	v_cndmask_b32_e32 v32, v124, v33, vcc
	v_cmp_o_f32_e32 vcc, v24, v24
	v_lshrrev_b32_e32 v35, 16, v35
	v_perm_b32 v26, v32, v26, s30
	v_cndmask_b32_e32 v24, v124, v34, vcc
	v_cmp_o_f32_e32 vcc, v25, v25
	s_nop 1
	v_cndmask_b32_e32 v25, v124, v35, vcc
	v_perm_b32 v27, v25, v24, s30
	v_perm_b32 v25, v31, v30, s30
	;; [unrolled: 1-line block ×3, first 2 shown]
	v_and_b32_e32 v28, 0xffff0000, v1
	ds_write_b128 v98, v[24:27]
	v_mul_f32_e32 v24, 0xbfb8aa3b, v28
	v_fma_f32 v25, v28, s31, -v24
	v_rndne_f32_e32 v26, v24
	v_fmac_f32_e32 v25, 0xb2a5705f, v28
	v_sub_f32_e32 v24, v24, v26
	v_add_f32_e32 v24, v24, v25
	v_exp_f32_e32 v24, v24
	v_cvt_i32_f32_e32 v25, v26
	v_and_b32_e32 v29, 0xffff0000, v0
	v_cmp_nlt_f32_e32 vcc, s41, v28
	v_lshlrev_b32_e32 v31, 16, v1
	v_ldexp_f32 v24, v24, v25
	v_mul_f32_e32 v25, 0xbfb8aa3b, v29
	v_fma_f32 v26, v29, s31, -v25
	v_rndne_f32_e32 v27, v25
	v_fmac_f32_e32 v26, 0xb2a5705f, v29
	v_sub_f32_e32 v25, v25, v27
	v_add_f32_e32 v25, v25, v26
	v_exp_f32_e32 v26, v25
	v_cvt_i32_f32_e32 v27, v27
	v_cndmask_b32_e32 v24, 0, v24, vcc
	v_cmp_ngt_f32_e32 vcc, s42, v28
	v_lshlrev_b32_e32 v30, 16, v0
	s_nop 0
	v_cndmask_b32_e32 v25, v121, v24, vcc
	v_ldexp_f32 v24, v26, v27
	v_mul_f32_e32 v26, 0xbfb8aa3b, v31
	v_rndne_f32_e32 v27, v26
	v_sub_f32_e32 v32, v26, v27
	v_fma_f32 v26, v31, s31, -v26
	v_fmac_f32_e32 v26, 0xb2a5705f, v31
	v_add_f32_e32 v26, v32, v26
	v_exp_f32_e32 v26, v26
	v_cvt_i32_f32_e32 v32, v27
	v_cmp_nlt_f32_e32 vcc, s41, v29
	s_nop 1
	v_cndmask_b32_e32 v24, 0, v24, vcc
	v_cmp_ngt_f32_e32 vcc, s42, v29
	s_nop 1
	v_cndmask_b32_e32 v27, v121, v24, vcc
	v_ldexp_f32 v24, v26, v32
	v_mul_f32_e32 v26, 0xbfb8aa3b, v30
	v_rndne_f32_e32 v32, v26
	v_sub_f32_e32 v33, v26, v32
	v_fma_f32 v26, v30, s31, -v26
	v_fmac_f32_e32 v26, 0xb2a5705f, v30
	v_add_f32_e32 v26, v33, v26
	v_exp_f32_e32 v26, v26
	v_cvt_i32_f32_e32 v32, v32
	v_cmp_nlt_f32_e32 vcc, s41, v31
	v_ldexp_f32 v26, v26, v32
	s_nop 0
	v_cndmask_b32_e32 v24, 0, v24, vcc
	v_cmp_ngt_f32_e32 vcc, s42, v31
	s_nop 1
	v_cndmask_b32_e32 v24, v121, v24, vcc
	v_pk_add_f32 v[24:25], v[24:25], 1.0 op_sel_hi:[1,0]
	v_cmp_nlt_f32_e32 vcc, s41, v30
	v_div_scale_f32 v32, s[2:3], v25, v25, v28
	v_rcp_f32_e32 v33, v32
	v_cndmask_b32_e32 v26, 0, v26, vcc
	v_cmp_ngt_f32_e32 vcc, s42, v30
	v_fma_f32 v34, -v32, v33, 1.0
	s_nop 0
	v_cndmask_b32_e32 v26, v121, v26, vcc
	v_fmac_f32_e32 v33, v34, v33
	v_div_scale_f32 v34, vcc, v28, v25, v28
	v_mul_f32_e32 v35, v34, v33
	v_fma_f32 v36, -v32, v35, v34
	v_fmac_f32_e32 v35, v36, v33
	v_fma_f32 v32, -v32, v35, v34
	v_div_scale_f32 v34, s[2:3], v24, v24, v31
	v_rcp_f32_e32 v36, v34
	v_div_fmas_f32 v32, v32, v33, v35
	v_div_fixup_f32 v25, v32, v25, v28
	v_pk_add_f32 v[26:27], v[26:27], 1.0 op_sel_hi:[1,0]
	v_fma_f32 v28, -v34, v36, 1.0
	v_fmac_f32_e32 v36, v28, v36
	v_div_scale_f32 v28, vcc, v31, v24, v31
	v_mul_f32_e32 v32, v28, v36
	v_fma_f32 v33, -v34, v32, v28
	v_fmac_f32_e32 v32, v33, v36
	v_div_scale_f32 v33, s[2:3], v27, v27, v29
	v_fma_f32 v28, -v34, v32, v28
	v_rcp_f32_e32 v34, v33
	v_div_fmas_f32 v28, v28, v36, v32
	v_div_fixup_f32 v24, v28, v24, v31
	v_pk_mul_f32 v[24:25], v[58:59], v[24:25]
	v_fma_f32 v28, -v33, v34, 1.0
	v_fmac_f32_e32 v34, v28, v34
	v_div_scale_f32 v28, vcc, v29, v27, v29
	v_mul_f32_e32 v31, v28, v34
	v_fma_f32 v32, -v33, v31, v28
	v_fmac_f32_e32 v31, v32, v34
	v_div_scale_f32 v32, s[2:3], v26, v26, v30
	v_fma_f32 v28, -v33, v31, v28
	v_rcp_f32_e32 v33, v32
	v_div_fmas_f32 v28, v28, v34, v31
	v_div_fixup_f32 v27, v28, v27, v29
	v_lshlrev_b32_e32 v35, 16, v3
	v_fma_f32 v28, -v32, v33, 1.0
	v_fmac_f32_e32 v33, v28, v33
	v_div_scale_f32 v28, vcc, v30, v26, v30
	v_mul_f32_e32 v29, v28, v33
	v_fma_f32 v31, -v32, v29, v28
	v_fmac_f32_e32 v29, v31, v33
	v_fma_f32 v28, -v32, v29, v28
	v_div_fmas_f32 v28, v28, v33, v29
	v_div_fixup_f32 v26, v28, v26, v30
	v_pk_mul_f32 v[26:27], v[60:61], v[26:27]
	v_bfe_u32 v30, v24, 16, 1
	v_bfe_u32 v28, v26, 16, 1
	;; [unrolled: 1-line block ×3, first 2 shown]
	v_add3_u32 v28, v26, v28, s66
	v_add3_u32 v29, v27, v29, s66
	v_lshrrev_b32_e32 v28, 16, v28
	v_cmp_o_f32_e32 vcc, v26, v26
	v_add3_u32 v30, v24, v30, s66
	v_lshrrev_b32_e32 v29, 16, v29
	v_cndmask_b32_e32 v28, v124, v28, vcc
	v_cmp_o_f32_e32 vcc, v27, v27
	v_and_b32_e32 v32, 0xffff0000, v3
	v_bfe_u32 v31, v25, 16, 1
	v_lshrrev_b32_e32 v30, 16, v30
	v_cndmask_b32_e32 v29, v124, v29, vcc
	v_cmp_o_f32_e32 vcc, v24, v24
	v_mul_f32_e32 v24, 0xbfb8aa3b, v32
	v_add3_u32 v31, v25, v31, s66
	v_cndmask_b32_e32 v30, v124, v30, vcc
	v_cmp_o_f32_e32 vcc, v25, v25
	v_fma_f32 v25, v32, s31, -v24
	v_rndne_f32_e32 v26, v24
	v_fmac_f32_e32 v25, 0xb2a5705f, v32
	v_sub_f32_e32 v24, v24, v26
	v_add_f32_e32 v24, v24, v25
	v_exp_f32_e32 v24, v24
	v_cvt_i32_f32_e32 v25, v26
	v_and_b32_e32 v33, 0xffff0000, v2
	v_lshrrev_b32_e32 v31, 16, v31
	v_cndmask_b32_e32 v31, v124, v31, vcc
	v_ldexp_f32 v24, v24, v25
	v_mul_f32_e32 v25, 0xbfb8aa3b, v33
	v_fma_f32 v26, v33, s31, -v25
	v_rndne_f32_e32 v27, v25
	v_fmac_f32_e32 v26, 0xb2a5705f, v33
	v_sub_f32_e32 v25, v25, v27
	v_add_f32_e32 v25, v25, v26
	v_exp_f32_e32 v26, v25
	v_cvt_i32_f32_e32 v27, v27
	v_cmp_nlt_f32_e32 vcc, s41, v32
	v_lshlrev_b32_e32 v34, 16, v2
	s_nop 0
	v_cndmask_b32_e32 v24, 0, v24, vcc
	v_cmp_ngt_f32_e32 vcc, s42, v32
	s_nop 1
	v_cndmask_b32_e32 v25, v121, v24, vcc
	v_ldexp_f32 v24, v26, v27
	v_mul_f32_e32 v26, 0xbfb8aa3b, v35
	v_rndne_f32_e32 v27, v26
	v_sub_f32_e32 v36, v26, v27
	v_fma_f32 v26, v35, s31, -v26
	v_fmac_f32_e32 v26, 0xb2a5705f, v35
	v_add_f32_e32 v26, v36, v26
	v_exp_f32_e32 v26, v26
	v_cvt_i32_f32_e32 v36, v27
	v_cmp_nlt_f32_e32 vcc, s41, v33
	s_nop 1
	v_cndmask_b32_e32 v24, 0, v24, vcc
	v_cmp_ngt_f32_e32 vcc, s42, v33
	s_nop 1
	v_cndmask_b32_e32 v27, v121, v24, vcc
	v_ldexp_f32 v24, v26, v36
	v_mul_f32_e32 v26, 0xbfb8aa3b, v34
	v_rndne_f32_e32 v36, v26
	v_sub_f32_e32 v37, v26, v36
	v_fma_f32 v26, v34, s31, -v26
	v_fmac_f32_e32 v26, 0xb2a5705f, v34
	v_add_f32_e32 v26, v37, v26
	v_exp_f32_e32 v26, v26
	v_cvt_i32_f32_e32 v36, v36
	v_cmp_nlt_f32_e32 vcc, s41, v35
	v_ldexp_f32 v26, v26, v36
	s_nop 0
	v_cndmask_b32_e32 v24, 0, v24, vcc
	v_cmp_ngt_f32_e32 vcc, s42, v35
	s_nop 1
	v_cndmask_b32_e32 v24, v121, v24, vcc
	v_pk_add_f32 v[24:25], v[24:25], 1.0 op_sel_hi:[1,0]
	v_cmp_nlt_f32_e32 vcc, s41, v34
	v_div_scale_f32 v36, s[2:3], v25, v25, v32
	v_rcp_f32_e32 v37, v36
	v_cndmask_b32_e32 v26, 0, v26, vcc
	v_cmp_ngt_f32_e32 vcc, s42, v34
	v_readlane_b32 s41, v167, 15
	v_fma_f32 v38, -v36, v37, 1.0
	v_cndmask_b32_e32 v26, v121, v26, vcc
	v_fmac_f32_e32 v37, v38, v37
	v_div_scale_f32 v38, vcc, v32, v25, v32
	v_mul_f32_e32 v39, v38, v37
	v_fma_f32 v49, -v36, v39, v38
	v_fmac_f32_e32 v39, v49, v37
	v_fma_f32 v36, -v36, v39, v38
	v_div_scale_f32 v38, s[2:3], v24, v24, v35
	v_rcp_f32_e32 v49, v38
	v_div_fmas_f32 v36, v36, v37, v39
	v_div_fixup_f32 v25, v36, v25, v32
	v_pk_add_f32 v[26:27], v[26:27], 1.0 op_sel_hi:[1,0]
	v_fma_f32 v32, -v38, v49, 1.0
	v_fmac_f32_e32 v49, v32, v49
	v_div_scale_f32 v32, vcc, v35, v24, v35
	v_mul_f32_e32 v36, v32, v49
	v_fma_f32 v37, -v38, v36, v32
	v_fmac_f32_e32 v36, v37, v49
	v_div_scale_f32 v37, s[2:3], v27, v27, v33
	v_fma_f32 v32, -v38, v36, v32
	v_rcp_f32_e32 v38, v37
	v_div_fmas_f32 v32, v32, v49, v36
	v_div_fixup_f32 v24, v32, v24, v35
	v_pk_mul_f32 v[24:25], v[54:55], v[24:25]
	v_fma_f32 v32, -v37, v38, 1.0
	v_fmac_f32_e32 v38, v32, v38
	v_div_scale_f32 v32, vcc, v33, v27, v33
	v_mul_f32_e32 v35, v32, v38
	v_fma_f32 v36, -v37, v35, v32
	v_fmac_f32_e32 v35, v36, v38
	v_div_scale_f32 v36, s[2:3], v26, v26, v34
	v_fma_f32 v32, -v37, v35, v32
	v_rcp_f32_e32 v37, v36
	v_div_fmas_f32 v32, v32, v38, v35
	v_div_fixup_f32 v27, v32, v27, v33
	s_add_i32 s41, s41, 1
	v_fma_f32 v32, -v36, v37, 1.0
	v_fmac_f32_e32 v37, v32, v37
	v_div_scale_f32 v32, vcc, v34, v26, v34
	v_mul_f32_e32 v33, v32, v37
	v_fma_f32 v35, -v36, v33, v32
	v_fmac_f32_e32 v33, v35, v37
	v_fma_f32 v32, -v36, v33, v32
	v_div_fmas_f32 v32, v32, v37, v33
	v_div_fixup_f32 v26, v32, v26, v34
	v_pk_mul_f32 v[26:27], v[56:57], v[26:27]
	v_bfe_u32 v34, v24, 16, 1
	v_bfe_u32 v32, v26, 16, 1
	;; [unrolled: 1-line block ×3, first 2 shown]
	v_add3_u32 v32, v26, v32, s66
	v_add3_u32 v33, v27, v33, s66
	v_lshrrev_b32_e32 v32, 16, v32
	v_cmp_o_f32_e32 vcc, v26, v26
	v_bfe_u32 v35, v25, 16, 1
	v_add3_u32 v34, v24, v34, s66
	v_lshrrev_b32_e32 v33, 16, v33
	v_cndmask_b32_e32 v26, v124, v32, vcc
	v_cmp_o_f32_e32 vcc, v27, v27
	v_add3_u32 v35, v25, v35, s66
	v_lshrrev_b32_e32 v34, 16, v34
	v_cndmask_b32_e32 v32, v124, v33, vcc
	v_cmp_o_f32_e32 vcc, v24, v24
	v_lshrrev_b32_e32 v35, 16, v35
	v_perm_b32 v26, v32, v26, s30
	v_cndmask_b32_e32 v24, v124, v34, vcc
	v_cmp_o_f32_e32 vcc, v25, v25
	v_readlane_b32 s2, v167, 6
	v_lshl_add_u64 v[32:33], s[84:85], 1, v[46:47]
	v_cndmask_b32_e32 v25, v124, v35, vcc
	v_perm_b32 v27, v25, v24, s30
	v_perm_b32 v25, v31, v30, s30
	;; [unrolled: 1-line block ×3, first 2 shown]
	ds_write_b128 v98, v[24:27] offset:16
	; wave barrier
	ds_read_b128 v[24:27], v96
	ds_read_b128 v[28:31], v97 offset:1024
	s_cmp_eq_u32 s41, s2
	s_waitcnt lgkmcnt(1)
	global_store_short v[32:33], v24, off
	v_alignbit_b32 v35, v26, v25, 16
	v_alignbit_b32 v34, v25, v24, 16
	v_alignbit_b32 v24, v27, v26, 16
	global_store_short_d16_hi v[32:33], v27, off offset:14
	global_store_dword v[32:33], v24, off offset:10
	global_store_dwordx2 v[32:33], v[34:35], off offset:2
	s_waitcnt lgkmcnt(0)
	global_store_dwordx4 v[32:33], v[28:31], off offset:1024
	s_cbranch_scc1 .LBB57_90
.LBB57_13:                              ; =>This Loop Header: Depth=1
                                        ;     Child Loop BB57_56 Depth 2
	v_lshl_add_u64 v[24:25], s[78:79], 0, v[40:41]
	v_lshl_add_u64 v[24:25], v[24:25], 0, v[50:51]
	s_barrier
	s_mov_b64 s[2:3], exec
	v_readlane_b32 s30, v167, 8
	v_readlane_b32 s31, v167, 9
	s_and_b64 s[30:31], s[2:3], s[30:31]
	s_mov_b64 exec, s[30:31]
	s_cbranch_execz .LBB57_15
; %bb.14:                               ;   in Loop: Header=BB57_13 Depth=1
	global_load_dwordx4 v[20:23], v[24:25], off
.LBB57_15:                              ;   in Loop: Header=BB57_13 Depth=1
	s_or_b64 exec, exec, s[2:3]
	s_mov_b64 s[2:3], exec
	v_readlane_b32 s30, v167, 10
	v_readlane_b32 s31, v167, 11
	s_and_b64 s[30:31], s[2:3], s[30:31]
	s_mov_b64 exec, s[30:31]
	s_cbranch_execz .LBB57_17
; %bb.16:                               ;   in Loop: Header=BB57_13 Depth=1
	global_load_dwordx4 v[12:15], v[24:25], off offset:1024
.LBB57_17:                              ;   in Loop: Header=BB57_13 Depth=1
	s_or_b64 exec, exec, s[2:3]
	s_waitcnt vmcnt(0)
	ds_write_b128 v96, v[20:23]
	ds_write_b128 v97, v[12:15] offset:1024
	; wave barrier
	ds_read_b128 v[20:23], v98
	ds_read_b128 v[12:15], v98 offset:16
	v_lshl_add_u64 v[24:25], s[80:81], 0, v[40:41]
	v_mov_b32_e32 v49, v41
	v_lshl_add_u64 v[24:25], v[24:25], 0, v[48:49]
	s_waitcnt lgkmcnt(0)
	s_barrier
	s_mov_b64 s[2:3], exec
	v_readlane_b32 s30, v167, 8
	v_readlane_b32 s31, v167, 9
	s_and_b64 s[30:31], s[2:3], s[30:31]
	s_mov_b64 exec, s[30:31]
	s_cbranch_execz .LBB57_19
; %bb.18:                               ;   in Loop: Header=BB57_13 Depth=1
	global_load_dwordx4 v[16:19], v[24:25], off
.LBB57_19:                              ;   in Loop: Header=BB57_13 Depth=1
	s_or_b64 exec, exec, s[2:3]
	s_mov_b64 s[2:3], exec
	v_readlane_b32 s30, v167, 10
	v_readlane_b32 s31, v167, 11
	s_and_b64 s[30:31], s[2:3], s[30:31]
	s_mov_b64 exec, s[30:31]
	s_cbranch_execz .LBB57_21
; %bb.20:                               ;   in Loop: Header=BB57_13 Depth=1
	global_load_dwordx4 v[4:7], v[24:25], off offset:1024
.LBB57_21:                              ;   in Loop: Header=BB57_13 Depth=1
	s_or_b64 exec, exec, s[2:3]
	s_waitcnt vmcnt(0)
	ds_write_b128 v96, v[16:19]
	ds_write_b128 v97, v[4:7] offset:1024
	; wave barrier
	ds_read_b128 v[16:19], v98
	ds_read_b128 v[4:7], v98 offset:16
	s_mov_b32 s2, 0x41a00000
	s_waitcnt lgkmcnt(1)
	v_lshlrev_b32_e32 v24, 16, v16
	v_add_f32_e32 v125, s33, v24
	v_cmp_ge_f32_e32 vcc, s2, v125
	s_and_b64 s[2:3], s[88:89], vcc
	s_and_saveexec_b64 s[30:31], s[2:3]
	s_cbranch_execz .LBB57_23
; %bb.22:                               ;   in Loop: Header=BB57_13 Depth=1
	v_mul_f32_e32 v24, 0x3fb8aa3b, v125
	v_rndne_f32_e32 v25, v24
	v_sub_f32_e32 v26, v24, v25
	v_fma_f32 v24, v125, s34, -v24
	v_fmac_f32_e32 v24, 0x32a5705f, v125
	v_add_f32_e32 v24, v26, v24
	v_cvt_i32_f32_e32 v25, v25
	v_exp_f32_e32 v24, v24
	v_cmp_ngt_f32_e32 vcc, s35, v125
	v_ldexp_f32 v24, v24, v25
	s_nop 0
	v_cndmask_b32_e32 v24, 0, v24, vcc
	v_cmp_nlt_f32_e32 vcc, s36, v125
	s_nop 1
	v_cndmask_b32_e32 v49, v121, v24, vcc
	v_add_f32_e32 v26, 1.0, v49
	v_add_f32_e32 v24, -1.0, v26
	v_sub_f32_e32 v25, v24, v26
	v_add_f32_e32 v25, 1.0, v25
	v_sub_f32_e32 v24, v49, v24
	v_add_f32_e32 v27, v24, v25
	v_frexp_mant_f32_e32 v28, v26
	v_cvt_f64_f32_e32 v[24:25], v26
	v_frexp_exp_i32_f64_e32 v24, v[24:25]
	v_cmp_gt_f32_e32 vcc, s38, v28
	v_cmp_gt_f32_e64 s[2:3], s40, v49
	s_nop 0
	v_subbrev_co_u32_e32 v32, vcc, 0, v24, vcc
	v_sub_u32_e32 v24, 0, v32
	v_ldexp_f32 v25, v26, v24
	v_add_f32_e32 v26, -1.0, v25
	v_add_f32_e32 v28, 1.0, v25
	v_ldexp_f32 v24, v27, v24
	v_add_f32_e32 v27, 1.0, v26
	v_add_f32_e32 v29, -1.0, v28
	v_sub_f32_e32 v27, v25, v27
	v_sub_f32_e32 v25, v25, v29
	v_add_f32_e32 v27, v24, v27
	v_add_f32_e32 v24, v24, v25
	;; [unrolled: 1-line block ×3, first 2 shown]
	v_rcp_f32_e32 v35, v33
	v_sub_f32_e32 v25, v28, v33
	v_add_f32_e32 v34, v24, v25
	v_add_f32_e32 v25, v26, v27
	v_mul_f32_e32 v37, v25, v35
	v_sub_f32_e32 v24, v26, v25
	v_mul_f32_e32 v26, v33, v37
	v_fma_f32 v28, v37, v33, -v26
	v_fmac_f32_e32 v28, v37, v34
	v_add_f32_e32 v36, v27, v24
	v_add_f32_e32 v24, v26, v28
	v_sub_f32_e32 v27, v25, v24
	v_pk_add_f32 v[30:31], v[24:25], v[26:27] neg_lo:[0,1] neg_hi:[0,1]
	v_mov_b32_e32 v29, v24
	v_pk_add_f32 v[24:25], v[30:31], v[28:29] neg_lo:[0,1] neg_hi:[0,1]
	v_cmp_eq_f32_e32 vcc, s37, v49
	v_add_f32_e32 v25, v36, v25
	v_add_f32_e32 v24, v24, v25
	;; [unrolled: 1-line block ×3, first 2 shown]
	v_mul_f32_e32 v36, v35, v25
	v_mul_f32_e32 v26, v33, v36
	v_fma_f32 v28, v36, v33, -v26
	v_fmac_f32_e32 v28, v36, v34
	v_sub_f32_e32 v27, v27, v25
	v_add_f32_e32 v33, v24, v27
	v_add_f32_e32 v24, v26, v28
	v_sub_f32_e32 v27, v25, v24
	v_pk_add_f32 v[30:31], v[24:25], v[26:27] neg_lo:[0,1] neg_hi:[0,1]
	v_mov_b32_e32 v29, v24
	v_pk_add_f32 v[24:25], v[30:31], v[28:29] neg_lo:[0,1] neg_hi:[0,1]
	s_or_b64 vcc, s[2:3], vcc
	v_add_f32_e32 v25, v33, v25
	v_add_f32_e32 v24, v24, v25
	;; [unrolled: 1-line block ×4, first 2 shown]
	v_sub_f32_e32 v26, v25, v37
	v_mul_f32_e32 v24, v35, v24
	v_sub_f32_e32 v26, v36, v26
	v_add_f32_e32 v26, v26, v24
	v_add_f32_e32 v28, v25, v26
	v_mul_f32_e32 v29, v28, v28
	v_fmamk_f32 v24, v29, 0x3e9b6dac, v120
	v_fmaak_f32 v53, v29, v24, 0x3f2aaada
	v_cvt_f32_i32_e32 v24, v32
	v_sub_f32_e32 v25, v28, v25
	v_sub_f32_e32 v25, v26, v25
	v_ldexp_f32 v30, v25, 1
	v_mul_f32_e32 v25, v28, v29
	v_ldexp_f32 v27, v28, 1
	v_pk_mul_f32 v[28:29], v[24:25], v[52:53]
	s_nop 0
	v_fma_f32 v26, v24, s39, -v28
	v_fmac_f32_e32 v26, 0xb102e308, v24
	v_pk_add_f32 v[24:25], v[28:29], v[26:27]
	s_nop 0
	v_sub_f32_e32 v27, v25, v27
	v_sub_f32_e32 v27, v29, v27
	v_add_f32_e32 v31, v30, v27
	v_mov_b32_e32 v30, v28
	v_pk_add_f32 v[28:29], v[24:25], v[28:29] neg_lo:[0,1] neg_hi:[0,1]
	v_pk_add_f32 v[32:33], v[24:25], v[30:31]
	v_mov_b32_e32 v27, v24
	v_mov_b32_e32 v29, v33
	v_pk_add_f32 v[34:35], v[26:27], v[28:29] neg_lo:[0,1] neg_hi:[0,1]
	v_pk_add_f32 v[26:27], v[26:27], v[28:29]
	v_mov_b32_e32 v30, v31
	v_mov_b32_e32 v28, v27
	v_pk_add_f32 v[36:37], v[28:29], v[24:25] neg_lo:[0,1] neg_hi:[0,1]
	v_mov_b32_e32 v26, v33
	v_mov_b32_e32 v29, v36
	v_pk_add_f32 v[38:39], v[32:33], v[28:29] neg_lo:[0,1] neg_hi:[0,1]
	v_mov_b32_e32 v32, v25
	v_mov_b32_e32 v33, v36
	;; [unrolled: 1-line block ×3, first 2 shown]
	v_pk_add_f32 v[26:27], v[26:27], v[32:33] neg_lo:[0,1] neg_hi:[0,1]
	v_mov_b32_e32 v31, v24
	v_pk_add_f32 v[24:25], v[30:31], v[26:27] neg_lo:[0,1] neg_hi:[0,1]
	v_mov_b32_e32 v38, v34
	v_pk_add_f32 v[26:27], v[38:39], v[24:25]
	s_nop 0
	v_mov_b32_e32 v30, v27
	v_pk_add_f32 v[30:31], v[26:27], v[30:31]
	s_nop 0
	v_pk_add_f32 v[28:29], v[28:29], v[30:31]
	v_mov_b32_e32 v25, v30
	v_mov_b32_e32 v27, v28
	v_pk_add_f32 v[32:33], v[26:27], v[34:35] neg_lo:[0,1] neg_hi:[0,1]
	s_nop 0
	v_sub_f32_e32 v26, v26, v32
	v_pk_add_f32 v[24:25], v[24:25], v[32:33] neg_lo:[0,1] neg_hi:[0,1]
	v_sub_f32_e32 v26, v34, v26
	v_add_f32_e32 v24, v24, v26
	v_add_f32_e32 v24, v24, v25
	;; [unrolled: 1-line block ×3, first 2 shown]
	v_cndmask_b32_e32 v125, v24, v49, vcc
.LBB57_23:                              ;   in Loop: Header=BB57_13 Depth=1
	s_or_b64 exec, exec, s[30:31]
	v_and_b32_e32 v24, 0xffff0000, v16
	v_add_f32_e32 v126, s33, v24
	s_mov_b32 s2, 0x41a00000
	v_cmp_ge_f32_e32 vcc, s2, v126
	s_and_b64 s[2:3], s[88:89], vcc
	s_and_saveexec_b64 s[30:31], s[2:3]
	s_cbranch_execz .LBB57_25
; %bb.24:                               ;   in Loop: Header=BB57_13 Depth=1
	v_mul_f32_e32 v24, 0x3fb8aa3b, v126
	v_rndne_f32_e32 v25, v24
	v_sub_f32_e32 v26, v24, v25
	v_fma_f32 v24, v126, s34, -v24
	v_fmac_f32_e32 v24, 0x32a5705f, v126
	v_add_f32_e32 v24, v26, v24
	v_cvt_i32_f32_e32 v25, v25
	v_exp_f32_e32 v24, v24
	v_cmp_ngt_f32_e32 vcc, s35, v126
	v_ldexp_f32 v24, v24, v25
	s_nop 0
	v_cndmask_b32_e32 v24, 0, v24, vcc
	v_cmp_nlt_f32_e32 vcc, s36, v126
	s_nop 1
	v_cndmask_b32_e32 v49, v121, v24, vcc
	v_add_f32_e32 v26, 1.0, v49
	v_add_f32_e32 v24, -1.0, v26
	v_sub_f32_e32 v25, v24, v26
	v_add_f32_e32 v25, 1.0, v25
	v_sub_f32_e32 v24, v49, v24
	v_add_f32_e32 v27, v24, v25
	v_frexp_mant_f32_e32 v28, v26
	v_cvt_f64_f32_e32 v[24:25], v26
	v_frexp_exp_i32_f64_e32 v24, v[24:25]
	v_cmp_gt_f32_e32 vcc, s38, v28
	v_cmp_gt_f32_e64 s[2:3], s40, v49
	s_nop 0
	v_subbrev_co_u32_e32 v32, vcc, 0, v24, vcc
	v_sub_u32_e32 v24, 0, v32
	v_ldexp_f32 v25, v26, v24
	v_add_f32_e32 v26, -1.0, v25
	v_add_f32_e32 v28, 1.0, v25
	v_ldexp_f32 v24, v27, v24
	v_add_f32_e32 v27, 1.0, v26
	v_add_f32_e32 v29, -1.0, v28
	v_sub_f32_e32 v27, v25, v27
	v_sub_f32_e32 v25, v25, v29
	v_add_f32_e32 v27, v24, v27
	v_add_f32_e32 v24, v24, v25
	;; [unrolled: 1-line block ×3, first 2 shown]
	v_rcp_f32_e32 v35, v33
	v_sub_f32_e32 v25, v28, v33
	v_add_f32_e32 v34, v24, v25
	v_add_f32_e32 v25, v26, v27
	v_mul_f32_e32 v37, v25, v35
	v_sub_f32_e32 v24, v26, v25
	v_mul_f32_e32 v26, v33, v37
	v_fma_f32 v28, v37, v33, -v26
	v_fmac_f32_e32 v28, v37, v34
	v_add_f32_e32 v36, v27, v24
	v_add_f32_e32 v24, v26, v28
	v_sub_f32_e32 v27, v25, v24
	v_pk_add_f32 v[30:31], v[24:25], v[26:27] neg_lo:[0,1] neg_hi:[0,1]
	v_mov_b32_e32 v29, v24
	v_pk_add_f32 v[24:25], v[30:31], v[28:29] neg_lo:[0,1] neg_hi:[0,1]
	v_cmp_eq_f32_e32 vcc, s37, v49
	v_add_f32_e32 v25, v36, v25
	v_add_f32_e32 v24, v24, v25
	;; [unrolled: 1-line block ×3, first 2 shown]
	v_mul_f32_e32 v36, v35, v25
	v_mul_f32_e32 v26, v33, v36
	v_fma_f32 v28, v36, v33, -v26
	v_fmac_f32_e32 v28, v36, v34
	v_sub_f32_e32 v27, v27, v25
	v_add_f32_e32 v33, v24, v27
	v_add_f32_e32 v24, v26, v28
	v_sub_f32_e32 v27, v25, v24
	v_pk_add_f32 v[30:31], v[24:25], v[26:27] neg_lo:[0,1] neg_hi:[0,1]
	v_mov_b32_e32 v29, v24
	v_pk_add_f32 v[24:25], v[30:31], v[28:29] neg_lo:[0,1] neg_hi:[0,1]
	s_or_b64 vcc, s[2:3], vcc
	v_add_f32_e32 v25, v33, v25
	v_add_f32_e32 v24, v24, v25
	;; [unrolled: 1-line block ×4, first 2 shown]
	v_sub_f32_e32 v26, v25, v37
	v_mul_f32_e32 v24, v35, v24
	v_sub_f32_e32 v26, v36, v26
	v_add_f32_e32 v26, v26, v24
	v_add_f32_e32 v28, v25, v26
	v_mul_f32_e32 v29, v28, v28
	v_fmamk_f32 v24, v29, 0x3e9b6dac, v120
	v_fmaak_f32 v53, v29, v24, 0x3f2aaada
	v_cvt_f32_i32_e32 v24, v32
	v_sub_f32_e32 v25, v28, v25
	v_sub_f32_e32 v25, v26, v25
	v_ldexp_f32 v30, v25, 1
	v_mul_f32_e32 v25, v28, v29
	v_ldexp_f32 v27, v28, 1
	v_pk_mul_f32 v[28:29], v[24:25], v[52:53]
	s_nop 0
	v_fma_f32 v26, v24, s39, -v28
	v_fmac_f32_e32 v26, 0xb102e308, v24
	v_pk_add_f32 v[24:25], v[28:29], v[26:27]
	s_nop 0
	v_sub_f32_e32 v27, v25, v27
	v_sub_f32_e32 v27, v29, v27
	v_add_f32_e32 v31, v30, v27
	v_mov_b32_e32 v30, v28
	v_pk_add_f32 v[28:29], v[24:25], v[28:29] neg_lo:[0,1] neg_hi:[0,1]
	v_pk_add_f32 v[32:33], v[24:25], v[30:31]
	v_mov_b32_e32 v27, v24
	v_mov_b32_e32 v29, v33
	v_pk_add_f32 v[34:35], v[26:27], v[28:29] neg_lo:[0,1] neg_hi:[0,1]
	v_pk_add_f32 v[26:27], v[26:27], v[28:29]
	v_mov_b32_e32 v30, v31
	v_mov_b32_e32 v28, v27
	v_pk_add_f32 v[36:37], v[28:29], v[24:25] neg_lo:[0,1] neg_hi:[0,1]
	v_mov_b32_e32 v26, v33
	v_mov_b32_e32 v29, v36
	v_pk_add_f32 v[38:39], v[32:33], v[28:29] neg_lo:[0,1] neg_hi:[0,1]
	v_mov_b32_e32 v32, v25
	v_mov_b32_e32 v33, v36
	;; [unrolled: 1-line block ×3, first 2 shown]
	v_pk_add_f32 v[26:27], v[26:27], v[32:33] neg_lo:[0,1] neg_hi:[0,1]
	v_mov_b32_e32 v31, v24
	v_pk_add_f32 v[24:25], v[30:31], v[26:27] neg_lo:[0,1] neg_hi:[0,1]
	v_mov_b32_e32 v38, v34
	v_pk_add_f32 v[26:27], v[38:39], v[24:25]
	s_nop 0
	v_mov_b32_e32 v30, v27
	v_pk_add_f32 v[30:31], v[26:27], v[30:31]
	s_nop 0
	v_pk_add_f32 v[28:29], v[28:29], v[30:31]
	v_mov_b32_e32 v25, v30
	v_mov_b32_e32 v27, v28
	v_pk_add_f32 v[32:33], v[26:27], v[34:35] neg_lo:[0,1] neg_hi:[0,1]
	s_nop 0
	v_sub_f32_e32 v26, v26, v32
	v_pk_add_f32 v[24:25], v[24:25], v[32:33] neg_lo:[0,1] neg_hi:[0,1]
	v_sub_f32_e32 v26, v34, v26
	v_add_f32_e32 v24, v24, v26
	v_add_f32_e32 v24, v24, v25
	;; [unrolled: 1-line block ×3, first 2 shown]
	v_cndmask_b32_e32 v126, v24, v49, vcc
.LBB57_25:                              ;   in Loop: Header=BB57_13 Depth=1
	s_or_b64 exec, exec, s[30:31]
	v_lshlrev_b32_e32 v24, 16, v17
	v_add_f32_e32 v127, s33, v24
	s_mov_b32 s2, 0x41a00000
	v_cmp_ge_f32_e32 vcc, s2, v127
	s_and_b64 s[2:3], s[88:89], vcc
	s_and_saveexec_b64 s[30:31], s[2:3]
	s_cbranch_execz .LBB57_27
; %bb.26:                               ;   in Loop: Header=BB57_13 Depth=1
	v_mul_f32_e32 v24, 0x3fb8aa3b, v127
	v_rndne_f32_e32 v25, v24
	v_sub_f32_e32 v26, v24, v25
	v_fma_f32 v24, v127, s34, -v24
	v_fmac_f32_e32 v24, 0x32a5705f, v127
	v_add_f32_e32 v24, v26, v24
	v_cvt_i32_f32_e32 v25, v25
	v_exp_f32_e32 v24, v24
	v_cmp_ngt_f32_e32 vcc, s35, v127
	v_ldexp_f32 v24, v24, v25
	s_nop 0
	v_cndmask_b32_e32 v24, 0, v24, vcc
	v_cmp_nlt_f32_e32 vcc, s36, v127
	s_nop 1
	v_cndmask_b32_e32 v49, v121, v24, vcc
	v_add_f32_e32 v26, 1.0, v49
	v_add_f32_e32 v24, -1.0, v26
	v_sub_f32_e32 v25, v24, v26
	v_add_f32_e32 v25, 1.0, v25
	v_sub_f32_e32 v24, v49, v24
	v_add_f32_e32 v27, v24, v25
	v_frexp_mant_f32_e32 v28, v26
	v_cvt_f64_f32_e32 v[24:25], v26
	v_frexp_exp_i32_f64_e32 v24, v[24:25]
	v_cmp_gt_f32_e32 vcc, s38, v28
	v_cmp_gt_f32_e64 s[2:3], s40, v49
	s_nop 0
	v_subbrev_co_u32_e32 v32, vcc, 0, v24, vcc
	v_sub_u32_e32 v24, 0, v32
	v_ldexp_f32 v25, v26, v24
	v_add_f32_e32 v26, -1.0, v25
	v_add_f32_e32 v28, 1.0, v25
	v_ldexp_f32 v24, v27, v24
	v_add_f32_e32 v27, 1.0, v26
	v_add_f32_e32 v29, -1.0, v28
	v_sub_f32_e32 v27, v25, v27
	v_sub_f32_e32 v25, v25, v29
	v_add_f32_e32 v27, v24, v27
	v_add_f32_e32 v24, v24, v25
	;; [unrolled: 1-line block ×3, first 2 shown]
	v_rcp_f32_e32 v35, v33
	v_sub_f32_e32 v25, v28, v33
	v_add_f32_e32 v34, v24, v25
	v_add_f32_e32 v25, v26, v27
	v_mul_f32_e32 v37, v25, v35
	v_sub_f32_e32 v24, v26, v25
	v_mul_f32_e32 v26, v33, v37
	v_fma_f32 v28, v37, v33, -v26
	v_fmac_f32_e32 v28, v37, v34
	v_add_f32_e32 v36, v27, v24
	v_add_f32_e32 v24, v26, v28
	v_sub_f32_e32 v27, v25, v24
	v_pk_add_f32 v[30:31], v[24:25], v[26:27] neg_lo:[0,1] neg_hi:[0,1]
	v_mov_b32_e32 v29, v24
	v_pk_add_f32 v[24:25], v[30:31], v[28:29] neg_lo:[0,1] neg_hi:[0,1]
	v_cmp_eq_f32_e32 vcc, s37, v49
	v_add_f32_e32 v25, v36, v25
	v_add_f32_e32 v24, v24, v25
	;; [unrolled: 1-line block ×3, first 2 shown]
	v_mul_f32_e32 v36, v35, v25
	v_mul_f32_e32 v26, v33, v36
	v_fma_f32 v28, v36, v33, -v26
	v_fmac_f32_e32 v28, v36, v34
	v_sub_f32_e32 v27, v27, v25
	v_add_f32_e32 v33, v24, v27
	v_add_f32_e32 v24, v26, v28
	v_sub_f32_e32 v27, v25, v24
	v_pk_add_f32 v[30:31], v[24:25], v[26:27] neg_lo:[0,1] neg_hi:[0,1]
	v_mov_b32_e32 v29, v24
	v_pk_add_f32 v[24:25], v[30:31], v[28:29] neg_lo:[0,1] neg_hi:[0,1]
	s_or_b64 vcc, s[2:3], vcc
	v_add_f32_e32 v25, v33, v25
	v_add_f32_e32 v24, v24, v25
	;; [unrolled: 1-line block ×4, first 2 shown]
	v_sub_f32_e32 v26, v25, v37
	v_mul_f32_e32 v24, v35, v24
	v_sub_f32_e32 v26, v36, v26
	v_add_f32_e32 v26, v26, v24
	v_add_f32_e32 v28, v25, v26
	v_mul_f32_e32 v29, v28, v28
	v_fmamk_f32 v24, v29, 0x3e9b6dac, v120
	v_fmaak_f32 v53, v29, v24, 0x3f2aaada
	v_cvt_f32_i32_e32 v24, v32
	v_sub_f32_e32 v25, v28, v25
	v_sub_f32_e32 v25, v26, v25
	v_ldexp_f32 v30, v25, 1
	v_mul_f32_e32 v25, v28, v29
	v_ldexp_f32 v27, v28, 1
	v_pk_mul_f32 v[28:29], v[24:25], v[52:53]
	s_nop 0
	v_fma_f32 v26, v24, s39, -v28
	v_fmac_f32_e32 v26, 0xb102e308, v24
	v_pk_add_f32 v[24:25], v[28:29], v[26:27]
	s_nop 0
	v_sub_f32_e32 v27, v25, v27
	v_sub_f32_e32 v27, v29, v27
	v_add_f32_e32 v31, v30, v27
	v_mov_b32_e32 v30, v28
	v_pk_add_f32 v[28:29], v[24:25], v[28:29] neg_lo:[0,1] neg_hi:[0,1]
	v_pk_add_f32 v[32:33], v[24:25], v[30:31]
	v_mov_b32_e32 v27, v24
	v_mov_b32_e32 v29, v33
	v_pk_add_f32 v[34:35], v[26:27], v[28:29] neg_lo:[0,1] neg_hi:[0,1]
	v_pk_add_f32 v[26:27], v[26:27], v[28:29]
	v_mov_b32_e32 v30, v31
	v_mov_b32_e32 v28, v27
	v_pk_add_f32 v[36:37], v[28:29], v[24:25] neg_lo:[0,1] neg_hi:[0,1]
	v_mov_b32_e32 v26, v33
	v_mov_b32_e32 v29, v36
	v_pk_add_f32 v[38:39], v[32:33], v[28:29] neg_lo:[0,1] neg_hi:[0,1]
	v_mov_b32_e32 v32, v25
	v_mov_b32_e32 v33, v36
	;; [unrolled: 1-line block ×3, first 2 shown]
	v_pk_add_f32 v[26:27], v[26:27], v[32:33] neg_lo:[0,1] neg_hi:[0,1]
	v_mov_b32_e32 v31, v24
	v_pk_add_f32 v[24:25], v[30:31], v[26:27] neg_lo:[0,1] neg_hi:[0,1]
	v_mov_b32_e32 v38, v34
	v_pk_add_f32 v[26:27], v[38:39], v[24:25]
	s_nop 0
	v_mov_b32_e32 v30, v27
	v_pk_add_f32 v[30:31], v[26:27], v[30:31]
	s_nop 0
	v_pk_add_f32 v[28:29], v[28:29], v[30:31]
	v_mov_b32_e32 v25, v30
	v_mov_b32_e32 v27, v28
	v_pk_add_f32 v[32:33], v[26:27], v[34:35] neg_lo:[0,1] neg_hi:[0,1]
	s_nop 0
	v_sub_f32_e32 v26, v26, v32
	v_pk_add_f32 v[24:25], v[24:25], v[32:33] neg_lo:[0,1] neg_hi:[0,1]
	v_sub_f32_e32 v26, v34, v26
	v_add_f32_e32 v24, v24, v26
	v_add_f32_e32 v24, v24, v25
	;; [unrolled: 1-line block ×3, first 2 shown]
	v_cndmask_b32_e32 v127, v24, v49, vcc
.LBB57_27:                              ;   in Loop: Header=BB57_13 Depth=1
	s_or_b64 exec, exec, s[30:31]
	v_and_b32_e32 v24, 0xffff0000, v17
	v_add_f32_e32 v128, s33, v24
	s_mov_b32 s2, 0x41a00000
	v_cmp_ge_f32_e32 vcc, s2, v128
	s_and_b64 s[2:3], s[88:89], vcc
	s_and_saveexec_b64 s[30:31], s[2:3]
	s_cbranch_execz .LBB57_29
; %bb.28:                               ;   in Loop: Header=BB57_13 Depth=1
	v_mul_f32_e32 v24, 0x3fb8aa3b, v128
	v_rndne_f32_e32 v25, v24
	v_sub_f32_e32 v26, v24, v25
	v_fma_f32 v24, v128, s34, -v24
	v_fmac_f32_e32 v24, 0x32a5705f, v128
	v_add_f32_e32 v24, v26, v24
	v_cvt_i32_f32_e32 v25, v25
	v_exp_f32_e32 v24, v24
	v_cmp_ngt_f32_e32 vcc, s35, v128
	v_ldexp_f32 v24, v24, v25
	s_nop 0
	v_cndmask_b32_e32 v24, 0, v24, vcc
	v_cmp_nlt_f32_e32 vcc, s36, v128
	s_nop 1
	v_cndmask_b32_e32 v49, v121, v24, vcc
	v_add_f32_e32 v26, 1.0, v49
	v_add_f32_e32 v24, -1.0, v26
	v_sub_f32_e32 v25, v24, v26
	v_add_f32_e32 v25, 1.0, v25
	v_sub_f32_e32 v24, v49, v24
	v_add_f32_e32 v27, v24, v25
	v_frexp_mant_f32_e32 v28, v26
	v_cvt_f64_f32_e32 v[24:25], v26
	v_frexp_exp_i32_f64_e32 v24, v[24:25]
	v_cmp_gt_f32_e32 vcc, s38, v28
	v_cmp_gt_f32_e64 s[2:3], s40, v49
	s_nop 0
	v_subbrev_co_u32_e32 v32, vcc, 0, v24, vcc
	v_sub_u32_e32 v24, 0, v32
	v_ldexp_f32 v25, v26, v24
	v_add_f32_e32 v26, -1.0, v25
	v_add_f32_e32 v28, 1.0, v25
	v_ldexp_f32 v24, v27, v24
	v_add_f32_e32 v27, 1.0, v26
	v_add_f32_e32 v29, -1.0, v28
	v_sub_f32_e32 v27, v25, v27
	v_sub_f32_e32 v25, v25, v29
	v_add_f32_e32 v27, v24, v27
	v_add_f32_e32 v24, v24, v25
	;; [unrolled: 1-line block ×3, first 2 shown]
	v_rcp_f32_e32 v35, v33
	v_sub_f32_e32 v25, v28, v33
	v_add_f32_e32 v34, v24, v25
	v_add_f32_e32 v25, v26, v27
	v_mul_f32_e32 v37, v25, v35
	v_sub_f32_e32 v24, v26, v25
	v_mul_f32_e32 v26, v33, v37
	v_fma_f32 v28, v37, v33, -v26
	v_fmac_f32_e32 v28, v37, v34
	v_add_f32_e32 v36, v27, v24
	v_add_f32_e32 v24, v26, v28
	v_sub_f32_e32 v27, v25, v24
	v_pk_add_f32 v[30:31], v[24:25], v[26:27] neg_lo:[0,1] neg_hi:[0,1]
	v_mov_b32_e32 v29, v24
	v_pk_add_f32 v[24:25], v[30:31], v[28:29] neg_lo:[0,1] neg_hi:[0,1]
	v_cmp_eq_f32_e32 vcc, s37, v49
	v_add_f32_e32 v25, v36, v25
	v_add_f32_e32 v24, v24, v25
	;; [unrolled: 1-line block ×3, first 2 shown]
	v_mul_f32_e32 v36, v35, v25
	v_mul_f32_e32 v26, v33, v36
	v_fma_f32 v28, v36, v33, -v26
	v_fmac_f32_e32 v28, v36, v34
	v_sub_f32_e32 v27, v27, v25
	v_add_f32_e32 v33, v24, v27
	v_add_f32_e32 v24, v26, v28
	v_sub_f32_e32 v27, v25, v24
	v_pk_add_f32 v[30:31], v[24:25], v[26:27] neg_lo:[0,1] neg_hi:[0,1]
	v_mov_b32_e32 v29, v24
	v_pk_add_f32 v[24:25], v[30:31], v[28:29] neg_lo:[0,1] neg_hi:[0,1]
	s_or_b64 vcc, s[2:3], vcc
	v_add_f32_e32 v25, v33, v25
	v_add_f32_e32 v24, v24, v25
	;; [unrolled: 1-line block ×4, first 2 shown]
	v_sub_f32_e32 v26, v25, v37
	v_mul_f32_e32 v24, v35, v24
	v_sub_f32_e32 v26, v36, v26
	v_add_f32_e32 v26, v26, v24
	v_add_f32_e32 v28, v25, v26
	v_mul_f32_e32 v29, v28, v28
	v_fmamk_f32 v24, v29, 0x3e9b6dac, v120
	v_fmaak_f32 v53, v29, v24, 0x3f2aaada
	v_cvt_f32_i32_e32 v24, v32
	v_sub_f32_e32 v25, v28, v25
	v_sub_f32_e32 v25, v26, v25
	v_ldexp_f32 v30, v25, 1
	v_mul_f32_e32 v25, v28, v29
	v_ldexp_f32 v27, v28, 1
	v_pk_mul_f32 v[28:29], v[24:25], v[52:53]
	s_nop 0
	v_fma_f32 v26, v24, s39, -v28
	v_fmac_f32_e32 v26, 0xb102e308, v24
	v_pk_add_f32 v[24:25], v[28:29], v[26:27]
	s_nop 0
	v_sub_f32_e32 v27, v25, v27
	v_sub_f32_e32 v27, v29, v27
	v_add_f32_e32 v31, v30, v27
	v_mov_b32_e32 v30, v28
	v_pk_add_f32 v[28:29], v[24:25], v[28:29] neg_lo:[0,1] neg_hi:[0,1]
	v_pk_add_f32 v[32:33], v[24:25], v[30:31]
	v_mov_b32_e32 v27, v24
	v_mov_b32_e32 v29, v33
	v_pk_add_f32 v[34:35], v[26:27], v[28:29] neg_lo:[0,1] neg_hi:[0,1]
	v_pk_add_f32 v[26:27], v[26:27], v[28:29]
	v_mov_b32_e32 v30, v31
	v_mov_b32_e32 v28, v27
	v_pk_add_f32 v[36:37], v[28:29], v[24:25] neg_lo:[0,1] neg_hi:[0,1]
	v_mov_b32_e32 v26, v33
	v_mov_b32_e32 v29, v36
	v_pk_add_f32 v[38:39], v[32:33], v[28:29] neg_lo:[0,1] neg_hi:[0,1]
	v_mov_b32_e32 v32, v25
	v_mov_b32_e32 v33, v36
	;; [unrolled: 1-line block ×3, first 2 shown]
	v_pk_add_f32 v[26:27], v[26:27], v[32:33] neg_lo:[0,1] neg_hi:[0,1]
	v_mov_b32_e32 v31, v24
	v_pk_add_f32 v[24:25], v[30:31], v[26:27] neg_lo:[0,1] neg_hi:[0,1]
	v_mov_b32_e32 v38, v34
	v_pk_add_f32 v[26:27], v[38:39], v[24:25]
	s_nop 0
	v_mov_b32_e32 v30, v27
	v_pk_add_f32 v[30:31], v[26:27], v[30:31]
	s_nop 0
	v_pk_add_f32 v[28:29], v[28:29], v[30:31]
	v_mov_b32_e32 v25, v30
	v_mov_b32_e32 v27, v28
	v_pk_add_f32 v[32:33], v[26:27], v[34:35] neg_lo:[0,1] neg_hi:[0,1]
	s_nop 0
	v_sub_f32_e32 v26, v26, v32
	v_pk_add_f32 v[24:25], v[24:25], v[32:33] neg_lo:[0,1] neg_hi:[0,1]
	v_sub_f32_e32 v26, v34, v26
	v_add_f32_e32 v24, v24, v26
	v_add_f32_e32 v24, v24, v25
	;; [unrolled: 1-line block ×3, first 2 shown]
	v_cndmask_b32_e32 v128, v24, v49, vcc
.LBB57_29:                              ;   in Loop: Header=BB57_13 Depth=1
	s_or_b64 exec, exec, s[30:31]
	v_lshlrev_b32_e32 v24, 16, v18
	v_add_f32_e32 v129, s33, v24
	s_mov_b32 s2, 0x41a00000
	v_cmp_ge_f32_e32 vcc, s2, v129
	s_and_b64 s[2:3], s[88:89], vcc
	s_and_saveexec_b64 s[30:31], s[2:3]
	s_cbranch_execz .LBB57_31
; %bb.30:                               ;   in Loop: Header=BB57_13 Depth=1
	v_mul_f32_e32 v24, 0x3fb8aa3b, v129
	v_rndne_f32_e32 v25, v24
	v_sub_f32_e32 v26, v24, v25
	v_fma_f32 v24, v129, s34, -v24
	v_fmac_f32_e32 v24, 0x32a5705f, v129
	v_add_f32_e32 v24, v26, v24
	v_cvt_i32_f32_e32 v25, v25
	v_exp_f32_e32 v24, v24
	v_cmp_ngt_f32_e32 vcc, s35, v129
	v_ldexp_f32 v24, v24, v25
	s_nop 0
	v_cndmask_b32_e32 v24, 0, v24, vcc
	v_cmp_nlt_f32_e32 vcc, s36, v129
	s_nop 1
	v_cndmask_b32_e32 v49, v121, v24, vcc
	v_add_f32_e32 v26, 1.0, v49
	v_add_f32_e32 v24, -1.0, v26
	v_sub_f32_e32 v25, v24, v26
	v_add_f32_e32 v25, 1.0, v25
	v_sub_f32_e32 v24, v49, v24
	v_add_f32_e32 v27, v24, v25
	v_frexp_mant_f32_e32 v28, v26
	v_cvt_f64_f32_e32 v[24:25], v26
	v_frexp_exp_i32_f64_e32 v24, v[24:25]
	v_cmp_gt_f32_e32 vcc, s38, v28
	v_cmp_gt_f32_e64 s[2:3], s40, v49
	s_nop 0
	v_subbrev_co_u32_e32 v32, vcc, 0, v24, vcc
	v_sub_u32_e32 v24, 0, v32
	v_ldexp_f32 v25, v26, v24
	v_add_f32_e32 v26, -1.0, v25
	v_add_f32_e32 v28, 1.0, v25
	v_ldexp_f32 v24, v27, v24
	v_add_f32_e32 v27, 1.0, v26
	v_add_f32_e32 v29, -1.0, v28
	v_sub_f32_e32 v27, v25, v27
	v_sub_f32_e32 v25, v25, v29
	v_add_f32_e32 v27, v24, v27
	v_add_f32_e32 v24, v24, v25
	;; [unrolled: 1-line block ×3, first 2 shown]
	v_rcp_f32_e32 v35, v33
	v_sub_f32_e32 v25, v28, v33
	v_add_f32_e32 v34, v24, v25
	v_add_f32_e32 v25, v26, v27
	v_mul_f32_e32 v37, v25, v35
	v_sub_f32_e32 v24, v26, v25
	v_mul_f32_e32 v26, v33, v37
	v_fma_f32 v28, v37, v33, -v26
	v_fmac_f32_e32 v28, v37, v34
	v_add_f32_e32 v36, v27, v24
	v_add_f32_e32 v24, v26, v28
	v_sub_f32_e32 v27, v25, v24
	v_pk_add_f32 v[30:31], v[24:25], v[26:27] neg_lo:[0,1] neg_hi:[0,1]
	v_mov_b32_e32 v29, v24
	v_pk_add_f32 v[24:25], v[30:31], v[28:29] neg_lo:[0,1] neg_hi:[0,1]
	v_cmp_eq_f32_e32 vcc, s37, v49
	v_add_f32_e32 v25, v36, v25
	v_add_f32_e32 v24, v24, v25
	;; [unrolled: 1-line block ×3, first 2 shown]
	v_mul_f32_e32 v36, v35, v25
	v_mul_f32_e32 v26, v33, v36
	v_fma_f32 v28, v36, v33, -v26
	v_fmac_f32_e32 v28, v36, v34
	v_sub_f32_e32 v27, v27, v25
	v_add_f32_e32 v33, v24, v27
	v_add_f32_e32 v24, v26, v28
	v_sub_f32_e32 v27, v25, v24
	v_pk_add_f32 v[30:31], v[24:25], v[26:27] neg_lo:[0,1] neg_hi:[0,1]
	v_mov_b32_e32 v29, v24
	v_pk_add_f32 v[24:25], v[30:31], v[28:29] neg_lo:[0,1] neg_hi:[0,1]
	s_or_b64 vcc, s[2:3], vcc
	v_add_f32_e32 v25, v33, v25
	v_add_f32_e32 v24, v24, v25
	;; [unrolled: 1-line block ×4, first 2 shown]
	v_sub_f32_e32 v26, v25, v37
	v_mul_f32_e32 v24, v35, v24
	v_sub_f32_e32 v26, v36, v26
	v_add_f32_e32 v26, v26, v24
	v_add_f32_e32 v28, v25, v26
	v_mul_f32_e32 v29, v28, v28
	v_fmamk_f32 v24, v29, 0x3e9b6dac, v120
	v_fmaak_f32 v53, v29, v24, 0x3f2aaada
	v_cvt_f32_i32_e32 v24, v32
	v_sub_f32_e32 v25, v28, v25
	v_sub_f32_e32 v25, v26, v25
	v_ldexp_f32 v30, v25, 1
	v_mul_f32_e32 v25, v28, v29
	v_ldexp_f32 v27, v28, 1
	v_pk_mul_f32 v[28:29], v[24:25], v[52:53]
	s_nop 0
	v_fma_f32 v26, v24, s39, -v28
	v_fmac_f32_e32 v26, 0xb102e308, v24
	v_pk_add_f32 v[24:25], v[28:29], v[26:27]
	s_nop 0
	v_sub_f32_e32 v27, v25, v27
	v_sub_f32_e32 v27, v29, v27
	v_add_f32_e32 v31, v30, v27
	v_mov_b32_e32 v30, v28
	v_pk_add_f32 v[28:29], v[24:25], v[28:29] neg_lo:[0,1] neg_hi:[0,1]
	v_pk_add_f32 v[32:33], v[24:25], v[30:31]
	v_mov_b32_e32 v27, v24
	v_mov_b32_e32 v29, v33
	v_pk_add_f32 v[34:35], v[26:27], v[28:29] neg_lo:[0,1] neg_hi:[0,1]
	v_pk_add_f32 v[26:27], v[26:27], v[28:29]
	v_mov_b32_e32 v30, v31
	v_mov_b32_e32 v28, v27
	v_pk_add_f32 v[36:37], v[28:29], v[24:25] neg_lo:[0,1] neg_hi:[0,1]
	v_mov_b32_e32 v26, v33
	v_mov_b32_e32 v29, v36
	v_pk_add_f32 v[38:39], v[32:33], v[28:29] neg_lo:[0,1] neg_hi:[0,1]
	v_mov_b32_e32 v32, v25
	v_mov_b32_e32 v33, v36
	;; [unrolled: 1-line block ×3, first 2 shown]
	v_pk_add_f32 v[26:27], v[26:27], v[32:33] neg_lo:[0,1] neg_hi:[0,1]
	v_mov_b32_e32 v31, v24
	v_pk_add_f32 v[24:25], v[30:31], v[26:27] neg_lo:[0,1] neg_hi:[0,1]
	v_mov_b32_e32 v38, v34
	v_pk_add_f32 v[26:27], v[38:39], v[24:25]
	s_nop 0
	v_mov_b32_e32 v30, v27
	v_pk_add_f32 v[30:31], v[26:27], v[30:31]
	s_nop 0
	v_pk_add_f32 v[28:29], v[28:29], v[30:31]
	v_mov_b32_e32 v25, v30
	v_mov_b32_e32 v27, v28
	v_pk_add_f32 v[32:33], v[26:27], v[34:35] neg_lo:[0,1] neg_hi:[0,1]
	s_nop 0
	v_sub_f32_e32 v26, v26, v32
	v_pk_add_f32 v[24:25], v[24:25], v[32:33] neg_lo:[0,1] neg_hi:[0,1]
	v_sub_f32_e32 v26, v34, v26
	v_add_f32_e32 v24, v24, v26
	v_add_f32_e32 v24, v24, v25
	;; [unrolled: 1-line block ×3, first 2 shown]
	v_cndmask_b32_e32 v129, v24, v49, vcc
.LBB57_31:                              ;   in Loop: Header=BB57_13 Depth=1
	s_or_b64 exec, exec, s[30:31]
	v_and_b32_e32 v24, 0xffff0000, v18
	v_add_f32_e32 v130, s33, v24
	s_mov_b32 s2, 0x41a00000
	v_cmp_ge_f32_e32 vcc, s2, v130
	s_and_b64 s[2:3], s[88:89], vcc
	s_and_saveexec_b64 s[30:31], s[2:3]
	s_cbranch_execz .LBB57_33
; %bb.32:                               ;   in Loop: Header=BB57_13 Depth=1
	v_mul_f32_e32 v24, 0x3fb8aa3b, v130
	v_rndne_f32_e32 v25, v24
	v_sub_f32_e32 v26, v24, v25
	v_fma_f32 v24, v130, s34, -v24
	v_fmac_f32_e32 v24, 0x32a5705f, v130
	v_add_f32_e32 v24, v26, v24
	v_cvt_i32_f32_e32 v25, v25
	v_exp_f32_e32 v24, v24
	v_cmp_ngt_f32_e32 vcc, s35, v130
	v_ldexp_f32 v24, v24, v25
	s_nop 0
	v_cndmask_b32_e32 v24, 0, v24, vcc
	v_cmp_nlt_f32_e32 vcc, s36, v130
	s_nop 1
	v_cndmask_b32_e32 v49, v121, v24, vcc
	v_add_f32_e32 v26, 1.0, v49
	v_add_f32_e32 v24, -1.0, v26
	v_sub_f32_e32 v25, v24, v26
	v_add_f32_e32 v25, 1.0, v25
	v_sub_f32_e32 v24, v49, v24
	v_add_f32_e32 v27, v24, v25
	v_frexp_mant_f32_e32 v28, v26
	v_cvt_f64_f32_e32 v[24:25], v26
	v_frexp_exp_i32_f64_e32 v24, v[24:25]
	v_cmp_gt_f32_e32 vcc, s38, v28
	v_cmp_gt_f32_e64 s[2:3], s40, v49
	s_nop 0
	v_subbrev_co_u32_e32 v32, vcc, 0, v24, vcc
	v_sub_u32_e32 v24, 0, v32
	v_ldexp_f32 v25, v26, v24
	v_add_f32_e32 v26, -1.0, v25
	v_add_f32_e32 v28, 1.0, v25
	v_ldexp_f32 v24, v27, v24
	v_add_f32_e32 v27, 1.0, v26
	v_add_f32_e32 v29, -1.0, v28
	v_sub_f32_e32 v27, v25, v27
	v_sub_f32_e32 v25, v25, v29
	v_add_f32_e32 v27, v24, v27
	v_add_f32_e32 v24, v24, v25
	;; [unrolled: 1-line block ×3, first 2 shown]
	v_rcp_f32_e32 v35, v33
	v_sub_f32_e32 v25, v28, v33
	v_add_f32_e32 v34, v24, v25
	v_add_f32_e32 v25, v26, v27
	v_mul_f32_e32 v37, v25, v35
	v_sub_f32_e32 v24, v26, v25
	v_mul_f32_e32 v26, v33, v37
	v_fma_f32 v28, v37, v33, -v26
	v_fmac_f32_e32 v28, v37, v34
	v_add_f32_e32 v36, v27, v24
	v_add_f32_e32 v24, v26, v28
	v_sub_f32_e32 v27, v25, v24
	v_pk_add_f32 v[30:31], v[24:25], v[26:27] neg_lo:[0,1] neg_hi:[0,1]
	v_mov_b32_e32 v29, v24
	v_pk_add_f32 v[24:25], v[30:31], v[28:29] neg_lo:[0,1] neg_hi:[0,1]
	v_cmp_eq_f32_e32 vcc, s37, v49
	v_add_f32_e32 v25, v36, v25
	v_add_f32_e32 v24, v24, v25
	v_add_f32_e32 v25, v27, v24
	v_mul_f32_e32 v36, v35, v25
	v_mul_f32_e32 v26, v33, v36
	v_fma_f32 v28, v36, v33, -v26
	v_fmac_f32_e32 v28, v36, v34
	v_sub_f32_e32 v27, v27, v25
	v_add_f32_e32 v33, v24, v27
	v_add_f32_e32 v24, v26, v28
	v_sub_f32_e32 v27, v25, v24
	v_pk_add_f32 v[30:31], v[24:25], v[26:27] neg_lo:[0,1] neg_hi:[0,1]
	v_mov_b32_e32 v29, v24
	v_pk_add_f32 v[24:25], v[30:31], v[28:29] neg_lo:[0,1] neg_hi:[0,1]
	s_or_b64 vcc, s[2:3], vcc
	v_add_f32_e32 v25, v33, v25
	v_add_f32_e32 v24, v24, v25
	;; [unrolled: 1-line block ×4, first 2 shown]
	v_sub_f32_e32 v26, v25, v37
	v_mul_f32_e32 v24, v35, v24
	v_sub_f32_e32 v26, v36, v26
	v_add_f32_e32 v26, v26, v24
	v_add_f32_e32 v28, v25, v26
	v_mul_f32_e32 v29, v28, v28
	v_fmamk_f32 v24, v29, 0x3e9b6dac, v120
	v_fmaak_f32 v53, v29, v24, 0x3f2aaada
	v_cvt_f32_i32_e32 v24, v32
	v_sub_f32_e32 v25, v28, v25
	v_sub_f32_e32 v25, v26, v25
	v_ldexp_f32 v30, v25, 1
	v_mul_f32_e32 v25, v28, v29
	v_ldexp_f32 v27, v28, 1
	v_pk_mul_f32 v[28:29], v[24:25], v[52:53]
	s_nop 0
	v_fma_f32 v26, v24, s39, -v28
	v_fmac_f32_e32 v26, 0xb102e308, v24
	v_pk_add_f32 v[24:25], v[28:29], v[26:27]
	s_nop 0
	v_sub_f32_e32 v27, v25, v27
	v_sub_f32_e32 v27, v29, v27
	v_add_f32_e32 v31, v30, v27
	v_mov_b32_e32 v30, v28
	v_pk_add_f32 v[28:29], v[24:25], v[28:29] neg_lo:[0,1] neg_hi:[0,1]
	v_pk_add_f32 v[32:33], v[24:25], v[30:31]
	v_mov_b32_e32 v27, v24
	v_mov_b32_e32 v29, v33
	v_pk_add_f32 v[34:35], v[26:27], v[28:29] neg_lo:[0,1] neg_hi:[0,1]
	v_pk_add_f32 v[26:27], v[26:27], v[28:29]
	v_mov_b32_e32 v30, v31
	v_mov_b32_e32 v28, v27
	v_pk_add_f32 v[36:37], v[28:29], v[24:25] neg_lo:[0,1] neg_hi:[0,1]
	v_mov_b32_e32 v26, v33
	v_mov_b32_e32 v29, v36
	v_pk_add_f32 v[38:39], v[32:33], v[28:29] neg_lo:[0,1] neg_hi:[0,1]
	v_mov_b32_e32 v32, v25
	v_mov_b32_e32 v33, v36
	;; [unrolled: 1-line block ×3, first 2 shown]
	v_pk_add_f32 v[26:27], v[26:27], v[32:33] neg_lo:[0,1] neg_hi:[0,1]
	v_mov_b32_e32 v31, v24
	v_pk_add_f32 v[24:25], v[30:31], v[26:27] neg_lo:[0,1] neg_hi:[0,1]
	v_mov_b32_e32 v38, v34
	v_pk_add_f32 v[26:27], v[38:39], v[24:25]
	s_nop 0
	v_mov_b32_e32 v30, v27
	v_pk_add_f32 v[30:31], v[26:27], v[30:31]
	s_nop 0
	v_pk_add_f32 v[28:29], v[28:29], v[30:31]
	v_mov_b32_e32 v25, v30
	v_mov_b32_e32 v27, v28
	v_pk_add_f32 v[32:33], v[26:27], v[34:35] neg_lo:[0,1] neg_hi:[0,1]
	s_nop 0
	v_sub_f32_e32 v26, v26, v32
	v_pk_add_f32 v[24:25], v[24:25], v[32:33] neg_lo:[0,1] neg_hi:[0,1]
	v_sub_f32_e32 v26, v34, v26
	v_add_f32_e32 v24, v24, v26
	v_add_f32_e32 v24, v24, v25
	;; [unrolled: 1-line block ×3, first 2 shown]
	v_cndmask_b32_e32 v130, v24, v49, vcc
.LBB57_33:                              ;   in Loop: Header=BB57_13 Depth=1
	s_or_b64 exec, exec, s[30:31]
	v_lshlrev_b32_e32 v24, 16, v19
	v_add_f32_e32 v131, s33, v24
	s_mov_b32 s2, 0x41a00000
	v_cmp_ge_f32_e32 vcc, s2, v131
	s_and_b64 s[2:3], s[88:89], vcc
	s_and_saveexec_b64 s[30:31], s[2:3]
	s_cbranch_execz .LBB57_35
; %bb.34:                               ;   in Loop: Header=BB57_13 Depth=1
	v_mul_f32_e32 v24, 0x3fb8aa3b, v131
	v_rndne_f32_e32 v25, v24
	v_sub_f32_e32 v26, v24, v25
	v_fma_f32 v24, v131, s34, -v24
	v_fmac_f32_e32 v24, 0x32a5705f, v131
	v_add_f32_e32 v24, v26, v24
	v_cvt_i32_f32_e32 v25, v25
	v_exp_f32_e32 v24, v24
	v_cmp_ngt_f32_e32 vcc, s35, v131
	v_ldexp_f32 v24, v24, v25
	s_nop 0
	v_cndmask_b32_e32 v24, 0, v24, vcc
	v_cmp_nlt_f32_e32 vcc, s36, v131
	s_nop 1
	v_cndmask_b32_e32 v49, v121, v24, vcc
	v_add_f32_e32 v26, 1.0, v49
	v_add_f32_e32 v24, -1.0, v26
	v_sub_f32_e32 v25, v24, v26
	v_add_f32_e32 v25, 1.0, v25
	v_sub_f32_e32 v24, v49, v24
	v_add_f32_e32 v27, v24, v25
	v_frexp_mant_f32_e32 v28, v26
	v_cvt_f64_f32_e32 v[24:25], v26
	v_frexp_exp_i32_f64_e32 v24, v[24:25]
	v_cmp_gt_f32_e32 vcc, s38, v28
	v_cmp_gt_f32_e64 s[2:3], s40, v49
	s_nop 0
	v_subbrev_co_u32_e32 v32, vcc, 0, v24, vcc
	v_sub_u32_e32 v24, 0, v32
	v_ldexp_f32 v25, v26, v24
	v_add_f32_e32 v26, -1.0, v25
	v_add_f32_e32 v28, 1.0, v25
	v_ldexp_f32 v24, v27, v24
	v_add_f32_e32 v27, 1.0, v26
	v_add_f32_e32 v29, -1.0, v28
	v_sub_f32_e32 v27, v25, v27
	v_sub_f32_e32 v25, v25, v29
	v_add_f32_e32 v27, v24, v27
	v_add_f32_e32 v24, v24, v25
	;; [unrolled: 1-line block ×3, first 2 shown]
	v_rcp_f32_e32 v35, v33
	v_sub_f32_e32 v25, v28, v33
	v_add_f32_e32 v34, v24, v25
	v_add_f32_e32 v25, v26, v27
	v_mul_f32_e32 v37, v25, v35
	v_sub_f32_e32 v24, v26, v25
	v_mul_f32_e32 v26, v33, v37
	v_fma_f32 v28, v37, v33, -v26
	v_fmac_f32_e32 v28, v37, v34
	v_add_f32_e32 v36, v27, v24
	v_add_f32_e32 v24, v26, v28
	v_sub_f32_e32 v27, v25, v24
	v_pk_add_f32 v[30:31], v[24:25], v[26:27] neg_lo:[0,1] neg_hi:[0,1]
	v_mov_b32_e32 v29, v24
	v_pk_add_f32 v[24:25], v[30:31], v[28:29] neg_lo:[0,1] neg_hi:[0,1]
	v_cmp_eq_f32_e32 vcc, s37, v49
	v_add_f32_e32 v25, v36, v25
	v_add_f32_e32 v24, v24, v25
	v_add_f32_e32 v25, v27, v24
	v_mul_f32_e32 v36, v35, v25
	v_mul_f32_e32 v26, v33, v36
	v_fma_f32 v28, v36, v33, -v26
	v_fmac_f32_e32 v28, v36, v34
	v_sub_f32_e32 v27, v27, v25
	v_add_f32_e32 v33, v24, v27
	v_add_f32_e32 v24, v26, v28
	v_sub_f32_e32 v27, v25, v24
	v_pk_add_f32 v[30:31], v[24:25], v[26:27] neg_lo:[0,1] neg_hi:[0,1]
	v_mov_b32_e32 v29, v24
	v_pk_add_f32 v[24:25], v[30:31], v[28:29] neg_lo:[0,1] neg_hi:[0,1]
	s_or_b64 vcc, s[2:3], vcc
	v_add_f32_e32 v25, v33, v25
	v_add_f32_e32 v24, v24, v25
	;; [unrolled: 1-line block ×4, first 2 shown]
	v_sub_f32_e32 v26, v25, v37
	v_mul_f32_e32 v24, v35, v24
	v_sub_f32_e32 v26, v36, v26
	v_add_f32_e32 v26, v26, v24
	v_add_f32_e32 v28, v25, v26
	v_mul_f32_e32 v29, v28, v28
	v_fmamk_f32 v24, v29, 0x3e9b6dac, v120
	v_fmaak_f32 v53, v29, v24, 0x3f2aaada
	v_cvt_f32_i32_e32 v24, v32
	v_sub_f32_e32 v25, v28, v25
	v_sub_f32_e32 v25, v26, v25
	v_ldexp_f32 v30, v25, 1
	v_mul_f32_e32 v25, v28, v29
	v_ldexp_f32 v27, v28, 1
	v_pk_mul_f32 v[28:29], v[24:25], v[52:53]
	s_nop 0
	v_fma_f32 v26, v24, s39, -v28
	v_fmac_f32_e32 v26, 0xb102e308, v24
	v_pk_add_f32 v[24:25], v[28:29], v[26:27]
	s_nop 0
	v_sub_f32_e32 v27, v25, v27
	v_sub_f32_e32 v27, v29, v27
	v_add_f32_e32 v31, v30, v27
	v_mov_b32_e32 v30, v28
	v_pk_add_f32 v[28:29], v[24:25], v[28:29] neg_lo:[0,1] neg_hi:[0,1]
	v_pk_add_f32 v[32:33], v[24:25], v[30:31]
	v_mov_b32_e32 v27, v24
	v_mov_b32_e32 v29, v33
	v_pk_add_f32 v[34:35], v[26:27], v[28:29] neg_lo:[0,1] neg_hi:[0,1]
	v_pk_add_f32 v[26:27], v[26:27], v[28:29]
	v_mov_b32_e32 v30, v31
	v_mov_b32_e32 v28, v27
	v_pk_add_f32 v[36:37], v[28:29], v[24:25] neg_lo:[0,1] neg_hi:[0,1]
	v_mov_b32_e32 v26, v33
	v_mov_b32_e32 v29, v36
	v_pk_add_f32 v[38:39], v[32:33], v[28:29] neg_lo:[0,1] neg_hi:[0,1]
	v_mov_b32_e32 v32, v25
	v_mov_b32_e32 v33, v36
	;; [unrolled: 1-line block ×3, first 2 shown]
	v_pk_add_f32 v[26:27], v[26:27], v[32:33] neg_lo:[0,1] neg_hi:[0,1]
	v_mov_b32_e32 v31, v24
	v_pk_add_f32 v[24:25], v[30:31], v[26:27] neg_lo:[0,1] neg_hi:[0,1]
	v_mov_b32_e32 v38, v34
	v_pk_add_f32 v[26:27], v[38:39], v[24:25]
	s_nop 0
	v_mov_b32_e32 v30, v27
	v_pk_add_f32 v[30:31], v[26:27], v[30:31]
	s_nop 0
	v_pk_add_f32 v[28:29], v[28:29], v[30:31]
	v_mov_b32_e32 v25, v30
	v_mov_b32_e32 v27, v28
	v_pk_add_f32 v[32:33], v[26:27], v[34:35] neg_lo:[0,1] neg_hi:[0,1]
	s_nop 0
	v_sub_f32_e32 v26, v26, v32
	v_pk_add_f32 v[24:25], v[24:25], v[32:33] neg_lo:[0,1] neg_hi:[0,1]
	v_sub_f32_e32 v26, v34, v26
	v_add_f32_e32 v24, v24, v26
	v_add_f32_e32 v24, v24, v25
	;; [unrolled: 1-line block ×3, first 2 shown]
	v_cndmask_b32_e32 v131, v24, v49, vcc
.LBB57_35:                              ;   in Loop: Header=BB57_13 Depth=1
	s_or_b64 exec, exec, s[30:31]
	v_and_b32_e32 v24, 0xffff0000, v19
	v_add_f32_e32 v132, s33, v24
	s_mov_b32 s2, 0x41a00000
	v_cmp_ge_f32_e32 vcc, s2, v132
	s_and_b64 s[2:3], s[88:89], vcc
	s_and_saveexec_b64 s[30:31], s[2:3]
	s_cbranch_execz .LBB57_37
; %bb.36:                               ;   in Loop: Header=BB57_13 Depth=1
	v_mul_f32_e32 v24, 0x3fb8aa3b, v132
	v_rndne_f32_e32 v25, v24
	v_sub_f32_e32 v26, v24, v25
	v_fma_f32 v24, v132, s34, -v24
	v_fmac_f32_e32 v24, 0x32a5705f, v132
	v_add_f32_e32 v24, v26, v24
	v_cvt_i32_f32_e32 v25, v25
	v_exp_f32_e32 v24, v24
	v_cmp_ngt_f32_e32 vcc, s35, v132
	v_ldexp_f32 v24, v24, v25
	s_nop 0
	v_cndmask_b32_e32 v24, 0, v24, vcc
	v_cmp_nlt_f32_e32 vcc, s36, v132
	s_nop 1
	v_cndmask_b32_e32 v49, v121, v24, vcc
	v_add_f32_e32 v26, 1.0, v49
	v_add_f32_e32 v24, -1.0, v26
	v_sub_f32_e32 v25, v24, v26
	v_add_f32_e32 v25, 1.0, v25
	v_sub_f32_e32 v24, v49, v24
	v_add_f32_e32 v27, v24, v25
	v_frexp_mant_f32_e32 v28, v26
	v_cvt_f64_f32_e32 v[24:25], v26
	v_frexp_exp_i32_f64_e32 v24, v[24:25]
	v_cmp_gt_f32_e32 vcc, s38, v28
	v_cmp_gt_f32_e64 s[2:3], s40, v49
	s_nop 0
	v_subbrev_co_u32_e32 v32, vcc, 0, v24, vcc
	v_sub_u32_e32 v24, 0, v32
	v_ldexp_f32 v25, v26, v24
	v_add_f32_e32 v26, -1.0, v25
	v_add_f32_e32 v28, 1.0, v25
	v_ldexp_f32 v24, v27, v24
	v_add_f32_e32 v27, 1.0, v26
	v_add_f32_e32 v29, -1.0, v28
	v_sub_f32_e32 v27, v25, v27
	v_sub_f32_e32 v25, v25, v29
	v_add_f32_e32 v27, v24, v27
	v_add_f32_e32 v24, v24, v25
	;; [unrolled: 1-line block ×3, first 2 shown]
	v_rcp_f32_e32 v35, v33
	v_sub_f32_e32 v25, v28, v33
	v_add_f32_e32 v34, v24, v25
	v_add_f32_e32 v25, v26, v27
	v_mul_f32_e32 v37, v25, v35
	v_sub_f32_e32 v24, v26, v25
	v_mul_f32_e32 v26, v33, v37
	v_fma_f32 v28, v37, v33, -v26
	v_fmac_f32_e32 v28, v37, v34
	v_add_f32_e32 v36, v27, v24
	v_add_f32_e32 v24, v26, v28
	v_sub_f32_e32 v27, v25, v24
	v_pk_add_f32 v[30:31], v[24:25], v[26:27] neg_lo:[0,1] neg_hi:[0,1]
	v_mov_b32_e32 v29, v24
	v_pk_add_f32 v[24:25], v[30:31], v[28:29] neg_lo:[0,1] neg_hi:[0,1]
	v_cmp_eq_f32_e32 vcc, s37, v49
	v_add_f32_e32 v25, v36, v25
	v_add_f32_e32 v24, v24, v25
	;; [unrolled: 1-line block ×3, first 2 shown]
	v_mul_f32_e32 v36, v35, v25
	v_mul_f32_e32 v26, v33, v36
	v_fma_f32 v28, v36, v33, -v26
	v_fmac_f32_e32 v28, v36, v34
	v_sub_f32_e32 v27, v27, v25
	v_add_f32_e32 v33, v24, v27
	v_add_f32_e32 v24, v26, v28
	v_sub_f32_e32 v27, v25, v24
	v_pk_add_f32 v[30:31], v[24:25], v[26:27] neg_lo:[0,1] neg_hi:[0,1]
	v_mov_b32_e32 v29, v24
	v_pk_add_f32 v[24:25], v[30:31], v[28:29] neg_lo:[0,1] neg_hi:[0,1]
	s_or_b64 vcc, s[2:3], vcc
	v_add_f32_e32 v25, v33, v25
	v_add_f32_e32 v24, v24, v25
	;; [unrolled: 1-line block ×4, first 2 shown]
	v_sub_f32_e32 v26, v25, v37
	v_mul_f32_e32 v24, v35, v24
	v_sub_f32_e32 v26, v36, v26
	v_add_f32_e32 v26, v26, v24
	v_add_f32_e32 v28, v25, v26
	v_mul_f32_e32 v29, v28, v28
	v_fmamk_f32 v24, v29, 0x3e9b6dac, v120
	v_fmaak_f32 v53, v29, v24, 0x3f2aaada
	v_cvt_f32_i32_e32 v24, v32
	v_sub_f32_e32 v25, v28, v25
	v_sub_f32_e32 v25, v26, v25
	v_ldexp_f32 v30, v25, 1
	v_mul_f32_e32 v25, v28, v29
	v_ldexp_f32 v27, v28, 1
	v_pk_mul_f32 v[28:29], v[24:25], v[52:53]
	s_nop 0
	v_fma_f32 v26, v24, s39, -v28
	v_fmac_f32_e32 v26, 0xb102e308, v24
	v_pk_add_f32 v[24:25], v[28:29], v[26:27]
	s_nop 0
	v_sub_f32_e32 v27, v25, v27
	v_sub_f32_e32 v27, v29, v27
	v_add_f32_e32 v31, v30, v27
	v_mov_b32_e32 v30, v28
	v_pk_add_f32 v[28:29], v[24:25], v[28:29] neg_lo:[0,1] neg_hi:[0,1]
	v_pk_add_f32 v[32:33], v[24:25], v[30:31]
	v_mov_b32_e32 v27, v24
	v_mov_b32_e32 v29, v33
	v_pk_add_f32 v[34:35], v[26:27], v[28:29] neg_lo:[0,1] neg_hi:[0,1]
	v_pk_add_f32 v[26:27], v[26:27], v[28:29]
	v_mov_b32_e32 v30, v31
	v_mov_b32_e32 v28, v27
	v_pk_add_f32 v[36:37], v[28:29], v[24:25] neg_lo:[0,1] neg_hi:[0,1]
	v_mov_b32_e32 v26, v33
	v_mov_b32_e32 v29, v36
	v_pk_add_f32 v[38:39], v[32:33], v[28:29] neg_lo:[0,1] neg_hi:[0,1]
	v_mov_b32_e32 v32, v25
	v_mov_b32_e32 v33, v36
	;; [unrolled: 1-line block ×3, first 2 shown]
	v_pk_add_f32 v[26:27], v[26:27], v[32:33] neg_lo:[0,1] neg_hi:[0,1]
	v_mov_b32_e32 v31, v24
	v_pk_add_f32 v[24:25], v[30:31], v[26:27] neg_lo:[0,1] neg_hi:[0,1]
	v_mov_b32_e32 v38, v34
	v_pk_add_f32 v[26:27], v[38:39], v[24:25]
	s_nop 0
	v_mov_b32_e32 v30, v27
	v_pk_add_f32 v[30:31], v[26:27], v[30:31]
	s_nop 0
	v_pk_add_f32 v[28:29], v[28:29], v[30:31]
	v_mov_b32_e32 v25, v30
	v_mov_b32_e32 v27, v28
	v_pk_add_f32 v[32:33], v[26:27], v[34:35] neg_lo:[0,1] neg_hi:[0,1]
	s_nop 0
	v_sub_f32_e32 v26, v26, v32
	v_pk_add_f32 v[24:25], v[24:25], v[32:33] neg_lo:[0,1] neg_hi:[0,1]
	v_sub_f32_e32 v26, v34, v26
	v_add_f32_e32 v24, v24, v26
	v_add_f32_e32 v24, v24, v25
	v_add_f32_e32 v24, v28, v24
	v_cndmask_b32_e32 v132, v24, v49, vcc
.LBB57_37:                              ;   in Loop: Header=BB57_13 Depth=1
	s_or_b64 exec, exec, s[30:31]
	s_waitcnt lgkmcnt(0)
	v_lshlrev_b32_e32 v24, 16, v4
	v_add_f32_e32 v133, s33, v24
	s_mov_b32 s2, 0x41a00000
	v_cmp_ge_f32_e32 vcc, s2, v133
	s_and_b64 s[2:3], s[88:89], vcc
	s_and_saveexec_b64 s[30:31], s[2:3]
	s_cbranch_execz .LBB57_39
; %bb.38:                               ;   in Loop: Header=BB57_13 Depth=1
	v_mul_f32_e32 v24, 0x3fb8aa3b, v133
	v_rndne_f32_e32 v25, v24
	v_sub_f32_e32 v26, v24, v25
	v_fma_f32 v24, v133, s34, -v24
	v_fmac_f32_e32 v24, 0x32a5705f, v133
	v_add_f32_e32 v24, v26, v24
	v_cvt_i32_f32_e32 v25, v25
	v_exp_f32_e32 v24, v24
	v_cmp_ngt_f32_e32 vcc, s35, v133
	v_ldexp_f32 v24, v24, v25
	s_nop 0
	v_cndmask_b32_e32 v24, 0, v24, vcc
	v_cmp_nlt_f32_e32 vcc, s36, v133
	s_nop 1
	v_cndmask_b32_e32 v49, v121, v24, vcc
	v_add_f32_e32 v26, 1.0, v49
	v_add_f32_e32 v24, -1.0, v26
	v_sub_f32_e32 v25, v24, v26
	v_add_f32_e32 v25, 1.0, v25
	v_sub_f32_e32 v24, v49, v24
	v_add_f32_e32 v27, v24, v25
	v_frexp_mant_f32_e32 v28, v26
	v_cvt_f64_f32_e32 v[24:25], v26
	v_frexp_exp_i32_f64_e32 v24, v[24:25]
	v_cmp_gt_f32_e32 vcc, s38, v28
	v_cmp_gt_f32_e64 s[2:3], s40, v49
	s_nop 0
	v_subbrev_co_u32_e32 v32, vcc, 0, v24, vcc
	v_sub_u32_e32 v24, 0, v32
	v_ldexp_f32 v25, v26, v24
	v_add_f32_e32 v26, -1.0, v25
	v_add_f32_e32 v28, 1.0, v25
	v_ldexp_f32 v24, v27, v24
	v_add_f32_e32 v27, 1.0, v26
	v_add_f32_e32 v29, -1.0, v28
	v_sub_f32_e32 v27, v25, v27
	v_sub_f32_e32 v25, v25, v29
	v_add_f32_e32 v27, v24, v27
	v_add_f32_e32 v24, v24, v25
	;; [unrolled: 1-line block ×3, first 2 shown]
	v_rcp_f32_e32 v35, v33
	v_sub_f32_e32 v25, v28, v33
	v_add_f32_e32 v34, v24, v25
	v_add_f32_e32 v25, v26, v27
	v_mul_f32_e32 v37, v25, v35
	v_sub_f32_e32 v24, v26, v25
	v_mul_f32_e32 v26, v33, v37
	v_fma_f32 v28, v37, v33, -v26
	v_fmac_f32_e32 v28, v37, v34
	v_add_f32_e32 v36, v27, v24
	v_add_f32_e32 v24, v26, v28
	v_sub_f32_e32 v27, v25, v24
	v_pk_add_f32 v[30:31], v[24:25], v[26:27] neg_lo:[0,1] neg_hi:[0,1]
	v_mov_b32_e32 v29, v24
	v_pk_add_f32 v[24:25], v[30:31], v[28:29] neg_lo:[0,1] neg_hi:[0,1]
	v_cmp_eq_f32_e32 vcc, s37, v49
	v_add_f32_e32 v25, v36, v25
	v_add_f32_e32 v24, v24, v25
	;; [unrolled: 1-line block ×3, first 2 shown]
	v_mul_f32_e32 v36, v35, v25
	v_mul_f32_e32 v26, v33, v36
	v_fma_f32 v28, v36, v33, -v26
	v_fmac_f32_e32 v28, v36, v34
	v_sub_f32_e32 v27, v27, v25
	v_add_f32_e32 v33, v24, v27
	v_add_f32_e32 v24, v26, v28
	v_sub_f32_e32 v27, v25, v24
	v_pk_add_f32 v[30:31], v[24:25], v[26:27] neg_lo:[0,1] neg_hi:[0,1]
	v_mov_b32_e32 v29, v24
	v_pk_add_f32 v[24:25], v[30:31], v[28:29] neg_lo:[0,1] neg_hi:[0,1]
	s_or_b64 vcc, s[2:3], vcc
	v_add_f32_e32 v25, v33, v25
	v_add_f32_e32 v24, v24, v25
	v_add_f32_e32 v25, v37, v36
	v_add_f32_e32 v24, v27, v24
	v_sub_f32_e32 v26, v25, v37
	v_mul_f32_e32 v24, v35, v24
	v_sub_f32_e32 v26, v36, v26
	v_add_f32_e32 v26, v26, v24
	v_add_f32_e32 v28, v25, v26
	v_mul_f32_e32 v29, v28, v28
	v_fmamk_f32 v24, v29, 0x3e9b6dac, v120
	v_fmaak_f32 v53, v29, v24, 0x3f2aaada
	v_cvt_f32_i32_e32 v24, v32
	v_sub_f32_e32 v25, v28, v25
	v_sub_f32_e32 v25, v26, v25
	v_ldexp_f32 v30, v25, 1
	v_mul_f32_e32 v25, v28, v29
	v_ldexp_f32 v27, v28, 1
	v_pk_mul_f32 v[28:29], v[24:25], v[52:53]
	s_nop 0
	v_fma_f32 v26, v24, s39, -v28
	v_fmac_f32_e32 v26, 0xb102e308, v24
	v_pk_add_f32 v[24:25], v[28:29], v[26:27]
	s_nop 0
	v_sub_f32_e32 v27, v25, v27
	v_sub_f32_e32 v27, v29, v27
	v_add_f32_e32 v31, v30, v27
	v_mov_b32_e32 v30, v28
	v_pk_add_f32 v[28:29], v[24:25], v[28:29] neg_lo:[0,1] neg_hi:[0,1]
	v_pk_add_f32 v[32:33], v[24:25], v[30:31]
	v_mov_b32_e32 v27, v24
	v_mov_b32_e32 v29, v33
	v_pk_add_f32 v[34:35], v[26:27], v[28:29] neg_lo:[0,1] neg_hi:[0,1]
	v_pk_add_f32 v[26:27], v[26:27], v[28:29]
	v_mov_b32_e32 v30, v31
	v_mov_b32_e32 v28, v27
	v_pk_add_f32 v[36:37], v[28:29], v[24:25] neg_lo:[0,1] neg_hi:[0,1]
	v_mov_b32_e32 v26, v33
	v_mov_b32_e32 v29, v36
	v_pk_add_f32 v[38:39], v[32:33], v[28:29] neg_lo:[0,1] neg_hi:[0,1]
	v_mov_b32_e32 v32, v25
	v_mov_b32_e32 v33, v36
	;; [unrolled: 1-line block ×3, first 2 shown]
	v_pk_add_f32 v[26:27], v[26:27], v[32:33] neg_lo:[0,1] neg_hi:[0,1]
	v_mov_b32_e32 v31, v24
	v_pk_add_f32 v[24:25], v[30:31], v[26:27] neg_lo:[0,1] neg_hi:[0,1]
	v_mov_b32_e32 v38, v34
	v_pk_add_f32 v[26:27], v[38:39], v[24:25]
	s_nop 0
	v_mov_b32_e32 v30, v27
	v_pk_add_f32 v[30:31], v[26:27], v[30:31]
	s_nop 0
	v_pk_add_f32 v[28:29], v[28:29], v[30:31]
	v_mov_b32_e32 v25, v30
	v_mov_b32_e32 v27, v28
	v_pk_add_f32 v[32:33], v[26:27], v[34:35] neg_lo:[0,1] neg_hi:[0,1]
	s_nop 0
	v_sub_f32_e32 v26, v26, v32
	v_pk_add_f32 v[24:25], v[24:25], v[32:33] neg_lo:[0,1] neg_hi:[0,1]
	v_sub_f32_e32 v26, v34, v26
	v_add_f32_e32 v24, v24, v26
	v_add_f32_e32 v24, v24, v25
	;; [unrolled: 1-line block ×3, first 2 shown]
	v_cndmask_b32_e32 v133, v24, v49, vcc
.LBB57_39:                              ;   in Loop: Header=BB57_13 Depth=1
	s_or_b64 exec, exec, s[30:31]
	v_and_b32_e32 v24, 0xffff0000, v4
	v_add_f32_e32 v134, s33, v24
	s_mov_b32 s2, 0x41a00000
	v_cmp_ge_f32_e32 vcc, s2, v134
	s_and_b64 s[2:3], s[88:89], vcc
	s_and_saveexec_b64 s[30:31], s[2:3]
	s_cbranch_execz .LBB57_41
; %bb.40:                               ;   in Loop: Header=BB57_13 Depth=1
	v_mul_f32_e32 v24, 0x3fb8aa3b, v134
	v_rndne_f32_e32 v25, v24
	v_sub_f32_e32 v26, v24, v25
	v_fma_f32 v24, v134, s34, -v24
	v_fmac_f32_e32 v24, 0x32a5705f, v134
	v_add_f32_e32 v24, v26, v24
	v_cvt_i32_f32_e32 v25, v25
	v_exp_f32_e32 v24, v24
	v_cmp_ngt_f32_e32 vcc, s35, v134
	v_ldexp_f32 v24, v24, v25
	s_nop 0
	v_cndmask_b32_e32 v24, 0, v24, vcc
	v_cmp_nlt_f32_e32 vcc, s36, v134
	s_nop 1
	v_cndmask_b32_e32 v49, v121, v24, vcc
	v_add_f32_e32 v26, 1.0, v49
	v_add_f32_e32 v24, -1.0, v26
	v_sub_f32_e32 v25, v24, v26
	v_add_f32_e32 v25, 1.0, v25
	v_sub_f32_e32 v24, v49, v24
	v_add_f32_e32 v27, v24, v25
	v_frexp_mant_f32_e32 v28, v26
	v_cvt_f64_f32_e32 v[24:25], v26
	v_frexp_exp_i32_f64_e32 v24, v[24:25]
	v_cmp_gt_f32_e32 vcc, s38, v28
	v_cmp_gt_f32_e64 s[2:3], s40, v49
	s_nop 0
	v_subbrev_co_u32_e32 v32, vcc, 0, v24, vcc
	v_sub_u32_e32 v24, 0, v32
	v_ldexp_f32 v25, v26, v24
	v_add_f32_e32 v26, -1.0, v25
	v_add_f32_e32 v28, 1.0, v25
	v_ldexp_f32 v24, v27, v24
	v_add_f32_e32 v27, 1.0, v26
	v_add_f32_e32 v29, -1.0, v28
	v_sub_f32_e32 v27, v25, v27
	v_sub_f32_e32 v25, v25, v29
	v_add_f32_e32 v27, v24, v27
	v_add_f32_e32 v24, v24, v25
	;; [unrolled: 1-line block ×3, first 2 shown]
	v_rcp_f32_e32 v35, v33
	v_sub_f32_e32 v25, v28, v33
	v_add_f32_e32 v34, v24, v25
	v_add_f32_e32 v25, v26, v27
	v_mul_f32_e32 v37, v25, v35
	v_sub_f32_e32 v24, v26, v25
	v_mul_f32_e32 v26, v33, v37
	v_fma_f32 v28, v37, v33, -v26
	v_fmac_f32_e32 v28, v37, v34
	v_add_f32_e32 v36, v27, v24
	v_add_f32_e32 v24, v26, v28
	v_sub_f32_e32 v27, v25, v24
	v_pk_add_f32 v[30:31], v[24:25], v[26:27] neg_lo:[0,1] neg_hi:[0,1]
	v_mov_b32_e32 v29, v24
	v_pk_add_f32 v[24:25], v[30:31], v[28:29] neg_lo:[0,1] neg_hi:[0,1]
	v_cmp_eq_f32_e32 vcc, s37, v49
	v_add_f32_e32 v25, v36, v25
	v_add_f32_e32 v24, v24, v25
	;; [unrolled: 1-line block ×3, first 2 shown]
	v_mul_f32_e32 v36, v35, v25
	v_mul_f32_e32 v26, v33, v36
	v_fma_f32 v28, v36, v33, -v26
	v_fmac_f32_e32 v28, v36, v34
	v_sub_f32_e32 v27, v27, v25
	v_add_f32_e32 v33, v24, v27
	v_add_f32_e32 v24, v26, v28
	v_sub_f32_e32 v27, v25, v24
	v_pk_add_f32 v[30:31], v[24:25], v[26:27] neg_lo:[0,1] neg_hi:[0,1]
	v_mov_b32_e32 v29, v24
	v_pk_add_f32 v[24:25], v[30:31], v[28:29] neg_lo:[0,1] neg_hi:[0,1]
	s_or_b64 vcc, s[2:3], vcc
	v_add_f32_e32 v25, v33, v25
	v_add_f32_e32 v24, v24, v25
	;; [unrolled: 1-line block ×4, first 2 shown]
	v_sub_f32_e32 v26, v25, v37
	v_mul_f32_e32 v24, v35, v24
	v_sub_f32_e32 v26, v36, v26
	v_add_f32_e32 v26, v26, v24
	v_add_f32_e32 v28, v25, v26
	v_mul_f32_e32 v29, v28, v28
	v_fmamk_f32 v24, v29, 0x3e9b6dac, v120
	v_fmaak_f32 v53, v29, v24, 0x3f2aaada
	v_cvt_f32_i32_e32 v24, v32
	v_sub_f32_e32 v25, v28, v25
	v_sub_f32_e32 v25, v26, v25
	v_ldexp_f32 v30, v25, 1
	v_mul_f32_e32 v25, v28, v29
	v_ldexp_f32 v27, v28, 1
	v_pk_mul_f32 v[28:29], v[24:25], v[52:53]
	s_nop 0
	v_fma_f32 v26, v24, s39, -v28
	v_fmac_f32_e32 v26, 0xb102e308, v24
	v_pk_add_f32 v[24:25], v[28:29], v[26:27]
	s_nop 0
	v_sub_f32_e32 v27, v25, v27
	v_sub_f32_e32 v27, v29, v27
	v_add_f32_e32 v31, v30, v27
	v_mov_b32_e32 v30, v28
	v_pk_add_f32 v[28:29], v[24:25], v[28:29] neg_lo:[0,1] neg_hi:[0,1]
	v_pk_add_f32 v[32:33], v[24:25], v[30:31]
	v_mov_b32_e32 v27, v24
	v_mov_b32_e32 v29, v33
	v_pk_add_f32 v[34:35], v[26:27], v[28:29] neg_lo:[0,1] neg_hi:[0,1]
	v_pk_add_f32 v[26:27], v[26:27], v[28:29]
	v_mov_b32_e32 v30, v31
	v_mov_b32_e32 v28, v27
	v_pk_add_f32 v[36:37], v[28:29], v[24:25] neg_lo:[0,1] neg_hi:[0,1]
	v_mov_b32_e32 v26, v33
	v_mov_b32_e32 v29, v36
	v_pk_add_f32 v[38:39], v[32:33], v[28:29] neg_lo:[0,1] neg_hi:[0,1]
	v_mov_b32_e32 v32, v25
	v_mov_b32_e32 v33, v36
	v_mov_b32_e32 v35, v27
	v_pk_add_f32 v[26:27], v[26:27], v[32:33] neg_lo:[0,1] neg_hi:[0,1]
	v_mov_b32_e32 v31, v24
	v_pk_add_f32 v[24:25], v[30:31], v[26:27] neg_lo:[0,1] neg_hi:[0,1]
	v_mov_b32_e32 v38, v34
	v_pk_add_f32 v[26:27], v[38:39], v[24:25]
	s_nop 0
	v_mov_b32_e32 v30, v27
	v_pk_add_f32 v[30:31], v[26:27], v[30:31]
	s_nop 0
	v_pk_add_f32 v[28:29], v[28:29], v[30:31]
	v_mov_b32_e32 v25, v30
	v_mov_b32_e32 v27, v28
	v_pk_add_f32 v[32:33], v[26:27], v[34:35] neg_lo:[0,1] neg_hi:[0,1]
	s_nop 0
	v_sub_f32_e32 v26, v26, v32
	v_pk_add_f32 v[24:25], v[24:25], v[32:33] neg_lo:[0,1] neg_hi:[0,1]
	v_sub_f32_e32 v26, v34, v26
	v_add_f32_e32 v24, v24, v26
	v_add_f32_e32 v24, v24, v25
	;; [unrolled: 1-line block ×3, first 2 shown]
	v_cndmask_b32_e32 v134, v24, v49, vcc
.LBB57_41:                              ;   in Loop: Header=BB57_13 Depth=1
	s_or_b64 exec, exec, s[30:31]
	v_lshlrev_b32_e32 v24, 16, v5
	v_add_f32_e32 v135, s33, v24
	s_mov_b32 s2, 0x41a00000
	v_cmp_ge_f32_e32 vcc, s2, v135
	s_and_b64 s[2:3], s[88:89], vcc
	s_and_saveexec_b64 s[30:31], s[2:3]
	s_cbranch_execz .LBB57_43
; %bb.42:                               ;   in Loop: Header=BB57_13 Depth=1
	v_mul_f32_e32 v24, 0x3fb8aa3b, v135
	v_rndne_f32_e32 v25, v24
	v_sub_f32_e32 v26, v24, v25
	v_fma_f32 v24, v135, s34, -v24
	v_fmac_f32_e32 v24, 0x32a5705f, v135
	v_add_f32_e32 v24, v26, v24
	v_cvt_i32_f32_e32 v25, v25
	v_exp_f32_e32 v24, v24
	v_cmp_ngt_f32_e32 vcc, s35, v135
	v_ldexp_f32 v24, v24, v25
	s_nop 0
	v_cndmask_b32_e32 v24, 0, v24, vcc
	v_cmp_nlt_f32_e32 vcc, s36, v135
	s_nop 1
	v_cndmask_b32_e32 v49, v121, v24, vcc
	v_add_f32_e32 v26, 1.0, v49
	v_add_f32_e32 v24, -1.0, v26
	v_sub_f32_e32 v25, v24, v26
	v_add_f32_e32 v25, 1.0, v25
	v_sub_f32_e32 v24, v49, v24
	v_add_f32_e32 v27, v24, v25
	v_frexp_mant_f32_e32 v28, v26
	v_cvt_f64_f32_e32 v[24:25], v26
	v_frexp_exp_i32_f64_e32 v24, v[24:25]
	v_cmp_gt_f32_e32 vcc, s38, v28
	v_cmp_gt_f32_e64 s[2:3], s40, v49
	s_nop 0
	v_subbrev_co_u32_e32 v32, vcc, 0, v24, vcc
	v_sub_u32_e32 v24, 0, v32
	v_ldexp_f32 v25, v26, v24
	v_add_f32_e32 v26, -1.0, v25
	v_add_f32_e32 v28, 1.0, v25
	v_ldexp_f32 v24, v27, v24
	v_add_f32_e32 v27, 1.0, v26
	v_add_f32_e32 v29, -1.0, v28
	v_sub_f32_e32 v27, v25, v27
	v_sub_f32_e32 v25, v25, v29
	v_add_f32_e32 v27, v24, v27
	v_add_f32_e32 v24, v24, v25
	;; [unrolled: 1-line block ×3, first 2 shown]
	v_rcp_f32_e32 v35, v33
	v_sub_f32_e32 v25, v28, v33
	v_add_f32_e32 v34, v24, v25
	v_add_f32_e32 v25, v26, v27
	v_mul_f32_e32 v37, v25, v35
	v_sub_f32_e32 v24, v26, v25
	v_mul_f32_e32 v26, v33, v37
	v_fma_f32 v28, v37, v33, -v26
	v_fmac_f32_e32 v28, v37, v34
	v_add_f32_e32 v36, v27, v24
	v_add_f32_e32 v24, v26, v28
	v_sub_f32_e32 v27, v25, v24
	v_pk_add_f32 v[30:31], v[24:25], v[26:27] neg_lo:[0,1] neg_hi:[0,1]
	v_mov_b32_e32 v29, v24
	v_pk_add_f32 v[24:25], v[30:31], v[28:29] neg_lo:[0,1] neg_hi:[0,1]
	v_cmp_eq_f32_e32 vcc, s37, v49
	v_add_f32_e32 v25, v36, v25
	v_add_f32_e32 v24, v24, v25
	;; [unrolled: 1-line block ×3, first 2 shown]
	v_mul_f32_e32 v36, v35, v25
	v_mul_f32_e32 v26, v33, v36
	v_fma_f32 v28, v36, v33, -v26
	v_fmac_f32_e32 v28, v36, v34
	v_sub_f32_e32 v27, v27, v25
	v_add_f32_e32 v33, v24, v27
	v_add_f32_e32 v24, v26, v28
	v_sub_f32_e32 v27, v25, v24
	v_pk_add_f32 v[30:31], v[24:25], v[26:27] neg_lo:[0,1] neg_hi:[0,1]
	v_mov_b32_e32 v29, v24
	v_pk_add_f32 v[24:25], v[30:31], v[28:29] neg_lo:[0,1] neg_hi:[0,1]
	s_or_b64 vcc, s[2:3], vcc
	v_add_f32_e32 v25, v33, v25
	v_add_f32_e32 v24, v24, v25
	v_add_f32_e32 v25, v37, v36
	v_add_f32_e32 v24, v27, v24
	v_sub_f32_e32 v26, v25, v37
	v_mul_f32_e32 v24, v35, v24
	v_sub_f32_e32 v26, v36, v26
	v_add_f32_e32 v26, v26, v24
	v_add_f32_e32 v28, v25, v26
	v_mul_f32_e32 v29, v28, v28
	v_fmamk_f32 v24, v29, 0x3e9b6dac, v120
	v_fmaak_f32 v53, v29, v24, 0x3f2aaada
	v_cvt_f32_i32_e32 v24, v32
	v_sub_f32_e32 v25, v28, v25
	v_sub_f32_e32 v25, v26, v25
	v_ldexp_f32 v30, v25, 1
	v_mul_f32_e32 v25, v28, v29
	v_ldexp_f32 v27, v28, 1
	v_pk_mul_f32 v[28:29], v[24:25], v[52:53]
	s_nop 0
	v_fma_f32 v26, v24, s39, -v28
	v_fmac_f32_e32 v26, 0xb102e308, v24
	v_pk_add_f32 v[24:25], v[28:29], v[26:27]
	s_nop 0
	v_sub_f32_e32 v27, v25, v27
	v_sub_f32_e32 v27, v29, v27
	v_add_f32_e32 v31, v30, v27
	v_mov_b32_e32 v30, v28
	v_pk_add_f32 v[28:29], v[24:25], v[28:29] neg_lo:[0,1] neg_hi:[0,1]
	v_pk_add_f32 v[32:33], v[24:25], v[30:31]
	v_mov_b32_e32 v27, v24
	v_mov_b32_e32 v29, v33
	v_pk_add_f32 v[34:35], v[26:27], v[28:29] neg_lo:[0,1] neg_hi:[0,1]
	v_pk_add_f32 v[26:27], v[26:27], v[28:29]
	v_mov_b32_e32 v30, v31
	v_mov_b32_e32 v28, v27
	v_pk_add_f32 v[36:37], v[28:29], v[24:25] neg_lo:[0,1] neg_hi:[0,1]
	v_mov_b32_e32 v26, v33
	v_mov_b32_e32 v29, v36
	v_pk_add_f32 v[38:39], v[32:33], v[28:29] neg_lo:[0,1] neg_hi:[0,1]
	v_mov_b32_e32 v32, v25
	v_mov_b32_e32 v33, v36
	;; [unrolled: 1-line block ×3, first 2 shown]
	v_pk_add_f32 v[26:27], v[26:27], v[32:33] neg_lo:[0,1] neg_hi:[0,1]
	v_mov_b32_e32 v31, v24
	v_pk_add_f32 v[24:25], v[30:31], v[26:27] neg_lo:[0,1] neg_hi:[0,1]
	v_mov_b32_e32 v38, v34
	v_pk_add_f32 v[26:27], v[38:39], v[24:25]
	s_nop 0
	v_mov_b32_e32 v30, v27
	v_pk_add_f32 v[30:31], v[26:27], v[30:31]
	s_nop 0
	v_pk_add_f32 v[28:29], v[28:29], v[30:31]
	v_mov_b32_e32 v25, v30
	v_mov_b32_e32 v27, v28
	v_pk_add_f32 v[32:33], v[26:27], v[34:35] neg_lo:[0,1] neg_hi:[0,1]
	s_nop 0
	v_sub_f32_e32 v26, v26, v32
	v_pk_add_f32 v[24:25], v[24:25], v[32:33] neg_lo:[0,1] neg_hi:[0,1]
	v_sub_f32_e32 v26, v34, v26
	v_add_f32_e32 v24, v24, v26
	v_add_f32_e32 v24, v24, v25
	;; [unrolled: 1-line block ×3, first 2 shown]
	v_cndmask_b32_e32 v135, v24, v49, vcc
.LBB57_43:                              ;   in Loop: Header=BB57_13 Depth=1
	s_or_b64 exec, exec, s[30:31]
	v_and_b32_e32 v24, 0xffff0000, v5
	v_add_f32_e32 v136, s33, v24
	s_mov_b32 s2, 0x41a00000
	v_cmp_ge_f32_e32 vcc, s2, v136
	s_and_b64 s[2:3], s[88:89], vcc
	s_and_saveexec_b64 s[30:31], s[2:3]
	s_cbranch_execz .LBB57_45
; %bb.44:                               ;   in Loop: Header=BB57_13 Depth=1
	v_mul_f32_e32 v24, 0x3fb8aa3b, v136
	v_rndne_f32_e32 v25, v24
	v_sub_f32_e32 v26, v24, v25
	v_fma_f32 v24, v136, s34, -v24
	v_fmac_f32_e32 v24, 0x32a5705f, v136
	v_add_f32_e32 v24, v26, v24
	v_cvt_i32_f32_e32 v25, v25
	v_exp_f32_e32 v24, v24
	v_cmp_ngt_f32_e32 vcc, s35, v136
	v_ldexp_f32 v24, v24, v25
	s_nop 0
	v_cndmask_b32_e32 v24, 0, v24, vcc
	v_cmp_nlt_f32_e32 vcc, s36, v136
	s_nop 1
	v_cndmask_b32_e32 v49, v121, v24, vcc
	v_add_f32_e32 v26, 1.0, v49
	v_add_f32_e32 v24, -1.0, v26
	v_sub_f32_e32 v25, v24, v26
	v_add_f32_e32 v25, 1.0, v25
	v_sub_f32_e32 v24, v49, v24
	v_add_f32_e32 v27, v24, v25
	v_frexp_mant_f32_e32 v28, v26
	v_cvt_f64_f32_e32 v[24:25], v26
	v_frexp_exp_i32_f64_e32 v24, v[24:25]
	v_cmp_gt_f32_e32 vcc, s38, v28
	v_cmp_gt_f32_e64 s[2:3], s40, v49
	s_nop 0
	v_subbrev_co_u32_e32 v32, vcc, 0, v24, vcc
	v_sub_u32_e32 v24, 0, v32
	v_ldexp_f32 v25, v26, v24
	v_add_f32_e32 v26, -1.0, v25
	v_add_f32_e32 v28, 1.0, v25
	v_ldexp_f32 v24, v27, v24
	v_add_f32_e32 v27, 1.0, v26
	v_add_f32_e32 v29, -1.0, v28
	v_sub_f32_e32 v27, v25, v27
	v_sub_f32_e32 v25, v25, v29
	v_add_f32_e32 v27, v24, v27
	v_add_f32_e32 v24, v24, v25
	;; [unrolled: 1-line block ×3, first 2 shown]
	v_rcp_f32_e32 v35, v33
	v_sub_f32_e32 v25, v28, v33
	v_add_f32_e32 v34, v24, v25
	v_add_f32_e32 v25, v26, v27
	v_mul_f32_e32 v37, v25, v35
	v_sub_f32_e32 v24, v26, v25
	v_mul_f32_e32 v26, v33, v37
	v_fma_f32 v28, v37, v33, -v26
	v_fmac_f32_e32 v28, v37, v34
	v_add_f32_e32 v36, v27, v24
	v_add_f32_e32 v24, v26, v28
	v_sub_f32_e32 v27, v25, v24
	v_pk_add_f32 v[30:31], v[24:25], v[26:27] neg_lo:[0,1] neg_hi:[0,1]
	v_mov_b32_e32 v29, v24
	v_pk_add_f32 v[24:25], v[30:31], v[28:29] neg_lo:[0,1] neg_hi:[0,1]
	v_cmp_eq_f32_e32 vcc, s37, v49
	v_add_f32_e32 v25, v36, v25
	v_add_f32_e32 v24, v24, v25
	;; [unrolled: 1-line block ×3, first 2 shown]
	v_mul_f32_e32 v36, v35, v25
	v_mul_f32_e32 v26, v33, v36
	v_fma_f32 v28, v36, v33, -v26
	v_fmac_f32_e32 v28, v36, v34
	v_sub_f32_e32 v27, v27, v25
	v_add_f32_e32 v33, v24, v27
	v_add_f32_e32 v24, v26, v28
	v_sub_f32_e32 v27, v25, v24
	v_pk_add_f32 v[30:31], v[24:25], v[26:27] neg_lo:[0,1] neg_hi:[0,1]
	v_mov_b32_e32 v29, v24
	v_pk_add_f32 v[24:25], v[30:31], v[28:29] neg_lo:[0,1] neg_hi:[0,1]
	s_or_b64 vcc, s[2:3], vcc
	v_add_f32_e32 v25, v33, v25
	v_add_f32_e32 v24, v24, v25
	;; [unrolled: 1-line block ×4, first 2 shown]
	v_sub_f32_e32 v26, v25, v37
	v_mul_f32_e32 v24, v35, v24
	v_sub_f32_e32 v26, v36, v26
	v_add_f32_e32 v26, v26, v24
	v_add_f32_e32 v28, v25, v26
	v_mul_f32_e32 v29, v28, v28
	v_fmamk_f32 v24, v29, 0x3e9b6dac, v120
	v_fmaak_f32 v53, v29, v24, 0x3f2aaada
	v_cvt_f32_i32_e32 v24, v32
	v_sub_f32_e32 v25, v28, v25
	v_sub_f32_e32 v25, v26, v25
	v_ldexp_f32 v30, v25, 1
	v_mul_f32_e32 v25, v28, v29
	v_ldexp_f32 v27, v28, 1
	v_pk_mul_f32 v[28:29], v[24:25], v[52:53]
	s_nop 0
	v_fma_f32 v26, v24, s39, -v28
	v_fmac_f32_e32 v26, 0xb102e308, v24
	v_pk_add_f32 v[24:25], v[28:29], v[26:27]
	s_nop 0
	v_sub_f32_e32 v27, v25, v27
	v_sub_f32_e32 v27, v29, v27
	v_add_f32_e32 v31, v30, v27
	v_mov_b32_e32 v30, v28
	v_pk_add_f32 v[28:29], v[24:25], v[28:29] neg_lo:[0,1] neg_hi:[0,1]
	v_pk_add_f32 v[32:33], v[24:25], v[30:31]
	v_mov_b32_e32 v27, v24
	v_mov_b32_e32 v29, v33
	v_pk_add_f32 v[34:35], v[26:27], v[28:29] neg_lo:[0,1] neg_hi:[0,1]
	v_pk_add_f32 v[26:27], v[26:27], v[28:29]
	v_mov_b32_e32 v30, v31
	v_mov_b32_e32 v28, v27
	v_pk_add_f32 v[36:37], v[28:29], v[24:25] neg_lo:[0,1] neg_hi:[0,1]
	v_mov_b32_e32 v26, v33
	v_mov_b32_e32 v29, v36
	v_pk_add_f32 v[38:39], v[32:33], v[28:29] neg_lo:[0,1] neg_hi:[0,1]
	v_mov_b32_e32 v32, v25
	v_mov_b32_e32 v33, v36
	;; [unrolled: 1-line block ×3, first 2 shown]
	v_pk_add_f32 v[26:27], v[26:27], v[32:33] neg_lo:[0,1] neg_hi:[0,1]
	v_mov_b32_e32 v31, v24
	v_pk_add_f32 v[24:25], v[30:31], v[26:27] neg_lo:[0,1] neg_hi:[0,1]
	v_mov_b32_e32 v38, v34
	v_pk_add_f32 v[26:27], v[38:39], v[24:25]
	s_nop 0
	v_mov_b32_e32 v30, v27
	v_pk_add_f32 v[30:31], v[26:27], v[30:31]
	s_nop 0
	v_pk_add_f32 v[28:29], v[28:29], v[30:31]
	v_mov_b32_e32 v25, v30
	v_mov_b32_e32 v27, v28
	v_pk_add_f32 v[32:33], v[26:27], v[34:35] neg_lo:[0,1] neg_hi:[0,1]
	s_nop 0
	v_sub_f32_e32 v26, v26, v32
	v_pk_add_f32 v[24:25], v[24:25], v[32:33] neg_lo:[0,1] neg_hi:[0,1]
	v_sub_f32_e32 v26, v34, v26
	v_add_f32_e32 v24, v24, v26
	v_add_f32_e32 v24, v24, v25
	;; [unrolled: 1-line block ×3, first 2 shown]
	v_cndmask_b32_e32 v136, v24, v49, vcc
.LBB57_45:                              ;   in Loop: Header=BB57_13 Depth=1
	s_or_b64 exec, exec, s[30:31]
	v_lshlrev_b32_e32 v24, 16, v6
	v_add_f32_e32 v137, s33, v24
	s_mov_b32 s2, 0x41a00000
	v_cmp_ge_f32_e32 vcc, s2, v137
	s_and_b64 s[2:3], s[88:89], vcc
	s_and_saveexec_b64 s[30:31], s[2:3]
	s_cbranch_execz .LBB57_47
; %bb.46:                               ;   in Loop: Header=BB57_13 Depth=1
	v_mul_f32_e32 v24, 0x3fb8aa3b, v137
	v_rndne_f32_e32 v25, v24
	v_sub_f32_e32 v26, v24, v25
	v_fma_f32 v24, v137, s34, -v24
	v_fmac_f32_e32 v24, 0x32a5705f, v137
	v_add_f32_e32 v24, v26, v24
	v_cvt_i32_f32_e32 v25, v25
	v_exp_f32_e32 v24, v24
	v_cmp_ngt_f32_e32 vcc, s35, v137
	v_ldexp_f32 v24, v24, v25
	s_nop 0
	v_cndmask_b32_e32 v24, 0, v24, vcc
	v_cmp_nlt_f32_e32 vcc, s36, v137
	s_nop 1
	v_cndmask_b32_e32 v49, v121, v24, vcc
	v_add_f32_e32 v26, 1.0, v49
	v_add_f32_e32 v24, -1.0, v26
	v_sub_f32_e32 v25, v24, v26
	v_add_f32_e32 v25, 1.0, v25
	v_sub_f32_e32 v24, v49, v24
	v_add_f32_e32 v27, v24, v25
	v_frexp_mant_f32_e32 v28, v26
	v_cvt_f64_f32_e32 v[24:25], v26
	v_frexp_exp_i32_f64_e32 v24, v[24:25]
	v_cmp_gt_f32_e32 vcc, s38, v28
	v_cmp_gt_f32_e64 s[2:3], s40, v49
	s_nop 0
	v_subbrev_co_u32_e32 v32, vcc, 0, v24, vcc
	v_sub_u32_e32 v24, 0, v32
	v_ldexp_f32 v25, v26, v24
	v_add_f32_e32 v26, -1.0, v25
	v_add_f32_e32 v28, 1.0, v25
	v_ldexp_f32 v24, v27, v24
	v_add_f32_e32 v27, 1.0, v26
	v_add_f32_e32 v29, -1.0, v28
	v_sub_f32_e32 v27, v25, v27
	v_sub_f32_e32 v25, v25, v29
	v_add_f32_e32 v27, v24, v27
	v_add_f32_e32 v24, v24, v25
	;; [unrolled: 1-line block ×3, first 2 shown]
	v_rcp_f32_e32 v35, v33
	v_sub_f32_e32 v25, v28, v33
	v_add_f32_e32 v34, v24, v25
	v_add_f32_e32 v25, v26, v27
	v_mul_f32_e32 v37, v25, v35
	v_sub_f32_e32 v24, v26, v25
	v_mul_f32_e32 v26, v33, v37
	v_fma_f32 v28, v37, v33, -v26
	v_fmac_f32_e32 v28, v37, v34
	v_add_f32_e32 v36, v27, v24
	v_add_f32_e32 v24, v26, v28
	v_sub_f32_e32 v27, v25, v24
	v_pk_add_f32 v[30:31], v[24:25], v[26:27] neg_lo:[0,1] neg_hi:[0,1]
	v_mov_b32_e32 v29, v24
	v_pk_add_f32 v[24:25], v[30:31], v[28:29] neg_lo:[0,1] neg_hi:[0,1]
	v_cmp_eq_f32_e32 vcc, s37, v49
	v_add_f32_e32 v25, v36, v25
	v_add_f32_e32 v24, v24, v25
	;; [unrolled: 1-line block ×3, first 2 shown]
	v_mul_f32_e32 v36, v35, v25
	v_mul_f32_e32 v26, v33, v36
	v_fma_f32 v28, v36, v33, -v26
	v_fmac_f32_e32 v28, v36, v34
	v_sub_f32_e32 v27, v27, v25
	v_add_f32_e32 v33, v24, v27
	v_add_f32_e32 v24, v26, v28
	v_sub_f32_e32 v27, v25, v24
	v_pk_add_f32 v[30:31], v[24:25], v[26:27] neg_lo:[0,1] neg_hi:[0,1]
	v_mov_b32_e32 v29, v24
	v_pk_add_f32 v[24:25], v[30:31], v[28:29] neg_lo:[0,1] neg_hi:[0,1]
	s_or_b64 vcc, s[2:3], vcc
	v_add_f32_e32 v25, v33, v25
	v_add_f32_e32 v24, v24, v25
	;; [unrolled: 1-line block ×4, first 2 shown]
	v_sub_f32_e32 v26, v25, v37
	v_mul_f32_e32 v24, v35, v24
	v_sub_f32_e32 v26, v36, v26
	v_add_f32_e32 v26, v26, v24
	v_add_f32_e32 v28, v25, v26
	v_mul_f32_e32 v29, v28, v28
	v_fmamk_f32 v24, v29, 0x3e9b6dac, v120
	v_fmaak_f32 v53, v29, v24, 0x3f2aaada
	v_cvt_f32_i32_e32 v24, v32
	v_sub_f32_e32 v25, v28, v25
	v_sub_f32_e32 v25, v26, v25
	v_ldexp_f32 v30, v25, 1
	v_mul_f32_e32 v25, v28, v29
	v_ldexp_f32 v27, v28, 1
	v_pk_mul_f32 v[28:29], v[24:25], v[52:53]
	s_nop 0
	v_fma_f32 v26, v24, s39, -v28
	v_fmac_f32_e32 v26, 0xb102e308, v24
	v_pk_add_f32 v[24:25], v[28:29], v[26:27]
	s_nop 0
	v_sub_f32_e32 v27, v25, v27
	v_sub_f32_e32 v27, v29, v27
	v_add_f32_e32 v31, v30, v27
	v_mov_b32_e32 v30, v28
	v_pk_add_f32 v[28:29], v[24:25], v[28:29] neg_lo:[0,1] neg_hi:[0,1]
	v_pk_add_f32 v[32:33], v[24:25], v[30:31]
	v_mov_b32_e32 v27, v24
	v_mov_b32_e32 v29, v33
	v_pk_add_f32 v[34:35], v[26:27], v[28:29] neg_lo:[0,1] neg_hi:[0,1]
	v_pk_add_f32 v[26:27], v[26:27], v[28:29]
	v_mov_b32_e32 v30, v31
	v_mov_b32_e32 v28, v27
	v_pk_add_f32 v[36:37], v[28:29], v[24:25] neg_lo:[0,1] neg_hi:[0,1]
	v_mov_b32_e32 v26, v33
	v_mov_b32_e32 v29, v36
	v_pk_add_f32 v[38:39], v[32:33], v[28:29] neg_lo:[0,1] neg_hi:[0,1]
	v_mov_b32_e32 v32, v25
	v_mov_b32_e32 v33, v36
	;; [unrolled: 1-line block ×3, first 2 shown]
	v_pk_add_f32 v[26:27], v[26:27], v[32:33] neg_lo:[0,1] neg_hi:[0,1]
	v_mov_b32_e32 v31, v24
	v_pk_add_f32 v[24:25], v[30:31], v[26:27] neg_lo:[0,1] neg_hi:[0,1]
	v_mov_b32_e32 v38, v34
	v_pk_add_f32 v[26:27], v[38:39], v[24:25]
	s_nop 0
	v_mov_b32_e32 v30, v27
	v_pk_add_f32 v[30:31], v[26:27], v[30:31]
	s_nop 0
	v_pk_add_f32 v[28:29], v[28:29], v[30:31]
	v_mov_b32_e32 v25, v30
	v_mov_b32_e32 v27, v28
	v_pk_add_f32 v[32:33], v[26:27], v[34:35] neg_lo:[0,1] neg_hi:[0,1]
	s_nop 0
	v_sub_f32_e32 v26, v26, v32
	v_pk_add_f32 v[24:25], v[24:25], v[32:33] neg_lo:[0,1] neg_hi:[0,1]
	v_sub_f32_e32 v26, v34, v26
	v_add_f32_e32 v24, v24, v26
	v_add_f32_e32 v24, v24, v25
	;; [unrolled: 1-line block ×3, first 2 shown]
	v_cndmask_b32_e32 v137, v24, v49, vcc
.LBB57_47:                              ;   in Loop: Header=BB57_13 Depth=1
	s_or_b64 exec, exec, s[30:31]
	v_and_b32_e32 v24, 0xffff0000, v6
	v_add_f32_e32 v138, s33, v24
	s_mov_b32 s2, 0x41a00000
	v_cmp_ge_f32_e32 vcc, s2, v138
	s_and_b64 s[2:3], s[88:89], vcc
	s_and_saveexec_b64 s[30:31], s[2:3]
	s_cbranch_execz .LBB57_49
; %bb.48:                               ;   in Loop: Header=BB57_13 Depth=1
	v_mul_f32_e32 v24, 0x3fb8aa3b, v138
	v_rndne_f32_e32 v25, v24
	v_sub_f32_e32 v26, v24, v25
	v_fma_f32 v24, v138, s34, -v24
	v_fmac_f32_e32 v24, 0x32a5705f, v138
	v_add_f32_e32 v24, v26, v24
	v_cvt_i32_f32_e32 v25, v25
	v_exp_f32_e32 v24, v24
	v_cmp_ngt_f32_e32 vcc, s35, v138
	v_ldexp_f32 v24, v24, v25
	s_nop 0
	v_cndmask_b32_e32 v24, 0, v24, vcc
	v_cmp_nlt_f32_e32 vcc, s36, v138
	s_nop 1
	v_cndmask_b32_e32 v49, v121, v24, vcc
	v_add_f32_e32 v26, 1.0, v49
	v_add_f32_e32 v24, -1.0, v26
	v_sub_f32_e32 v25, v24, v26
	v_add_f32_e32 v25, 1.0, v25
	v_sub_f32_e32 v24, v49, v24
	v_add_f32_e32 v27, v24, v25
	v_frexp_mant_f32_e32 v28, v26
	v_cvt_f64_f32_e32 v[24:25], v26
	v_frexp_exp_i32_f64_e32 v24, v[24:25]
	v_cmp_gt_f32_e32 vcc, s38, v28
	v_cmp_gt_f32_e64 s[2:3], s40, v49
	s_nop 0
	v_subbrev_co_u32_e32 v32, vcc, 0, v24, vcc
	v_sub_u32_e32 v24, 0, v32
	v_ldexp_f32 v25, v26, v24
	v_add_f32_e32 v26, -1.0, v25
	v_add_f32_e32 v28, 1.0, v25
	v_ldexp_f32 v24, v27, v24
	v_add_f32_e32 v27, 1.0, v26
	v_add_f32_e32 v29, -1.0, v28
	v_sub_f32_e32 v27, v25, v27
	v_sub_f32_e32 v25, v25, v29
	v_add_f32_e32 v27, v24, v27
	v_add_f32_e32 v24, v24, v25
	;; [unrolled: 1-line block ×3, first 2 shown]
	v_rcp_f32_e32 v35, v33
	v_sub_f32_e32 v25, v28, v33
	v_add_f32_e32 v34, v24, v25
	v_add_f32_e32 v25, v26, v27
	v_mul_f32_e32 v37, v25, v35
	v_sub_f32_e32 v24, v26, v25
	v_mul_f32_e32 v26, v33, v37
	v_fma_f32 v28, v37, v33, -v26
	v_fmac_f32_e32 v28, v37, v34
	v_add_f32_e32 v36, v27, v24
	v_add_f32_e32 v24, v26, v28
	v_sub_f32_e32 v27, v25, v24
	v_pk_add_f32 v[30:31], v[24:25], v[26:27] neg_lo:[0,1] neg_hi:[0,1]
	v_mov_b32_e32 v29, v24
	v_pk_add_f32 v[24:25], v[30:31], v[28:29] neg_lo:[0,1] neg_hi:[0,1]
	v_cmp_eq_f32_e32 vcc, s37, v49
	v_add_f32_e32 v25, v36, v25
	v_add_f32_e32 v24, v24, v25
	;; [unrolled: 1-line block ×3, first 2 shown]
	v_mul_f32_e32 v36, v35, v25
	v_mul_f32_e32 v26, v33, v36
	v_fma_f32 v28, v36, v33, -v26
	v_fmac_f32_e32 v28, v36, v34
	v_sub_f32_e32 v27, v27, v25
	v_add_f32_e32 v33, v24, v27
	v_add_f32_e32 v24, v26, v28
	v_sub_f32_e32 v27, v25, v24
	v_pk_add_f32 v[30:31], v[24:25], v[26:27] neg_lo:[0,1] neg_hi:[0,1]
	v_mov_b32_e32 v29, v24
	v_pk_add_f32 v[24:25], v[30:31], v[28:29] neg_lo:[0,1] neg_hi:[0,1]
	s_or_b64 vcc, s[2:3], vcc
	v_add_f32_e32 v25, v33, v25
	v_add_f32_e32 v24, v24, v25
	;; [unrolled: 1-line block ×4, first 2 shown]
	v_sub_f32_e32 v26, v25, v37
	v_mul_f32_e32 v24, v35, v24
	v_sub_f32_e32 v26, v36, v26
	v_add_f32_e32 v26, v26, v24
	v_add_f32_e32 v28, v25, v26
	v_mul_f32_e32 v29, v28, v28
	v_fmamk_f32 v24, v29, 0x3e9b6dac, v120
	v_fmaak_f32 v53, v29, v24, 0x3f2aaada
	v_cvt_f32_i32_e32 v24, v32
	v_sub_f32_e32 v25, v28, v25
	v_sub_f32_e32 v25, v26, v25
	v_ldexp_f32 v30, v25, 1
	v_mul_f32_e32 v25, v28, v29
	v_ldexp_f32 v27, v28, 1
	v_pk_mul_f32 v[28:29], v[24:25], v[52:53]
	s_nop 0
	v_fma_f32 v26, v24, s39, -v28
	v_fmac_f32_e32 v26, 0xb102e308, v24
	v_pk_add_f32 v[24:25], v[28:29], v[26:27]
	s_nop 0
	v_sub_f32_e32 v27, v25, v27
	v_sub_f32_e32 v27, v29, v27
	v_add_f32_e32 v31, v30, v27
	v_mov_b32_e32 v30, v28
	v_pk_add_f32 v[28:29], v[24:25], v[28:29] neg_lo:[0,1] neg_hi:[0,1]
	v_pk_add_f32 v[32:33], v[24:25], v[30:31]
	v_mov_b32_e32 v27, v24
	v_mov_b32_e32 v29, v33
	v_pk_add_f32 v[34:35], v[26:27], v[28:29] neg_lo:[0,1] neg_hi:[0,1]
	v_pk_add_f32 v[26:27], v[26:27], v[28:29]
	v_mov_b32_e32 v30, v31
	v_mov_b32_e32 v28, v27
	v_pk_add_f32 v[36:37], v[28:29], v[24:25] neg_lo:[0,1] neg_hi:[0,1]
	v_mov_b32_e32 v26, v33
	v_mov_b32_e32 v29, v36
	v_pk_add_f32 v[38:39], v[32:33], v[28:29] neg_lo:[0,1] neg_hi:[0,1]
	v_mov_b32_e32 v32, v25
	v_mov_b32_e32 v33, v36
	;; [unrolled: 1-line block ×3, first 2 shown]
	v_pk_add_f32 v[26:27], v[26:27], v[32:33] neg_lo:[0,1] neg_hi:[0,1]
	v_mov_b32_e32 v31, v24
	v_pk_add_f32 v[24:25], v[30:31], v[26:27] neg_lo:[0,1] neg_hi:[0,1]
	v_mov_b32_e32 v38, v34
	v_pk_add_f32 v[26:27], v[38:39], v[24:25]
	s_nop 0
	v_mov_b32_e32 v30, v27
	v_pk_add_f32 v[30:31], v[26:27], v[30:31]
	s_nop 0
	v_pk_add_f32 v[28:29], v[28:29], v[30:31]
	v_mov_b32_e32 v25, v30
	v_mov_b32_e32 v27, v28
	v_pk_add_f32 v[32:33], v[26:27], v[34:35] neg_lo:[0,1] neg_hi:[0,1]
	s_nop 0
	v_sub_f32_e32 v26, v26, v32
	v_pk_add_f32 v[24:25], v[24:25], v[32:33] neg_lo:[0,1] neg_hi:[0,1]
	v_sub_f32_e32 v26, v34, v26
	v_add_f32_e32 v24, v24, v26
	v_add_f32_e32 v24, v24, v25
	v_add_f32_e32 v24, v28, v24
	v_cndmask_b32_e32 v138, v24, v49, vcc
.LBB57_49:                              ;   in Loop: Header=BB57_13 Depth=1
	s_or_b64 exec, exec, s[30:31]
	v_lshlrev_b32_e32 v24, 16, v7
	v_add_f32_e32 v70, s33, v24
	s_mov_b32 s2, 0x41a00000
	v_cmp_ge_f32_e32 vcc, s2, v70
	s_and_b64 s[2:3], s[88:89], vcc
	s_and_saveexec_b64 s[30:31], s[2:3]
	s_cbranch_execz .LBB57_51
; %bb.50:                               ;   in Loop: Header=BB57_13 Depth=1
	v_mul_f32_e32 v24, 0x3fb8aa3b, v70
	v_rndne_f32_e32 v25, v24
	v_sub_f32_e32 v26, v24, v25
	v_fma_f32 v24, v70, s34, -v24
	v_fmac_f32_e32 v24, 0x32a5705f, v70
	v_add_f32_e32 v24, v26, v24
	v_cvt_i32_f32_e32 v25, v25
	v_exp_f32_e32 v24, v24
	v_cmp_ngt_f32_e32 vcc, s35, v70
	v_ldexp_f32 v24, v24, v25
	s_nop 0
	v_cndmask_b32_e32 v24, 0, v24, vcc
	v_cmp_nlt_f32_e32 vcc, s36, v70
	s_nop 1
	v_cndmask_b32_e32 v49, v121, v24, vcc
	v_add_f32_e32 v26, 1.0, v49
	v_add_f32_e32 v24, -1.0, v26
	v_sub_f32_e32 v25, v24, v26
	v_add_f32_e32 v25, 1.0, v25
	v_sub_f32_e32 v24, v49, v24
	v_add_f32_e32 v27, v24, v25
	v_frexp_mant_f32_e32 v28, v26
	v_cvt_f64_f32_e32 v[24:25], v26
	v_frexp_exp_i32_f64_e32 v24, v[24:25]
	v_cmp_gt_f32_e32 vcc, s38, v28
	v_cmp_gt_f32_e64 s[2:3], s40, v49
	s_nop 0
	v_subbrev_co_u32_e32 v32, vcc, 0, v24, vcc
	v_sub_u32_e32 v24, 0, v32
	v_ldexp_f32 v25, v26, v24
	v_add_f32_e32 v26, -1.0, v25
	v_add_f32_e32 v28, 1.0, v25
	v_ldexp_f32 v24, v27, v24
	v_add_f32_e32 v27, 1.0, v26
	v_add_f32_e32 v29, -1.0, v28
	v_sub_f32_e32 v27, v25, v27
	v_sub_f32_e32 v25, v25, v29
	v_add_f32_e32 v27, v24, v27
	v_add_f32_e32 v24, v24, v25
	;; [unrolled: 1-line block ×3, first 2 shown]
	v_rcp_f32_e32 v35, v33
	v_sub_f32_e32 v25, v28, v33
	v_add_f32_e32 v34, v24, v25
	v_add_f32_e32 v25, v26, v27
	v_mul_f32_e32 v37, v25, v35
	v_sub_f32_e32 v24, v26, v25
	v_mul_f32_e32 v26, v33, v37
	v_fma_f32 v28, v37, v33, -v26
	v_fmac_f32_e32 v28, v37, v34
	v_add_f32_e32 v36, v27, v24
	v_add_f32_e32 v24, v26, v28
	v_sub_f32_e32 v27, v25, v24
	v_pk_add_f32 v[30:31], v[24:25], v[26:27] neg_lo:[0,1] neg_hi:[0,1]
	v_mov_b32_e32 v29, v24
	v_pk_add_f32 v[24:25], v[30:31], v[28:29] neg_lo:[0,1] neg_hi:[0,1]
	v_cmp_eq_f32_e32 vcc, s37, v49
	v_add_f32_e32 v25, v36, v25
	v_add_f32_e32 v24, v24, v25
	;; [unrolled: 1-line block ×3, first 2 shown]
	v_mul_f32_e32 v36, v35, v25
	v_mul_f32_e32 v26, v33, v36
	v_fma_f32 v28, v36, v33, -v26
	v_fmac_f32_e32 v28, v36, v34
	v_sub_f32_e32 v27, v27, v25
	v_add_f32_e32 v33, v24, v27
	v_add_f32_e32 v24, v26, v28
	v_sub_f32_e32 v27, v25, v24
	v_pk_add_f32 v[30:31], v[24:25], v[26:27] neg_lo:[0,1] neg_hi:[0,1]
	v_mov_b32_e32 v29, v24
	v_pk_add_f32 v[24:25], v[30:31], v[28:29] neg_lo:[0,1] neg_hi:[0,1]
	s_or_b64 vcc, s[2:3], vcc
	v_add_f32_e32 v25, v33, v25
	v_add_f32_e32 v24, v24, v25
	;; [unrolled: 1-line block ×4, first 2 shown]
	v_sub_f32_e32 v26, v25, v37
	v_mul_f32_e32 v24, v35, v24
	v_sub_f32_e32 v26, v36, v26
	v_add_f32_e32 v26, v26, v24
	v_add_f32_e32 v28, v25, v26
	v_mul_f32_e32 v29, v28, v28
	v_fmamk_f32 v24, v29, 0x3e9b6dac, v120
	v_fmaak_f32 v53, v29, v24, 0x3f2aaada
	v_cvt_f32_i32_e32 v24, v32
	v_sub_f32_e32 v25, v28, v25
	v_sub_f32_e32 v25, v26, v25
	v_ldexp_f32 v30, v25, 1
	v_mul_f32_e32 v25, v28, v29
	v_ldexp_f32 v27, v28, 1
	v_pk_mul_f32 v[28:29], v[24:25], v[52:53]
	s_nop 0
	v_fma_f32 v26, v24, s39, -v28
	v_fmac_f32_e32 v26, 0xb102e308, v24
	v_pk_add_f32 v[24:25], v[28:29], v[26:27]
	s_nop 0
	v_sub_f32_e32 v27, v25, v27
	v_sub_f32_e32 v27, v29, v27
	v_add_f32_e32 v31, v30, v27
	v_mov_b32_e32 v30, v28
	v_pk_add_f32 v[28:29], v[24:25], v[28:29] neg_lo:[0,1] neg_hi:[0,1]
	v_pk_add_f32 v[32:33], v[24:25], v[30:31]
	v_mov_b32_e32 v27, v24
	v_mov_b32_e32 v29, v33
	v_pk_add_f32 v[34:35], v[26:27], v[28:29] neg_lo:[0,1] neg_hi:[0,1]
	v_pk_add_f32 v[26:27], v[26:27], v[28:29]
	v_mov_b32_e32 v30, v31
	v_mov_b32_e32 v28, v27
	v_pk_add_f32 v[36:37], v[28:29], v[24:25] neg_lo:[0,1] neg_hi:[0,1]
	v_mov_b32_e32 v26, v33
	v_mov_b32_e32 v29, v36
	v_pk_add_f32 v[38:39], v[32:33], v[28:29] neg_lo:[0,1] neg_hi:[0,1]
	v_mov_b32_e32 v32, v25
	v_mov_b32_e32 v33, v36
	;; [unrolled: 1-line block ×3, first 2 shown]
	v_pk_add_f32 v[26:27], v[26:27], v[32:33] neg_lo:[0,1] neg_hi:[0,1]
	v_mov_b32_e32 v31, v24
	v_pk_add_f32 v[24:25], v[30:31], v[26:27] neg_lo:[0,1] neg_hi:[0,1]
	v_mov_b32_e32 v38, v34
	v_pk_add_f32 v[26:27], v[38:39], v[24:25]
	s_nop 0
	v_mov_b32_e32 v30, v27
	v_pk_add_f32 v[30:31], v[26:27], v[30:31]
	s_nop 0
	v_pk_add_f32 v[28:29], v[28:29], v[30:31]
	v_mov_b32_e32 v25, v30
	v_mov_b32_e32 v27, v28
	v_pk_add_f32 v[32:33], v[26:27], v[34:35] neg_lo:[0,1] neg_hi:[0,1]
	s_nop 0
	v_sub_f32_e32 v26, v26, v32
	v_pk_add_f32 v[24:25], v[24:25], v[32:33] neg_lo:[0,1] neg_hi:[0,1]
	v_sub_f32_e32 v26, v34, v26
	v_add_f32_e32 v24, v24, v26
	v_add_f32_e32 v24, v24, v25
	;; [unrolled: 1-line block ×3, first 2 shown]
	v_cndmask_b32_e32 v70, v24, v49, vcc
.LBB57_51:                              ;   in Loop: Header=BB57_13 Depth=1
	s_or_b64 exec, exec, s[30:31]
	v_and_b32_e32 v24, 0xffff0000, v7
	v_add_f32_e32 v71, s33, v24
	s_mov_b32 s2, 0x41a00000
	v_cmp_ge_f32_e32 vcc, s2, v71
	s_and_b64 s[2:3], s[88:89], vcc
	s_and_saveexec_b64 s[30:31], s[2:3]
	s_cbranch_execz .LBB57_53
; %bb.52:                               ;   in Loop: Header=BB57_13 Depth=1
	v_mul_f32_e32 v24, 0x3fb8aa3b, v71
	v_rndne_f32_e32 v25, v24
	v_sub_f32_e32 v26, v24, v25
	v_fma_f32 v24, v71, s34, -v24
	v_fmac_f32_e32 v24, 0x32a5705f, v71
	v_add_f32_e32 v24, v26, v24
	v_cvt_i32_f32_e32 v25, v25
	v_exp_f32_e32 v24, v24
	v_cmp_ngt_f32_e32 vcc, s35, v71
	v_ldexp_f32 v24, v24, v25
	s_nop 0
	v_cndmask_b32_e32 v24, 0, v24, vcc
	v_cmp_nlt_f32_e32 vcc, s36, v71
	s_nop 1
	v_cndmask_b32_e32 v49, v121, v24, vcc
	v_add_f32_e32 v26, 1.0, v49
	v_add_f32_e32 v24, -1.0, v26
	v_sub_f32_e32 v25, v24, v26
	v_add_f32_e32 v25, 1.0, v25
	v_sub_f32_e32 v24, v49, v24
	v_add_f32_e32 v27, v24, v25
	v_frexp_mant_f32_e32 v28, v26
	v_cvt_f64_f32_e32 v[24:25], v26
	v_frexp_exp_i32_f64_e32 v24, v[24:25]
	v_cmp_gt_f32_e32 vcc, s38, v28
	v_cmp_gt_f32_e64 s[2:3], s40, v49
	s_nop 0
	v_subbrev_co_u32_e32 v32, vcc, 0, v24, vcc
	v_sub_u32_e32 v24, 0, v32
	v_ldexp_f32 v25, v26, v24
	v_add_f32_e32 v26, -1.0, v25
	v_add_f32_e32 v28, 1.0, v25
	v_ldexp_f32 v24, v27, v24
	v_add_f32_e32 v27, 1.0, v26
	v_add_f32_e32 v29, -1.0, v28
	v_sub_f32_e32 v27, v25, v27
	v_sub_f32_e32 v25, v25, v29
	v_add_f32_e32 v27, v24, v27
	v_add_f32_e32 v24, v24, v25
	;; [unrolled: 1-line block ×3, first 2 shown]
	v_rcp_f32_e32 v35, v33
	v_sub_f32_e32 v25, v28, v33
	v_add_f32_e32 v34, v24, v25
	v_add_f32_e32 v25, v26, v27
	v_mul_f32_e32 v37, v25, v35
	v_sub_f32_e32 v24, v26, v25
	v_mul_f32_e32 v26, v33, v37
	v_fma_f32 v28, v37, v33, -v26
	v_fmac_f32_e32 v28, v37, v34
	v_add_f32_e32 v36, v27, v24
	v_add_f32_e32 v24, v26, v28
	v_sub_f32_e32 v27, v25, v24
	v_pk_add_f32 v[30:31], v[24:25], v[26:27] neg_lo:[0,1] neg_hi:[0,1]
	v_mov_b32_e32 v29, v24
	v_pk_add_f32 v[24:25], v[30:31], v[28:29] neg_lo:[0,1] neg_hi:[0,1]
	v_cmp_eq_f32_e32 vcc, s37, v49
	v_add_f32_e32 v25, v36, v25
	v_add_f32_e32 v24, v24, v25
	;; [unrolled: 1-line block ×3, first 2 shown]
	v_mul_f32_e32 v36, v35, v25
	v_mul_f32_e32 v26, v33, v36
	v_fma_f32 v28, v36, v33, -v26
	v_fmac_f32_e32 v28, v36, v34
	v_sub_f32_e32 v27, v27, v25
	v_add_f32_e32 v33, v24, v27
	v_add_f32_e32 v24, v26, v28
	v_sub_f32_e32 v27, v25, v24
	v_pk_add_f32 v[30:31], v[24:25], v[26:27] neg_lo:[0,1] neg_hi:[0,1]
	v_mov_b32_e32 v29, v24
	v_pk_add_f32 v[24:25], v[30:31], v[28:29] neg_lo:[0,1] neg_hi:[0,1]
	s_or_b64 vcc, s[2:3], vcc
	v_add_f32_e32 v25, v33, v25
	v_add_f32_e32 v24, v24, v25
	v_add_f32_e32 v25, v37, v36
	v_add_f32_e32 v24, v27, v24
	v_sub_f32_e32 v26, v25, v37
	v_mul_f32_e32 v24, v35, v24
	v_sub_f32_e32 v26, v36, v26
	v_add_f32_e32 v26, v26, v24
	v_add_f32_e32 v28, v25, v26
	v_mul_f32_e32 v29, v28, v28
	v_fmamk_f32 v24, v29, 0x3e9b6dac, v120
	v_fmaak_f32 v53, v29, v24, 0x3f2aaada
	v_cvt_f32_i32_e32 v24, v32
	v_sub_f32_e32 v25, v28, v25
	v_sub_f32_e32 v25, v26, v25
	v_ldexp_f32 v30, v25, 1
	v_mul_f32_e32 v25, v28, v29
	v_ldexp_f32 v27, v28, 1
	v_pk_mul_f32 v[28:29], v[24:25], v[52:53]
	s_nop 0
	v_fma_f32 v26, v24, s39, -v28
	v_fmac_f32_e32 v26, 0xb102e308, v24
	v_pk_add_f32 v[24:25], v[28:29], v[26:27]
	s_nop 0
	v_sub_f32_e32 v27, v25, v27
	v_sub_f32_e32 v27, v29, v27
	v_add_f32_e32 v31, v30, v27
	v_mov_b32_e32 v30, v28
	v_pk_add_f32 v[28:29], v[24:25], v[28:29] neg_lo:[0,1] neg_hi:[0,1]
	v_pk_add_f32 v[32:33], v[24:25], v[30:31]
	v_mov_b32_e32 v27, v24
	v_mov_b32_e32 v29, v33
	v_pk_add_f32 v[34:35], v[26:27], v[28:29] neg_lo:[0,1] neg_hi:[0,1]
	v_pk_add_f32 v[26:27], v[26:27], v[28:29]
	v_mov_b32_e32 v30, v31
	v_mov_b32_e32 v28, v27
	v_pk_add_f32 v[36:37], v[28:29], v[24:25] neg_lo:[0,1] neg_hi:[0,1]
	v_mov_b32_e32 v26, v33
	v_mov_b32_e32 v29, v36
	v_pk_add_f32 v[38:39], v[32:33], v[28:29] neg_lo:[0,1] neg_hi:[0,1]
	v_mov_b32_e32 v32, v25
	v_mov_b32_e32 v33, v36
	;; [unrolled: 1-line block ×3, first 2 shown]
	v_pk_add_f32 v[26:27], v[26:27], v[32:33] neg_lo:[0,1] neg_hi:[0,1]
	v_mov_b32_e32 v31, v24
	v_pk_add_f32 v[24:25], v[30:31], v[26:27] neg_lo:[0,1] neg_hi:[0,1]
	v_mov_b32_e32 v38, v34
	v_pk_add_f32 v[26:27], v[38:39], v[24:25]
	s_nop 0
	v_mov_b32_e32 v30, v27
	v_pk_add_f32 v[30:31], v[26:27], v[30:31]
	s_nop 0
	v_pk_add_f32 v[28:29], v[28:29], v[30:31]
	v_mov_b32_e32 v25, v30
	v_mov_b32_e32 v27, v28
	v_pk_add_f32 v[32:33], v[26:27], v[34:35] neg_lo:[0,1] neg_hi:[0,1]
	s_nop 0
	v_sub_f32_e32 v26, v26, v32
	v_pk_add_f32 v[24:25], v[24:25], v[32:33] neg_lo:[0,1] neg_hi:[0,1]
	v_sub_f32_e32 v26, v34, v26
	v_add_f32_e32 v24, v24, v26
	v_add_f32_e32 v24, v24, v25
	;; [unrolled: 1-line block ×3, first 2 shown]
	v_cndmask_b32_e32 v71, v24, v49, vcc
.LBB57_53:                              ;   in Loop: Header=BB57_13 Depth=1
	s_or_b64 exec, exec, s[30:31]
	v_readlane_b32 s2, v167, 2
	v_lshlrev_b32_e32 v24, 16, v15
	v_and_b32_e32 v31, 0xffff0000, v15
	v_and_b32_e32 v25, 0xffff0000, v14
	v_lshlrev_b32_e32 v26, 16, v14
	v_and_b32_e32 v27, 0xffff0000, v13
	v_lshlrev_b32_e32 v28, 16, v13
	;; [unrolled: 2-line block ×7, first 2 shown]
	v_readlane_b32 s3, v167, 3
	v_mul_f32_e32 v54, s64, v24
	v_mul_f32_e32 v57, s64, v25
	;; [unrolled: 1-line block ×15, first 2 shown]
	s_lshl_b32 s84, s41, 11
	v_mul_f32_e32 v55, s64, v31
	s_and_b64 vcc, exec, s[2:3]
	v_writelane_b32 v167, s41, 15
	s_barrier
	s_cbranch_vccz .LBB57_86
; %bb.54:                               ;   in Loop: Header=BB57_13 Depth=1
	v_readlane_b32 s82, v167, 4
	s_sub_i32 s2, s82, s84
	s_cmp_lg_u32 s41, 0
	v_readlane_b32 s3, v167, 7
	v_readlane_b32 s62, v167, 12
	s_cselect_b64 s[94:95], -1, 0
	s_cmp_eq_u32 s41, s3
	v_cmp_gt_u32_e32 vcc, s2, v101
	v_readlane_b32 s63, v167, 13
	s_cselect_b64 s[96:97], -1, 0
	s_or_b64 s[30:31], s[62:63], vcc
	v_cmp_gt_u32_e32 vcc, s2, v105
	s_or_b64 s[34:35], s[62:63], vcc
	v_cmp_gt_u32_e32 vcc, s2, v165
	;; [unrolled: 2-line block ×13, first 2 shown]
	v_lshl_add_u64 v[72:73], s[70:71], 0, v[40:41]
	v_mov_b32_e32 v49, v41
	v_lshl_add_u64 v[74:75], s[74:75], 0, v[40:41]
	v_readlane_b32 s83, v167, 5
	s_mov_b32 s92, 0
	s_or_b64 s[58:59], s[62:63], vcc
	v_cmp_gt_u32_e32 vcc, s2, v118
	v_cmp_gt_u32_e64 s[2:3], s2, v119
	v_mul_f32_e32 v53, v71, v31
	v_lshl_add_u64 v[72:73], v[72:73], 0, v[48:49]
	v_lshl_add_u64 v[74:75], v[74:75], 0, v[48:49]
	v_mul_f32_e32 v49, v70, v24
	v_mul_f32_e32 v139, v138, v25
	;; [unrolled: 1-line block ×15, first 2 shown]
	s_or_b64 s[60:61], s[62:63], s[2:3]
	s_or_b64 s[62:63], s[62:63], vcc
	s_mov_b32 s2, s92
	s_mov_b32 s98, s92
	;; [unrolled: 1-line block ×4, first 2 shown]
	v_readlane_b32 s67, v167, 14
	s_branch .LBB57_56
.LBB57_55:                              ;   in Loop: Header=BB57_56 Depth=2
	s_or_b64 exec, exec, s[90:91]
	v_cndmask_b32_e64 v76, v86, v95, s[28:29]
	v_cndmask_b32_e64 v77, v89, v94, s[28:29]
	v_mul_f32_e32 v77, v77, v153
	v_fma_f32 v76, v76, v153, v32
	v_cndmask_b32_e64 v32, v76, v32, s[26:27]
	v_cndmask_b32_e64 v76, v77, v153, s[26:27]
	s_waitcnt lgkmcnt(0)
	v_fmac_f32_e32 v32, v92, v76
	v_fmac_f32_e32 v33, v32, v154
	;; [unrolled: 1-line block ×16, first 2 shown]
	v_and_b32_e32 v77, 0xffff0000, v28
	v_and_b32_e32 v89, 0xffff0000, v29
	v_lshlrev_b32_e32 v76, 16, v28
	v_lshlrev_b32_e32 v88, 16, v29
	v_and_b32_e32 v29, 0xffff0000, v30
	v_and_b32_e32 v91, 0xffff0000, v31
	v_lshlrev_b32_e32 v28, 16, v30
	v_lshlrev_b32_e32 v90, 16, v31
	;; [unrolled: 4-line block ×4, first 2 shown]
	v_mov_b32_e32 v86, v85
	s_add_i32 s67, s67, 8
	s_add_i32 s85, s85, -1
	s_add_i32 s86, s86, s65
	s_add_i32 s98, s98, s76
	;; [unrolled: 1-line block ×4, first 2 shown]
	v_pk_fma_f32 v[66:67], v[34:35], v[88:89], v[66:67]
	v_pk_fma_f32 v[68:69], v[32:33], v[76:77], v[68:69]
	;; [unrolled: 1-line block ×7, first 2 shown]
	s_cmp_eq_u32 s85, 0
	v_pk_fma_f32 v[56:57], v[82:83], v[24:25], v[56:57]
	s_cbranch_scc1 .LBB57_85
.LBB57_56:                              ;   Parent Loop BB57_13 Depth=1
                                        ; =>  This Inner Loop Header: Depth=2
	s_mov_b32 s3, s93
	v_lshl_add_u64 v[28:29], s[2:3], 1, v[72:73]
	global_load_dwordx4 v[24:27], v[28:29], off
	s_lshl_b64 s[90:91], s[92:93], 2
	s_add_u32 s90, s68, s90
	s_mov_b32 s99, s93
	s_addc_u32 s91, s0, s91
	global_load_dword v78, v41, s[90:91]
	s_andn2_b64 vcc, exec, s[94:95]
	s_waitcnt vmcnt(1)
	ds_write_b128 v96, v[24:27]
	global_load_dwordx4 v[24:27], v[28:29], off offset:1024
	v_lshl_add_u64 v[28:29], s[98:99], 1, v[74:75]
	s_waitcnt vmcnt(0)
	ds_write_b128 v97, v[24:27] offset:1024
	; wave barrier
	ds_read_b128 v[36:39], v98
	ds_read_b128 v[32:35], v98 offset:16
	global_load_dwordx4 v[24:27], v[28:29], off
	s_waitcnt vmcnt(0)
	ds_write_b128 v96, v[24:27] offset:4224
	global_load_dwordx4 v[24:27], v[28:29], off offset:1024
	s_waitcnt vmcnt(0)
	ds_write_b128 v99, v[24:27] offset:1024
	; wave barrier
	ds_read_b128 v[28:31], v98 offset:4224
	ds_read_b128 v[24:27], v100 offset:16
	s_cbranch_vccnz .LBB57_58
; %bb.57:                               ;   in Loop: Header=BB57_56 Depth=2
	v_mov_b32_e32 v76, s67
	ds_read_b64 v[76:77], v76
	s_cbranch_execz .LBB57_59
	s_branch .LBB57_62
.LBB57_58:                              ;   in Loop: Header=BB57_56 Depth=2
                                        ; implicit-def: $vgpr77
.LBB57_59:                              ;   in Loop: Header=BB57_56 Depth=2
	v_readlane_b32 s82, v167, 0
	v_readlane_b32 s83, v167, 1
	s_andn2_b64 vcc, exec, s[82:83]
	s_waitcnt lgkmcnt(0)
	v_mov_b32_e32 v77, 0
	s_cbranch_vccnz .LBB57_61
; %bb.60:                               ;   in Loop: Header=BB57_56 Depth=2
	s_mov_b32 s87, s93
	s_lshl_b64 s[90:91], s[86:87], 2
	s_add_u32 s90, s1, s90
	s_addc_u32 s91, s73, s91
	global_load_dword v77, v41, s[90:91]
.LBB57_61:                              ;   in Loop: Header=BB57_56 Depth=2
	v_mov_b32_e32 v76, 1.0
.LBB57_62:                              ;   in Loop: Header=BB57_56 Depth=2
	v_mul_f32_e32 v86, 0x3fb8aa3b, v78
	s_waitcnt lgkmcnt(4)
	v_lshlrev_b32_e32 v82, 16, v32
	v_and_b32_e32 v83, 0xffff0000, v32
	v_mul_f32_e32 v32, v86, v125
	v_cmp_gt_f32_e32 vcc, s77, v32
	v_lshlrev_b32_e32 v84, 16, v33
	v_and_b32_e32 v85, 0xffff0000, v33
	v_cndmask_b32_e32 v32, 0, v122, vcc
	v_fmac_f32_e32 v32, v86, v125
	v_exp_f32_e32 v32, v32
	v_cndmask_b32_e32 v33, 1.0, v123, vcc
	v_lshlrev_b32_e32 v88, 16, v34
	v_and_b32_e32 v89, 0xffff0000, v34
	v_mul_f32_e32 v33, v32, v33
	v_cndmask_b32_e64 v153, 1.0, v33, s[30:31]
	v_mul_f32_e32 v33, v86, v126
	v_cmp_gt_f32_e32 vcc, s77, v33
	v_lshlrev_b32_e32 v90, 16, v35
	v_and_b32_e32 v87, 0xffff0000, v35
	v_cndmask_b32_e32 v33, 0, v122, vcc
	v_fmac_f32_e32 v33, v86, v126
	v_exp_f32_e32 v33, v33
	v_cndmask_b32_e32 v34, 1.0, v123, vcc
	v_lshlrev_b32_e32 v78, 16, v36
	v_and_b32_e32 v36, 0xffff0000, v36
	v_mul_f32_e32 v34, v33, v34
	v_cndmask_b32_e64 v154, 1.0, v34, s[34:35]
	v_mul_f32_e32 v34, v86, v127
	v_cmp_gt_f32_e32 vcc, s77, v34
	v_mul_f32_e32 v33, v151, v36
	v_lshlrev_b32_e32 v79, 16, v37
	v_cndmask_b32_e32 v34, 0, v122, vcc
	v_fmac_f32_e32 v34, v86, v127
	v_exp_f32_e32 v34, v34
	v_cndmask_b32_e32 v35, 1.0, v123, vcc
	v_and_b32_e32 v37, 0xffff0000, v37
	v_lshlrev_b32_e32 v80, 16, v38
	v_mul_f32_e32 v35, v34, v35
	v_cndmask_b32_e64 v155, 1.0, v35, s[36:37]
	v_mul_f32_e32 v35, v86, v128
	v_cmp_gt_f32_e32 vcc, s77, v35
	v_and_b32_e32 v38, 0xffff0000, v38
	v_mul_f32_e32 v32, v152, v78
	v_cndmask_b32_e32 v35, 0, v122, vcc
	v_fmac_f32_e32 v35, v86, v128
	v_exp_f32_e32 v35, v35
	v_cndmask_b32_e32 v36, 1.0, v123, vcc
	v_mul_f32_e32 v34, v150, v79
	v_lshlrev_b32_e32 v81, 16, v39
	v_mul_f32_e32 v36, v35, v36
	v_cndmask_b32_e64 v156, 1.0, v36, s[38:39]
	v_mul_f32_e32 v36, v86, v129
	v_cmp_gt_f32_e32 vcc, s77, v36
	v_mul_f32_e32 v35, v149, v37
	v_cndmask_b32_e64 v32, 0, v32, s[30:31]
	v_cndmask_b32_e32 v36, 0, v122, vcc
	v_fmac_f32_e32 v36, v86, v129
	v_exp_f32_e32 v36, v36
	v_cndmask_b32_e32 v37, 1.0, v123, vcc
	v_cndmask_b32_e64 v33, 0, v33, s[34:35]
	v_cndmask_b32_e64 v34, 0, v34, s[36:37]
	v_mul_f32_e32 v37, v36, v37
	v_cndmask_b32_e64 v157, 1.0, v37, s[40:41]
	v_mul_f32_e32 v37, v86, v130
	v_cmp_gt_f32_e32 vcc, s77, v37
	v_mul_f32_e32 v36, v148, v80
	v_cndmask_b32_e64 v35, 0, v35, s[38:39]
	v_cndmask_b32_e32 v37, 0, v122, vcc
	v_fmac_f32_e32 v37, v86, v130
	v_exp_f32_e32 v37, v37
	v_cndmask_b32_e32 v78, 1.0, v123, vcc
	v_cndmask_b32_e64 v36, 0, v36, s[40:41]
	v_and_b32_e32 v39, 0xffff0000, v39
	v_mul_f32_e32 v78, v37, v78
	v_mul_f32_e32 v37, v147, v38
	;; [unrolled: 1-line block ×3, first 2 shown]
	v_cmp_gt_f32_e32 vcc, s77, v38
	v_cndmask_b32_e64 v158, 1.0, v78, s[42:43]
	v_cndmask_b32_e64 v37, 0, v37, s[42:43]
	v_cndmask_b32_e32 v38, 0, v122, vcc
	v_fmac_f32_e32 v38, v86, v131
	v_exp_f32_e32 v38, v38
	v_cndmask_b32_e32 v78, 1.0, v123, vcc
	v_mul_f32_e32 v39, v145, v39
	v_cndmask_b32_e64 v39, 0, v39, s[46:47]
	v_mul_f32_e32 v78, v38, v78
	v_cndmask_b32_e64 v159, 1.0, v78, s[44:45]
	v_mul_f32_e32 v78, v86, v132
	v_cmp_gt_f32_e32 vcc, s77, v78
	v_mul_f32_e32 v38, v146, v81
	v_cndmask_b32_e64 v38, 0, v38, s[44:45]
	v_cndmask_b32_e32 v78, 0, v122, vcc
	v_fmac_f32_e32 v78, v86, v132
	v_exp_f32_e32 v78, v78
	v_cndmask_b32_e32 v79, 1.0, v123, vcc
	v_mul_f32_e32 v78, v78, v79
	v_cndmask_b32_e64 v160, 1.0, v78, s[46:47]
	v_mul_f32_e32 v78, v86, v133
	v_cmp_gt_f32_e32 vcc, s77, v78
	s_nop 1
	v_cndmask_b32_e32 v78, 0, v122, vcc
	v_fmac_f32_e32 v78, v86, v133
	v_exp_f32_e32 v78, v78
	v_cndmask_b32_e32 v79, 1.0, v123, vcc
	v_mul_f32_e32 v79, v78, v79
	v_cndmask_b32_e64 v161, 1.0, v79, s[48:49]
	v_mul_f32_e32 v79, v86, v134
	v_cmp_gt_f32_e32 vcc, s77, v79
	v_mul_f32_e32 v78, v144, v82
	v_cndmask_b32_e64 v78, 0, v78, s[48:49]
	v_cndmask_b32_e32 v79, 0, v122, vcc
	v_fmac_f32_e32 v79, v86, v134
	v_exp_f32_e32 v79, v79
	v_cndmask_b32_e32 v80, 1.0, v123, vcc
	v_mul_f32_e32 v80, v79, v80
	v_cndmask_b32_e64 v162, 1.0, v80, s[50:51]
	v_mul_f32_e32 v80, v86, v135
	v_cmp_gt_f32_e32 vcc, s77, v80
	v_mul_f32_e32 v79, v143, v83
	v_cndmask_b32_e64 v79, 0, v79, s[50:51]
	;; [unrolled: 10-line block ×3, first 2 shown]
	v_cndmask_b32_e32 v81, 0, v122, vcc
	v_fmac_f32_e32 v81, v86, v136
	v_exp_f32_e32 v81, v81
	v_cndmask_b32_e32 v82, 1.0, v123, vcc
	v_mul_f32_e32 v82, v81, v82
	v_cndmask_b32_e64 v164, 1.0, v82, s[54:55]
	v_mul_f32_e32 v82, v86, v137
	v_cmp_gt_f32_e32 vcc, s77, v82
	v_mul_f32_e32 v81, v141, v85
	v_mul_f32_e32 v85, v49, v90
	v_cndmask_b32_e32 v82, 0, v122, vcc
	v_fmac_f32_e32 v82, v86, v137
	v_exp_f32_e32 v82, v82
	v_cndmask_b32_e32 v83, 1.0, v123, vcc
	v_pk_mul_f32 v[90:91], v[86:87], v[70:71] op_sel_hi:[0,1]
	v_cndmask_b32_e64 v81, 0, v81, s[54:55]
	v_mul_f32_e32 v83, v82, v83
	v_mul_f32_e32 v82, v140, v88
	v_cndmask_b32_e64 v88, 1.0, v83, s[56:57]
	v_mul_f32_e32 v83, v86, v138
	v_cmp_gt_f32_e32 vcc, s77, v83
	v_cndmask_b32_e64 v82, 0, v82, s[56:57]
	v_cndmask_b32_e64 v85, 0, v85, s[62:63]
	v_cndmask_b32_e32 v83, 0, v122, vcc
	v_cndmask_b32_e32 v84, 1.0, v123, vcc
	v_cmp_gt_f32_e32 vcc, s77, v90
	v_fmac_f32_e32 v83, v86, v138
	v_exp_f32_e32 v83, v83
	v_cndmask_b32_e32 v86, 0, v122, vcc
	v_add_f32_e32 v86, v90, v86
	v_exp_f32_e32 v86, v86
	v_mul_f32_e32 v84, v83, v84
	v_mul_f32_e32 v83, v139, v89
	v_cndmask_b32_e32 v89, 1.0, v123, vcc
	v_cmp_gt_f32_e32 vcc, s77, v91
	v_mul_f32_e32 v86, v86, v89
	v_cndmask_b32_e64 v83, 0, v83, s[58:59]
	v_cndmask_b32_e32 v89, 0, v122, vcc
	v_add_f32_e32 v89, v91, v89
	v_exp_f32_e32 v89, v89
	v_cndmask_b32_e32 v90, 1.0, v123, vcc
	v_cndmask_b32_e64 v84, 1.0, v84, s[58:59]
	v_mul_f32_e32 v87, v53, v87
	v_mul_f32_e32 v89, v89, v90
	v_cndmask_b32_e64 v91, 1.0, v89, s[60:61]
	v_cndmask_b32_e64 v90, 1.0, v86, s[62:63]
	v_mul_f32_e32 v86, v154, v153
	v_fma_f32 v89, v154, v32, v33
	v_mul_f32_e32 v86, v86, v155
	v_fma_f32 v89, v89, v155, v34
	;; [unrolled: 2-line block ×11, first 2 shown]
	v_fma_f32 v86, v86, v88, v82
	v_fma_f32 v93, v86, v84, v83
	v_mov_b32_e32 v89, v90
	v_pk_mul_f32 v[106:107], v[92:93], v[88:89]
	v_pk_fma_f32 v[92:93], v[92:93], v[88:89], v[84:85]
	v_pk_mul_f32 v[106:107], v[106:107], v[84:85]
	v_cndmask_b32_e64 v87, 0, v87, s[60:61]
	v_mov_b32_e32 v107, v93
	v_mov_b32_e32 v94, v91
	;; [unrolled: 1-line block ×3, first 2 shown]
	v_pk_mul_f32 v[92:93], v[106:107], v[90:91]
	v_mov_b32_e32 v86, v91
	v_pk_mul_f32 v[94:95], v[92:93], v[94:95]
	v_pk_fma_f32 v[92:93], v[106:107], v[90:91], v[86:87]
	s_nop 0
	v_mov_b32_dpp v86, v94 row_shr:1 row_mask:0xf bank_mask:0xf
	v_mov_b32_dpp v89, v93 row_shr:1 row_mask:0xf bank_mask:0xf
	v_mul_f32_e32 v106, v94, v86
	v_fma_f32 v89, v94, v89, v93
	v_cndmask_b32_e64 v92, v106, v94, s[4:5]
	v_cndmask_b32_e64 v95, v89, v93, s[4:5]
	;; [unrolled: 1-line block ×4, first 2 shown]
	v_mov_b32_dpp v93, v95 row_shr:2 row_mask:0xf bank_mask:0xf
	v_mov_b32_dpp v89, v94 row_shr:2 row_mask:0xf bank_mask:0xf
	s_and_saveexec_b64 s[90:91], s[6:7]
; %bb.63:                               ;   in Loop: Header=BB57_56 Depth=2
	v_fmac_f32_e32 v95, v94, v93
	v_mul_f32_e32 v94, v94, v89
	v_mov_b32_e32 v92, v94
	v_mov_b32_e32 v86, v95
; %bb.64:                               ;   in Loop: Header=BB57_56 Depth=2
	s_or_b64 exec, exec, s[90:91]
	v_mov_b32_dpp v89, v94 row_shr:4 row_mask:0xf bank_mask:0xf
	v_mov_b32_dpp v93, v95 row_shr:4 row_mask:0xf bank_mask:0xf
	s_and_saveexec_b64 s[90:91], s[8:9]
; %bb.65:                               ;   in Loop: Header=BB57_56 Depth=2
	v_fmac_f32_e32 v95, v94, v93
	v_mul_f32_e32 v94, v94, v89
	v_mov_b32_e32 v92, v94
	v_mov_b32_e32 v86, v95
; %bb.66:                               ;   in Loop: Header=BB57_56 Depth=2
	s_or_b64 exec, exec, s[90:91]
	;; [unrolled: 10-line block ×3, first 2 shown]
	v_mov_b32_dpp v89, v94 row_bcast:15 row_mask:0xf bank_mask:0xf
	v_mov_b32_dpp v93, v95 row_bcast:15 row_mask:0xf bank_mask:0xf
	s_and_saveexec_b64 s[90:91], s[12:13]
; %bb.69:                               ;   in Loop: Header=BB57_56 Depth=2
	v_fmac_f32_e32 v95, v94, v93
	v_mul_f32_e32 v94, v94, v89
	v_mov_b32_e32 v92, v94
	v_mov_b32_e32 v86, v95
; %bb.70:                               ;   in Loop: Header=BB57_56 Depth=2
	s_or_b64 exec, exec, s[90:91]
	v_mov_b32_dpp v93, v94 row_bcast:31 row_mask:0xf bank_mask:0xf
	v_mov_b32_dpp v89, v95 row_bcast:31 row_mask:0xf bank_mask:0xf
	s_and_saveexec_b64 s[90:91], s[14:15]
; %bb.71:                               ;   in Loop: Header=BB57_56 Depth=2
	v_fmac_f32_e32 v95, v94, v89
	v_mul_f32_e32 v92, v94, v93
	v_mov_b32_e32 v93, v95
	v_mov_b32_e32 v86, v95
	v_mov_b64_e32 v[94:95], v[92:93]
; %bb.72:                               ;   in Loop: Header=BB57_56 Depth=2
	s_or_b64 exec, exec, s[90:91]
	s_and_saveexec_b64 s[90:91], s[16:17]
	s_cbranch_execz .LBB57_74
; %bb.73:                               ;   in Loop: Header=BB57_56 Depth=2
	ds_write_b64 v102, v[94:95] offset:8448
.LBB57_74:                              ;   in Loop: Header=BB57_56 Depth=2
	s_or_b64 exec, exec, s[90:91]
	s_waitcnt lgkmcnt(0)
	s_barrier
	s_and_saveexec_b64 s[90:91], s[18:19]
	s_cbranch_execz .LBB57_76
; %bb.75:                               ;   in Loop: Header=BB57_56 Depth=2
	ds_read_b64 v[94:95], v103 offset:8448
	s_waitcnt lgkmcnt(0)
	s_nop 0
	v_mov_b32_dpp v89, v94 row_shr:1 row_mask:0xf bank_mask:0xf
	v_mov_b32_dpp v93, v95 row_shr:1 row_mask:0xf bank_mask:0xf
	v_fma_f32 v93, v94, v93, v95
	v_mul_f32_e32 v89, v94, v89
	v_cndmask_b32_e64 v94, v89, v94, s[20:21]
	v_cndmask_b32_e64 v95, v93, v95, s[20:21]
	ds_write_b64 v103, v[94:95] offset:8448
.LBB57_76:                              ;   in Loop: Header=BB57_56 Depth=2
	s_or_b64 exec, exec, s[90:91]
	s_waitcnt lgkmcnt(0)
	s_barrier
	s_waitcnt lgkmcnt(0)
                                        ; implicit-def: $vgpr94
	s_and_saveexec_b64 s[90:91], s[24:25]
	s_cbranch_execz .LBB57_78
; %bb.77:                               ;   in Loop: Header=BB57_56 Depth=2
	ds_read_b64 v[94:95], v102 offset:8440
	s_waitcnt lgkmcnt(0)
	v_mul_f32_e32 v89, v92, v94
	v_fmac_f32_e32 v86, v92, v95
	v_mov_b32_e32 v92, v89
.LBB57_78:                              ;   in Loop: Header=BB57_56 Depth=2
	s_or_b64 exec, exec, s[90:91]
	ds_bpermute_b32 v89, v104, v92
	ds_bpermute_b32 v86, v104, v86
	s_waitcnt vmcnt(0)
	v_mov_b32_e32 v93, v77
	s_and_saveexec_b64 s[90:91], s[22:23]
	s_cbranch_execz .LBB57_82
; %bb.79:                               ;   in Loop: Header=BB57_56 Depth=2
	ds_read_b64 v[92:93], v41 offset:8456
	s_and_saveexec_b64 vcc, s[26:27]
	s_cbranch_execz .LBB57_81
; %bb.80:                               ;   in Loop: Header=BB57_56 Depth=2
	ds_write_b64 v41, v[76:77] offset:8456
.LBB57_81:                              ;   in Loop: Header=BB57_56 Depth=2
	s_or_b64 exec, exec, vcc
	s_waitcnt lgkmcnt(0)
	v_fmac_f32_e32 v93, v77, v92
	v_mul_f32_e32 v76, v76, v92
	v_mov_b32_e32 v77, v93
.LBB57_82:                              ;   in Loop: Header=BB57_56 Depth=2
	s_or_b64 exec, exec, s[90:91]
	s_waitcnt lgkmcnt(0)
	s_barrier
	ds_read_b32 v92, v41 offset:8460
	s_and_saveexec_b64 s[90:91], s[26:27]
	s_cbranch_execz .LBB57_55
; %bb.83:                               ;   in Loop: Header=BB57_56 Depth=2
	v_mov_b32_e32 v106, s67
	s_andn2_b64 vcc, exec, s[96:97]
	ds_write_b64 v106, v[76:77]
	s_cbranch_vccnz .LBB57_55
; %bb.84:                               ;   in Loop: Header=BB57_56 Depth=2
	s_mov_b32 s87, s93
	s_lshl_b64 s[82:83], s[86:87], 2
	s_add_u32 s82, s1, s82
	s_addc_u32 s83, s73, s83
	global_store_dword v41, v93, s[82:83]
	s_branch .LBB57_55
.LBB57_85:                              ;   in Loop: Header=BB57_13 Depth=1
	s_mov_b32 s34, 0x3fb8aa3b
	s_mov_b32 s35, 0xc2ce8ed0
	;; [unrolled: 1-line block ×7, first 2 shown]
.LBB57_86:                              ;   in Loop: Header=BB57_13 Depth=1
	v_bfe_u32 v24, v68, 16, 1
	v_bfe_u32 v25, v69, 16, 1
	v_add3_u32 v24, v68, v24, s66
	v_bfe_u32 v26, v66, 16, 1
	v_add3_u32 v25, v69, v25, s66
	v_lshrrev_b32_e32 v24, 16, v24
	v_cmp_o_f32_e32 vcc, v68, v68
	v_bfe_u32 v27, v67, 16, 1
	v_add3_u32 v26, v66, v26, s66
	v_lshrrev_b32_e32 v25, 16, v25
	v_cndmask_b32_e32 v24, v124, v24, vcc
	v_cmp_o_f32_e32 vcc, v69, v69
	v_add3_u32 v27, v67, v27, s66
	v_lshrrev_b32_e32 v26, 16, v26
	v_cndmask_b32_e32 v28, v124, v25, vcc
	v_cmp_o_f32_e32 vcc, v66, v66
	v_lshrrev_b32_e32 v27, 16, v27
	v_bfe_u32 v30, v62, 16, 1
	v_cndmask_b32_e32 v25, v124, v26, vcc
	v_cmp_o_f32_e32 vcc, v67, v67
	v_bfe_u32 v26, v64, 16, 1
	v_add3_u32 v26, v64, v26, s66
	v_cndmask_b32_e32 v29, v124, v27, vcc
	v_bfe_u32 v27, v65, 16, 1
	v_add3_u32 v27, v65, v27, s66
	v_lshrrev_b32_e32 v26, 16, v26
	v_cmp_o_f32_e32 vcc, v64, v64
	v_bfe_u32 v31, v63, 16, 1
	v_add3_u32 v30, v62, v30, s66
	v_lshrrev_b32_e32 v27, 16, v27
	v_cndmask_b32_e32 v26, v124, v26, vcc
	v_cmp_o_f32_e32 vcc, v65, v65
	v_add3_u32 v31, v63, v31, s66
	v_lshrrev_b32_e32 v30, 16, v30
	v_cndmask_b32_e32 v32, v124, v27, vcc
	v_cmp_o_f32_e32 vcc, v62, v62
	v_lshrrev_b32_e32 v31, 16, v31
	s_mov_b32 s2, 0x5040100
	v_cndmask_b32_e32 v27, v124, v30, vcc
	v_cmp_o_f32_e32 vcc, v63, v63
	v_perm_b32 v26, v32, v26, s2
	v_perm_b32 v25, v29, v25, s2
	v_cndmask_b32_e32 v30, v124, v31, vcc
	v_perm_b32 v27, v30, v27, s2
	v_perm_b32 v24, v28, v24, s2
	s_barrier
	ds_write_b128 v98, v[24:27]
	v_bfe_u32 v24, v60, 16, 1
	v_bfe_u32 v25, v61, 16, 1
	v_add3_u32 v24, v60, v24, s66
	v_bfe_u32 v26, v58, 16, 1
	v_add3_u32 v25, v61, v25, s66
	v_lshrrev_b32_e32 v24, 16, v24
	v_cmp_o_f32_e32 vcc, v60, v60
	v_bfe_u32 v27, v59, 16, 1
	v_add3_u32 v26, v58, v26, s66
	v_lshrrev_b32_e32 v25, 16, v25
	v_cndmask_b32_e32 v24, v124, v24, vcc
	v_cmp_o_f32_e32 vcc, v61, v61
	v_add3_u32 v27, v59, v27, s66
	v_lshrrev_b32_e32 v26, 16, v26
	v_cndmask_b32_e32 v28, v124, v25, vcc
	v_cmp_o_f32_e32 vcc, v58, v58
	v_lshrrev_b32_e32 v27, 16, v27
	v_bfe_u32 v30, v54, 16, 1
	v_cndmask_b32_e32 v25, v124, v26, vcc
	v_cmp_o_f32_e32 vcc, v59, v59
	v_bfe_u32 v26, v56, 16, 1
	v_add3_u32 v26, v56, v26, s66
	v_cndmask_b32_e32 v29, v124, v27, vcc
	v_bfe_u32 v27, v57, 16, 1
	v_add3_u32 v27, v57, v27, s66
	v_lshrrev_b32_e32 v26, 16, v26
	v_cmp_o_f32_e32 vcc, v56, v56
	v_bfe_u32 v31, v55, 16, 1
	v_add3_u32 v30, v54, v30, s66
	v_lshrrev_b32_e32 v27, 16, v27
	v_cndmask_b32_e32 v26, v124, v26, vcc
	v_cmp_o_f32_e32 vcc, v57, v57
	v_add3_u32 v31, v55, v31, s66
	v_lshrrev_b32_e32 v30, 16, v30
	v_cndmask_b32_e32 v32, v124, v27, vcc
	v_cmp_o_f32_e32 vcc, v54, v54
	v_lshrrev_b32_e32 v31, 16, v31
	v_perm_b32 v26, v32, v26, s2
	v_cndmask_b32_e32 v27, v124, v30, vcc
	v_cmp_o_f32_e32 vcc, v55, v55
	v_perm_b32 v25, v29, v25, s2
	v_perm_b32 v24, v28, v24, s2
	v_cndmask_b32_e32 v30, v124, v31, vcc
	v_perm_b32 v27, v30, v27, s2
	ds_write_b128 v98, v[24:27] offset:16
	; wave barrier
	ds_read_b128 v[24:27], v96
	ds_read_b128 v[28:31], v97 offset:1024
	s_mov_b32 s85, s93
	s_lshl_b64 s[2:3], s[84:85], 1
	v_lshl_add_u64 v[32:33], v[42:43], 0, s[2:3]
	s_waitcnt lgkmcnt(1)
	global_store_short v[32:33], v24, off
	v_alignbit_b32 v34, v25, v24, 16
	v_alignbit_b32 v24, v27, v26, 16
	;; [unrolled: 1-line block ×3, first 2 shown]
	global_store_short_d16_hi v[32:33], v27, off offset:14
	global_store_dword v[32:33], v24, off offset:10
	global_store_dwordx2 v[32:33], v[34:35], off offset:2
	s_waitcnt lgkmcnt(0)
	global_store_dwordx4 v[32:33], v[28:31], off offset:1024
	v_lshl_add_u64 v[24:25], v[44:45], 0, s[2:3]
	s_barrier
	s_mov_b64 s[2:3], exec
	v_readlane_b32 s30, v167, 8
	v_readlane_b32 s31, v167, 9
	s_and_b64 s[30:31], s[2:3], s[30:31]
	s_mov_b64 exec, s[30:31]
	s_cbranch_execz .LBB57_88
; %bb.87:                               ;   in Loop: Header=BB57_13 Depth=1
	global_load_dwordx4 v[8:11], v[24:25], off
.LBB57_88:                              ;   in Loop: Header=BB57_13 Depth=1
	s_or_b64 exec, exec, s[2:3]
	s_mov_b64 s[2:3], exec
	v_readlane_b32 s30, v167, 10
	v_readlane_b32 s31, v167, 11
	s_and_b64 s[30:31], s[2:3], s[30:31]
	s_mov_b64 exec, s[30:31]
	s_cbranch_execz .LBB57_12
; %bb.89:                               ;   in Loop: Header=BB57_13 Depth=1
	global_load_dwordx4 v[0:3], v[24:25], off offset:1024
	s_branch .LBB57_12
.LBB57_90:
	s_endpgm
	.section	.rodata,"a",@progbits
	.p2align	6, 0x0
	.amdhsa_kernel _Z25selective_scan_fwd_kernelI32Selective_Scan_fwd_kernel_traitsILi128ELi16ELi1ELb1ELb1ELb1ELb1ELb0EN3c108BFloat16EffEEv13SSMParamsBase
		.amdhsa_group_segment_fixed_size 0
		.amdhsa_private_segment_fixed_size 0
		.amdhsa_kernarg_size 248
		.amdhsa_user_sgpr_count 2
		.amdhsa_user_sgpr_dispatch_ptr 0
		.amdhsa_user_sgpr_queue_ptr 0
		.amdhsa_user_sgpr_kernarg_segment_ptr 1
		.amdhsa_user_sgpr_dispatch_id 0
		.amdhsa_user_sgpr_kernarg_preload_length 0
		.amdhsa_user_sgpr_kernarg_preload_offset 0
		.amdhsa_user_sgpr_private_segment_size 0
		.amdhsa_uses_dynamic_stack 0
		.amdhsa_enable_private_segment 0
		.amdhsa_system_sgpr_workgroup_id_x 1
		.amdhsa_system_sgpr_workgroup_id_y 1
		.amdhsa_system_sgpr_workgroup_id_z 0
		.amdhsa_system_sgpr_workgroup_info 0
		.amdhsa_system_vgpr_workitem_id 0
		.amdhsa_next_free_vgpr 168
		.amdhsa_next_free_sgpr 100
		.amdhsa_accum_offset 168
		.amdhsa_reserve_vcc 1
		.amdhsa_float_round_mode_32 0
		.amdhsa_float_round_mode_16_64 0
		.amdhsa_float_denorm_mode_32 3
		.amdhsa_float_denorm_mode_16_64 3
		.amdhsa_dx10_clamp 1
		.amdhsa_ieee_mode 1
		.amdhsa_fp16_overflow 0
		.amdhsa_tg_split 0
		.amdhsa_exception_fp_ieee_invalid_op 0
		.amdhsa_exception_fp_denorm_src 0
		.amdhsa_exception_fp_ieee_div_zero 0
		.amdhsa_exception_fp_ieee_overflow 0
		.amdhsa_exception_fp_ieee_underflow 0
		.amdhsa_exception_fp_ieee_inexact 0
		.amdhsa_exception_int_div_zero 0
	.end_amdhsa_kernel
	.section	.text._Z25selective_scan_fwd_kernelI32Selective_Scan_fwd_kernel_traitsILi128ELi16ELi1ELb1ELb1ELb1ELb1ELb0EN3c108BFloat16EffEEv13SSMParamsBase,"axG",@progbits,_Z25selective_scan_fwd_kernelI32Selective_Scan_fwd_kernel_traitsILi128ELi16ELi1ELb1ELb1ELb1ELb1ELb0EN3c108BFloat16EffEEv13SSMParamsBase,comdat
.Lfunc_end57:
	.size	_Z25selective_scan_fwd_kernelI32Selective_Scan_fwd_kernel_traitsILi128ELi16ELi1ELb1ELb1ELb1ELb1ELb0EN3c108BFloat16EffEEv13SSMParamsBase, .Lfunc_end57-_Z25selective_scan_fwd_kernelI32Selective_Scan_fwd_kernel_traitsILi128ELi16ELi1ELb1ELb1ELb1ELb1ELb0EN3c108BFloat16EffEEv13SSMParamsBase
                                        ; -- End function
	.section	.AMDGPU.csdata,"",@progbits
; Kernel info:
; codeLenInByte = 20080
; NumSgprs: 106
; NumVgprs: 168
; NumAgprs: 0
; TotalNumVgprs: 168
; ScratchSize: 0
; MemoryBound: 1
; FloatMode: 240
; IeeeMode: 1
; LDSByteSize: 0 bytes/workgroup (compile time only)
; SGPRBlocks: 13
; VGPRBlocks: 20
; NumSGPRsForWavesPerEU: 106
; NumVGPRsForWavesPerEU: 168
; AccumOffset: 168
; Occupancy: 3
; WaveLimiterHint : 1
; COMPUTE_PGM_RSRC2:SCRATCH_EN: 0
; COMPUTE_PGM_RSRC2:USER_SGPR: 2
; COMPUTE_PGM_RSRC2:TRAP_HANDLER: 0
; COMPUTE_PGM_RSRC2:TGID_X_EN: 1
; COMPUTE_PGM_RSRC2:TGID_Y_EN: 1
; COMPUTE_PGM_RSRC2:TGID_Z_EN: 0
; COMPUTE_PGM_RSRC2:TIDIG_COMP_CNT: 0
; COMPUTE_PGM_RSRC3_GFX90A:ACCUM_OFFSET: 41
; COMPUTE_PGM_RSRC3_GFX90A:TG_SPLIT: 0
	.section	.text._Z25selective_scan_fwd_kernelI32Selective_Scan_fwd_kernel_traitsILi128ELi16ELi1ELb1ELb1ELb1ELb0ELb1EN3c108BFloat16EffEEv13SSMParamsBase,"axG",@progbits,_Z25selective_scan_fwd_kernelI32Selective_Scan_fwd_kernel_traitsILi128ELi16ELi1ELb1ELb1ELb1ELb0ELb1EN3c108BFloat16EffEEv13SSMParamsBase,comdat
	.protected	_Z25selective_scan_fwd_kernelI32Selective_Scan_fwd_kernel_traitsILi128ELi16ELi1ELb1ELb1ELb1ELb0ELb1EN3c108BFloat16EffEEv13SSMParamsBase ; -- Begin function _Z25selective_scan_fwd_kernelI32Selective_Scan_fwd_kernel_traitsILi128ELi16ELi1ELb1ELb1ELb1ELb0ELb1EN3c108BFloat16EffEEv13SSMParamsBase
	.globl	_Z25selective_scan_fwd_kernelI32Selective_Scan_fwd_kernel_traitsILi128ELi16ELi1ELb1ELb1ELb1ELb0ELb1EN3c108BFloat16EffEEv13SSMParamsBase
	.p2align	8
	.type	_Z25selective_scan_fwd_kernelI32Selective_Scan_fwd_kernel_traitsILi128ELi16ELi1ELb1ELb1ELb1ELb0ELb1EN3c108BFloat16EffEEv13SSMParamsBase,@function
_Z25selective_scan_fwd_kernelI32Selective_Scan_fwd_kernel_traitsILi128ELi16ELi1ELb1ELb1ELb1ELb0ELb1EN3c108BFloat16EffEEv13SSMParamsBase: ; @_Z25selective_scan_fwd_kernelI32Selective_Scan_fwd_kernel_traitsILi128ELi16ELi1ELb1ELb1ELb1ELb0ELb1EN3c108BFloat16EffEEv13SSMParamsBase
; %bb.0:
	s_load_dword s29, s[0:1], 0x18
	s_load_dwordx4 s[4:7], s[0:1], 0xe0
	s_load_dwordx2 s[10:11], s[0:1], 0xf0
	s_mov_b32 s24, s3
	s_ashr_i32 s3, s2, 31
	s_waitcnt lgkmcnt(0)
	s_abs_i32 s28, s29
	v_cvt_f32_u32_e32 v1, s28
	s_lshl_b64 s[8:9], s[2:3], 2
	s_add_u32 s26, s4, s8
	s_addc_u32 s27, s5, s9
	v_rcp_iflag_f32_e32 v1, v1
	s_cmp_eq_u64 s[10:11], 0
                                        ; implicit-def: $vgpr167 : SGPR spill to VGPR lane
	v_mul_f32_e32 v1, 0x4f7ffffe, v1
	v_cvt_u32_f32_e32 v1, v1
	s_nop 0
	v_readfirstlane_b32 s30, v1
	s_cbranch_scc1 .LBB58_2
; %bb.1:
	s_add_u32 s4, s10, s2
	s_addc_u32 s5, s11, s3
	v_mov_b32_e32 v1, 0
	global_load_ubyte v1, v1, s[4:5]
	s_waitcnt vmcnt(0)
	v_and_b32_e32 v1, 1, v1
	v_cmp_eq_u32_e64 s[4:5], 1, v1
	s_branch .LBB58_3
.LBB58_2:
	s_mov_b64 s[4:5], 0
.LBB58_3:
	s_nop 0
	v_writelane_b32 v167, s4, 0
	s_cmp_eq_u64 s[6:7], 0
	s_nop 0
	v_writelane_b32 v167, s5, 1
	s_load_dwordx2 s[4:5], s[0:1], 0x20
	s_cbranch_scc1 .LBB58_5
; %bb.4:
	s_add_u32 s2, s6, s8
	s_addc_u32 s3, s7, s9
	s_load_dword s2, s[2:3], 0x0
	s_waitcnt lgkmcnt(0)
	s_ashr_i32 s3, s2, 31
.LBB58_5:
	s_waitcnt lgkmcnt(0)
	s_cmp_eq_u64 s[4:5], s[2:3]
	s_cbranch_scc1 .LBB58_238
; %bb.6:
	s_load_dwordx16 s[36:51], s[0:1], 0x88
	s_load_dwordx2 s[4:5], s[26:27], 0x0
	s_mov_b32 s3, 0
	v_writelane_b32 v167, s3, 2
	v_writelane_b32 v167, s3, 3
	s_waitcnt lgkmcnt(0)
	s_cmp_eq_u64 s[42:43], 0
	s_cbranch_scc1 .LBB58_8
; %bb.7:
	s_ashr_i32 s25, s24, 31
	s_lshl_b64 s[6:7], s[24:25], 2
	s_add_u32 s6, s42, s6
	s_addc_u32 s7, s43, s7
	s_load_dword s3, s[6:7], 0x0
	s_waitcnt lgkmcnt(0)
	v_writelane_b32 v167, s3, 3
.LBB58_8:
	s_cmp_eq_u64 s[48:49], 0
	s_cbranch_scc1 .LBB58_10
; %bb.9:
	s_ashr_i32 s25, s24, 31
	s_lshl_b64 s[6:7], s[24:25], 2
	s_add_u32 s6, s48, s6
	s_addc_u32 s7, s49, s7
	s_load_dword s3, s[6:7], 0x0
	s_waitcnt lgkmcnt(0)
	v_writelane_b32 v167, s3, 2
.LBB58_10:
	s_sub_i32 s31, s5, s4
	s_cmp_lt_i32 s31, 1
	s_cbranch_scc1 .LBB58_238
; %bb.11:
	s_sub_i32 s3, 0, s28
	s_mul_i32 s3, s3, s30
	s_mul_hi_u32 s3, s30, s3
	s_load_dwordx8 s[8:15], s[0:1], 0x2c
	s_load_dwordx2 s[20:21], s[0:1], 0x5c
	s_load_dwordx4 s[52:55], s[0:1], 0x4c
	s_abs_i32 s5, s24
	s_add_i32 s30, s30, s3
	s_load_dwordx4 s[56:59], s[0:1], 0x7c
	s_load_dwordx2 s[18:19], s[0:1], 0x6c
	s_load_dwordx2 s[26:27], s[0:1], 0xc8
	s_mul_hi_u32 s3, s5, s30
	s_waitcnt lgkmcnt(0)
	s_load_dword s11, s[0:1], 0xc
	s_load_dword s25, s[0:1], 0x28
	s_ashr_i32 s0, s24, 31
	s_ashr_i32 s1, s29, 31
	s_xor_b32 s0, s0, s1
	s_mul_i32 s1, s3, s28
	s_sub_i32 s1, s5, s1
	s_add_i32 s5, s3, 1
	s_sub_i32 s6, s1, s28
	s_cmp_ge_u32 s1, s28
	s_cselect_b32 s3, s5, s3
	s_cselect_b32 s1, s6, s1
	s_add_i32 s5, s3, 1
	s_cmp_ge_u32 s1, s28
	s_cselect_b32 s1, s5, s3
	s_xor_b32 s1, s1, s0
	s_mul_i32 s6, s4, s54
	s_mov_b32 s7, 0
	s_sub_i32 s3, s1, s0
	s_lshl_b64 s[0:1], s[6:7], 1
	s_add_u32 s5, s44, s0
	s_mul_i32 s6, s55, s24
	s_addc_u32 s16, s45, s1
	s_lshl_b64 s[0:1], s[6:7], 1
	s_add_u32 s22, s5, s0
	s_mul_i32 s6, s4, s20
	s_addc_u32 s23, s16, s1
	;; [unrolled: 4-line block ×3, first 2 shown]
	s_lshl_b64 s[0:1], s[6:7], 1
	s_add_u32 s0, s5, s0
	s_addc_u32 s1, s16, s1
	v_writelane_b32 v167, s0, 4
	s_mul_i32 s6, s8, s24
	v_mbcnt_lo_u32_b32 v1, -1, 0
	v_writelane_b32 v167, s1, 5
	s_lshl_b64 s[0:1], s[6:7], 2
	s_add_u32 s0, s36, s0
	v_writelane_b32 v167, s0, 6
	s_addc_u32 s0, s37, s1
	s_mul_i32 s6, s4, s10
	v_writelane_b32 v167, s0, 7
	s_lshl_b64 s[0:1], s[6:7], 1
	s_add_u32 s5, s38, s0
	s_mul_i32 s6, s3, s13
	s_addc_u32 s8, s39, s1
	s_lshl_b64 s[0:1], s[6:7], 1
	s_add_u32 s0, s5, s0
	s_addc_u32 s1, s8, s1
	v_writelane_b32 v167, s0, 8
	v_lshlrev_b32_e32 v19, 4, v0
	v_mbcnt_hi_u32_b32 v18, -1, v1
	v_writelane_b32 v167, s1, 9
	s_waitcnt lgkmcnt(0)
	v_writelane_b32 v167, s8, 10
	s_mul_i32 s6, s4, s14
	s_lshl_b64 s[0:1], s[6:7], 1
	v_writelane_b32 v167, s9, 11
	v_writelane_b32 v167, s10, 12
	;; [unrolled: 1-line block ×7, first 2 shown]
	s_add_u32 s5, s40, s0
	v_writelane_b32 v167, s52, 18
	s_mul_i32 s6, s3, s53
	s_addc_u32 s8, s41, s1
	v_writelane_b32 v167, s53, 19
	s_lshl_b64 s[0:1], s[6:7], 1
	v_writelane_b32 v167, s54, 20
	s_add_u32 s0, s5, s0
	v_writelane_b32 v167, s55, 21
	s_addc_u32 s1, s8, s1
	v_writelane_b32 v167, s0, 22
	s_mul_i32 s6, s2, s56
	v_and_b32_e32 v2, 0x400, v19
	v_writelane_b32 v167, s1, 23
	s_lshl_b64 s[0:1], s[6:7], 2
	v_writelane_b32 v167, s56, 24
	s_add_u32 s2, s26, s0
	s_mul_i32 s6, s57, s24
	v_writelane_b32 v167, s57, 25
	s_addc_u32 s3, s27, s1
	v_writelane_b32 v167, s58, 26
	s_lshl_b64 s[0:1], s[6:7], 2
	v_writelane_b32 v167, s59, 27
	s_add_u32 s0, s2, s0
	v_writelane_b32 v167, s0, 28
	s_addc_u32 s0, s3, s1
	v_writelane_b32 v167, s0, 29
	s_add_i32 s0, s31, 0x7ff
	s_lshr_b32 s1, s0, 11
	s_bitcmp1_b32 s25, 0
	v_or_b32_e32 v68, v18, v2
	s_cselect_b64 s[2:3], -1, 0
	v_lshrrev_b32_e32 v1, 5, v68
	v_writelane_b32 v167, s2, 30
	v_and_b32_e32 v1, 34, v1
	v_and_b32_e32 v20, 64, v0
	v_writelane_b32 v167, s3, 31
	s_cmp_gt_i32 s11, 0
	v_add_u32_e32 v69, 64, v68
	v_or_b32_e32 v133, 0x80, v68
	v_add_u32_e32 v134, 0xc0, v68
	v_or_b32_e32 v72, 0x100, v68
	;; [unrolled: 2-line block ×7, first 2 shown]
	v_add_u32_e32 v83, 0x3c0, v68
	v_add_u32_e32 v1, v1, v68
	v_add_u16_e32 v22, v18, v20
	v_writelane_b32 v167, s11, 32
	s_cselect_b64 s[2:3], -1, 0
	v_lshl_add_u32 v84, v1, 1, 0
	v_lshrrev_b32_e32 v1, 5, v69
	v_lshrrev_b32_e32 v3, 5, v133
	;; [unrolled: 1-line block ×15, first 2 shown]
	v_lshrrev_b16_e32 v22, 1, v22
	v_writelane_b32 v167, s2, 33
	v_and_b32_e32 v1, 38, v1
	v_and_b32_e32 v3, 38, v3
	;; [unrolled: 1-line block ×15, first 2 shown]
	v_add_lshl_u32 v21, v18, v20, 4
	v_and_b32_e32 v22, 0x7e, v22
	v_writelane_b32 v167, s3, 34
	v_add_lshl_u32 v1, v1, v68, 1
	v_add_lshl_u32 v3, v3, v68, 1
	;; [unrolled: 1-line block ×16, first 2 shown]
	s_add_i32 s0, 0, 0x1080
	v_writelane_b32 v167, s31, 35
	v_add_u32_e32 v101, s0, v1
	v_add_u32_e32 v102, s0, v3
	;; [unrolled: 1-line block ×16, first 2 shown]
	v_writelane_b32 v167, s1, 36
	s_add_i32 s0, s1, -1
	s_mul_i32 s6, s4, s18
	s_and_b32 s5, s31, 0x7ff
	v_writelane_b32 v167, s0, 37
	s_lshl_b64 s[0:1], s[6:7], 1
	s_add_u32 s2, s50, s0
	s_mul_i32 s6, s19, s24
	s_addc_u32 s3, s51, s1
	s_lshl_b64 s[0:1], s[6:7], 1
	s_add_u32 s2, s2, s0
	s_addc_u32 s3, s3, s1
	s_cmp_eq_u32 s5, 0
	s_cselect_b64 s[0:1], -1, 0
	v_add_u32_e32 v85, 0, v1
	v_writelane_b32 v167, s0, 38
	v_and_b32_e32 v1, 15, v18
	v_cmp_lt_u32_e64 s[4:5], 1, v1
	v_writelane_b32 v167, s1, 39
	v_cmp_eq_u32_e64 s[0:1], 0, v1
	v_writelane_b32 v167, s4, 40
	v_add_u32_e32 v86, 0, v3
	v_and_b32_e32 v3, 64, v18
	v_writelane_b32 v167, s5, 41
	v_cmp_lt_u32_e64 s[4:5], 3, v1
	v_mov_b32_e32 v17, 0
	v_add_u32_e32 v99, 0, v16
	v_writelane_b32 v167, s4, 42
	v_lshlrev_b32_e32 v16, 1, v18
	s_mov_b64 s[8:9], s[22:23]
	v_writelane_b32 v167, s5, 43
	v_cmp_lt_u32_e64 s[4:5], 7, v1
	v_and_b32_e32 v1, 16, v18
	v_lshl_add_u32 v118, v0, 3, 0
	v_writelane_b32 v167, s4, 44
	v_cmp_lt_u32_e64 s[20:21], 63, v0
	v_cmp_eq_u32_e64 s[22:23], 0, v0
	v_writelane_b32 v167, s5, 45
	v_cmp_ne_u32_e64 s[4:5], 0, v1
	v_or_b32_e32 v1, 63, v20
	v_add_u32_e32 v87, 0, v4
	v_writelane_b32 v167, s4, 46
	v_add_u32_e32 v88, 0, v5
	v_add_u32_e32 v89, 0, v6
	v_writelane_b32 v167, s5, 47
	v_cmp_lt_u32_e64 s[4:5], 31, v18
	v_add_u32_e32 v90, 0, v7
	v_add_u32_e32 v91, 0, v8
	v_writelane_b32 v167, s4, 48
	v_add_u32_e32 v92, 0, v9
	v_add_u32_e32 v93, 0, v10
	v_writelane_b32 v167, s5, 49
	v_cmp_eq_u32_e64 s[4:5], v1, v0
	v_lshrrev_b32_e32 v1, 3, v0
	v_and_b32_e32 v1, 8, v1
	v_writelane_b32 v167, s4, 50
	v_add_u32_e32 v117, 0, v1
	v_and_b32_e32 v1, 1, v18
	v_writelane_b32 v167, s5, 51
	v_cmp_gt_u32_e64 s[4:5], 2, v0
	v_add_u32_e32 v94, 0, v11
	v_add_u32_e32 v95, 0, v12
	v_writelane_b32 v167, s4, 52
	v_add_u32_e32 v96, 0, v13
	v_add_u32_e32 v97, 0, v14
	v_writelane_b32 v167, s5, 53
	v_cmp_eq_u32_e64 s[4:5], 0, v1
	v_add_u32_e32 v1, -1, v18
	v_cmp_lt_i32_e32 vcc, v1, v3
	v_writelane_b32 v167, s4, 54
	v_add_u32_e32 v98, 0, v15
	v_cndmask_b32_e32 v1, v1, v18, vcc
	v_writelane_b32 v167, s5, 55
	v_cmp_gt_u32_e64 s[4:5], 64, v0
	v_lshlrev_b32_e32 v119, 2, v1
	v_lshl_add_u64 v[0:1], s[2:3], 0, v[16:17]
	v_writelane_b32 v167, s4, 56
	v_lshlrev_b32_e32 v16, 1, v2
	s_add_i32 s2, 0, 0x2110
	v_writelane_b32 v167, s5, 57
	v_add_u32_e32 v100, 0, v21
	v_cmp_eq_u32_e64 s[24:25], 0, v18
	v_lshl_add_u64 v[20:21], v[0:1], 0, v[16:17]
	v_lshlrev_b32_e32 v22, 1, v2
	s_mov_b32 s6, 0x41a00000
	s_mov_b32 s10, 0x3fb8aa3b
	;; [unrolled: 1-line block ×8, first 2 shown]
	v_writelane_b32 v167, s2, 58
	s_mov_b32 s33, 0xc2fc0000
	s_mov_b32 s3, 0
	v_mov_b32_e32 v135, 0x3ecc95a3
	v_mov_b32_e32 v136, 0x7f800000
	;; [unrolled: 1-line block ×6, first 2 shown]
                                        ; implicit-def: $vgpr0
	s_branch .LBB58_13
.LBB58_12:                              ;   in Loop: Header=BB58_13 Depth=1
	s_or_b64 exec, exec, s[2:3]
	v_readlane_b32 s2, v167, 4
	v_readlane_b32 s3, v167, 5
	s_add_u32 s2, s2, 0x1000
	s_addc_u32 s3, s3, 0
	v_writelane_b32 v167, s2, 4
	s_add_u32 s8, s8, 0x1000
	s_addc_u32 s9, s9, 0
	v_writelane_b32 v167, s3, 5
	s_nop 0
	v_readlane_b32 s2, v167, 8
	v_readlane_b32 s3, v167, 9
	s_add_u32 s2, s2, 0x1000
	s_addc_u32 s3, s3, 0
	v_writelane_b32 v167, s2, 8
	s_nop 1
	v_writelane_b32 v167, s3, 9
	s_nop 0
	v_readlane_b32 s2, v167, 22
	v_readlane_b32 s3, v167, 23
	s_add_u32 s2, s2, 0x1000
	s_addc_u32 s3, s3, 0
	v_writelane_b32 v167, s2, 22
	s_nop 1
	v_writelane_b32 v167, s3, 23
	s_nop 0
	v_readlane_b32 s3, v167, 59
	s_add_i32 s3, s3, 1
	v_readlane_b32 s2, v167, 36
	s_cmp_eq_u32 s3, s2
	s_cbranch_scc1 .LBB58_238
.LBB58_13:                              ; =>This Loop Header: Depth=1
                                        ;     Child Loop BB58_110 Depth 2
	s_lshl_b32 s18, s3, 11
	v_writelane_b32 v167, s3, 59
	s_mov_b32 s4, s18
	v_readlane_b32 s2, v167, 35
	v_writelane_b32 v167, s4, 60
	s_waitcnt lgkmcnt(14)
	v_lshlrev_b32_e32 v16, 1, v18
	s_sub_i32 s88, s2, s18
	v_writelane_b32 v167, s5, 61
	v_writelane_b32 v167, s8, 62
	v_mov_b32_e32 v23, v17
	v_cmp_gt_u32_e64 s[26:27], s88, v68
	v_lshl_add_u64 v[0:1], s[8:9], 0, v[16:17]
	v_writelane_b32 v167, s9, 63
	v_lshl_add_u64 v[0:1], v[0:1], 0, v[22:23]
	s_waitcnt lgkmcnt(0)
	v_mov_b32_e32 v2, 0
	s_barrier
	s_and_saveexec_b64 s[2:3], s[26:27]
	s_cbranch_execz .LBB58_15
; %bb.14:                               ;   in Loop: Header=BB58_13 Depth=1
	global_load_ushort v2, v[0:1], off
.LBB58_15:                              ;   in Loop: Header=BB58_13 Depth=1
	s_or_b64 exec, exec, s[2:3]
	v_cmp_gt_u32_e64 s[28:29], s88, v69
	v_mov_b32_e32 v3, 0
	v_mov_b32_e32 v4, 0
	s_and_saveexec_b64 s[2:3], s[28:29]
	s_cbranch_execz .LBB58_17
; %bb.16:                               ;   in Loop: Header=BB58_13 Depth=1
	global_load_ushort v4, v[0:1], off offset:128
.LBB58_17:                              ;   in Loop: Header=BB58_13 Depth=1
	s_or_b64 exec, exec, s[2:3]
	v_cmp_gt_u32_e64 s[30:31], s88, v133
	s_and_saveexec_b64 s[2:3], s[30:31]
	s_cbranch_execz .LBB58_19
; %bb.18:                               ;   in Loop: Header=BB58_13 Depth=1
	global_load_ushort v3, v[0:1], off offset:256
.LBB58_19:                              ;   in Loop: Header=BB58_13 Depth=1
	s_or_b64 exec, exec, s[2:3]
	v_cmp_gt_u32_e64 s[34:35], s88, v134
	v_mov_b32_e32 v5, 0
	v_mov_b32_e32 v6, 0
	s_and_saveexec_b64 s[2:3], s[34:35]
	s_cbranch_execz .LBB58_21
; %bb.20:                               ;   in Loop: Header=BB58_13 Depth=1
	global_load_ushort v6, v[0:1], off offset:384
.LBB58_21:                              ;   in Loop: Header=BB58_13 Depth=1
	s_or_b64 exec, exec, s[2:3]
	v_cmp_gt_u32_e64 s[36:37], s88, v72
	s_and_saveexec_b64 s[2:3], s[36:37]
	s_cbranch_execz .LBB58_23
; %bb.22:                               ;   in Loop: Header=BB58_13 Depth=1
	global_load_ushort v5, v[0:1], off offset:512
.LBB58_23:                              ;   in Loop: Header=BB58_13 Depth=1
	;; [unrolled: 16-line block ×7, first 2 shown]
	s_or_b64 exec, exec, s[2:3]
	v_cmp_gt_u32_e64 s[58:59], s88, v83
	v_mov_b32_e32 v10, 0
	v_mov_b32_e32 v26, 0
	s_and_saveexec_b64 s[2:3], s[58:59]
	s_cbranch_execz .LBB58_45
; %bb.44:                               ;   in Loop: Header=BB58_13 Depth=1
	global_load_ushort v26, v[0:1], off offset:1920
.LBB58_45:                              ;   in Loop: Header=BB58_13 Depth=1
	s_or_b64 exec, exec, s[2:3]
	s_waitcnt vmcnt(0)
	ds_write_b16 v84, v2
	ds_write_b16 v85, v4 offset:128
	ds_write_b16 v86, v3 offset:256
	;; [unrolled: 1-line block ×15, first 2 shown]
	; wave barrier
	ds_read_b128 v[0:3], v100
	ds_read_b128 v[4:7], v100 offset:16
	v_readlane_b32 s2, v167, 4
	v_readlane_b32 s3, v167, 5
	v_mov_b32_e32 v23, v17
	s_waitcnt lgkmcnt(0)
	v_lshl_add_u64 v[8:9], s[2:3], 0, v[16:17]
	v_lshl_add_u64 v[8:9], v[8:9], 0, v[22:23]
	s_barrier
	s_and_saveexec_b64 s[2:3], s[26:27]
	s_cbranch_execz .LBB58_47
; %bb.46:                               ;   in Loop: Header=BB58_13 Depth=1
	global_load_ushort v10, v[8:9], off
.LBB58_47:                              ;   in Loop: Header=BB58_13 Depth=1
	s_or_b64 exec, exec, s[2:3]
	v_mov_b32_e32 v11, 0
	v_mov_b32_e32 v12, 0
	s_and_saveexec_b64 s[2:3], s[28:29]
	s_cbranch_execz .LBB58_49
; %bb.48:                               ;   in Loop: Header=BB58_13 Depth=1
	global_load_ushort v12, v[8:9], off offset:128
.LBB58_49:                              ;   in Loop: Header=BB58_13 Depth=1
	s_or_b64 exec, exec, s[2:3]
	s_and_saveexec_b64 s[2:3], s[30:31]
	s_cbranch_execz .LBB58_51
; %bb.50:                               ;   in Loop: Header=BB58_13 Depth=1
	global_load_ushort v11, v[8:9], off offset:256
.LBB58_51:                              ;   in Loop: Header=BB58_13 Depth=1
	s_or_b64 exec, exec, s[2:3]
	v_mov_b32_e32 v13, 0
	v_mov_b32_e32 v14, 0
	s_and_saveexec_b64 s[2:3], s[34:35]
	s_cbranch_execz .LBB58_53
; %bb.52:                               ;   in Loop: Header=BB58_13 Depth=1
	global_load_ushort v14, v[8:9], off offset:384
.LBB58_53:                              ;   in Loop: Header=BB58_13 Depth=1
	s_or_b64 exec, exec, s[2:3]
	s_and_saveexec_b64 s[2:3], s[36:37]
	s_cbranch_execz .LBB58_55
; %bb.54:                               ;   in Loop: Header=BB58_13 Depth=1
	global_load_ushort v13, v[8:9], off offset:512
.LBB58_55:                              ;   in Loop: Header=BB58_13 Depth=1
	s_or_b64 exec, exec, s[2:3]
	v_mov_b32_e32 v15, 0
	v_mov_b32_e32 v23, 0
	s_and_saveexec_b64 s[2:3], s[38:39]
	s_cbranch_execz .LBB58_57
; %bb.56:                               ;   in Loop: Header=BB58_13 Depth=1
	global_load_ushort v23, v[8:9], off offset:640
.LBB58_57:                              ;   in Loop: Header=BB58_13 Depth=1
	s_or_b64 exec, exec, s[2:3]
	s_and_saveexec_b64 s[2:3], s[40:41]
	s_cbranch_execz .LBB58_59
; %bb.58:                               ;   in Loop: Header=BB58_13 Depth=1
	global_load_ushort v15, v[8:9], off offset:768
.LBB58_59:                              ;   in Loop: Header=BB58_13 Depth=1
	s_or_b64 exec, exec, s[2:3]
	v_mov_b32_e32 v25, 0
	v_mov_b32_e32 v26, 0
	s_and_saveexec_b64 s[2:3], s[42:43]
	s_cbranch_execz .LBB58_61
; %bb.60:                               ;   in Loop: Header=BB58_13 Depth=1
	global_load_ushort v26, v[8:9], off offset:896
.LBB58_61:                              ;   in Loop: Header=BB58_13 Depth=1
	s_or_b64 exec, exec, s[2:3]
	s_and_saveexec_b64 s[2:3], s[44:45]
	s_cbranch_execz .LBB58_63
; %bb.62:                               ;   in Loop: Header=BB58_13 Depth=1
	global_load_ushort v25, v[8:9], off offset:1024
.LBB58_63:                              ;   in Loop: Header=BB58_13 Depth=1
	s_or_b64 exec, exec, s[2:3]
	v_mov_b32_e32 v27, 0
	v_mov_b32_e32 v28, 0
	s_and_saveexec_b64 s[2:3], s[46:47]
	s_cbranch_execz .LBB58_65
; %bb.64:                               ;   in Loop: Header=BB58_13 Depth=1
	global_load_ushort v28, v[8:9], off offset:1152
.LBB58_65:                              ;   in Loop: Header=BB58_13 Depth=1
	s_or_b64 exec, exec, s[2:3]
	s_and_saveexec_b64 s[2:3], s[48:49]
	s_cbranch_execz .LBB58_67
; %bb.66:                               ;   in Loop: Header=BB58_13 Depth=1
	global_load_ushort v27, v[8:9], off offset:1280
.LBB58_67:                              ;   in Loop: Header=BB58_13 Depth=1
	s_or_b64 exec, exec, s[2:3]
	v_mov_b32_e32 v29, 0
	v_mov_b32_e32 v30, 0
	s_and_saveexec_b64 s[2:3], s[50:51]
	s_cbranch_execz .LBB58_69
; %bb.68:                               ;   in Loop: Header=BB58_13 Depth=1
	global_load_ushort v30, v[8:9], off offset:1408
.LBB58_69:                              ;   in Loop: Header=BB58_13 Depth=1
	s_or_b64 exec, exec, s[2:3]
	s_and_saveexec_b64 s[2:3], s[52:53]
	s_cbranch_execz .LBB58_71
; %bb.70:                               ;   in Loop: Header=BB58_13 Depth=1
	global_load_ushort v29, v[8:9], off offset:1536
.LBB58_71:                              ;   in Loop: Header=BB58_13 Depth=1
	s_or_b64 exec, exec, s[2:3]
	v_mov_b32_e32 v31, 0
	v_mov_b32_e32 v32, 0
	s_and_saveexec_b64 s[2:3], s[54:55]
	s_cbranch_execnz .LBB58_221
; %bb.72:                               ;   in Loop: Header=BB58_13 Depth=1
	s_or_b64 exec, exec, s[2:3]
	s_and_saveexec_b64 s[2:3], s[56:57]
	s_cbranch_execnz .LBB58_222
.LBB58_73:                              ;   in Loop: Header=BB58_13 Depth=1
	s_or_b64 exec, exec, s[2:3]
	v_mov_b32_e32 v33, 0
	s_and_saveexec_b64 s[2:3], s[58:59]
	s_cbranch_execz .LBB58_75
.LBB58_74:                              ;   in Loop: Header=BB58_13 Depth=1
	global_load_ushort v33, v[8:9], off offset:1920
.LBB58_75:                              ;   in Loop: Header=BB58_13 Depth=1
	s_or_b64 exec, exec, s[2:3]
	s_waitcnt vmcnt(0)
	ds_write_b16 v84, v10
	ds_write_b16 v85, v12 offset:128
	ds_write_b16 v86, v11 offset:256
	;; [unrolled: 1-line block ×15, first 2 shown]
	; wave barrier
	ds_read_b128 v[12:15], v100
	ds_read_b128 v[8:11], v100 offset:16
	v_readlane_b32 s2, v167, 2
	s_waitcnt lgkmcnt(1)
	v_lshlrev_b32_e32 v23, 16, v12
	v_add_f32_e32 v140, s2, v23
	v_readlane_b32 s2, v167, 30
	v_cmp_ge_f32_e32 vcc, s6, v140
	v_readlane_b32 s3, v167, 31
	s_and_b64 s[2:3], s[2:3], vcc
	s_and_saveexec_b64 s[4:5], s[2:3]
	s_cbranch_execz .LBB58_77
; %bb.76:                               ;   in Loop: Header=BB58_13 Depth=1
	v_mul_f32_e32 v23, 0x3fb8aa3b, v140
	v_rndne_f32_e32 v25, v23
	v_sub_f32_e32 v26, v23, v25
	v_fma_f32 v23, v140, s10, -v23
	v_fmac_f32_e32 v23, 0x32a5705f, v140
	v_add_f32_e32 v23, v26, v23
	v_cvt_i32_f32_e32 v25, v25
	v_exp_f32_e32 v23, v23
	v_cmp_ngt_f32_e32 vcc, s11, v140
	v_ldexp_f32 v23, v23, v25
	s_nop 0
	v_cndmask_b32_e32 v23, 0, v23, vcc
	v_cmp_nlt_f32_e32 vcc, s12, v140
	s_nop 1
	v_cndmask_b32_e32 v42, v136, v23, vcc
	v_add_f32_e32 v23, 1.0, v42
	v_add_f32_e32 v25, -1.0, v23
	v_sub_f32_e32 v26, v25, v23
	v_add_f32_e32 v26, 1.0, v26
	v_sub_f32_e32 v25, v42, v25
	v_add_f32_e32 v25, v25, v26
	v_frexp_mant_f32_e32 v28, v23
	v_cvt_f64_f32_e32 v[26:27], v23
	v_frexp_exp_i32_f64_e32 v26, v[26:27]
	v_cmp_gt_f32_e32 vcc, s14, v28
	v_cmp_gt_f32_e64 s[60:61], s16, v42
	s_nop 0
	v_subbrev_co_u32_e32 v34, vcc, 0, v26, vcc
	v_sub_u32_e32 v26, 0, v34
	v_ldexp_f32 v23, v23, v26
	v_ldexp_f32 v25, v25, v26
	v_add_f32_e32 v26, -1.0, v23
	v_add_f32_e32 v27, 1.0, v26
	v_sub_f32_e32 v27, v23, v27
	v_add_f32_e32 v28, v25, v27
	v_add_f32_e32 v27, 1.0, v23
	v_add_f32_e32 v29, -1.0, v27
	v_sub_f32_e32 v23, v23, v29
	v_add_f32_e32 v23, v25, v23
	v_add_f32_e32 v25, v27, v23
	v_rcp_f32_e32 v35, v25
	v_sub_f32_e32 v27, v27, v25
	v_add_f32_e32 v23, v23, v27
	v_add_f32_e32 v27, v26, v28
	v_sub_f32_e32 v26, v26, v27
	v_mul_f32_e32 v37, v27, v35
	v_add_f32_e32 v36, v28, v26
	v_mul_f32_e32 v28, v25, v37
	v_fma_f32 v30, v37, v25, -v28
	v_fmac_f32_e32 v30, v37, v23
	v_add_f32_e32 v26, v28, v30
	v_sub_f32_e32 v29, v27, v26
	v_pk_add_f32 v[32:33], v[26:27], v[28:29] neg_lo:[0,1] neg_hi:[0,1]
	v_mov_b32_e32 v31, v26
	v_pk_add_f32 v[26:27], v[32:33], v[30:31] neg_lo:[0,1] neg_hi:[0,1]
	v_cmp_eq_f32_e32 vcc, s13, v42
	v_add_f32_e32 v27, v36, v27
	v_add_f32_e32 v26, v26, v27
	v_add_f32_e32 v27, v29, v26
	v_mul_f32_e32 v36, v35, v27
	v_mul_f32_e32 v28, v25, v36
	v_fma_f32 v30, v36, v25, -v28
	v_fmac_f32_e32 v30, v36, v23
	v_sub_f32_e32 v23, v29, v27
	v_add_f32_e32 v23, v26, v23
	v_add_f32_e32 v26, v28, v30
	v_sub_f32_e32 v29, v27, v26
	v_pk_add_f32 v[32:33], v[26:27], v[28:29] neg_lo:[0,1] neg_hi:[0,1]
	v_mov_b32_e32 v31, v26
	v_pk_add_f32 v[26:27], v[32:33], v[30:31] neg_lo:[0,1] neg_hi:[0,1]
	s_or_b64 vcc, s[60:61], vcc
	v_add_f32_e32 v23, v23, v27
	v_add_f32_e32 v23, v26, v23
	;; [unrolled: 1-line block ×4, first 2 shown]
	v_sub_f32_e32 v25, v27, v37
	v_mul_f32_e32 v23, v35, v23
	v_sub_f32_e32 v25, v36, v25
	v_add_f32_e32 v23, v25, v23
	v_add_f32_e32 v28, v27, v23
	v_cvt_f32_i32_e32 v26, v34
	v_mul_f32_e32 v30, v28, v28
	v_fmamk_f32 v25, v30, 0x3e9b6dac, v135
	v_sub_f32_e32 v27, v28, v27
	v_fmaak_f32 v25, v30, v25, 0x3f2aaada
	v_sub_f32_e32 v23, v23, v27
	v_mul_f32_e32 v27, v28, v30
	v_pk_mul_f32 v[30:31], v[26:27], v[24:25]
	v_ldexp_f32 v29, v28, 1
	v_fma_f32 v28, v26, s15, -v30
	v_fmac_f32_e32 v28, 0xb102e308, v26
	v_pk_add_f32 v[26:27], v[30:31], v[28:29]
	v_ldexp_f32 v23, v23, 1
	v_sub_f32_e32 v25, v27, v29
	v_sub_f32_e32 v25, v31, v25
	v_add_f32_e32 v33, v23, v25
	v_mov_b32_e32 v32, v30
	v_pk_add_f32 v[30:31], v[26:27], v[30:31] neg_lo:[0,1] neg_hi:[0,1]
	v_pk_add_f32 v[34:35], v[26:27], v[32:33]
	v_mov_b32_e32 v29, v26
	v_mov_b32_e32 v31, v35
	v_pk_add_f32 v[36:37], v[28:29], v[30:31] neg_lo:[0,1] neg_hi:[0,1]
	v_pk_add_f32 v[28:29], v[28:29], v[30:31]
	v_mov_b32_e32 v32, v33
	v_mov_b32_e32 v30, v29
	v_pk_add_f32 v[38:39], v[30:31], v[26:27] neg_lo:[0,1] neg_hi:[0,1]
	v_mov_b32_e32 v28, v35
	v_mov_b32_e32 v23, v38
	v_pk_add_f32 v[40:41], v[34:35], v[22:23] neg_lo:[0,1] neg_hi:[0,1]
	v_mov_b32_e32 v34, v27
	v_mov_b32_e32 v35, v38
	;; [unrolled: 1-line block ×3, first 2 shown]
	v_pk_add_f32 v[28:29], v[28:29], v[34:35] neg_lo:[0,1] neg_hi:[0,1]
	v_mov_b32_e32 v33, v26
	v_pk_add_f32 v[26:27], v[32:33], v[28:29] neg_lo:[0,1] neg_hi:[0,1]
	v_mov_b32_e32 v40, v36
	v_pk_add_f32 v[28:29], v[40:41], v[26:27]
	s_nop 0
	v_mov_b32_e32 v32, v29
	v_pk_add_f32 v[32:33], v[28:29], v[32:33]
	s_nop 0
	v_pk_add_f32 v[30:31], v[30:31], v[32:33]
	v_mov_b32_e32 v27, v32
	v_mov_b32_e32 v29, v30
	v_pk_add_f32 v[34:35], v[28:29], v[36:37] neg_lo:[0,1] neg_hi:[0,1]
	s_nop 0
	v_sub_f32_e32 v23, v28, v34
	v_pk_add_f32 v[26:27], v[26:27], v[34:35] neg_lo:[0,1] neg_hi:[0,1]
	v_sub_f32_e32 v23, v36, v23
	v_add_f32_e32 v23, v26, v23
	v_add_f32_e32 v23, v23, v27
	;; [unrolled: 1-line block ×3, first 2 shown]
	v_cndmask_b32_e32 v140, v23, v42, vcc
.LBB58_77:                              ;   in Loop: Header=BB58_13 Depth=1
	s_or_b64 exec, exec, s[4:5]
	v_and_b32_e32 v12, 0xffff0000, v12
	v_readlane_b32 s2, v167, 2
	s_nop 1
	v_add_f32_e32 v141, s2, v12
	v_readlane_b32 s2, v167, 30
	v_cmp_ge_f32_e32 vcc, s6, v141
	v_readlane_b32 s3, v167, 31
	s_and_b64 s[2:3], s[2:3], vcc
	s_and_saveexec_b64 s[4:5], s[2:3]
	s_cbranch_execz .LBB58_79
; %bb.78:                               ;   in Loop: Header=BB58_13 Depth=1
	v_mul_f32_e32 v12, 0x3fb8aa3b, v141
	v_rndne_f32_e32 v23, v12
	v_sub_f32_e32 v25, v12, v23
	v_fma_f32 v12, v141, s10, -v12
	v_fmac_f32_e32 v12, 0x32a5705f, v141
	v_add_f32_e32 v12, v25, v12
	v_cvt_i32_f32_e32 v23, v23
	v_exp_f32_e32 v12, v12
	v_cmp_ngt_f32_e32 vcc, s11, v141
	v_ldexp_f32 v12, v12, v23
	s_nop 0
	v_cndmask_b32_e32 v12, 0, v12, vcc
	v_cmp_nlt_f32_e32 vcc, s12, v141
	s_nop 1
	v_cndmask_b32_e32 v40, v136, v12, vcc
	v_add_f32_e32 v12, 1.0, v40
	v_add_f32_e32 v23, -1.0, v12
	v_sub_f32_e32 v25, v23, v12
	v_add_f32_e32 v25, 1.0, v25
	v_sub_f32_e32 v23, v40, v23
	v_add_f32_e32 v23, v23, v25
	v_frexp_mant_f32_e32 v25, v12
	v_cvt_f64_f32_e32 v[26:27], v12
	v_frexp_exp_i32_f64_e32 v26, v[26:27]
	v_cmp_gt_f32_e32 vcc, s14, v25
	v_cmp_gt_f32_e64 s[60:61], s16, v40
	s_nop 0
	v_subbrev_co_u32_e32 v34, vcc, 0, v26, vcc
	v_sub_u32_e32 v25, 0, v34
	v_ldexp_f32 v12, v12, v25
	v_ldexp_f32 v23, v23, v25
	v_add_f32_e32 v25, -1.0, v12
	v_add_f32_e32 v27, 1.0, v12
	v_add_f32_e32 v26, 1.0, v25
	v_add_f32_e32 v28, -1.0, v27
	v_sub_f32_e32 v26, v12, v26
	v_sub_f32_e32 v12, v12, v28
	v_add_f32_e32 v12, v23, v12
	v_add_f32_e32 v26, v23, v26
	;; [unrolled: 1-line block ×3, first 2 shown]
	v_rcp_f32_e32 v35, v23
	v_sub_f32_e32 v27, v27, v23
	v_add_f32_e32 v12, v12, v27
	v_add_f32_e32 v27, v25, v26
	v_mul_f32_e32 v36, v27, v35
	v_mul_f32_e32 v28, v23, v36
	v_fma_f32 v30, v36, v23, -v28
	v_sub_f32_e32 v25, v25, v27
	v_fmac_f32_e32 v30, v36, v12
	v_add_f32_e32 v25, v26, v25
	v_add_f32_e32 v26, v28, v30
	v_sub_f32_e32 v29, v27, v26
	v_pk_add_f32 v[32:33], v[26:27], v[28:29] neg_lo:[0,1] neg_hi:[0,1]
	v_mov_b32_e32 v31, v26
	v_pk_add_f32 v[26:27], v[32:33], v[30:31] neg_lo:[0,1] neg_hi:[0,1]
	v_cmp_eq_f32_e32 vcc, s13, v40
	v_add_f32_e32 v25, v25, v27
	v_add_f32_e32 v25, v26, v25
	;; [unrolled: 1-line block ×3, first 2 shown]
	v_mul_f32_e32 v37, v35, v27
	v_mul_f32_e32 v28, v23, v37
	v_fma_f32 v30, v37, v23, -v28
	v_fmac_f32_e32 v30, v37, v12
	v_add_f32_e32 v26, v28, v30
	v_sub_f32_e32 v12, v29, v27
	v_sub_f32_e32 v29, v27, v26
	v_pk_add_f32 v[32:33], v[26:27], v[28:29] neg_lo:[0,1] neg_hi:[0,1]
	v_mov_b32_e32 v31, v26
	v_add_f32_e32 v12, v25, v12
	v_pk_add_f32 v[26:27], v[32:33], v[30:31] neg_lo:[0,1] neg_hi:[0,1]
	v_add_f32_e32 v23, v36, v37
	v_add_f32_e32 v12, v12, v27
	;; [unrolled: 1-line block ×4, first 2 shown]
	v_sub_f32_e32 v25, v23, v36
	v_mul_f32_e32 v12, v35, v12
	v_sub_f32_e32 v25, v37, v25
	v_add_f32_e32 v12, v25, v12
	v_add_f32_e32 v27, v23, v12
	v_cvt_f32_i32_e32 v26, v34
	v_mul_f32_e32 v28, v27, v27
	v_fmamk_f32 v25, v28, 0x3e9b6dac, v135
	v_fmaak_f32 v25, v28, v25, 0x3f2aaada
	v_sub_f32_e32 v23, v27, v23
	v_ldexp_f32 v29, v27, 1
	v_mul_f32_e32 v27, v27, v28
	v_pk_mul_f32 v[30:31], v[26:27], v[24:25]
	v_sub_f32_e32 v12, v12, v23
	v_fma_f32 v28, v26, s15, -v30
	v_fmac_f32_e32 v28, 0xb102e308, v26
	v_pk_add_f32 v[26:27], v[30:31], v[28:29]
	v_ldexp_f32 v12, v12, 1
	v_sub_f32_e32 v23, v27, v29
	v_sub_f32_e32 v23, v31, v23
	v_add_f32_e32 v33, v12, v23
	v_mov_b32_e32 v32, v30
	v_pk_add_f32 v[30:31], v[26:27], v[30:31] neg_lo:[0,1] neg_hi:[0,1]
	v_pk_add_f32 v[34:35], v[26:27], v[32:33]
	v_mov_b32_e32 v29, v26
	v_mov_b32_e32 v31, v35
	v_pk_add_f32 v[36:37], v[28:29], v[30:31] neg_lo:[0,1] neg_hi:[0,1]
	v_pk_add_f32 v[28:29], v[28:29], v[30:31]
	s_or_b64 vcc, s[60:61], vcc
	v_mov_b32_e32 v12, v29
	v_pk_add_f32 v[30:31], v[12:13], v[26:27] neg_lo:[0,1] neg_hi:[0,1]
	v_mov_b32_e32 v28, v35
	v_mov_b32_e32 v23, v30
	v_pk_add_f32 v[38:39], v[34:35], v[22:23] neg_lo:[0,1] neg_hi:[0,1]
	v_mov_b32_e32 v34, v27
	v_mov_b32_e32 v35, v30
	;; [unrolled: 1-line block ×3, first 2 shown]
	v_pk_add_f32 v[28:29], v[28:29], v[34:35] neg_lo:[0,1] neg_hi:[0,1]
	v_mov_b32_e32 v30, v33
	v_mov_b32_e32 v31, v26
	v_pk_add_f32 v[26:27], v[30:31], v[28:29] neg_lo:[0,1] neg_hi:[0,1]
	v_mov_b32_e32 v38, v36
	v_pk_add_f32 v[28:29], v[38:39], v[26:27]
	s_nop 0
	v_mov_b32_e32 v30, v29
	v_pk_add_f32 v[30:31], v[28:29], v[30:31]
	s_nop 0
	v_pk_add_f32 v[32:33], v[12:13], v[30:31]
	v_mov_b32_e32 v27, v30
	v_mov_b32_e32 v29, v32
	v_pk_add_f32 v[34:35], v[28:29], v[36:37] neg_lo:[0,1] neg_hi:[0,1]
	s_nop 0
	v_sub_f32_e32 v12, v28, v34
	v_pk_add_f32 v[26:27], v[26:27], v[34:35] neg_lo:[0,1] neg_hi:[0,1]
	v_sub_f32_e32 v12, v36, v12
	v_add_f32_e32 v12, v26, v12
	v_add_f32_e32 v12, v12, v27
	;; [unrolled: 1-line block ×3, first 2 shown]
	v_cndmask_b32_e32 v141, v12, v40, vcc
.LBB58_79:                              ;   in Loop: Header=BB58_13 Depth=1
	s_or_b64 exec, exec, s[4:5]
	v_lshlrev_b32_e32 v12, 16, v13
	v_readlane_b32 s2, v167, 2
	s_nop 1
	v_add_f32_e32 v142, s2, v12
	v_readlane_b32 s2, v167, 30
	v_cmp_ge_f32_e32 vcc, s6, v142
	v_readlane_b32 s3, v167, 31
	s_and_b64 s[2:3], s[2:3], vcc
	s_and_saveexec_b64 s[4:5], s[2:3]
	s_cbranch_execz .LBB58_81
; %bb.80:                               ;   in Loop: Header=BB58_13 Depth=1
	v_mul_f32_e32 v12, 0x3fb8aa3b, v142
	v_rndne_f32_e32 v23, v12
	v_sub_f32_e32 v25, v12, v23
	v_fma_f32 v12, v142, s10, -v12
	v_fmac_f32_e32 v12, 0x32a5705f, v142
	v_add_f32_e32 v12, v25, v12
	v_cvt_i32_f32_e32 v23, v23
	v_exp_f32_e32 v12, v12
	v_cmp_ngt_f32_e32 vcc, s11, v142
	v_ldexp_f32 v12, v12, v23
	s_nop 0
	v_cndmask_b32_e32 v12, 0, v12, vcc
	v_cmp_nlt_f32_e32 vcc, s12, v142
	s_nop 1
	v_cndmask_b32_e32 v40, v136, v12, vcc
	v_add_f32_e32 v12, 1.0, v40
	v_add_f32_e32 v23, -1.0, v12
	v_sub_f32_e32 v25, v23, v12
	v_add_f32_e32 v25, 1.0, v25
	v_sub_f32_e32 v23, v40, v23
	v_add_f32_e32 v23, v23, v25
	v_frexp_mant_f32_e32 v25, v12
	v_cvt_f64_f32_e32 v[26:27], v12
	v_frexp_exp_i32_f64_e32 v26, v[26:27]
	v_cmp_gt_f32_e32 vcc, s14, v25
	v_cmp_gt_f32_e64 s[60:61], s16, v40
	s_nop 0
	v_subbrev_co_u32_e32 v34, vcc, 0, v26, vcc
	v_sub_u32_e32 v25, 0, v34
	v_ldexp_f32 v12, v12, v25
	v_ldexp_f32 v23, v23, v25
	v_add_f32_e32 v25, -1.0, v12
	v_add_f32_e32 v27, 1.0, v12
	v_add_f32_e32 v26, 1.0, v25
	v_add_f32_e32 v28, -1.0, v27
	v_sub_f32_e32 v26, v12, v26
	v_sub_f32_e32 v12, v12, v28
	v_add_f32_e32 v12, v23, v12
	v_add_f32_e32 v26, v23, v26
	;; [unrolled: 1-line block ×3, first 2 shown]
	v_rcp_f32_e32 v35, v23
	v_sub_f32_e32 v27, v27, v23
	v_add_f32_e32 v12, v12, v27
	v_add_f32_e32 v27, v25, v26
	v_mul_f32_e32 v36, v27, v35
	v_mul_f32_e32 v28, v23, v36
	v_fma_f32 v30, v36, v23, -v28
	v_sub_f32_e32 v25, v25, v27
	v_fmac_f32_e32 v30, v36, v12
	v_add_f32_e32 v25, v26, v25
	v_add_f32_e32 v26, v28, v30
	v_sub_f32_e32 v29, v27, v26
	v_pk_add_f32 v[32:33], v[26:27], v[28:29] neg_lo:[0,1] neg_hi:[0,1]
	v_mov_b32_e32 v31, v26
	v_pk_add_f32 v[26:27], v[32:33], v[30:31] neg_lo:[0,1] neg_hi:[0,1]
	v_cmp_eq_f32_e32 vcc, s13, v40
	v_add_f32_e32 v25, v25, v27
	v_add_f32_e32 v25, v26, v25
	;; [unrolled: 1-line block ×3, first 2 shown]
	v_mul_f32_e32 v37, v35, v27
	v_mul_f32_e32 v28, v23, v37
	v_fma_f32 v30, v37, v23, -v28
	v_fmac_f32_e32 v30, v37, v12
	v_add_f32_e32 v26, v28, v30
	v_sub_f32_e32 v12, v29, v27
	v_sub_f32_e32 v29, v27, v26
	v_pk_add_f32 v[32:33], v[26:27], v[28:29] neg_lo:[0,1] neg_hi:[0,1]
	v_mov_b32_e32 v31, v26
	v_add_f32_e32 v12, v25, v12
	v_pk_add_f32 v[26:27], v[32:33], v[30:31] neg_lo:[0,1] neg_hi:[0,1]
	v_add_f32_e32 v23, v36, v37
	v_add_f32_e32 v12, v12, v27
	;; [unrolled: 1-line block ×4, first 2 shown]
	v_sub_f32_e32 v25, v23, v36
	v_mul_f32_e32 v12, v35, v12
	v_sub_f32_e32 v25, v37, v25
	v_add_f32_e32 v12, v25, v12
	v_add_f32_e32 v27, v23, v12
	v_cvt_f32_i32_e32 v26, v34
	v_mul_f32_e32 v28, v27, v27
	v_fmamk_f32 v25, v28, 0x3e9b6dac, v135
	v_fmaak_f32 v25, v28, v25, 0x3f2aaada
	v_sub_f32_e32 v23, v27, v23
	v_ldexp_f32 v29, v27, 1
	v_mul_f32_e32 v27, v27, v28
	v_pk_mul_f32 v[30:31], v[26:27], v[24:25]
	v_sub_f32_e32 v12, v12, v23
	v_fma_f32 v28, v26, s15, -v30
	v_fmac_f32_e32 v28, 0xb102e308, v26
	v_pk_add_f32 v[26:27], v[30:31], v[28:29]
	v_ldexp_f32 v12, v12, 1
	v_sub_f32_e32 v23, v27, v29
	v_sub_f32_e32 v23, v31, v23
	v_add_f32_e32 v33, v12, v23
	v_mov_b32_e32 v32, v30
	v_pk_add_f32 v[30:31], v[26:27], v[30:31] neg_lo:[0,1] neg_hi:[0,1]
	v_pk_add_f32 v[34:35], v[26:27], v[32:33]
	v_mov_b32_e32 v29, v26
	v_mov_b32_e32 v31, v35
	v_pk_add_f32 v[36:37], v[28:29], v[30:31] neg_lo:[0,1] neg_hi:[0,1]
	v_pk_add_f32 v[28:29], v[28:29], v[30:31]
	s_or_b64 vcc, s[60:61], vcc
	v_mov_b32_e32 v12, v29
	v_pk_add_f32 v[30:31], v[12:13], v[26:27] neg_lo:[0,1] neg_hi:[0,1]
	v_mov_b32_e32 v28, v35
	v_mov_b32_e32 v23, v30
	v_pk_add_f32 v[38:39], v[34:35], v[22:23] neg_lo:[0,1] neg_hi:[0,1]
	v_mov_b32_e32 v34, v27
	v_mov_b32_e32 v35, v30
	;; [unrolled: 1-line block ×3, first 2 shown]
	v_pk_add_f32 v[28:29], v[28:29], v[34:35] neg_lo:[0,1] neg_hi:[0,1]
	v_mov_b32_e32 v30, v33
	v_mov_b32_e32 v31, v26
	v_pk_add_f32 v[26:27], v[30:31], v[28:29] neg_lo:[0,1] neg_hi:[0,1]
	v_mov_b32_e32 v38, v36
	v_pk_add_f32 v[28:29], v[38:39], v[26:27]
	s_nop 0
	v_mov_b32_e32 v30, v29
	v_pk_add_f32 v[30:31], v[28:29], v[30:31]
	s_nop 0
	v_pk_add_f32 v[32:33], v[12:13], v[30:31]
	v_mov_b32_e32 v27, v30
	v_mov_b32_e32 v29, v32
	v_pk_add_f32 v[34:35], v[28:29], v[36:37] neg_lo:[0,1] neg_hi:[0,1]
	s_nop 0
	v_sub_f32_e32 v12, v28, v34
	v_pk_add_f32 v[26:27], v[26:27], v[34:35] neg_lo:[0,1] neg_hi:[0,1]
	v_sub_f32_e32 v12, v36, v12
	v_add_f32_e32 v12, v26, v12
	v_add_f32_e32 v12, v12, v27
	;; [unrolled: 1-line block ×3, first 2 shown]
	v_cndmask_b32_e32 v142, v12, v40, vcc
.LBB58_81:                              ;   in Loop: Header=BB58_13 Depth=1
	s_or_b64 exec, exec, s[4:5]
	v_and_b32_e32 v12, 0xffff0000, v13
	v_readlane_b32 s2, v167, 2
	s_nop 1
	v_add_f32_e32 v143, s2, v12
	v_readlane_b32 s2, v167, 30
	v_cmp_ge_f32_e32 vcc, s6, v143
	v_readlane_b32 s3, v167, 31
	s_and_b64 s[2:3], s[2:3], vcc
	s_and_saveexec_b64 s[4:5], s[2:3]
	s_cbranch_execz .LBB58_83
; %bb.82:                               ;   in Loop: Header=BB58_13 Depth=1
	v_mul_f32_e32 v12, 0x3fb8aa3b, v143
	v_rndne_f32_e32 v13, v12
	v_sub_f32_e32 v23, v12, v13
	v_fma_f32 v12, v143, s10, -v12
	v_fmac_f32_e32 v12, 0x32a5705f, v143
	v_add_f32_e32 v12, v23, v12
	v_cvt_i32_f32_e32 v13, v13
	v_exp_f32_e32 v12, v12
	v_cmp_ngt_f32_e32 vcc, s11, v143
	v_ldexp_f32 v12, v12, v13
	s_nop 0
	v_cndmask_b32_e32 v12, 0, v12, vcc
	v_cmp_nlt_f32_e32 vcc, s12, v143
	s_nop 1
	v_cndmask_b32_e32 v40, v136, v12, vcc
	v_add_f32_e32 v23, 1.0, v40
	v_add_f32_e32 v12, -1.0, v23
	v_sub_f32_e32 v13, v12, v23
	v_add_f32_e32 v13, 1.0, v13
	v_sub_f32_e32 v12, v40, v12
	v_add_f32_e32 v25, v12, v13
	v_frexp_mant_f32_e32 v26, v23
	v_cvt_f64_f32_e32 v[12:13], v23
	v_frexp_exp_i32_f64_e32 v12, v[12:13]
	v_cmp_gt_f32_e32 vcc, s14, v26
	v_cmp_gt_f32_e64 s[60:61], s16, v40
	s_nop 0
	v_subbrev_co_u32_e32 v32, vcc, 0, v12, vcc
	v_sub_u32_e32 v12, 0, v32
	v_ldexp_f32 v13, v23, v12
	v_add_f32_e32 v23, -1.0, v13
	v_add_f32_e32 v26, 1.0, v13
	v_ldexp_f32 v12, v25, v12
	v_add_f32_e32 v25, 1.0, v23
	v_add_f32_e32 v27, -1.0, v26
	v_sub_f32_e32 v25, v13, v25
	v_sub_f32_e32 v13, v13, v27
	v_add_f32_e32 v25, v12, v25
	v_add_f32_e32 v12, v12, v13
	;; [unrolled: 1-line block ×3, first 2 shown]
	v_rcp_f32_e32 v35, v33
	v_sub_f32_e32 v13, v26, v33
	v_add_f32_e32 v34, v12, v13
	v_add_f32_e32 v13, v23, v25
	v_sub_f32_e32 v12, v23, v13
	v_add_f32_e32 v23, v25, v12
	v_mul_f32_e32 v25, v13, v35
	v_mul_f32_e32 v26, v33, v25
	v_fma_f32 v28, v25, v33, -v26
	v_fmac_f32_e32 v28, v25, v34
	v_add_f32_e32 v12, v26, v28
	v_sub_f32_e32 v27, v13, v12
	v_pk_add_f32 v[30:31], v[12:13], v[26:27] neg_lo:[0,1] neg_hi:[0,1]
	v_mov_b32_e32 v29, v12
	v_pk_add_f32 v[12:13], v[30:31], v[28:29] neg_lo:[0,1] neg_hi:[0,1]
	v_cmp_eq_f32_e32 vcc, s13, v40
	v_add_f32_e32 v13, v23, v13
	v_add_f32_e32 v12, v12, v13
	;; [unrolled: 1-line block ×3, first 2 shown]
	v_mul_f32_e32 v23, v35, v13
	v_mul_f32_e32 v26, v33, v23
	v_fma_f32 v28, v23, v33, -v26
	v_fmac_f32_e32 v28, v23, v34
	v_sub_f32_e32 v27, v27, v13
	v_add_f32_e32 v33, v12, v27
	v_add_f32_e32 v12, v26, v28
	v_sub_f32_e32 v27, v13, v12
	v_pk_add_f32 v[30:31], v[12:13], v[26:27] neg_lo:[0,1] neg_hi:[0,1]
	v_mov_b32_e32 v29, v12
	v_pk_add_f32 v[12:13], v[30:31], v[28:29] neg_lo:[0,1] neg_hi:[0,1]
	s_or_b64 vcc, s[60:61], vcc
	v_add_f32_e32 v13, v33, v13
	v_add_f32_e32 v12, v12, v13
	;; [unrolled: 1-line block ×4, first 2 shown]
	v_sub_f32_e32 v25, v13, v25
	v_mul_f32_e32 v12, v35, v12
	v_sub_f32_e32 v23, v23, v25
	v_add_f32_e32 v23, v23, v12
	v_add_f32_e32 v26, v13, v23
	v_mul_f32_e32 v28, v26, v26
	v_fmamk_f32 v12, v28, 0x3e9b6dac, v135
	v_fmaak_f32 v25, v28, v12, 0x3f2aaada
	v_cvt_f32_i32_e32 v12, v32
	v_sub_f32_e32 v13, v26, v13
	v_sub_f32_e32 v13, v23, v13
	v_ldexp_f32 v23, v13, 1
	v_mul_f32_e32 v13, v26, v28
	v_pk_mul_f32 v[28:29], v[12:13], v[24:25]
	v_ldexp_f32 v27, v26, 1
	v_fma_f32 v26, v12, s15, -v28
	v_fmac_f32_e32 v26, 0xb102e308, v12
	v_pk_add_f32 v[12:13], v[28:29], v[26:27]
	v_mov_b32_e32 v30, v28
	v_sub_f32_e32 v25, v13, v27
	v_sub_f32_e32 v25, v29, v25
	v_add_f32_e32 v31, v23, v25
	v_pk_add_f32 v[28:29], v[12:13], v[28:29] neg_lo:[0,1] neg_hi:[0,1]
	v_pk_add_f32 v[32:33], v[12:13], v[30:31]
	v_mov_b32_e32 v27, v12
	v_mov_b32_e32 v29, v33
	v_pk_add_f32 v[34:35], v[26:27], v[28:29] neg_lo:[0,1] neg_hi:[0,1]
	v_pk_add_f32 v[26:27], v[26:27], v[28:29]
	v_mov_b32_e32 v30, v31
	v_mov_b32_e32 v28, v27
	v_pk_add_f32 v[36:37], v[28:29], v[12:13] neg_lo:[0,1] neg_hi:[0,1]
	v_mov_b32_e32 v26, v33
	v_mov_b32_e32 v23, v36
	v_pk_add_f32 v[38:39], v[32:33], v[22:23] neg_lo:[0,1] neg_hi:[0,1]
	v_mov_b32_e32 v32, v13
	v_mov_b32_e32 v33, v36
	;; [unrolled: 1-line block ×3, first 2 shown]
	v_pk_add_f32 v[26:27], v[26:27], v[32:33] neg_lo:[0,1] neg_hi:[0,1]
	v_mov_b32_e32 v31, v12
	v_pk_add_f32 v[12:13], v[30:31], v[26:27] neg_lo:[0,1] neg_hi:[0,1]
	v_mov_b32_e32 v38, v34
	v_pk_add_f32 v[26:27], v[38:39], v[12:13]
	s_nop 0
	v_mov_b32_e32 v30, v27
	v_pk_add_f32 v[30:31], v[26:27], v[30:31]
	s_nop 0
	v_pk_add_f32 v[28:29], v[28:29], v[30:31]
	v_mov_b32_e32 v13, v30
	v_mov_b32_e32 v27, v28
	v_pk_add_f32 v[32:33], v[26:27], v[34:35] neg_lo:[0,1] neg_hi:[0,1]
	s_nop 0
	v_sub_f32_e32 v23, v26, v32
	v_pk_add_f32 v[12:13], v[12:13], v[32:33] neg_lo:[0,1] neg_hi:[0,1]
	v_sub_f32_e32 v23, v34, v23
	v_add_f32_e32 v12, v12, v23
	v_add_f32_e32 v12, v12, v13
	v_add_f32_e32 v12, v28, v12
	v_cndmask_b32_e32 v143, v12, v40, vcc
.LBB58_83:                              ;   in Loop: Header=BB58_13 Depth=1
	s_or_b64 exec, exec, s[4:5]
	v_lshlrev_b32_e32 v12, 16, v14
	v_readlane_b32 s2, v167, 2
	s_nop 1
	v_add_f32_e32 v144, s2, v12
	v_readlane_b32 s2, v167, 30
	v_cmp_ge_f32_e32 vcc, s6, v144
	v_readlane_b32 s3, v167, 31
	s_and_b64 s[2:3], s[2:3], vcc
	s_and_saveexec_b64 s[4:5], s[2:3]
	s_cbranch_execz .LBB58_85
; %bb.84:                               ;   in Loop: Header=BB58_13 Depth=1
	v_mul_f32_e32 v12, 0x3fb8aa3b, v144
	v_rndne_f32_e32 v13, v12
	v_sub_f32_e32 v23, v12, v13
	v_fma_f32 v12, v144, s10, -v12
	v_fmac_f32_e32 v12, 0x32a5705f, v144
	v_add_f32_e32 v12, v23, v12
	v_cvt_i32_f32_e32 v13, v13
	v_exp_f32_e32 v12, v12
	v_cmp_ngt_f32_e32 vcc, s11, v144
	v_ldexp_f32 v12, v12, v13
	s_nop 0
	v_cndmask_b32_e32 v12, 0, v12, vcc
	v_cmp_nlt_f32_e32 vcc, s12, v144
	s_nop 1
	v_cndmask_b32_e32 v40, v136, v12, vcc
	v_add_f32_e32 v23, 1.0, v40
	v_add_f32_e32 v12, -1.0, v23
	v_sub_f32_e32 v13, v12, v23
	v_add_f32_e32 v13, 1.0, v13
	v_sub_f32_e32 v12, v40, v12
	v_add_f32_e32 v25, v12, v13
	v_frexp_mant_f32_e32 v26, v23
	v_cvt_f64_f32_e32 v[12:13], v23
	v_frexp_exp_i32_f64_e32 v12, v[12:13]
	v_cmp_gt_f32_e32 vcc, s14, v26
	v_cmp_gt_f32_e64 s[60:61], s16, v40
	s_nop 0
	v_subbrev_co_u32_e32 v32, vcc, 0, v12, vcc
	v_sub_u32_e32 v12, 0, v32
	v_ldexp_f32 v13, v23, v12
	v_add_f32_e32 v23, -1.0, v13
	v_add_f32_e32 v26, 1.0, v13
	v_ldexp_f32 v12, v25, v12
	v_add_f32_e32 v25, 1.0, v23
	v_add_f32_e32 v27, -1.0, v26
	v_sub_f32_e32 v25, v13, v25
	v_sub_f32_e32 v13, v13, v27
	v_add_f32_e32 v25, v12, v25
	v_add_f32_e32 v12, v12, v13
	;; [unrolled: 1-line block ×3, first 2 shown]
	v_rcp_f32_e32 v35, v33
	v_sub_f32_e32 v13, v26, v33
	v_add_f32_e32 v34, v12, v13
	v_add_f32_e32 v13, v23, v25
	v_sub_f32_e32 v12, v23, v13
	v_add_f32_e32 v23, v25, v12
	v_mul_f32_e32 v25, v13, v35
	v_mul_f32_e32 v26, v33, v25
	v_fma_f32 v28, v25, v33, -v26
	v_fmac_f32_e32 v28, v25, v34
	v_add_f32_e32 v12, v26, v28
	v_sub_f32_e32 v27, v13, v12
	v_pk_add_f32 v[30:31], v[12:13], v[26:27] neg_lo:[0,1] neg_hi:[0,1]
	v_mov_b32_e32 v29, v12
	v_pk_add_f32 v[12:13], v[30:31], v[28:29] neg_lo:[0,1] neg_hi:[0,1]
	v_cmp_eq_f32_e32 vcc, s13, v40
	v_add_f32_e32 v13, v23, v13
	v_add_f32_e32 v12, v12, v13
	;; [unrolled: 1-line block ×3, first 2 shown]
	v_mul_f32_e32 v23, v35, v13
	v_mul_f32_e32 v26, v33, v23
	v_fma_f32 v28, v23, v33, -v26
	v_fmac_f32_e32 v28, v23, v34
	v_sub_f32_e32 v27, v27, v13
	v_add_f32_e32 v33, v12, v27
	v_add_f32_e32 v12, v26, v28
	v_sub_f32_e32 v27, v13, v12
	v_pk_add_f32 v[30:31], v[12:13], v[26:27] neg_lo:[0,1] neg_hi:[0,1]
	v_mov_b32_e32 v29, v12
	v_pk_add_f32 v[12:13], v[30:31], v[28:29] neg_lo:[0,1] neg_hi:[0,1]
	s_or_b64 vcc, s[60:61], vcc
	v_add_f32_e32 v13, v33, v13
	v_add_f32_e32 v12, v12, v13
	;; [unrolled: 1-line block ×4, first 2 shown]
	v_sub_f32_e32 v25, v13, v25
	v_mul_f32_e32 v12, v35, v12
	v_sub_f32_e32 v23, v23, v25
	v_add_f32_e32 v23, v23, v12
	v_add_f32_e32 v26, v13, v23
	v_mul_f32_e32 v28, v26, v26
	v_fmamk_f32 v12, v28, 0x3e9b6dac, v135
	v_fmaak_f32 v25, v28, v12, 0x3f2aaada
	v_cvt_f32_i32_e32 v12, v32
	v_sub_f32_e32 v13, v26, v13
	v_sub_f32_e32 v13, v23, v13
	v_ldexp_f32 v23, v13, 1
	v_mul_f32_e32 v13, v26, v28
	v_pk_mul_f32 v[28:29], v[12:13], v[24:25]
	v_ldexp_f32 v27, v26, 1
	v_fma_f32 v26, v12, s15, -v28
	v_fmac_f32_e32 v26, 0xb102e308, v12
	v_pk_add_f32 v[12:13], v[28:29], v[26:27]
	v_mov_b32_e32 v30, v28
	v_sub_f32_e32 v25, v13, v27
	v_sub_f32_e32 v25, v29, v25
	v_add_f32_e32 v31, v23, v25
	v_pk_add_f32 v[28:29], v[12:13], v[28:29] neg_lo:[0,1] neg_hi:[0,1]
	v_pk_add_f32 v[32:33], v[12:13], v[30:31]
	v_mov_b32_e32 v27, v12
	v_mov_b32_e32 v29, v33
	v_pk_add_f32 v[34:35], v[26:27], v[28:29] neg_lo:[0,1] neg_hi:[0,1]
	v_pk_add_f32 v[26:27], v[26:27], v[28:29]
	v_mov_b32_e32 v30, v31
	v_mov_b32_e32 v28, v27
	v_pk_add_f32 v[36:37], v[28:29], v[12:13] neg_lo:[0,1] neg_hi:[0,1]
	v_mov_b32_e32 v26, v33
	v_mov_b32_e32 v23, v36
	v_pk_add_f32 v[38:39], v[32:33], v[22:23] neg_lo:[0,1] neg_hi:[0,1]
	v_mov_b32_e32 v32, v13
	v_mov_b32_e32 v33, v36
	;; [unrolled: 1-line block ×3, first 2 shown]
	v_pk_add_f32 v[26:27], v[26:27], v[32:33] neg_lo:[0,1] neg_hi:[0,1]
	v_mov_b32_e32 v31, v12
	v_pk_add_f32 v[12:13], v[30:31], v[26:27] neg_lo:[0,1] neg_hi:[0,1]
	v_mov_b32_e32 v38, v34
	v_pk_add_f32 v[26:27], v[38:39], v[12:13]
	s_nop 0
	v_mov_b32_e32 v30, v27
	v_pk_add_f32 v[30:31], v[26:27], v[30:31]
	s_nop 0
	v_pk_add_f32 v[28:29], v[28:29], v[30:31]
	v_mov_b32_e32 v13, v30
	v_mov_b32_e32 v27, v28
	v_pk_add_f32 v[32:33], v[26:27], v[34:35] neg_lo:[0,1] neg_hi:[0,1]
	s_nop 0
	v_sub_f32_e32 v23, v26, v32
	v_pk_add_f32 v[12:13], v[12:13], v[32:33] neg_lo:[0,1] neg_hi:[0,1]
	v_sub_f32_e32 v23, v34, v23
	v_add_f32_e32 v12, v12, v23
	v_add_f32_e32 v12, v12, v13
	;; [unrolled: 1-line block ×3, first 2 shown]
	v_cndmask_b32_e32 v144, v12, v40, vcc
.LBB58_85:                              ;   in Loop: Header=BB58_13 Depth=1
	s_or_b64 exec, exec, s[4:5]
	v_and_b32_e32 v12, 0xffff0000, v14
	v_readlane_b32 s2, v167, 2
	s_nop 1
	v_add_f32_e32 v145, s2, v12
	v_readlane_b32 s2, v167, 30
	v_cmp_ge_f32_e32 vcc, s6, v145
	v_readlane_b32 s3, v167, 31
	s_and_b64 s[2:3], s[2:3], vcc
	s_and_saveexec_b64 s[4:5], s[2:3]
	s_cbranch_execz .LBB58_87
; %bb.86:                               ;   in Loop: Header=BB58_13 Depth=1
	v_mul_f32_e32 v12, 0x3fb8aa3b, v145
	v_rndne_f32_e32 v13, v12
	v_sub_f32_e32 v14, v12, v13
	v_fma_f32 v12, v145, s10, -v12
	v_fmac_f32_e32 v12, 0x32a5705f, v145
	v_add_f32_e32 v12, v14, v12
	v_cvt_i32_f32_e32 v13, v13
	v_exp_f32_e32 v12, v12
	v_cmp_ngt_f32_e32 vcc, s11, v145
	v_ldexp_f32 v12, v12, v13
	s_nop 0
	v_cndmask_b32_e32 v12, 0, v12, vcc
	v_cmp_nlt_f32_e32 vcc, s12, v145
	s_nop 1
	v_cndmask_b32_e32 v38, v136, v12, vcc
	v_add_f32_e32 v14, 1.0, v38
	v_add_f32_e32 v12, -1.0, v14
	v_sub_f32_e32 v13, v12, v14
	v_add_f32_e32 v13, 1.0, v13
	v_sub_f32_e32 v12, v38, v12
	v_add_f32_e32 v23, v12, v13
	v_frexp_mant_f32_e32 v25, v14
	v_cvt_f64_f32_e32 v[12:13], v14
	v_frexp_exp_i32_f64_e32 v12, v[12:13]
	v_cmp_gt_f32_e32 vcc, s14, v25
	v_cmp_gt_f32_e64 s[60:61], s16, v38
	s_nop 0
	v_subbrev_co_u32_e32 v32, vcc, 0, v12, vcc
	v_sub_u32_e32 v12, 0, v32
	v_ldexp_f32 v13, v14, v12
	v_add_f32_e32 v14, -1.0, v13
	v_add_f32_e32 v25, 1.0, v13
	v_ldexp_f32 v12, v23, v12
	v_add_f32_e32 v23, 1.0, v14
	v_add_f32_e32 v26, -1.0, v25
	v_sub_f32_e32 v23, v13, v23
	v_sub_f32_e32 v13, v13, v26
	v_add_f32_e32 v23, v12, v23
	v_add_f32_e32 v12, v12, v13
	;; [unrolled: 1-line block ×3, first 2 shown]
	v_rcp_f32_e32 v34, v33
	v_sub_f32_e32 v13, v25, v33
	v_add_f32_e32 v25, v12, v13
	v_add_f32_e32 v13, v14, v23
	v_sub_f32_e32 v12, v14, v13
	v_add_f32_e32 v14, v23, v12
	v_mul_f32_e32 v23, v13, v34
	v_mul_f32_e32 v26, v33, v23
	v_fma_f32 v28, v23, v33, -v26
	v_fmac_f32_e32 v28, v23, v25
	v_add_f32_e32 v12, v26, v28
	v_sub_f32_e32 v27, v13, v12
	v_pk_add_f32 v[30:31], v[12:13], v[26:27] neg_lo:[0,1] neg_hi:[0,1]
	v_mov_b32_e32 v29, v12
	v_pk_add_f32 v[12:13], v[30:31], v[28:29] neg_lo:[0,1] neg_hi:[0,1]
	v_cmp_eq_f32_e32 vcc, s13, v38
	v_add_f32_e32 v13, v14, v13
	v_add_f32_e32 v12, v12, v13
	;; [unrolled: 1-line block ×3, first 2 shown]
	v_mul_f32_e32 v14, v34, v13
	v_mul_f32_e32 v26, v33, v14
	v_fma_f32 v28, v14, v33, -v26
	v_fmac_f32_e32 v28, v14, v25
	v_sub_f32_e32 v25, v27, v13
	v_add_f32_e32 v25, v12, v25
	v_add_f32_e32 v12, v26, v28
	v_sub_f32_e32 v27, v13, v12
	v_pk_add_f32 v[30:31], v[12:13], v[26:27] neg_lo:[0,1] neg_hi:[0,1]
	v_mov_b32_e32 v29, v12
	v_pk_add_f32 v[12:13], v[30:31], v[28:29] neg_lo:[0,1] neg_hi:[0,1]
	s_or_b64 vcc, s[60:61], vcc
	v_add_f32_e32 v13, v25, v13
	v_add_f32_e32 v12, v12, v13
	;; [unrolled: 1-line block ×4, first 2 shown]
	v_sub_f32_e32 v23, v13, v23
	v_mul_f32_e32 v12, v34, v12
	v_sub_f32_e32 v14, v14, v23
	v_add_f32_e32 v14, v14, v12
	v_add_f32_e32 v23, v13, v14
	v_mul_f32_e32 v26, v23, v23
	v_fmamk_f32 v12, v26, 0x3e9b6dac, v135
	v_fmaak_f32 v25, v26, v12, 0x3f2aaada
	v_cvt_f32_i32_e32 v12, v32
	v_sub_f32_e32 v13, v23, v13
	v_sub_f32_e32 v13, v14, v13
	v_ldexp_f32 v14, v13, 1
	v_mul_f32_e32 v13, v23, v26
	v_pk_mul_f32 v[28:29], v[12:13], v[24:25]
	v_ldexp_f32 v27, v23, 1
	v_fma_f32 v26, v12, s15, -v28
	v_fmac_f32_e32 v26, 0xb102e308, v12
	v_pk_add_f32 v[12:13], v[28:29], v[26:27]
	v_mov_b32_e32 v30, v28
	v_sub_f32_e32 v23, v13, v27
	v_sub_f32_e32 v23, v29, v23
	v_add_f32_e32 v31, v14, v23
	v_pk_add_f32 v[28:29], v[12:13], v[28:29] neg_lo:[0,1] neg_hi:[0,1]
	v_pk_add_f32 v[32:33], v[12:13], v[30:31]
	v_mov_b32_e32 v27, v12
	v_mov_b32_e32 v29, v33
	v_pk_add_f32 v[34:35], v[26:27], v[28:29] neg_lo:[0,1] neg_hi:[0,1]
	v_pk_add_f32 v[26:27], v[26:27], v[28:29]
	s_nop 0
	v_mov_b32_e32 v14, v27
	v_pk_add_f32 v[28:29], v[14:15], v[12:13] neg_lo:[0,1] neg_hi:[0,1]
	v_mov_b32_e32 v26, v33
	v_mov_b32_e32 v23, v28
	v_pk_add_f32 v[36:37], v[32:33], v[22:23] neg_lo:[0,1] neg_hi:[0,1]
	v_mov_b32_e32 v32, v13
	v_mov_b32_e32 v33, v28
	;; [unrolled: 1-line block ×3, first 2 shown]
	v_pk_add_f32 v[26:27], v[26:27], v[32:33] neg_lo:[0,1] neg_hi:[0,1]
	v_mov_b32_e32 v28, v31
	v_mov_b32_e32 v29, v12
	v_pk_add_f32 v[12:13], v[28:29], v[26:27] neg_lo:[0,1] neg_hi:[0,1]
	v_mov_b32_e32 v36, v34
	v_pk_add_f32 v[26:27], v[36:37], v[12:13]
	s_nop 0
	v_mov_b32_e32 v28, v27
	v_pk_add_f32 v[28:29], v[26:27], v[28:29]
	s_nop 0
	v_pk_add_f32 v[30:31], v[14:15], v[28:29]
	v_mov_b32_e32 v13, v28
	v_mov_b32_e32 v27, v30
	v_pk_add_f32 v[32:33], v[26:27], v[34:35] neg_lo:[0,1] neg_hi:[0,1]
	s_nop 0
	v_sub_f32_e32 v14, v26, v32
	v_pk_add_f32 v[12:13], v[12:13], v[32:33] neg_lo:[0,1] neg_hi:[0,1]
	v_sub_f32_e32 v14, v34, v14
	v_add_f32_e32 v12, v12, v14
	v_add_f32_e32 v12, v12, v13
	;; [unrolled: 1-line block ×3, first 2 shown]
	v_cndmask_b32_e32 v145, v12, v38, vcc
.LBB58_87:                              ;   in Loop: Header=BB58_13 Depth=1
	s_or_b64 exec, exec, s[4:5]
	v_lshlrev_b32_e32 v12, 16, v15
	v_readlane_b32 s2, v167, 2
	s_nop 1
	v_add_f32_e32 v146, s2, v12
	v_readlane_b32 s2, v167, 30
	v_cmp_ge_f32_e32 vcc, s6, v146
	v_readlane_b32 s3, v167, 31
	s_and_b64 s[2:3], s[2:3], vcc
	s_and_saveexec_b64 s[4:5], s[2:3]
	s_cbranch_execz .LBB58_89
; %bb.88:                               ;   in Loop: Header=BB58_13 Depth=1
	v_mul_f32_e32 v12, 0x3fb8aa3b, v146
	v_rndne_f32_e32 v13, v12
	v_sub_f32_e32 v14, v12, v13
	v_fma_f32 v12, v146, s10, -v12
	v_fmac_f32_e32 v12, 0x32a5705f, v146
	v_add_f32_e32 v12, v14, v12
	v_cvt_i32_f32_e32 v13, v13
	v_exp_f32_e32 v12, v12
	v_cmp_ngt_f32_e32 vcc, s11, v146
	v_ldexp_f32 v12, v12, v13
	s_nop 0
	v_cndmask_b32_e32 v12, 0, v12, vcc
	v_cmp_nlt_f32_e32 vcc, s12, v146
	s_nop 1
	v_cndmask_b32_e32 v38, v136, v12, vcc
	v_add_f32_e32 v14, 1.0, v38
	v_add_f32_e32 v12, -1.0, v14
	v_sub_f32_e32 v13, v12, v14
	v_add_f32_e32 v13, 1.0, v13
	v_sub_f32_e32 v12, v38, v12
	v_add_f32_e32 v23, v12, v13
	v_frexp_mant_f32_e32 v25, v14
	v_cvt_f64_f32_e32 v[12:13], v14
	v_frexp_exp_i32_f64_e32 v12, v[12:13]
	v_cmp_gt_f32_e32 vcc, s14, v25
	v_cmp_gt_f32_e64 s[60:61], s16, v38
	s_nop 0
	v_subbrev_co_u32_e32 v32, vcc, 0, v12, vcc
	v_sub_u32_e32 v12, 0, v32
	v_ldexp_f32 v13, v14, v12
	v_add_f32_e32 v14, -1.0, v13
	v_add_f32_e32 v25, 1.0, v13
	v_ldexp_f32 v12, v23, v12
	v_add_f32_e32 v23, 1.0, v14
	v_add_f32_e32 v26, -1.0, v25
	v_sub_f32_e32 v23, v13, v23
	v_sub_f32_e32 v13, v13, v26
	v_add_f32_e32 v23, v12, v23
	v_add_f32_e32 v12, v12, v13
	;; [unrolled: 1-line block ×3, first 2 shown]
	v_rcp_f32_e32 v34, v33
	v_sub_f32_e32 v13, v25, v33
	v_add_f32_e32 v25, v12, v13
	v_add_f32_e32 v13, v14, v23
	v_sub_f32_e32 v12, v14, v13
	v_add_f32_e32 v14, v23, v12
	v_mul_f32_e32 v23, v13, v34
	v_mul_f32_e32 v26, v33, v23
	v_fma_f32 v28, v23, v33, -v26
	v_fmac_f32_e32 v28, v23, v25
	v_add_f32_e32 v12, v26, v28
	v_sub_f32_e32 v27, v13, v12
	v_pk_add_f32 v[30:31], v[12:13], v[26:27] neg_lo:[0,1] neg_hi:[0,1]
	v_mov_b32_e32 v29, v12
	v_pk_add_f32 v[12:13], v[30:31], v[28:29] neg_lo:[0,1] neg_hi:[0,1]
	v_cmp_eq_f32_e32 vcc, s13, v38
	v_add_f32_e32 v13, v14, v13
	v_add_f32_e32 v12, v12, v13
	;; [unrolled: 1-line block ×3, first 2 shown]
	v_mul_f32_e32 v14, v34, v13
	v_mul_f32_e32 v26, v33, v14
	v_fma_f32 v28, v14, v33, -v26
	v_fmac_f32_e32 v28, v14, v25
	v_sub_f32_e32 v25, v27, v13
	v_add_f32_e32 v25, v12, v25
	v_add_f32_e32 v12, v26, v28
	v_sub_f32_e32 v27, v13, v12
	v_pk_add_f32 v[30:31], v[12:13], v[26:27] neg_lo:[0,1] neg_hi:[0,1]
	v_mov_b32_e32 v29, v12
	v_pk_add_f32 v[12:13], v[30:31], v[28:29] neg_lo:[0,1] neg_hi:[0,1]
	s_or_b64 vcc, s[60:61], vcc
	v_add_f32_e32 v13, v25, v13
	v_add_f32_e32 v12, v12, v13
	;; [unrolled: 1-line block ×4, first 2 shown]
	v_sub_f32_e32 v23, v13, v23
	v_mul_f32_e32 v12, v34, v12
	v_sub_f32_e32 v14, v14, v23
	v_add_f32_e32 v14, v14, v12
	v_add_f32_e32 v23, v13, v14
	v_mul_f32_e32 v26, v23, v23
	v_fmamk_f32 v12, v26, 0x3e9b6dac, v135
	v_fmaak_f32 v25, v26, v12, 0x3f2aaada
	v_cvt_f32_i32_e32 v12, v32
	v_sub_f32_e32 v13, v23, v13
	v_sub_f32_e32 v13, v14, v13
	v_ldexp_f32 v14, v13, 1
	v_mul_f32_e32 v13, v23, v26
	v_pk_mul_f32 v[28:29], v[12:13], v[24:25]
	v_ldexp_f32 v27, v23, 1
	v_fma_f32 v26, v12, s15, -v28
	v_fmac_f32_e32 v26, 0xb102e308, v12
	v_pk_add_f32 v[12:13], v[28:29], v[26:27]
	v_mov_b32_e32 v30, v28
	v_sub_f32_e32 v23, v13, v27
	v_sub_f32_e32 v23, v29, v23
	v_add_f32_e32 v31, v14, v23
	v_pk_add_f32 v[28:29], v[12:13], v[28:29] neg_lo:[0,1] neg_hi:[0,1]
	v_pk_add_f32 v[32:33], v[12:13], v[30:31]
	v_mov_b32_e32 v27, v12
	v_mov_b32_e32 v29, v33
	v_pk_add_f32 v[34:35], v[26:27], v[28:29] neg_lo:[0,1] neg_hi:[0,1]
	v_pk_add_f32 v[26:27], v[26:27], v[28:29]
	s_nop 0
	v_mov_b32_e32 v14, v27
	v_pk_add_f32 v[28:29], v[14:15], v[12:13] neg_lo:[0,1] neg_hi:[0,1]
	v_mov_b32_e32 v26, v33
	v_mov_b32_e32 v23, v28
	v_pk_add_f32 v[36:37], v[32:33], v[22:23] neg_lo:[0,1] neg_hi:[0,1]
	v_mov_b32_e32 v32, v13
	v_mov_b32_e32 v33, v28
	;; [unrolled: 1-line block ×3, first 2 shown]
	v_pk_add_f32 v[26:27], v[26:27], v[32:33] neg_lo:[0,1] neg_hi:[0,1]
	v_mov_b32_e32 v28, v31
	v_mov_b32_e32 v29, v12
	v_pk_add_f32 v[12:13], v[28:29], v[26:27] neg_lo:[0,1] neg_hi:[0,1]
	v_mov_b32_e32 v36, v34
	v_pk_add_f32 v[26:27], v[36:37], v[12:13]
	s_nop 0
	v_mov_b32_e32 v28, v27
	v_pk_add_f32 v[28:29], v[26:27], v[28:29]
	s_nop 0
	v_pk_add_f32 v[30:31], v[14:15], v[28:29]
	v_mov_b32_e32 v13, v28
	v_mov_b32_e32 v27, v30
	v_pk_add_f32 v[32:33], v[26:27], v[34:35] neg_lo:[0,1] neg_hi:[0,1]
	s_nop 0
	v_sub_f32_e32 v14, v26, v32
	v_pk_add_f32 v[12:13], v[12:13], v[32:33] neg_lo:[0,1] neg_hi:[0,1]
	v_sub_f32_e32 v14, v34, v14
	v_add_f32_e32 v12, v12, v14
	v_add_f32_e32 v12, v12, v13
	;; [unrolled: 1-line block ×3, first 2 shown]
	v_cndmask_b32_e32 v146, v12, v38, vcc
.LBB58_89:                              ;   in Loop: Header=BB58_13 Depth=1
	s_or_b64 exec, exec, s[4:5]
	v_and_b32_e32 v12, 0xffff0000, v15
	v_readlane_b32 s2, v167, 2
	s_nop 1
	v_add_f32_e32 v147, s2, v12
	v_readlane_b32 s2, v167, 30
	v_cmp_ge_f32_e32 vcc, s6, v147
	v_readlane_b32 s3, v167, 31
	s_and_b64 s[2:3], s[2:3], vcc
	s_and_saveexec_b64 s[4:5], s[2:3]
	s_cbranch_execz .LBB58_91
; %bb.90:                               ;   in Loop: Header=BB58_13 Depth=1
	v_mul_f32_e32 v12, 0x3fb8aa3b, v147
	v_rndne_f32_e32 v13, v12
	v_sub_f32_e32 v14, v12, v13
	v_fma_f32 v12, v147, s10, -v12
	v_fmac_f32_e32 v12, 0x32a5705f, v147
	v_add_f32_e32 v12, v14, v12
	v_cvt_i32_f32_e32 v13, v13
	v_exp_f32_e32 v12, v12
	v_cmp_ngt_f32_e32 vcc, s11, v147
	v_ldexp_f32 v12, v12, v13
	s_nop 0
	v_cndmask_b32_e32 v12, 0, v12, vcc
	v_cmp_nlt_f32_e32 vcc, s12, v147
	s_nop 1
	v_cndmask_b32_e32 v38, v136, v12, vcc
	v_add_f32_e32 v14, 1.0, v38
	v_add_f32_e32 v12, -1.0, v14
	v_sub_f32_e32 v13, v12, v14
	v_add_f32_e32 v13, 1.0, v13
	v_sub_f32_e32 v12, v38, v12
	v_add_f32_e32 v15, v12, v13
	v_frexp_mant_f32_e32 v23, v14
	v_cvt_f64_f32_e32 v[12:13], v14
	v_frexp_exp_i32_f64_e32 v12, v[12:13]
	v_cmp_gt_f32_e32 vcc, s14, v23
	v_cmp_gt_f32_e64 s[60:61], s16, v38
	s_nop 0
	v_subbrev_co_u32_e32 v23, vcc, 0, v12, vcc
	v_sub_u32_e32 v12, 0, v23
	v_ldexp_f32 v13, v14, v12
	v_add_f32_e32 v14, -1.0, v13
	v_add_f32_e32 v25, 1.0, v13
	v_ldexp_f32 v12, v15, v12
	v_add_f32_e32 v15, 1.0, v14
	v_add_f32_e32 v26, -1.0, v25
	v_sub_f32_e32 v15, v13, v15
	v_sub_f32_e32 v13, v13, v26
	v_add_f32_e32 v15, v12, v15
	v_add_f32_e32 v12, v12, v13
	;; [unrolled: 1-line block ×3, first 2 shown]
	v_rcp_f32_e32 v31, v30
	v_sub_f32_e32 v13, v25, v30
	v_add_f32_e32 v25, v12, v13
	v_add_f32_e32 v13, v14, v15
	v_mul_f32_e32 v33, v13, v31
	v_sub_f32_e32 v12, v14, v13
	v_mul_f32_e32 v14, v30, v33
	v_fma_f32 v26, v33, v30, -v14
	v_fmac_f32_e32 v26, v33, v25
	v_add_f32_e32 v32, v15, v12
	v_add_f32_e32 v12, v14, v26
	v_sub_f32_e32 v15, v13, v12
	v_pk_add_f32 v[28:29], v[12:13], v[14:15] neg_lo:[0,1] neg_hi:[0,1]
	v_mov_b32_e32 v27, v12
	v_pk_add_f32 v[12:13], v[28:29], v[26:27] neg_lo:[0,1] neg_hi:[0,1]
	v_cmp_eq_f32_e32 vcc, s13, v38
	v_add_f32_e32 v13, v32, v13
	v_add_f32_e32 v12, v12, v13
	;; [unrolled: 1-line block ×3, first 2 shown]
	v_mul_f32_e32 v32, v31, v13
	v_mul_f32_e32 v14, v30, v32
	v_fma_f32 v26, v32, v30, -v14
	v_fmac_f32_e32 v26, v32, v25
	v_sub_f32_e32 v15, v15, v13
	v_add_f32_e32 v25, v12, v15
	v_add_f32_e32 v12, v14, v26
	v_sub_f32_e32 v15, v13, v12
	v_pk_add_f32 v[28:29], v[12:13], v[14:15] neg_lo:[0,1] neg_hi:[0,1]
	v_mov_b32_e32 v27, v12
	v_pk_add_f32 v[12:13], v[28:29], v[26:27] neg_lo:[0,1] neg_hi:[0,1]
	s_or_b64 vcc, s[60:61], vcc
	v_add_f32_e32 v13, v25, v13
	v_add_f32_e32 v12, v12, v13
	;; [unrolled: 1-line block ×4, first 2 shown]
	v_sub_f32_e32 v14, v13, v33
	v_mul_f32_e32 v12, v31, v12
	v_sub_f32_e32 v14, v32, v14
	v_add_f32_e32 v14, v14, v12
	v_add_f32_e32 v26, v13, v14
	v_mul_f32_e32 v27, v26, v26
	v_fmamk_f32 v12, v27, 0x3e9b6dac, v135
	v_fmaak_f32 v25, v27, v12, 0x3f2aaada
	v_cvt_f32_i32_e32 v12, v23
	v_sub_f32_e32 v13, v26, v13
	v_sub_f32_e32 v13, v14, v13
	v_ldexp_f32 v23, v13, 1
	v_mul_f32_e32 v13, v26, v27
	v_ldexp_f32 v15, v26, 1
	v_pk_mul_f32 v[26:27], v[12:13], v[24:25]
	s_nop 0
	v_fma_f32 v14, v12, s15, -v26
	v_fmac_f32_e32 v14, 0xb102e308, v12
	v_pk_add_f32 v[12:13], v[26:27], v[14:15]
	v_mov_b32_e32 v28, v26
	v_sub_f32_e32 v15, v13, v15
	v_sub_f32_e32 v15, v27, v15
	v_add_f32_e32 v29, v23, v15
	v_pk_add_f32 v[26:27], v[12:13], v[26:27] neg_lo:[0,1] neg_hi:[0,1]
	v_pk_add_f32 v[30:31], v[12:13], v[28:29]
	v_mov_b32_e32 v15, v12
	v_mov_b32_e32 v27, v31
	v_pk_add_f32 v[32:33], v[14:15], v[26:27] neg_lo:[0,1] neg_hi:[0,1]
	v_pk_add_f32 v[14:15], v[14:15], v[26:27]
	v_mov_b32_e32 v28, v29
	v_mov_b32_e32 v26, v15
	v_pk_add_f32 v[34:35], v[26:27], v[12:13] neg_lo:[0,1] neg_hi:[0,1]
	v_mov_b32_e32 v14, v31
	v_mov_b32_e32 v23, v34
	v_pk_add_f32 v[36:37], v[30:31], v[22:23] neg_lo:[0,1] neg_hi:[0,1]
	v_mov_b32_e32 v30, v13
	v_mov_b32_e32 v31, v34
	;; [unrolled: 1-line block ×3, first 2 shown]
	v_pk_add_f32 v[14:15], v[14:15], v[30:31] neg_lo:[0,1] neg_hi:[0,1]
	v_mov_b32_e32 v29, v12
	v_pk_add_f32 v[12:13], v[28:29], v[14:15] neg_lo:[0,1] neg_hi:[0,1]
	v_mov_b32_e32 v36, v32
	v_pk_add_f32 v[14:15], v[36:37], v[12:13]
	s_nop 0
	v_mov_b32_e32 v28, v15
	v_pk_add_f32 v[28:29], v[14:15], v[28:29]
	s_nop 0
	v_pk_add_f32 v[26:27], v[26:27], v[28:29]
	v_mov_b32_e32 v13, v28
	v_mov_b32_e32 v15, v26
	v_pk_add_f32 v[30:31], v[14:15], v[32:33] neg_lo:[0,1] neg_hi:[0,1]
	s_nop 0
	v_sub_f32_e32 v14, v14, v30
	v_pk_add_f32 v[12:13], v[12:13], v[30:31] neg_lo:[0,1] neg_hi:[0,1]
	v_sub_f32_e32 v14, v32, v14
	v_add_f32_e32 v12, v12, v14
	v_add_f32_e32 v12, v12, v13
	;; [unrolled: 1-line block ×3, first 2 shown]
	v_cndmask_b32_e32 v147, v12, v38, vcc
.LBB58_91:                              ;   in Loop: Header=BB58_13 Depth=1
	s_or_b64 exec, exec, s[4:5]
	s_waitcnt lgkmcnt(0)
	v_lshlrev_b32_e32 v12, 16, v8
	v_readlane_b32 s2, v167, 2
	s_nop 1
	v_add_f32_e32 v148, s2, v12
	v_readlane_b32 s2, v167, 30
	v_cmp_ge_f32_e32 vcc, s6, v148
	v_readlane_b32 s3, v167, 31
	s_and_b64 s[2:3], s[2:3], vcc
	s_and_saveexec_b64 s[4:5], s[2:3]
	s_cbranch_execz .LBB58_93
; %bb.92:                               ;   in Loop: Header=BB58_13 Depth=1
	v_mul_f32_e32 v12, 0x3fb8aa3b, v148
	v_rndne_f32_e32 v13, v12
	v_sub_f32_e32 v14, v12, v13
	v_fma_f32 v12, v148, s10, -v12
	v_fmac_f32_e32 v12, 0x32a5705f, v148
	v_add_f32_e32 v12, v14, v12
	v_cvt_i32_f32_e32 v13, v13
	v_exp_f32_e32 v12, v12
	v_cmp_ngt_f32_e32 vcc, s11, v148
	v_ldexp_f32 v12, v12, v13
	s_nop 0
	v_cndmask_b32_e32 v12, 0, v12, vcc
	v_cmp_nlt_f32_e32 vcc, s12, v148
	s_nop 1
	v_cndmask_b32_e32 v38, v136, v12, vcc
	v_add_f32_e32 v14, 1.0, v38
	v_add_f32_e32 v12, -1.0, v14
	v_sub_f32_e32 v13, v12, v14
	v_add_f32_e32 v13, 1.0, v13
	v_sub_f32_e32 v12, v38, v12
	v_add_f32_e32 v15, v12, v13
	v_frexp_mant_f32_e32 v23, v14
	v_cvt_f64_f32_e32 v[12:13], v14
	v_frexp_exp_i32_f64_e32 v12, v[12:13]
	v_cmp_gt_f32_e32 vcc, s14, v23
	v_cmp_gt_f32_e64 s[60:61], s16, v38
	s_nop 0
	v_subbrev_co_u32_e32 v23, vcc, 0, v12, vcc
	v_sub_u32_e32 v12, 0, v23
	v_ldexp_f32 v13, v14, v12
	v_add_f32_e32 v14, -1.0, v13
	v_add_f32_e32 v25, 1.0, v13
	v_ldexp_f32 v12, v15, v12
	v_add_f32_e32 v15, 1.0, v14
	v_add_f32_e32 v26, -1.0, v25
	v_sub_f32_e32 v15, v13, v15
	v_sub_f32_e32 v13, v13, v26
	v_add_f32_e32 v15, v12, v15
	v_add_f32_e32 v12, v12, v13
	v_add_f32_e32 v30, v25, v12
	v_rcp_f32_e32 v31, v30
	v_sub_f32_e32 v13, v25, v30
	v_add_f32_e32 v25, v12, v13
	v_add_f32_e32 v13, v14, v15
	v_mul_f32_e32 v33, v13, v31
	v_sub_f32_e32 v12, v14, v13
	v_mul_f32_e32 v14, v30, v33
	v_fma_f32 v26, v33, v30, -v14
	v_fmac_f32_e32 v26, v33, v25
	v_add_f32_e32 v32, v15, v12
	v_add_f32_e32 v12, v14, v26
	v_sub_f32_e32 v15, v13, v12
	v_pk_add_f32 v[28:29], v[12:13], v[14:15] neg_lo:[0,1] neg_hi:[0,1]
	v_mov_b32_e32 v27, v12
	v_pk_add_f32 v[12:13], v[28:29], v[26:27] neg_lo:[0,1] neg_hi:[0,1]
	v_cmp_eq_f32_e32 vcc, s13, v38
	v_add_f32_e32 v13, v32, v13
	v_add_f32_e32 v12, v12, v13
	v_add_f32_e32 v13, v15, v12
	v_mul_f32_e32 v32, v31, v13
	v_mul_f32_e32 v14, v30, v32
	v_fma_f32 v26, v32, v30, -v14
	v_fmac_f32_e32 v26, v32, v25
	v_sub_f32_e32 v15, v15, v13
	v_add_f32_e32 v25, v12, v15
	v_add_f32_e32 v12, v14, v26
	v_sub_f32_e32 v15, v13, v12
	v_pk_add_f32 v[28:29], v[12:13], v[14:15] neg_lo:[0,1] neg_hi:[0,1]
	v_mov_b32_e32 v27, v12
	v_pk_add_f32 v[12:13], v[28:29], v[26:27] neg_lo:[0,1] neg_hi:[0,1]
	s_or_b64 vcc, s[60:61], vcc
	v_add_f32_e32 v13, v25, v13
	v_add_f32_e32 v12, v12, v13
	;; [unrolled: 1-line block ×4, first 2 shown]
	v_sub_f32_e32 v14, v13, v33
	v_mul_f32_e32 v12, v31, v12
	v_sub_f32_e32 v14, v32, v14
	v_add_f32_e32 v14, v14, v12
	v_add_f32_e32 v26, v13, v14
	v_mul_f32_e32 v27, v26, v26
	v_fmamk_f32 v12, v27, 0x3e9b6dac, v135
	v_fmaak_f32 v25, v27, v12, 0x3f2aaada
	v_cvt_f32_i32_e32 v12, v23
	v_sub_f32_e32 v13, v26, v13
	v_sub_f32_e32 v13, v14, v13
	v_ldexp_f32 v23, v13, 1
	v_mul_f32_e32 v13, v26, v27
	v_ldexp_f32 v15, v26, 1
	v_pk_mul_f32 v[26:27], v[12:13], v[24:25]
	s_nop 0
	v_fma_f32 v14, v12, s15, -v26
	v_fmac_f32_e32 v14, 0xb102e308, v12
	v_pk_add_f32 v[12:13], v[26:27], v[14:15]
	v_mov_b32_e32 v28, v26
	v_sub_f32_e32 v15, v13, v15
	v_sub_f32_e32 v15, v27, v15
	v_add_f32_e32 v29, v23, v15
	v_pk_add_f32 v[26:27], v[12:13], v[26:27] neg_lo:[0,1] neg_hi:[0,1]
	v_pk_add_f32 v[30:31], v[12:13], v[28:29]
	v_mov_b32_e32 v15, v12
	v_mov_b32_e32 v27, v31
	v_pk_add_f32 v[32:33], v[14:15], v[26:27] neg_lo:[0,1] neg_hi:[0,1]
	v_pk_add_f32 v[14:15], v[14:15], v[26:27]
	v_mov_b32_e32 v28, v29
	v_mov_b32_e32 v26, v15
	v_pk_add_f32 v[34:35], v[26:27], v[12:13] neg_lo:[0,1] neg_hi:[0,1]
	v_mov_b32_e32 v14, v31
	v_mov_b32_e32 v23, v34
	v_pk_add_f32 v[36:37], v[30:31], v[22:23] neg_lo:[0,1] neg_hi:[0,1]
	v_mov_b32_e32 v30, v13
	v_mov_b32_e32 v31, v34
	;; [unrolled: 1-line block ×3, first 2 shown]
	v_pk_add_f32 v[14:15], v[14:15], v[30:31] neg_lo:[0,1] neg_hi:[0,1]
	v_mov_b32_e32 v29, v12
	v_pk_add_f32 v[12:13], v[28:29], v[14:15] neg_lo:[0,1] neg_hi:[0,1]
	v_mov_b32_e32 v36, v32
	v_pk_add_f32 v[14:15], v[36:37], v[12:13]
	s_nop 0
	v_mov_b32_e32 v28, v15
	v_pk_add_f32 v[28:29], v[14:15], v[28:29]
	s_nop 0
	v_pk_add_f32 v[26:27], v[26:27], v[28:29]
	v_mov_b32_e32 v13, v28
	v_mov_b32_e32 v15, v26
	v_pk_add_f32 v[30:31], v[14:15], v[32:33] neg_lo:[0,1] neg_hi:[0,1]
	s_nop 0
	v_sub_f32_e32 v14, v14, v30
	v_pk_add_f32 v[12:13], v[12:13], v[30:31] neg_lo:[0,1] neg_hi:[0,1]
	v_sub_f32_e32 v14, v32, v14
	v_add_f32_e32 v12, v12, v14
	v_add_f32_e32 v12, v12, v13
	v_add_f32_e32 v12, v26, v12
	v_cndmask_b32_e32 v148, v12, v38, vcc
.LBB58_93:                              ;   in Loop: Header=BB58_13 Depth=1
	s_or_b64 exec, exec, s[4:5]
	v_and_b32_e32 v8, 0xffff0000, v8
	v_readlane_b32 s2, v167, 2
	s_nop 1
	v_add_f32_e32 v149, s2, v8
	v_readlane_b32 s2, v167, 30
	v_cmp_ge_f32_e32 vcc, s6, v149
	v_readlane_b32 s3, v167, 31
	s_and_b64 s[2:3], s[2:3], vcc
	s_and_saveexec_b64 s[4:5], s[2:3]
	s_cbranch_execz .LBB58_95
; %bb.94:                               ;   in Loop: Header=BB58_13 Depth=1
	v_mul_f32_e32 v8, 0x3fb8aa3b, v149
	v_rndne_f32_e32 v12, v8
	v_sub_f32_e32 v13, v8, v12
	v_fma_f32 v8, v149, s10, -v8
	v_fmac_f32_e32 v8, 0x32a5705f, v149
	v_add_f32_e32 v8, v13, v8
	v_cvt_i32_f32_e32 v12, v12
	v_exp_f32_e32 v8, v8
	v_cmp_ngt_f32_e32 vcc, s11, v149
	v_ldexp_f32 v8, v8, v12
	s_nop 0
	v_cndmask_b32_e32 v8, 0, v8, vcc
	v_cmp_nlt_f32_e32 vcc, s12, v149
	s_nop 1
	v_cndmask_b32_e32 v36, v136, v8, vcc
	v_add_f32_e32 v8, 1.0, v36
	v_add_f32_e32 v12, -1.0, v8
	v_sub_f32_e32 v13, v12, v8
	v_add_f32_e32 v13, 1.0, v13
	v_sub_f32_e32 v12, v36, v12
	v_add_f32_e32 v14, v12, v13
	v_frexp_mant_f32_e32 v15, v8
	v_cvt_f64_f32_e32 v[12:13], v8
	v_frexp_exp_i32_f64_e32 v12, v[12:13]
	v_cmp_gt_f32_e32 vcc, s14, v15
	v_cmp_gt_f32_e64 s[60:61], s16, v36
	s_nop 0
	v_subbrev_co_u32_e32 v23, vcc, 0, v12, vcc
	v_sub_u32_e32 v12, 0, v23
	v_ldexp_f32 v8, v8, v12
	v_ldexp_f32 v12, v14, v12
	v_add_f32_e32 v14, -1.0, v8
	v_add_f32_e32 v13, 1.0, v14
	v_sub_f32_e32 v13, v8, v13
	v_add_f32_e32 v15, v12, v13
	v_add_f32_e32 v13, 1.0, v8
	v_add_f32_e32 v25, -1.0, v13
	v_sub_f32_e32 v8, v8, v25
	v_add_f32_e32 v8, v12, v8
	v_add_f32_e32 v25, v13, v8
	v_rcp_f32_e32 v30, v25
	v_sub_f32_e32 v12, v13, v25
	v_add_f32_e32 v13, v14, v15
	v_add_f32_e32 v8, v8, v12
	v_mul_f32_e32 v32, v13, v30
	v_sub_f32_e32 v12, v14, v13
	v_mul_f32_e32 v14, v25, v32
	v_fma_f32 v26, v32, v25, -v14
	v_fmac_f32_e32 v26, v32, v8
	v_add_f32_e32 v31, v15, v12
	v_add_f32_e32 v12, v14, v26
	v_sub_f32_e32 v15, v13, v12
	v_pk_add_f32 v[28:29], v[12:13], v[14:15] neg_lo:[0,1] neg_hi:[0,1]
	v_mov_b32_e32 v27, v12
	v_pk_add_f32 v[12:13], v[28:29], v[26:27] neg_lo:[0,1] neg_hi:[0,1]
	v_cmp_eq_f32_e32 vcc, s13, v36
	v_add_f32_e32 v13, v31, v13
	v_add_f32_e32 v12, v12, v13
	;; [unrolled: 1-line block ×3, first 2 shown]
	v_mul_f32_e32 v31, v30, v13
	v_mul_f32_e32 v14, v25, v31
	v_fma_f32 v26, v31, v25, -v14
	v_fmac_f32_e32 v26, v31, v8
	v_sub_f32_e32 v8, v15, v13
	v_add_f32_e32 v8, v12, v8
	v_add_f32_e32 v12, v14, v26
	v_sub_f32_e32 v15, v13, v12
	v_pk_add_f32 v[28:29], v[12:13], v[14:15] neg_lo:[0,1] neg_hi:[0,1]
	v_mov_b32_e32 v27, v12
	v_pk_add_f32 v[12:13], v[28:29], v[26:27] neg_lo:[0,1] neg_hi:[0,1]
	s_or_b64 vcc, s[60:61], vcc
	v_add_f32_e32 v8, v8, v13
	v_add_f32_e32 v8, v12, v8
	;; [unrolled: 1-line block ×4, first 2 shown]
	v_sub_f32_e32 v12, v13, v32
	v_mul_f32_e32 v8, v30, v8
	v_sub_f32_e32 v12, v31, v12
	v_add_f32_e32 v8, v12, v8
	v_add_f32_e32 v14, v13, v8
	v_mul_f32_e32 v26, v14, v14
	v_fmamk_f32 v12, v26, 0x3e9b6dac, v135
	v_fmaak_f32 v25, v26, v12, 0x3f2aaada
	v_cvt_f32_i32_e32 v12, v23
	v_sub_f32_e32 v13, v14, v13
	v_sub_f32_e32 v8, v8, v13
	v_mul_f32_e32 v13, v14, v26
	v_pk_mul_f32 v[26:27], v[12:13], v[24:25]
	v_ldexp_f32 v15, v14, 1
	v_fma_f32 v14, v12, s15, -v26
	v_fmac_f32_e32 v14, 0xb102e308, v12
	v_pk_add_f32 v[12:13], v[26:27], v[14:15]
	v_ldexp_f32 v8, v8, 1
	v_sub_f32_e32 v15, v13, v15
	v_sub_f32_e32 v15, v27, v15
	v_add_f32_e32 v29, v8, v15
	v_mov_b32_e32 v28, v26
	v_pk_add_f32 v[26:27], v[12:13], v[26:27] neg_lo:[0,1] neg_hi:[0,1]
	v_pk_add_f32 v[30:31], v[12:13], v[28:29]
	v_mov_b32_e32 v15, v12
	v_mov_b32_e32 v27, v31
	v_pk_add_f32 v[32:33], v[14:15], v[26:27] neg_lo:[0,1] neg_hi:[0,1]
	v_pk_add_f32 v[14:15], v[14:15], v[26:27]
	s_nop 0
	v_mov_b32_e32 v8, v15
	v_pk_add_f32 v[26:27], v[8:9], v[12:13] neg_lo:[0,1] neg_hi:[0,1]
	v_mov_b32_e32 v14, v31
	v_mov_b32_e32 v23, v26
	v_pk_add_f32 v[34:35], v[30:31], v[22:23] neg_lo:[0,1] neg_hi:[0,1]
	v_mov_b32_e32 v30, v13
	v_mov_b32_e32 v31, v26
	;; [unrolled: 1-line block ×3, first 2 shown]
	v_pk_add_f32 v[14:15], v[14:15], v[30:31] neg_lo:[0,1] neg_hi:[0,1]
	v_mov_b32_e32 v26, v29
	v_mov_b32_e32 v27, v12
	v_pk_add_f32 v[12:13], v[26:27], v[14:15] neg_lo:[0,1] neg_hi:[0,1]
	v_mov_b32_e32 v34, v32
	v_pk_add_f32 v[14:15], v[34:35], v[12:13]
	s_nop 0
	v_mov_b32_e32 v26, v15
	v_pk_add_f32 v[26:27], v[14:15], v[26:27]
	s_nop 0
	v_pk_add_f32 v[28:29], v[8:9], v[26:27]
	v_mov_b32_e32 v13, v26
	v_mov_b32_e32 v15, v28
	v_pk_add_f32 v[30:31], v[14:15], v[32:33] neg_lo:[0,1] neg_hi:[0,1]
	s_nop 0
	v_sub_f32_e32 v8, v14, v30
	v_pk_add_f32 v[12:13], v[12:13], v[30:31] neg_lo:[0,1] neg_hi:[0,1]
	v_sub_f32_e32 v8, v32, v8
	v_add_f32_e32 v8, v12, v8
	v_add_f32_e32 v8, v8, v13
	;; [unrolled: 1-line block ×3, first 2 shown]
	v_cndmask_b32_e32 v149, v8, v36, vcc
.LBB58_95:                              ;   in Loop: Header=BB58_13 Depth=1
	s_or_b64 exec, exec, s[4:5]
	v_lshlrev_b32_e32 v8, 16, v9
	v_readlane_b32 s2, v167, 2
	s_nop 1
	v_add_f32_e32 v150, s2, v8
	v_readlane_b32 s2, v167, 30
	v_cmp_ge_f32_e32 vcc, s6, v150
	v_readlane_b32 s3, v167, 31
	s_and_b64 s[2:3], s[2:3], vcc
	s_and_saveexec_b64 s[4:5], s[2:3]
	s_cbranch_execz .LBB58_97
; %bb.96:                               ;   in Loop: Header=BB58_13 Depth=1
	v_mul_f32_e32 v8, 0x3fb8aa3b, v150
	v_rndne_f32_e32 v12, v8
	v_sub_f32_e32 v13, v8, v12
	v_fma_f32 v8, v150, s10, -v8
	v_fmac_f32_e32 v8, 0x32a5705f, v150
	v_add_f32_e32 v8, v13, v8
	v_cvt_i32_f32_e32 v12, v12
	v_exp_f32_e32 v8, v8
	v_cmp_ngt_f32_e32 vcc, s11, v150
	v_ldexp_f32 v8, v8, v12
	s_nop 0
	v_cndmask_b32_e32 v8, 0, v8, vcc
	v_cmp_nlt_f32_e32 vcc, s12, v150
	s_nop 1
	v_cndmask_b32_e32 v36, v136, v8, vcc
	v_add_f32_e32 v8, 1.0, v36
	v_add_f32_e32 v12, -1.0, v8
	v_sub_f32_e32 v13, v12, v8
	v_add_f32_e32 v13, 1.0, v13
	v_sub_f32_e32 v12, v36, v12
	v_add_f32_e32 v14, v12, v13
	v_frexp_mant_f32_e32 v15, v8
	v_cvt_f64_f32_e32 v[12:13], v8
	v_frexp_exp_i32_f64_e32 v12, v[12:13]
	v_cmp_gt_f32_e32 vcc, s14, v15
	v_cmp_gt_f32_e64 s[60:61], s16, v36
	s_nop 0
	v_subbrev_co_u32_e32 v23, vcc, 0, v12, vcc
	v_sub_u32_e32 v12, 0, v23
	v_ldexp_f32 v8, v8, v12
	v_ldexp_f32 v12, v14, v12
	v_add_f32_e32 v14, -1.0, v8
	v_add_f32_e32 v13, 1.0, v14
	v_sub_f32_e32 v13, v8, v13
	v_add_f32_e32 v15, v12, v13
	v_add_f32_e32 v13, 1.0, v8
	v_add_f32_e32 v25, -1.0, v13
	v_sub_f32_e32 v8, v8, v25
	v_add_f32_e32 v8, v12, v8
	v_add_f32_e32 v25, v13, v8
	v_rcp_f32_e32 v30, v25
	v_sub_f32_e32 v12, v13, v25
	v_add_f32_e32 v13, v14, v15
	v_add_f32_e32 v8, v8, v12
	v_mul_f32_e32 v32, v13, v30
	v_sub_f32_e32 v12, v14, v13
	v_mul_f32_e32 v14, v25, v32
	v_fma_f32 v26, v32, v25, -v14
	v_fmac_f32_e32 v26, v32, v8
	v_add_f32_e32 v31, v15, v12
	v_add_f32_e32 v12, v14, v26
	v_sub_f32_e32 v15, v13, v12
	v_pk_add_f32 v[28:29], v[12:13], v[14:15] neg_lo:[0,1] neg_hi:[0,1]
	v_mov_b32_e32 v27, v12
	v_pk_add_f32 v[12:13], v[28:29], v[26:27] neg_lo:[0,1] neg_hi:[0,1]
	v_cmp_eq_f32_e32 vcc, s13, v36
	v_add_f32_e32 v13, v31, v13
	v_add_f32_e32 v12, v12, v13
	;; [unrolled: 1-line block ×3, first 2 shown]
	v_mul_f32_e32 v31, v30, v13
	v_mul_f32_e32 v14, v25, v31
	v_fma_f32 v26, v31, v25, -v14
	v_fmac_f32_e32 v26, v31, v8
	v_sub_f32_e32 v8, v15, v13
	v_add_f32_e32 v8, v12, v8
	v_add_f32_e32 v12, v14, v26
	v_sub_f32_e32 v15, v13, v12
	v_pk_add_f32 v[28:29], v[12:13], v[14:15] neg_lo:[0,1] neg_hi:[0,1]
	v_mov_b32_e32 v27, v12
	v_pk_add_f32 v[12:13], v[28:29], v[26:27] neg_lo:[0,1] neg_hi:[0,1]
	s_or_b64 vcc, s[60:61], vcc
	v_add_f32_e32 v8, v8, v13
	v_add_f32_e32 v8, v12, v8
	;; [unrolled: 1-line block ×4, first 2 shown]
	v_sub_f32_e32 v12, v13, v32
	v_mul_f32_e32 v8, v30, v8
	v_sub_f32_e32 v12, v31, v12
	v_add_f32_e32 v8, v12, v8
	v_add_f32_e32 v14, v13, v8
	v_mul_f32_e32 v26, v14, v14
	v_fmamk_f32 v12, v26, 0x3e9b6dac, v135
	v_fmaak_f32 v25, v26, v12, 0x3f2aaada
	v_cvt_f32_i32_e32 v12, v23
	v_sub_f32_e32 v13, v14, v13
	v_sub_f32_e32 v8, v8, v13
	v_mul_f32_e32 v13, v14, v26
	v_pk_mul_f32 v[26:27], v[12:13], v[24:25]
	v_ldexp_f32 v15, v14, 1
	v_fma_f32 v14, v12, s15, -v26
	v_fmac_f32_e32 v14, 0xb102e308, v12
	v_pk_add_f32 v[12:13], v[26:27], v[14:15]
	v_ldexp_f32 v8, v8, 1
	v_sub_f32_e32 v15, v13, v15
	v_sub_f32_e32 v15, v27, v15
	v_add_f32_e32 v29, v8, v15
	v_mov_b32_e32 v28, v26
	v_pk_add_f32 v[26:27], v[12:13], v[26:27] neg_lo:[0,1] neg_hi:[0,1]
	v_pk_add_f32 v[30:31], v[12:13], v[28:29]
	v_mov_b32_e32 v15, v12
	v_mov_b32_e32 v27, v31
	v_pk_add_f32 v[32:33], v[14:15], v[26:27] neg_lo:[0,1] neg_hi:[0,1]
	v_pk_add_f32 v[14:15], v[14:15], v[26:27]
	s_nop 0
	v_mov_b32_e32 v8, v15
	v_pk_add_f32 v[26:27], v[8:9], v[12:13] neg_lo:[0,1] neg_hi:[0,1]
	v_mov_b32_e32 v14, v31
	v_mov_b32_e32 v23, v26
	v_pk_add_f32 v[34:35], v[30:31], v[22:23] neg_lo:[0,1] neg_hi:[0,1]
	v_mov_b32_e32 v30, v13
	v_mov_b32_e32 v31, v26
	;; [unrolled: 1-line block ×3, first 2 shown]
	v_pk_add_f32 v[14:15], v[14:15], v[30:31] neg_lo:[0,1] neg_hi:[0,1]
	v_mov_b32_e32 v26, v29
	v_mov_b32_e32 v27, v12
	v_pk_add_f32 v[12:13], v[26:27], v[14:15] neg_lo:[0,1] neg_hi:[0,1]
	v_mov_b32_e32 v34, v32
	v_pk_add_f32 v[14:15], v[34:35], v[12:13]
	s_nop 0
	v_mov_b32_e32 v26, v15
	v_pk_add_f32 v[26:27], v[14:15], v[26:27]
	s_nop 0
	v_pk_add_f32 v[28:29], v[8:9], v[26:27]
	v_mov_b32_e32 v13, v26
	v_mov_b32_e32 v15, v28
	v_pk_add_f32 v[30:31], v[14:15], v[32:33] neg_lo:[0,1] neg_hi:[0,1]
	s_nop 0
	v_sub_f32_e32 v8, v14, v30
	v_pk_add_f32 v[12:13], v[12:13], v[30:31] neg_lo:[0,1] neg_hi:[0,1]
	v_sub_f32_e32 v8, v32, v8
	v_add_f32_e32 v8, v12, v8
	v_add_f32_e32 v8, v8, v13
	v_add_f32_e32 v8, v28, v8
	v_cndmask_b32_e32 v150, v8, v36, vcc
.LBB58_97:                              ;   in Loop: Header=BB58_13 Depth=1
	s_or_b64 exec, exec, s[4:5]
	v_and_b32_e32 v8, 0xffff0000, v9
	v_readlane_b32 s2, v167, 2
	s_nop 1
	v_add_f32_e32 v151, s2, v8
	v_readlane_b32 s2, v167, 30
	v_cmp_ge_f32_e32 vcc, s6, v151
	v_readlane_b32 s3, v167, 31
	s_and_b64 s[2:3], s[2:3], vcc
	s_and_saveexec_b64 s[4:5], s[2:3]
	s_cbranch_execz .LBB58_99
; %bb.98:                               ;   in Loop: Header=BB58_13 Depth=1
	v_mul_f32_e32 v8, 0x3fb8aa3b, v151
	v_rndne_f32_e32 v9, v8
	v_sub_f32_e32 v12, v8, v9
	v_fma_f32 v8, v151, s10, -v8
	v_fmac_f32_e32 v8, 0x32a5705f, v151
	v_add_f32_e32 v8, v12, v8
	v_cvt_i32_f32_e32 v9, v9
	v_exp_f32_e32 v8, v8
	v_cmp_ngt_f32_e32 vcc, s11, v151
	v_ldexp_f32 v8, v8, v9
	s_nop 0
	v_cndmask_b32_e32 v8, 0, v8, vcc
	v_cmp_nlt_f32_e32 vcc, s12, v151
	s_nop 1
	v_cndmask_b32_e32 v23, v136, v8, vcc
	v_add_f32_e32 v12, 1.0, v23
	v_add_f32_e32 v8, -1.0, v12
	v_sub_f32_e32 v9, v8, v12
	v_add_f32_e32 v9, 1.0, v9
	v_sub_f32_e32 v8, v23, v8
	v_add_f32_e32 v13, v8, v9
	v_frexp_mant_f32_e32 v14, v12
	v_cvt_f64_f32_e32 v[8:9], v12
	v_frexp_exp_i32_f64_e32 v8, v[8:9]
	v_cmp_gt_f32_e32 vcc, s14, v14
	v_cmp_gt_f32_e64 s[60:61], s16, v23
	s_nop 0
	v_subbrev_co_u32_e32 v28, vcc, 0, v8, vcc
	v_sub_u32_e32 v8, 0, v28
	v_ldexp_f32 v9, v12, v8
	v_add_f32_e32 v12, -1.0, v9
	v_add_f32_e32 v14, 1.0, v9
	v_ldexp_f32 v8, v13, v8
	v_add_f32_e32 v13, 1.0, v12
	v_add_f32_e32 v15, -1.0, v14
	v_sub_f32_e32 v13, v9, v13
	v_sub_f32_e32 v9, v9, v15
	v_add_f32_e32 v13, v8, v13
	v_add_f32_e32 v8, v8, v9
	;; [unrolled: 1-line block ×3, first 2 shown]
	v_rcp_f32_e32 v30, v25
	v_sub_f32_e32 v9, v14, v25
	v_add_f32_e32 v29, v8, v9
	v_add_f32_e32 v9, v12, v13
	v_mul_f32_e32 v32, v9, v30
	v_sub_f32_e32 v8, v12, v9
	v_mul_f32_e32 v12, v25, v32
	v_fma_f32 v14, v32, v25, -v12
	v_fmac_f32_e32 v14, v32, v29
	v_add_f32_e32 v31, v13, v8
	v_add_f32_e32 v8, v12, v14
	v_sub_f32_e32 v13, v9, v8
	v_pk_add_f32 v[26:27], v[8:9], v[12:13] neg_lo:[0,1] neg_hi:[0,1]
	v_mov_b32_e32 v15, v8
	v_pk_add_f32 v[8:9], v[26:27], v[14:15] neg_lo:[0,1] neg_hi:[0,1]
	v_cmp_eq_f32_e32 vcc, s13, v23
	v_add_f32_e32 v9, v31, v9
	v_add_f32_e32 v8, v8, v9
	;; [unrolled: 1-line block ×3, first 2 shown]
	v_mul_f32_e32 v31, v30, v9
	v_mul_f32_e32 v12, v25, v31
	v_fma_f32 v14, v31, v25, -v12
	v_fmac_f32_e32 v14, v31, v29
	v_sub_f32_e32 v13, v13, v9
	v_add_f32_e32 v25, v8, v13
	v_add_f32_e32 v8, v12, v14
	v_sub_f32_e32 v13, v9, v8
	v_pk_add_f32 v[26:27], v[8:9], v[12:13] neg_lo:[0,1] neg_hi:[0,1]
	v_mov_b32_e32 v15, v8
	v_pk_add_f32 v[8:9], v[26:27], v[14:15] neg_lo:[0,1] neg_hi:[0,1]
	s_or_b64 vcc, s[60:61], vcc
	v_add_f32_e32 v9, v25, v9
	v_add_f32_e32 v8, v8, v9
	;; [unrolled: 1-line block ×4, first 2 shown]
	v_sub_f32_e32 v12, v9, v32
	v_mul_f32_e32 v8, v30, v8
	v_sub_f32_e32 v12, v31, v12
	v_add_f32_e32 v12, v12, v8
	v_add_f32_e32 v14, v9, v12
	v_mul_f32_e32 v15, v14, v14
	v_fmamk_f32 v8, v15, 0x3e9b6dac, v135
	v_fmaak_f32 v25, v15, v8, 0x3f2aaada
	v_cvt_f32_i32_e32 v8, v28
	v_sub_f32_e32 v9, v14, v9
	v_sub_f32_e32 v9, v12, v9
	v_ldexp_f32 v26, v9, 1
	v_mul_f32_e32 v9, v14, v15
	v_ldexp_f32 v13, v14, 1
	v_pk_mul_f32 v[14:15], v[8:9], v[24:25]
	s_nop 0
	v_fma_f32 v12, v8, s15, -v14
	v_fmac_f32_e32 v12, 0xb102e308, v8
	v_pk_add_f32 v[8:9], v[14:15], v[12:13]
	s_nop 0
	v_sub_f32_e32 v13, v9, v13
	v_sub_f32_e32 v13, v15, v13
	v_add_f32_e32 v27, v26, v13
	v_mov_b32_e32 v26, v14
	v_pk_add_f32 v[14:15], v[8:9], v[14:15] neg_lo:[0,1] neg_hi:[0,1]
	v_pk_add_f32 v[28:29], v[8:9], v[26:27]
	v_mov_b32_e32 v13, v8
	v_mov_b32_e32 v15, v29
	v_pk_add_f32 v[30:31], v[12:13], v[14:15] neg_lo:[0,1] neg_hi:[0,1]
	v_pk_add_f32 v[12:13], v[12:13], v[14:15]
	v_mov_b32_e32 v26, v27
	v_mov_b32_e32 v14, v13
	v_pk_add_f32 v[32:33], v[14:15], v[8:9] neg_lo:[0,1] neg_hi:[0,1]
	v_mov_b32_e32 v12, v29
	v_mov_b32_e32 v15, v32
	v_pk_add_f32 v[34:35], v[28:29], v[14:15] neg_lo:[0,1] neg_hi:[0,1]
	v_mov_b32_e32 v28, v9
	v_mov_b32_e32 v29, v32
	;; [unrolled: 1-line block ×3, first 2 shown]
	v_pk_add_f32 v[12:13], v[12:13], v[28:29] neg_lo:[0,1] neg_hi:[0,1]
	v_mov_b32_e32 v27, v8
	v_pk_add_f32 v[8:9], v[26:27], v[12:13] neg_lo:[0,1] neg_hi:[0,1]
	v_mov_b32_e32 v34, v30
	v_pk_add_f32 v[12:13], v[34:35], v[8:9]
	s_nop 0
	v_mov_b32_e32 v26, v13
	v_pk_add_f32 v[26:27], v[12:13], v[26:27]
	s_nop 0
	v_pk_add_f32 v[14:15], v[14:15], v[26:27]
	v_mov_b32_e32 v9, v26
	v_mov_b32_e32 v13, v14
	v_pk_add_f32 v[28:29], v[12:13], v[30:31] neg_lo:[0,1] neg_hi:[0,1]
	s_nop 0
	v_sub_f32_e32 v12, v12, v28
	v_pk_add_f32 v[8:9], v[8:9], v[28:29] neg_lo:[0,1] neg_hi:[0,1]
	v_sub_f32_e32 v12, v30, v12
	v_add_f32_e32 v8, v8, v12
	v_add_f32_e32 v8, v8, v9
	;; [unrolled: 1-line block ×3, first 2 shown]
	v_cndmask_b32_e32 v151, v8, v23, vcc
.LBB58_99:                              ;   in Loop: Header=BB58_13 Depth=1
	s_or_b64 exec, exec, s[4:5]
	v_lshlrev_b32_e32 v8, 16, v10
	v_readlane_b32 s2, v167, 2
	s_nop 1
	v_add_f32_e32 v152, s2, v8
	v_readlane_b32 s2, v167, 30
	v_cmp_ge_f32_e32 vcc, s6, v152
	v_readlane_b32 s3, v167, 31
	s_and_b64 s[2:3], s[2:3], vcc
	s_and_saveexec_b64 s[4:5], s[2:3]
	s_cbranch_execz .LBB58_101
; %bb.100:                              ;   in Loop: Header=BB58_13 Depth=1
	v_mul_f32_e32 v8, 0x3fb8aa3b, v152
	v_rndne_f32_e32 v9, v8
	v_sub_f32_e32 v12, v8, v9
	v_fma_f32 v8, v152, s10, -v8
	v_fmac_f32_e32 v8, 0x32a5705f, v152
	v_add_f32_e32 v8, v12, v8
	v_cvt_i32_f32_e32 v9, v9
	v_exp_f32_e32 v8, v8
	v_cmp_ngt_f32_e32 vcc, s11, v152
	v_ldexp_f32 v8, v8, v9
	s_nop 0
	v_cndmask_b32_e32 v8, 0, v8, vcc
	v_cmp_nlt_f32_e32 vcc, s12, v152
	s_nop 1
	v_cndmask_b32_e32 v23, v136, v8, vcc
	v_add_f32_e32 v12, 1.0, v23
	v_add_f32_e32 v8, -1.0, v12
	v_sub_f32_e32 v9, v8, v12
	v_add_f32_e32 v9, 1.0, v9
	v_sub_f32_e32 v8, v23, v8
	v_add_f32_e32 v13, v8, v9
	v_frexp_mant_f32_e32 v14, v12
	v_cvt_f64_f32_e32 v[8:9], v12
	v_frexp_exp_i32_f64_e32 v8, v[8:9]
	v_cmp_gt_f32_e32 vcc, s14, v14
	v_cmp_gt_f32_e64 s[60:61], s16, v23
	s_nop 0
	v_subbrev_co_u32_e32 v28, vcc, 0, v8, vcc
	v_sub_u32_e32 v8, 0, v28
	v_ldexp_f32 v9, v12, v8
	v_add_f32_e32 v12, -1.0, v9
	v_add_f32_e32 v14, 1.0, v9
	v_ldexp_f32 v8, v13, v8
	v_add_f32_e32 v13, 1.0, v12
	v_add_f32_e32 v15, -1.0, v14
	v_sub_f32_e32 v13, v9, v13
	v_sub_f32_e32 v9, v9, v15
	v_add_f32_e32 v13, v8, v13
	v_add_f32_e32 v8, v8, v9
	;; [unrolled: 1-line block ×3, first 2 shown]
	v_rcp_f32_e32 v30, v25
	v_sub_f32_e32 v9, v14, v25
	v_add_f32_e32 v29, v8, v9
	v_add_f32_e32 v9, v12, v13
	v_mul_f32_e32 v32, v9, v30
	v_sub_f32_e32 v8, v12, v9
	v_mul_f32_e32 v12, v25, v32
	v_fma_f32 v14, v32, v25, -v12
	v_fmac_f32_e32 v14, v32, v29
	v_add_f32_e32 v31, v13, v8
	v_add_f32_e32 v8, v12, v14
	v_sub_f32_e32 v13, v9, v8
	v_pk_add_f32 v[26:27], v[8:9], v[12:13] neg_lo:[0,1] neg_hi:[0,1]
	v_mov_b32_e32 v15, v8
	v_pk_add_f32 v[8:9], v[26:27], v[14:15] neg_lo:[0,1] neg_hi:[0,1]
	v_cmp_eq_f32_e32 vcc, s13, v23
	v_add_f32_e32 v9, v31, v9
	v_add_f32_e32 v8, v8, v9
	;; [unrolled: 1-line block ×3, first 2 shown]
	v_mul_f32_e32 v31, v30, v9
	v_mul_f32_e32 v12, v25, v31
	v_fma_f32 v14, v31, v25, -v12
	v_fmac_f32_e32 v14, v31, v29
	v_sub_f32_e32 v13, v13, v9
	v_add_f32_e32 v25, v8, v13
	v_add_f32_e32 v8, v12, v14
	v_sub_f32_e32 v13, v9, v8
	v_pk_add_f32 v[26:27], v[8:9], v[12:13] neg_lo:[0,1] neg_hi:[0,1]
	v_mov_b32_e32 v15, v8
	v_pk_add_f32 v[8:9], v[26:27], v[14:15] neg_lo:[0,1] neg_hi:[0,1]
	s_or_b64 vcc, s[60:61], vcc
	v_add_f32_e32 v9, v25, v9
	v_add_f32_e32 v8, v8, v9
	;; [unrolled: 1-line block ×4, first 2 shown]
	v_sub_f32_e32 v12, v9, v32
	v_mul_f32_e32 v8, v30, v8
	v_sub_f32_e32 v12, v31, v12
	v_add_f32_e32 v12, v12, v8
	v_add_f32_e32 v14, v9, v12
	v_mul_f32_e32 v15, v14, v14
	v_fmamk_f32 v8, v15, 0x3e9b6dac, v135
	v_fmaak_f32 v25, v15, v8, 0x3f2aaada
	v_cvt_f32_i32_e32 v8, v28
	v_sub_f32_e32 v9, v14, v9
	v_sub_f32_e32 v9, v12, v9
	v_ldexp_f32 v26, v9, 1
	v_mul_f32_e32 v9, v14, v15
	v_ldexp_f32 v13, v14, 1
	v_pk_mul_f32 v[14:15], v[8:9], v[24:25]
	s_nop 0
	v_fma_f32 v12, v8, s15, -v14
	v_fmac_f32_e32 v12, 0xb102e308, v8
	v_pk_add_f32 v[8:9], v[14:15], v[12:13]
	s_nop 0
	v_sub_f32_e32 v13, v9, v13
	v_sub_f32_e32 v13, v15, v13
	v_add_f32_e32 v27, v26, v13
	v_mov_b32_e32 v26, v14
	v_pk_add_f32 v[14:15], v[8:9], v[14:15] neg_lo:[0,1] neg_hi:[0,1]
	v_pk_add_f32 v[28:29], v[8:9], v[26:27]
	v_mov_b32_e32 v13, v8
	v_mov_b32_e32 v15, v29
	v_pk_add_f32 v[30:31], v[12:13], v[14:15] neg_lo:[0,1] neg_hi:[0,1]
	v_pk_add_f32 v[12:13], v[12:13], v[14:15]
	v_mov_b32_e32 v26, v27
	v_mov_b32_e32 v14, v13
	v_pk_add_f32 v[32:33], v[14:15], v[8:9] neg_lo:[0,1] neg_hi:[0,1]
	v_mov_b32_e32 v12, v29
	v_mov_b32_e32 v15, v32
	v_pk_add_f32 v[34:35], v[28:29], v[14:15] neg_lo:[0,1] neg_hi:[0,1]
	v_mov_b32_e32 v28, v9
	v_mov_b32_e32 v29, v32
	;; [unrolled: 1-line block ×3, first 2 shown]
	v_pk_add_f32 v[12:13], v[12:13], v[28:29] neg_lo:[0,1] neg_hi:[0,1]
	v_mov_b32_e32 v27, v8
	v_pk_add_f32 v[8:9], v[26:27], v[12:13] neg_lo:[0,1] neg_hi:[0,1]
	v_mov_b32_e32 v34, v30
	v_pk_add_f32 v[12:13], v[34:35], v[8:9]
	s_nop 0
	v_mov_b32_e32 v26, v13
	v_pk_add_f32 v[26:27], v[12:13], v[26:27]
	s_nop 0
	v_pk_add_f32 v[14:15], v[14:15], v[26:27]
	v_mov_b32_e32 v9, v26
	v_mov_b32_e32 v13, v14
	v_pk_add_f32 v[28:29], v[12:13], v[30:31] neg_lo:[0,1] neg_hi:[0,1]
	s_nop 0
	v_sub_f32_e32 v12, v12, v28
	v_pk_add_f32 v[8:9], v[8:9], v[28:29] neg_lo:[0,1] neg_hi:[0,1]
	v_sub_f32_e32 v12, v30, v12
	v_add_f32_e32 v8, v8, v12
	v_add_f32_e32 v8, v8, v9
	;; [unrolled: 1-line block ×3, first 2 shown]
	v_cndmask_b32_e32 v152, v8, v23, vcc
.LBB58_101:                             ;   in Loop: Header=BB58_13 Depth=1
	s_or_b64 exec, exec, s[4:5]
	v_and_b32_e32 v8, 0xffff0000, v10
	v_readlane_b32 s2, v167, 2
	s_nop 1
	v_add_f32_e32 v153, s2, v8
	v_readlane_b32 s2, v167, 30
	v_cmp_ge_f32_e32 vcc, s6, v153
	v_readlane_b32 s3, v167, 31
	s_and_b64 s[2:3], s[2:3], vcc
	s_and_saveexec_b64 s[4:5], s[2:3]
	s_cbranch_execz .LBB58_103
; %bb.102:                              ;   in Loop: Header=BB58_13 Depth=1
	v_mul_f32_e32 v8, 0x3fb8aa3b, v153
	v_rndne_f32_e32 v9, v8
	v_sub_f32_e32 v10, v8, v9
	v_fma_f32 v8, v153, s10, -v8
	v_fmac_f32_e32 v8, 0x32a5705f, v153
	v_add_f32_e32 v8, v10, v8
	v_cvt_i32_f32_e32 v9, v9
	v_exp_f32_e32 v8, v8
	v_cmp_ngt_f32_e32 vcc, s11, v153
	v_ldexp_f32 v8, v8, v9
	s_nop 0
	v_cndmask_b32_e32 v8, 0, v8, vcc
	v_cmp_nlt_f32_e32 vcc, s12, v153
	s_nop 1
	v_cndmask_b32_e32 v23, v136, v8, vcc
	v_add_f32_e32 v10, 1.0, v23
	v_add_f32_e32 v8, -1.0, v10
	v_sub_f32_e32 v9, v8, v10
	v_add_f32_e32 v9, 1.0, v9
	v_sub_f32_e32 v8, v23, v8
	v_add_f32_e32 v12, v8, v9
	v_frexp_mant_f32_e32 v13, v10
	v_cvt_f64_f32_e32 v[8:9], v10
	v_frexp_exp_i32_f64_e32 v8, v[8:9]
	v_cmp_gt_f32_e32 vcc, s14, v13
	v_cmp_gt_f32_e64 s[60:61], s16, v23
	s_nop 0
	v_subbrev_co_u32_e32 v28, vcc, 0, v8, vcc
	v_sub_u32_e32 v8, 0, v28
	v_ldexp_f32 v9, v10, v8
	v_add_f32_e32 v10, -1.0, v9
	v_add_f32_e32 v13, 1.0, v9
	v_ldexp_f32 v8, v12, v8
	v_add_f32_e32 v12, 1.0, v10
	v_add_f32_e32 v14, -1.0, v13
	v_sub_f32_e32 v12, v9, v12
	v_sub_f32_e32 v9, v9, v14
	v_add_f32_e32 v12, v8, v12
	v_add_f32_e32 v8, v8, v9
	;; [unrolled: 1-line block ×3, first 2 shown]
	v_rcp_f32_e32 v30, v25
	v_sub_f32_e32 v9, v13, v25
	v_add_f32_e32 v29, v8, v9
	v_add_f32_e32 v9, v10, v12
	v_sub_f32_e32 v8, v10, v9
	v_mul_f32_e32 v31, v9, v30
	v_add_f32_e32 v10, v12, v8
	v_mul_f32_e32 v12, v25, v31
	v_fma_f32 v14, v31, v25, -v12
	v_fmac_f32_e32 v14, v31, v29
	v_add_f32_e32 v8, v12, v14
	v_sub_f32_e32 v13, v9, v8
	v_pk_add_f32 v[26:27], v[8:9], v[12:13] neg_lo:[0,1] neg_hi:[0,1]
	v_mov_b32_e32 v15, v8
	v_pk_add_f32 v[8:9], v[26:27], v[14:15] neg_lo:[0,1] neg_hi:[0,1]
	v_cmp_eq_f32_e32 vcc, s13, v23
	v_add_f32_e32 v9, v10, v9
	v_add_f32_e32 v8, v8, v9
	;; [unrolled: 1-line block ×3, first 2 shown]
	v_mul_f32_e32 v10, v30, v9
	v_mul_f32_e32 v12, v25, v10
	v_fma_f32 v14, v10, v25, -v12
	v_fmac_f32_e32 v14, v10, v29
	v_sub_f32_e32 v13, v13, v9
	v_add_f32_e32 v25, v8, v13
	v_add_f32_e32 v8, v12, v14
	v_sub_f32_e32 v13, v9, v8
	v_pk_add_f32 v[26:27], v[8:9], v[12:13] neg_lo:[0,1] neg_hi:[0,1]
	v_mov_b32_e32 v15, v8
	v_pk_add_f32 v[8:9], v[26:27], v[14:15] neg_lo:[0,1] neg_hi:[0,1]
	s_or_b64 vcc, s[60:61], vcc
	v_add_f32_e32 v9, v25, v9
	v_add_f32_e32 v8, v8, v9
	;; [unrolled: 1-line block ×4, first 2 shown]
	v_sub_f32_e32 v12, v9, v31
	v_mul_f32_e32 v8, v30, v8
	v_sub_f32_e32 v10, v10, v12
	v_add_f32_e32 v10, v10, v8
	v_add_f32_e32 v12, v9, v10
	v_mul_f32_e32 v14, v12, v12
	v_fmamk_f32 v8, v14, 0x3e9b6dac, v135
	v_fmaak_f32 v25, v14, v8, 0x3f2aaada
	v_cvt_f32_i32_e32 v8, v28
	v_sub_f32_e32 v9, v12, v9
	v_sub_f32_e32 v9, v10, v9
	v_ldexp_f32 v10, v9, 1
	v_mul_f32_e32 v9, v12, v14
	v_pk_mul_f32 v[14:15], v[8:9], v[24:25]
	v_ldexp_f32 v13, v12, 1
	v_fma_f32 v12, v8, s15, -v14
	v_fmac_f32_e32 v12, 0xb102e308, v8
	v_pk_add_f32 v[8:9], v[14:15], v[12:13]
	v_mov_b32_e32 v26, v14
	v_sub_f32_e32 v13, v9, v13
	v_sub_f32_e32 v13, v15, v13
	v_add_f32_e32 v27, v10, v13
	v_pk_add_f32 v[14:15], v[8:9], v[14:15] neg_lo:[0,1] neg_hi:[0,1]
	v_pk_add_f32 v[28:29], v[8:9], v[26:27]
	v_mov_b32_e32 v13, v8
	v_mov_b32_e32 v15, v29
	v_pk_add_f32 v[30:31], v[12:13], v[14:15] neg_lo:[0,1] neg_hi:[0,1]
	v_pk_add_f32 v[12:13], v[12:13], v[14:15]
	s_nop 0
	v_mov_b32_e32 v10, v13
	v_pk_add_f32 v[14:15], v[10:11], v[8:9] neg_lo:[0,1] neg_hi:[0,1]
	v_mov_b32_e32 v12, v29
	v_mov_b32_e32 v15, v14
	v_pk_add_f32 v[32:33], v[28:29], v[14:15] neg_lo:[0,1] neg_hi:[0,1]
	v_mov_b32_e32 v28, v9
	v_mov_b32_e32 v29, v14
	;; [unrolled: 1-line block ×3, first 2 shown]
	v_pk_add_f32 v[12:13], v[12:13], v[28:29] neg_lo:[0,1] neg_hi:[0,1]
	v_mov_b32_e32 v14, v27
	v_mov_b32_e32 v15, v8
	v_pk_add_f32 v[8:9], v[14:15], v[12:13] neg_lo:[0,1] neg_hi:[0,1]
	v_mov_b32_e32 v32, v30
	v_pk_add_f32 v[12:13], v[32:33], v[8:9]
	s_nop 0
	v_mov_b32_e32 v14, v13
	v_pk_add_f32 v[14:15], v[12:13], v[14:15]
	s_nop 0
	v_pk_add_f32 v[26:27], v[10:11], v[14:15]
	v_mov_b32_e32 v9, v14
	v_mov_b32_e32 v13, v26
	v_pk_add_f32 v[28:29], v[12:13], v[30:31] neg_lo:[0,1] neg_hi:[0,1]
	s_nop 0
	v_sub_f32_e32 v10, v12, v28
	v_pk_add_f32 v[8:9], v[8:9], v[28:29] neg_lo:[0,1] neg_hi:[0,1]
	v_sub_f32_e32 v10, v30, v10
	v_add_f32_e32 v8, v8, v10
	v_add_f32_e32 v8, v8, v9
	;; [unrolled: 1-line block ×3, first 2 shown]
	v_cndmask_b32_e32 v153, v8, v23, vcc
.LBB58_103:                             ;   in Loop: Header=BB58_13 Depth=1
	s_or_b64 exec, exec, s[4:5]
	v_lshlrev_b32_e32 v8, 16, v11
	v_readlane_b32 s2, v167, 2
	s_nop 1
	v_add_f32_e32 v26, s2, v8
	v_readlane_b32 s2, v167, 30
	v_cmp_ge_f32_e32 vcc, s6, v26
	v_readlane_b32 s3, v167, 31
	s_and_b64 s[2:3], s[2:3], vcc
	s_and_saveexec_b64 s[4:5], s[2:3]
	s_cbranch_execz .LBB58_105
; %bb.104:                              ;   in Loop: Header=BB58_13 Depth=1
	v_mul_f32_e32 v8, 0x3fb8aa3b, v26
	v_rndne_f32_e32 v9, v8
	v_sub_f32_e32 v10, v8, v9
	v_fma_f32 v8, v26, s10, -v8
	v_fmac_f32_e32 v8, 0x32a5705f, v26
	v_add_f32_e32 v8, v10, v8
	v_cvt_i32_f32_e32 v9, v9
	v_exp_f32_e32 v8, v8
	v_cmp_ngt_f32_e32 vcc, s11, v26
	v_ldexp_f32 v8, v8, v9
	s_nop 0
	v_cndmask_b32_e32 v8, 0, v8, vcc
	v_cmp_nlt_f32_e32 vcc, s12, v26
	s_nop 1
	v_cndmask_b32_e32 v23, v136, v8, vcc
	v_add_f32_e32 v10, 1.0, v23
	v_add_f32_e32 v8, -1.0, v10
	v_sub_f32_e32 v9, v8, v10
	v_add_f32_e32 v9, 1.0, v9
	v_sub_f32_e32 v8, v23, v8
	v_add_f32_e32 v12, v8, v9
	v_frexp_mant_f32_e32 v13, v10
	v_cvt_f64_f32_e32 v[8:9], v10
	v_frexp_exp_i32_f64_e32 v8, v[8:9]
	v_cmp_gt_f32_e32 vcc, s14, v13
	v_cmp_gt_f32_e64 s[60:61], s16, v23
	s_nop 0
	v_subbrev_co_u32_e32 v28, vcc, 0, v8, vcc
	v_sub_u32_e32 v8, 0, v28
	v_ldexp_f32 v9, v10, v8
	v_add_f32_e32 v10, -1.0, v9
	v_add_f32_e32 v13, 1.0, v9
	v_ldexp_f32 v8, v12, v8
	v_add_f32_e32 v12, 1.0, v10
	v_add_f32_e32 v14, -1.0, v13
	v_sub_f32_e32 v12, v9, v12
	v_sub_f32_e32 v9, v9, v14
	v_add_f32_e32 v12, v8, v12
	v_add_f32_e32 v8, v8, v9
	;; [unrolled: 1-line block ×3, first 2 shown]
	v_rcp_f32_e32 v30, v25
	v_sub_f32_e32 v9, v13, v25
	v_add_f32_e32 v29, v8, v9
	v_add_f32_e32 v9, v10, v12
	v_sub_f32_e32 v8, v10, v9
	v_mul_f32_e32 v31, v9, v30
	v_add_f32_e32 v10, v12, v8
	v_mul_f32_e32 v12, v25, v31
	v_fma_f32 v14, v31, v25, -v12
	v_fmac_f32_e32 v14, v31, v29
	v_add_f32_e32 v8, v12, v14
	v_sub_f32_e32 v13, v9, v8
	v_pk_add_f32 v[26:27], v[8:9], v[12:13] neg_lo:[0,1] neg_hi:[0,1]
	v_mov_b32_e32 v15, v8
	v_pk_add_f32 v[8:9], v[26:27], v[14:15] neg_lo:[0,1] neg_hi:[0,1]
	v_cmp_eq_f32_e32 vcc, s13, v23
	v_add_f32_e32 v9, v10, v9
	v_add_f32_e32 v8, v8, v9
	;; [unrolled: 1-line block ×3, first 2 shown]
	v_mul_f32_e32 v10, v30, v9
	v_mul_f32_e32 v12, v25, v10
	v_fma_f32 v14, v10, v25, -v12
	v_fmac_f32_e32 v14, v10, v29
	v_sub_f32_e32 v13, v13, v9
	v_add_f32_e32 v25, v8, v13
	v_add_f32_e32 v8, v12, v14
	v_sub_f32_e32 v13, v9, v8
	v_pk_add_f32 v[26:27], v[8:9], v[12:13] neg_lo:[0,1] neg_hi:[0,1]
	v_mov_b32_e32 v15, v8
	v_pk_add_f32 v[8:9], v[26:27], v[14:15] neg_lo:[0,1] neg_hi:[0,1]
	s_or_b64 vcc, s[60:61], vcc
	v_add_f32_e32 v9, v25, v9
	v_add_f32_e32 v8, v8, v9
	;; [unrolled: 1-line block ×4, first 2 shown]
	v_sub_f32_e32 v12, v9, v31
	v_mul_f32_e32 v8, v30, v8
	v_sub_f32_e32 v10, v10, v12
	v_add_f32_e32 v10, v10, v8
	v_add_f32_e32 v12, v9, v10
	v_mul_f32_e32 v14, v12, v12
	v_fmamk_f32 v8, v14, 0x3e9b6dac, v135
	v_fmaak_f32 v25, v14, v8, 0x3f2aaada
	v_cvt_f32_i32_e32 v8, v28
	v_sub_f32_e32 v9, v12, v9
	v_sub_f32_e32 v9, v10, v9
	v_ldexp_f32 v10, v9, 1
	v_mul_f32_e32 v9, v12, v14
	v_pk_mul_f32 v[14:15], v[8:9], v[24:25]
	v_ldexp_f32 v13, v12, 1
	v_fma_f32 v12, v8, s15, -v14
	v_fmac_f32_e32 v12, 0xb102e308, v8
	v_pk_add_f32 v[8:9], v[14:15], v[12:13]
	v_mov_b32_e32 v26, v14
	v_sub_f32_e32 v13, v9, v13
	v_sub_f32_e32 v13, v15, v13
	v_add_f32_e32 v27, v10, v13
	v_pk_add_f32 v[14:15], v[8:9], v[14:15] neg_lo:[0,1] neg_hi:[0,1]
	v_pk_add_f32 v[28:29], v[8:9], v[26:27]
	v_mov_b32_e32 v13, v8
	v_mov_b32_e32 v15, v29
	v_pk_add_f32 v[30:31], v[12:13], v[14:15] neg_lo:[0,1] neg_hi:[0,1]
	v_pk_add_f32 v[12:13], v[12:13], v[14:15]
	s_nop 0
	v_mov_b32_e32 v10, v13
	v_pk_add_f32 v[14:15], v[10:11], v[8:9] neg_lo:[0,1] neg_hi:[0,1]
	v_mov_b32_e32 v12, v29
	v_mov_b32_e32 v15, v14
	v_pk_add_f32 v[32:33], v[28:29], v[14:15] neg_lo:[0,1] neg_hi:[0,1]
	v_mov_b32_e32 v28, v9
	v_mov_b32_e32 v29, v14
	;; [unrolled: 1-line block ×3, first 2 shown]
	v_pk_add_f32 v[12:13], v[12:13], v[28:29] neg_lo:[0,1] neg_hi:[0,1]
	v_mov_b32_e32 v14, v27
	v_mov_b32_e32 v15, v8
	v_pk_add_f32 v[8:9], v[14:15], v[12:13] neg_lo:[0,1] neg_hi:[0,1]
	v_mov_b32_e32 v32, v30
	v_pk_add_f32 v[12:13], v[32:33], v[8:9]
	s_nop 0
	v_mov_b32_e32 v14, v13
	v_pk_add_f32 v[14:15], v[12:13], v[14:15]
	s_nop 0
	v_pk_add_f32 v[26:27], v[10:11], v[14:15]
	v_mov_b32_e32 v9, v14
	v_mov_b32_e32 v13, v26
	v_pk_add_f32 v[28:29], v[12:13], v[30:31] neg_lo:[0,1] neg_hi:[0,1]
	s_nop 0
	v_sub_f32_e32 v10, v12, v28
	v_pk_add_f32 v[8:9], v[8:9], v[28:29] neg_lo:[0,1] neg_hi:[0,1]
	v_sub_f32_e32 v10, v30, v10
	v_add_f32_e32 v8, v8, v10
	v_add_f32_e32 v8, v8, v9
	;; [unrolled: 1-line block ×3, first 2 shown]
	v_cndmask_b32_e32 v26, v8, v23, vcc
.LBB58_105:                             ;   in Loop: Header=BB58_13 Depth=1
	s_or_b64 exec, exec, s[4:5]
	v_and_b32_e32 v8, 0xffff0000, v11
	v_readlane_b32 s2, v167, 2
	s_nop 1
	v_add_f32_e32 v27, s2, v8
	v_readlane_b32 s2, v167, 30
	v_cmp_ge_f32_e32 vcc, s6, v27
	v_readlane_b32 s3, v167, 31
	s_and_b64 s[2:3], s[2:3], vcc
	s_and_saveexec_b64 s[4:5], s[2:3]
	s_cbranch_execz .LBB58_107
; %bb.106:                              ;   in Loop: Header=BB58_13 Depth=1
	v_mul_f32_e32 v8, 0x3fb8aa3b, v27
	v_rndne_f32_e32 v9, v8
	v_sub_f32_e32 v10, v8, v9
	v_fma_f32 v8, v27, s10, -v8
	v_fmac_f32_e32 v8, 0x32a5705f, v27
	v_add_f32_e32 v8, v10, v8
	v_cvt_i32_f32_e32 v9, v9
	v_exp_f32_e32 v8, v8
	v_cmp_ngt_f32_e32 vcc, s11, v27
	v_ldexp_f32 v8, v8, v9
	s_nop 0
	v_cndmask_b32_e32 v8, 0, v8, vcc
	v_cmp_nlt_f32_e32 vcc, s12, v27
	s_nop 1
	v_cndmask_b32_e32 v23, v136, v8, vcc
	v_add_f32_e32 v10, 1.0, v23
	v_add_f32_e32 v8, -1.0, v10
	v_sub_f32_e32 v9, v8, v10
	v_add_f32_e32 v9, 1.0, v9
	v_sub_f32_e32 v8, v23, v8
	v_add_f32_e32 v11, v8, v9
	v_frexp_mant_f32_e32 v12, v10
	v_cvt_f64_f32_e32 v[8:9], v10
	v_frexp_exp_i32_f64_e32 v8, v[8:9]
	v_cmp_gt_f32_e32 vcc, s14, v12
	v_cmp_gt_f32_e64 s[60:61], s16, v23
	s_nop 0
	v_subbrev_co_u32_e32 v27, vcc, 0, v8, vcc
	v_sub_u32_e32 v8, 0, v27
	v_ldexp_f32 v9, v10, v8
	v_add_f32_e32 v10, -1.0, v9
	v_add_f32_e32 v12, 1.0, v9
	v_ldexp_f32 v8, v11, v8
	v_add_f32_e32 v11, 1.0, v10
	v_add_f32_e32 v13, -1.0, v12
	v_sub_f32_e32 v11, v9, v11
	v_sub_f32_e32 v9, v9, v13
	v_add_f32_e32 v11, v8, v11
	v_add_f32_e32 v8, v8, v9
	;; [unrolled: 1-line block ×3, first 2 shown]
	v_rcp_f32_e32 v29, v25
	v_sub_f32_e32 v9, v12, v25
	v_add_f32_e32 v28, v8, v9
	v_add_f32_e32 v9, v10, v11
	v_mul_f32_e32 v31, v9, v29
	v_sub_f32_e32 v8, v10, v9
	v_mul_f32_e32 v10, v25, v31
	v_fma_f32 v12, v31, v25, -v10
	v_fmac_f32_e32 v12, v31, v28
	v_add_f32_e32 v30, v11, v8
	v_add_f32_e32 v8, v10, v12
	v_sub_f32_e32 v11, v9, v8
	v_pk_add_f32 v[14:15], v[8:9], v[10:11] neg_lo:[0,1] neg_hi:[0,1]
	v_mov_b32_e32 v13, v8
	v_pk_add_f32 v[8:9], v[14:15], v[12:13] neg_lo:[0,1] neg_hi:[0,1]
	v_cmp_eq_f32_e32 vcc, s13, v23
	v_add_f32_e32 v9, v30, v9
	v_add_f32_e32 v8, v8, v9
	;; [unrolled: 1-line block ×3, first 2 shown]
	v_mul_f32_e32 v30, v29, v9
	v_mul_f32_e32 v10, v25, v30
	v_fma_f32 v12, v30, v25, -v10
	v_fmac_f32_e32 v12, v30, v28
	v_sub_f32_e32 v11, v11, v9
	v_add_f32_e32 v25, v8, v11
	v_add_f32_e32 v8, v10, v12
	v_sub_f32_e32 v11, v9, v8
	v_pk_add_f32 v[14:15], v[8:9], v[10:11] neg_lo:[0,1] neg_hi:[0,1]
	v_mov_b32_e32 v13, v8
	v_pk_add_f32 v[8:9], v[14:15], v[12:13] neg_lo:[0,1] neg_hi:[0,1]
	s_or_b64 vcc, s[60:61], vcc
	v_add_f32_e32 v9, v25, v9
	v_add_f32_e32 v8, v8, v9
	;; [unrolled: 1-line block ×4, first 2 shown]
	v_sub_f32_e32 v10, v9, v31
	v_mul_f32_e32 v8, v29, v8
	v_sub_f32_e32 v10, v30, v10
	v_add_f32_e32 v10, v10, v8
	v_add_f32_e32 v12, v9, v10
	v_mul_f32_e32 v13, v12, v12
	v_fmamk_f32 v8, v13, 0x3e9b6dac, v135
	v_fmaak_f32 v25, v13, v8, 0x3f2aaada
	v_cvt_f32_i32_e32 v8, v27
	v_sub_f32_e32 v9, v12, v9
	v_sub_f32_e32 v9, v10, v9
	v_ldexp_f32 v14, v9, 1
	v_mul_f32_e32 v9, v12, v13
	v_ldexp_f32 v11, v12, 1
	v_pk_mul_f32 v[12:13], v[8:9], v[24:25]
	s_nop 0
	v_fma_f32 v10, v8, s15, -v12
	v_fmac_f32_e32 v10, 0xb102e308, v8
	v_pk_add_f32 v[8:9], v[12:13], v[10:11]
	s_nop 0
	v_sub_f32_e32 v11, v9, v11
	v_sub_f32_e32 v11, v13, v11
	v_add_f32_e32 v15, v14, v11
	v_mov_b32_e32 v14, v12
	v_pk_add_f32 v[12:13], v[8:9], v[12:13] neg_lo:[0,1] neg_hi:[0,1]
	v_pk_add_f32 v[28:29], v[8:9], v[14:15]
	v_mov_b32_e32 v11, v8
	v_mov_b32_e32 v13, v29
	v_pk_add_f32 v[30:31], v[10:11], v[12:13] neg_lo:[0,1] neg_hi:[0,1]
	v_pk_add_f32 v[10:11], v[10:11], v[12:13]
	v_mov_b32_e32 v14, v15
	v_mov_b32_e32 v12, v11
	v_pk_add_f32 v[32:33], v[12:13], v[8:9] neg_lo:[0,1] neg_hi:[0,1]
	v_mov_b32_e32 v10, v29
	v_mov_b32_e32 v13, v32
	v_pk_add_f32 v[34:35], v[28:29], v[12:13] neg_lo:[0,1] neg_hi:[0,1]
	v_mov_b32_e32 v28, v9
	v_mov_b32_e32 v29, v32
	;; [unrolled: 1-line block ×3, first 2 shown]
	v_pk_add_f32 v[10:11], v[10:11], v[28:29] neg_lo:[0,1] neg_hi:[0,1]
	v_mov_b32_e32 v15, v8
	v_pk_add_f32 v[8:9], v[14:15], v[10:11] neg_lo:[0,1] neg_hi:[0,1]
	v_mov_b32_e32 v34, v30
	v_pk_add_f32 v[10:11], v[34:35], v[8:9]
	s_nop 0
	v_mov_b32_e32 v14, v11
	v_pk_add_f32 v[14:15], v[10:11], v[14:15]
	s_nop 0
	v_pk_add_f32 v[12:13], v[12:13], v[14:15]
	v_mov_b32_e32 v9, v14
	v_mov_b32_e32 v11, v12
	v_pk_add_f32 v[28:29], v[10:11], v[30:31] neg_lo:[0,1] neg_hi:[0,1]
	s_nop 0
	v_sub_f32_e32 v10, v10, v28
	v_pk_add_f32 v[8:9], v[8:9], v[28:29] neg_lo:[0,1] neg_hi:[0,1]
	v_sub_f32_e32 v10, v30, v10
	v_add_f32_e32 v8, v8, v10
	v_add_f32_e32 v8, v8, v9
	;; [unrolled: 1-line block ×3, first 2 shown]
	v_cndmask_b32_e32 v27, v8, v23, vcc
.LBB58_107:                             ;   in Loop: Header=BB58_13 Depth=1
	s_or_b64 exec, exec, s[4:5]
	v_lshlrev_b32_e32 v8, 16, v7
	v_readlane_b32 s2, v167, 3
	v_and_b32_e32 v15, 0xffff0000, v7
	v_and_b32_e32 v7, 0xffff0000, v6
	v_lshlrev_b32_e32 v6, 16, v6
	v_and_b32_e32 v9, 0xffff0000, v5
	v_lshlrev_b32_e32 v5, 16, v5
	;; [unrolled: 2-line block ×7, first 2 shown]
	v_mul_f32_e32 v28, s2, v8
	v_mul_f32_e32 v31, s2, v7
	;; [unrolled: 1-line block ×16, first 2 shown]
	v_readlane_b32 s2, v167, 33
	v_readlane_b32 s3, v167, 34
	s_and_b64 vcc, exec, s[2:3]
	s_barrier
	s_cbranch_vccz .LBB58_204
; %bb.108:                              ;   in Loop: Header=BB58_13 Depth=1
	v_readlane_b32 s2, v167, 8
	v_readlane_b32 s3, v167, 9
	v_mul_f32_e32 v166, v140, v0
	v_cmp_gt_u32_e32 vcc, s88, v19
	v_lshl_add_u64 v[44:45], s[2:3], 0, v[16:17]
	v_readlane_b32 s2, v167, 22
	v_readlane_b32 s3, v167, 23
	v_or_b32_e32 v0, 1, v19
	v_mov_b32_e32 v23, v17
	v_lshl_add_u64 v[46:47], s[2:3], 0, v[16:17]
	v_readlane_b32 s3, v167, 59
	s_cmp_lg_u32 s3, 0
	v_readlane_b32 s2, v167, 37
	s_cselect_b64 s[94:95], -1, 0
	s_cmp_eq_u32 s3, s2
	v_readlane_b32 s2, v167, 38
	v_readlane_b32 s3, v167, 39
	s_cselect_b64 s[96:97], -1, 0
	s_or_b64 s[60:61], s[2:3], vcc
	v_cmp_gt_u32_e32 vcc, s88, v0
	v_or_b32_e32 v0, 2, v19
	s_or_b64 s[62:63], s[2:3], vcc
	v_cmp_gt_u32_e32 vcc, s88, v0
	v_or_b32_e32 v0, 3, v19
	;; [unrolled: 3-line block ×14, first 2 shown]
	s_mov_b32 s6, 0
	v_cmp_gt_u32_e64 s[88:89], s88, v0
	v_mul_f32_e32 v25, v27, v15
	v_lshl_add_u64 v[44:45], v[44:45], 0, v[22:23]
	v_lshl_add_u64 v[46:47], v[46:47], 0, v[22:23]
	v_mul_f32_e32 v16, v26, v8
	v_mul_f32_e32 v23, v153, v7
	;; [unrolled: 1-line block ×14, first 2 shown]
	s_or_b64 s[88:89], s[2:3], s[88:89]
	s_or_b64 s[90:91], s[2:3], vcc
	s_mov_b32 s92, s6
	s_mov_b32 s98, s6
	;; [unrolled: 1-line block ×3, first 2 shown]
	v_readlane_b32 s8, v167, 32
	v_readlane_b32 s9, v167, 58
	s_branch .LBB58_110
.LBB58_109:                             ;   in Loop: Header=BB58_110 Depth=2
	s_or_b64 exec, exec, s[2:3]
	v_cndmask_b32_e64 v8, v8, v67, s[24:25]
	v_cndmask_b32_e64 v48, v58, v66, s[24:25]
	v_mul_f32_e32 v48, v48, v121
	v_fma_f32 v8, v8, v121, v120
	v_cndmask_b32_e64 v8, v8, v120, s[22:23]
	v_cndmask_b32_e64 v48, v48, v121, s[22:23]
	s_waitcnt lgkmcnt(0)
	v_fmac_f32_e32 v8, v61, v48
	v_fmac_f32_e32 v9, v8, v122
	;; [unrolled: 1-line block ×10, first 2 shown]
	v_readlane_b32 s12, v167, 24
	v_fmac_f32_e32 v54, v51, v131
	v_readlane_b32 s13, v167, 25
	v_readlane_b32 s14, v167, 26
	;; [unrolled: 1-line block ×3, first 2 shown]
	v_fmac_f32_e32 v55, v54, v132
	s_add_i32 s4, s4, s14
	v_readlane_b32 s12, v167, 18
	v_fmac_f32_e32 v52, v55, v60
	v_readlane_b32 s13, v167, 19
	v_readlane_b32 s14, v167, 20
	;; [unrolled: 1-line block ×3, first 2 shown]
	v_fmac_f32_e32 v53, v52, v56
	s_add_i32 s98, s98, s12
	v_readlane_b32 s12, v167, 10
	v_fmac_f32_e32 v57, v53, v62
	v_readlane_b32 s13, v167, 11
	v_readlane_b32 s16, v167, 14
	v_fmac_f32_e32 v59, v57, v63
	v_and_b32_e32 v49, 0xffff0000, v4
	v_and_b32_e32 v61, 0xffff0000, v5
	v_lshlrev_b32_e32 v48, 16, v4
	v_lshlrev_b32_e32 v60, 16, v5
	v_and_b32_e32 v5, 0xffff0000, v6
	v_and_b32_e32 v63, 0xffff0000, v7
	v_lshlrev_b32_e32 v4, 16, v6
	v_lshlrev_b32_e32 v62, 16, v7
	;; [unrolled: 4-line block ×4, first 2 shown]
	v_mov_b32_e32 v58, v57
	s_add_i32 s9, s9, 8
	s_add_i32 s8, s8, -1
	s_add_i32 s92, s92, s16
	s_add_i32 s6, s6, s13
	v_pk_fma_f32 v[40:41], v[10:11], v[60:61], v[40:41]
	v_pk_fma_f32 v[42:43], v[8:9], v[48:49], v[42:43]
	;; [unrolled: 1-line block ×7, first 2 shown]
	s_cmp_eq_u32 s8, 0
	v_pk_fma_f32 v[30:31], v[52:53], v[0:1], v[30:31]
	v_readlane_b32 s14, v167, 12
	v_readlane_b32 s15, v167, 13
	;; [unrolled: 1-line block ×5, first 2 shown]
	s_cbranch_scc1 .LBB58_203
.LBB58_110:                             ;   Parent Loop BB58_13 Depth=1
                                        ; =>  This Inner Loop Header: Depth=2
	s_lshl_b64 s[2:3], s[6:7], 2
	v_readlane_b32 s5, v167, 6
	s_add_u32 s2, s5, s2
	v_readlane_b32 s5, v167, 7
	s_addc_u32 s3, s5, s3
	global_load_dword v50, v17, s[2:3]
	s_mov_b32 s93, s7
	v_lshl_add_u64 v[0:1], s[92:93], 1, v[44:45]
	v_mov_b32_e32 v2, 0
	v_mov_b32_e32 v3, 0
	s_and_saveexec_b64 s[2:3], s[26:27]
	s_cbranch_execz .LBB58_112
; %bb.111:                              ;   in Loop: Header=BB58_110 Depth=2
	global_load_ushort v3, v[0:1], off
.LBB58_112:                             ;   in Loop: Header=BB58_110 Depth=2
	s_or_b64 exec, exec, s[2:3]
	s_and_saveexec_b64 s[2:3], s[28:29]
	s_cbranch_execz .LBB58_114
; %bb.113:                              ;   in Loop: Header=BB58_110 Depth=2
	global_load_ushort v2, v[0:1], off offset:128
.LBB58_114:                             ;   in Loop: Header=BB58_110 Depth=2
	s_or_b64 exec, exec, s[2:3]
	v_mov_b32_e32 v4, 0
	v_mov_b32_e32 v5, 0
	s_and_saveexec_b64 s[2:3], s[30:31]
	s_cbranch_execz .LBB58_116
; %bb.115:                              ;   in Loop: Header=BB58_110 Depth=2
	global_load_ushort v5, v[0:1], off offset:256
.LBB58_116:                             ;   in Loop: Header=BB58_110 Depth=2
	s_or_b64 exec, exec, s[2:3]
	s_and_saveexec_b64 s[2:3], s[34:35]
	s_cbranch_execz .LBB58_118
; %bb.117:                              ;   in Loop: Header=BB58_110 Depth=2
	global_load_ushort v4, v[0:1], off offset:384
.LBB58_118:                             ;   in Loop: Header=BB58_110 Depth=2
	s_or_b64 exec, exec, s[2:3]
	v_mov_b32_e32 v6, 0
	v_mov_b32_e32 v7, 0
	s_and_saveexec_b64 s[2:3], s[36:37]
	s_cbranch_execz .LBB58_120
; %bb.119:                              ;   in Loop: Header=BB58_110 Depth=2
	global_load_ushort v7, v[0:1], off offset:512
.LBB58_120:                             ;   in Loop: Header=BB58_110 Depth=2
	;; [unrolled: 14-line block ×7, first 2 shown]
	s_or_b64 exec, exec, s[2:3]
	s_and_saveexec_b64 s[2:3], s[58:59]
	s_cbranch_execz .LBB58_142
; %bb.141:                              ;   in Loop: Header=BB58_110 Depth=2
	global_load_ushort v48, v[0:1], off offset:1920
.LBB58_142:                             ;   in Loop: Header=BB58_110 Depth=2
	s_or_b64 exec, exec, s[2:3]
	s_waitcnt vmcnt(0)
	ds_write_b16 v84, v3
	ds_write_b16 v85, v2 offset:128
	ds_write_b16 v86, v5 offset:256
	;; [unrolled: 1-line block ×15, first 2 shown]
	; wave barrier
	ds_read_b128 v[12:15], v100
	ds_read_b128 v[8:11], v100 offset:16
	s_mov_b32 s99, s7
	v_lshl_add_u64 v[0:1], s[98:99], 1, v[46:47]
	v_mov_b32_e32 v2, 0
	v_mov_b32_e32 v3, 0
	s_and_saveexec_b64 s[2:3], s[26:27]
	s_cbranch_execz .LBB58_144
; %bb.143:                              ;   in Loop: Header=BB58_110 Depth=2
	global_load_ushort v3, v[0:1], off
.LBB58_144:                             ;   in Loop: Header=BB58_110 Depth=2
	s_or_b64 exec, exec, s[2:3]
	s_and_saveexec_b64 s[2:3], s[28:29]
	s_cbranch_execz .LBB58_146
; %bb.145:                              ;   in Loop: Header=BB58_110 Depth=2
	global_load_ushort v2, v[0:1], off offset:128
.LBB58_146:                             ;   in Loop: Header=BB58_110 Depth=2
	s_or_b64 exec, exec, s[2:3]
	v_mov_b32_e32 v4, 0
	v_mov_b32_e32 v5, 0
	s_and_saveexec_b64 s[2:3], s[30:31]
	s_cbranch_execz .LBB58_148
; %bb.147:                              ;   in Loop: Header=BB58_110 Depth=2
	global_load_ushort v5, v[0:1], off offset:256
.LBB58_148:                             ;   in Loop: Header=BB58_110 Depth=2
	s_or_b64 exec, exec, s[2:3]
	s_and_saveexec_b64 s[2:3], s[34:35]
	s_cbranch_execz .LBB58_150
; %bb.149:                              ;   in Loop: Header=BB58_110 Depth=2
	global_load_ushort v4, v[0:1], off offset:384
.LBB58_150:                             ;   in Loop: Header=BB58_110 Depth=2
	s_or_b64 exec, exec, s[2:3]
	v_mov_b32_e32 v6, 0
	v_mov_b32_e32 v7, 0
	s_and_saveexec_b64 s[2:3], s[36:37]
	s_cbranch_execz .LBB58_152
; %bb.151:                              ;   in Loop: Header=BB58_110 Depth=2
	global_load_ushort v7, v[0:1], off offset:512
.LBB58_152:                             ;   in Loop: Header=BB58_110 Depth=2
	;; [unrolled: 14-line block ×7, first 2 shown]
	s_or_b64 exec, exec, s[2:3]
	s_and_saveexec_b64 s[2:3], s[58:59]
	s_cbranch_execz .LBB58_174
; %bb.173:                              ;   in Loop: Header=BB58_110 Depth=2
	global_load_ushort v57, v[0:1], off offset:1920
.LBB58_174:                             ;   in Loop: Header=BB58_110 Depth=2
	s_or_b64 exec, exec, s[2:3]
	s_waitcnt vmcnt(0)
	ds_write_b16 v84, v3 offset:4224
	ds_write_b16 v101, v2 offset:128
	;; [unrolled: 1-line block ×16, first 2 shown]
	; wave barrier
	ds_read_b128 v[4:7], v100 offset:4224
	ds_read_b128 v[0:3], v116 offset:16
	s_andn2_b64 vcc, exec, s[94:95]
	s_cbranch_vccnz .LBB58_176
; %bb.175:                              ;   in Loop: Header=BB58_110 Depth=2
	v_mov_b32_e32 v48, s9
	ds_read_b64 v[48:49], v48
	s_cbranch_execz .LBB58_177
	s_branch .LBB58_180
.LBB58_176:                             ;   in Loop: Header=BB58_110 Depth=2
                                        ; implicit-def: $vgpr49
.LBB58_177:                             ;   in Loop: Header=BB58_110 Depth=2
	v_readlane_b32 s2, v167, 0
	v_readlane_b32 s3, v167, 1
	s_andn2_b64 vcc, exec, s[2:3]
	s_waitcnt lgkmcnt(0)
	v_mov_b32_e32 v49, 0
	s_cbranch_vccnz .LBB58_179
; %bb.178:                              ;   in Loop: Header=BB58_110 Depth=2
	s_mov_b32 s5, s7
	s_lshl_b64 s[2:3], s[4:5], 2
	v_readlane_b32 s5, v167, 28
	s_add_u32 s2, s5, s2
	v_readlane_b32 s5, v167, 29
	s_addc_u32 s3, s5, s3
	global_load_dword v49, v17, s[2:3]
.LBB58_179:                             ;   in Loop: Header=BB58_110 Depth=2
	v_mov_b32_e32 v48, 1.0
.LBB58_180:                             ;   in Loop: Header=BB58_110 Depth=2
	s_waitcnt lgkmcnt(14)
	v_lshlrev_b32_e32 v55, 16, v8
	v_and_b32_e32 v56, 0xffff0000, v8
	v_mul_f32_e32 v8, 0x3fb8aa3b, v50
	v_lshlrev_b32_e32 v57, 16, v9
	v_and_b32_e32 v59, 0xffff0000, v9
	v_mul_f32_e32 v9, v8, v140
	v_cmp_gt_f32_e32 vcc, s33, v9
	v_lshlrev_b32_e32 v60, 16, v10
	v_and_b32_e32 v61, 0xffff0000, v10
	v_cndmask_b32_e32 v9, 0, v137, vcc
	v_fmac_f32_e32 v9, v8, v140
	v_exp_f32_e32 v9, v9
	v_cndmask_b32_e32 v10, 1.0, v138, vcc
	v_lshlrev_b32_e32 v51, 16, v12
	v_lshlrev_b32_e32 v64, 16, v11
	v_mul_f32_e32 v9, v9, v10
	v_cndmask_b32_e64 v121, 1.0, v9, s[60:61]
	v_mul_f32_e32 v9, v8, v141
	v_cmp_gt_f32_e32 vcc, s33, v9
	v_mul_f32_e32 v10, v166, v51
	v_cndmask_b32_e64 v120, 0, v10, s[60:61]
	v_cndmask_b32_e32 v9, 0, v137, vcc
	v_fmac_f32_e32 v9, v8, v141
	v_exp_f32_e32 v9, v9
	v_cndmask_b32_e32 v10, 1.0, v138, vcc
	v_and_b32_e32 v58, 0xffff0000, v11
	v_and_b32_e32 v12, 0xffff0000, v12
	v_mul_f32_e32 v10, v9, v10
	v_cndmask_b32_e64 v122, 1.0, v10, s[62:63]
	v_mul_f32_e32 v10, v8, v142
	v_cmp_gt_f32_e32 vcc, s33, v10
	v_mul_f32_e32 v9, v165, v12
	v_lshlrev_b32_e32 v52, 16, v13
	v_cndmask_b32_e32 v10, 0, v137, vcc
	v_fmac_f32_e32 v10, v8, v142
	v_exp_f32_e32 v10, v10
	v_cndmask_b32_e32 v11, 1.0, v138, vcc
	v_and_b32_e32 v13, 0xffff0000, v13
	v_lshlrev_b32_e32 v53, 16, v14
	v_mul_f32_e32 v11, v10, v11
	v_cndmask_b32_e64 v123, 1.0, v11, s[64:65]
	v_mul_f32_e32 v11, v8, v143
	v_cmp_gt_f32_e32 vcc, s33, v11
	v_and_b32_e32 v14, 0xffff0000, v14
	v_mul_f32_e32 v10, v164, v52
	v_cndmask_b32_e32 v11, 0, v137, vcc
	v_fmac_f32_e32 v11, v8, v143
	v_exp_f32_e32 v11, v11
	v_cndmask_b32_e32 v12, 1.0, v138, vcc
	v_lshlrev_b32_e32 v54, 16, v15
	v_cndmask_b32_e64 v9, 0, v9, s[62:63]
	v_mul_f32_e32 v12, v11, v12
	v_cndmask_b32_e64 v124, 1.0, v12, s[66:67]
	v_mul_f32_e32 v12, v8, v144
	v_cmp_gt_f32_e32 vcc, s33, v12
	v_mul_f32_e32 v11, v163, v13
	v_pk_mul_f32 v[62:63], v[8:9], v[26:27] op_sel_hi:[0,1]
	v_cndmask_b32_e32 v12, 0, v137, vcc
	v_fmac_f32_e32 v12, v8, v144
	v_exp_f32_e32 v12, v12
	v_cndmask_b32_e32 v13, 1.0, v138, vcc
	v_mul_f32_e32 v58, v25, v58
	v_cndmask_b32_e64 v10, 0, v10, s[64:65]
	v_mul_f32_e32 v13, v12, v13
	v_cndmask_b32_e64 v125, 1.0, v13, s[68:69]
	v_mul_f32_e32 v13, v8, v145
	v_cmp_gt_f32_e32 vcc, s33, v13
	v_mul_f32_e32 v12, v162, v53
	v_cndmask_b32_e64 v11, 0, v11, s[66:67]
	v_cndmask_b32_e32 v13, 0, v137, vcc
	v_fmac_f32_e32 v13, v8, v145
	v_exp_f32_e32 v13, v13
	v_cndmask_b32_e32 v50, 1.0, v138, vcc
	v_cndmask_b32_e64 v12, 0, v12, s[68:69]
	v_and_b32_e32 v15, 0xffff0000, v15
	v_mul_f32_e32 v50, v13, v50
	v_mul_f32_e32 v13, v161, v14
	v_mul_f32_e32 v14, v8, v146
	v_cmp_gt_f32_e32 vcc, s33, v14
	v_cndmask_b32_e64 v126, 1.0, v50, s[70:71]
	v_cndmask_b32_e64 v13, 0, v13, s[70:71]
	v_cndmask_b32_e32 v14, 0, v137, vcc
	v_fmac_f32_e32 v14, v8, v146
	v_exp_f32_e32 v14, v14
	v_cndmask_b32_e32 v50, 1.0, v138, vcc
	v_mul_f32_e32 v15, v159, v15
	v_cndmask_b32_e64 v15, 0, v15, s[74:75]
	v_mul_f32_e32 v50, v14, v50
	v_cndmask_b32_e64 v127, 1.0, v50, s[72:73]
	v_mul_f32_e32 v50, v8, v147
	v_cmp_gt_f32_e32 vcc, s33, v50
	v_mul_f32_e32 v14, v160, v54
	v_cndmask_b32_e64 v14, 0, v14, s[72:73]
	v_cndmask_b32_e32 v50, 0, v137, vcc
	v_fmac_f32_e32 v50, v8, v147
	v_exp_f32_e32 v50, v50
	v_cndmask_b32_e32 v51, 1.0, v138, vcc
	v_readlane_b32 s10, v167, 40
	v_readlane_b32 s11, v167, 41
	v_mul_f32_e32 v50, v50, v51
	v_cndmask_b32_e64 v128, 1.0, v50, s[74:75]
	v_mul_f32_e32 v50, v8, v148
	v_cmp_gt_f32_e32 vcc, s33, v50
	s_nop 1
	v_cndmask_b32_e32 v50, 0, v137, vcc
	v_fmac_f32_e32 v50, v8, v148
	v_exp_f32_e32 v50, v50
	v_cndmask_b32_e32 v51, 1.0, v138, vcc
	v_mul_f32_e32 v51, v50, v51
	v_cndmask_b32_e64 v129, 1.0, v51, s[76:77]
	v_mul_f32_e32 v51, v8, v149
	v_cmp_gt_f32_e32 vcc, s33, v51
	v_mul_f32_e32 v50, v158, v55
	v_cndmask_b32_e64 v50, 0, v50, s[76:77]
	v_cndmask_b32_e32 v51, 0, v137, vcc
	v_fmac_f32_e32 v51, v8, v149
	v_exp_f32_e32 v51, v51
	v_cndmask_b32_e32 v52, 1.0, v138, vcc
	v_mul_f32_e32 v52, v51, v52
	v_cndmask_b32_e64 v130, 1.0, v52, s[78:79]
	v_mul_f32_e32 v52, v8, v150
	v_cmp_gt_f32_e32 vcc, s33, v52
	v_mul_f32_e32 v51, v157, v56
	v_cndmask_b32_e64 v51, 0, v51, s[78:79]
	;; [unrolled: 10-line block ×4, first 2 shown]
	v_cndmask_b32_e32 v52, 0, v137, vcc
	v_fmac_f32_e32 v52, v8, v152
	v_exp_f32_e32 v52, v52
	v_cndmask_b32_e32 v53, 1.0, v138, vcc
	v_mul_f32_e32 v53, v52, v53
	v_mul_f32_e32 v52, v154, v60
	v_cndmask_b32_e64 v60, 1.0, v53, s[84:85]
	v_mul_f32_e32 v53, v8, v153
	v_cmp_gt_f32_e32 vcc, s33, v53
	v_cndmask_b32_e64 v52, 0, v52, s[84:85]
	s_nop 0
	v_cndmask_b32_e32 v53, 0, v137, vcc
	v_fmac_f32_e32 v53, v8, v153
	v_cndmask_b32_e32 v56, 1.0, v138, vcc
	v_mul_f32_e32 v8, v16, v64
	v_cmp_gt_f32_e32 vcc, s33, v62
	v_cndmask_b32_e64 v57, 0, v8, s[90:91]
	v_exp_f32_e32 v53, v53
	v_cndmask_b32_e32 v8, 0, v137, vcc
	v_add_f32_e32 v8, v62, v8
	v_exp_f32_e32 v8, v8
	v_cndmask_b32_e32 v59, 1.0, v138, vcc
	v_cmp_gt_f32_e32 vcc, s33, v63
	v_mul_f32_e32 v56, v53, v56
	v_mul_f32_e32 v8, v8, v59
	v_cndmask_b32_e32 v59, 0, v137, vcc
	v_add_f32_e32 v59, v63, v59
	v_exp_f32_e32 v59, v59
	v_mul_f32_e32 v53, v23, v61
	v_cndmask_b32_e32 v61, 1.0, v138, vcc
	v_cndmask_b32_e64 v62, 1.0, v8, s[90:91]
	v_mul_f32_e32 v61, v59, v61
	v_cndmask_b32_e64 v59, 0, v58, s[88:89]
	v_mul_f32_e32 v8, v122, v121
	v_fma_f32 v58, v122, v120, v9
	v_mul_f32_e32 v8, v8, v123
	v_fma_f32 v58, v58, v123, v10
	;; [unrolled: 2-line block ×11, first 2 shown]
	v_cndmask_b32_e64 v53, 0, v53, s[86:87]
	v_cndmask_b32_e64 v56, 1.0, v56, s[86:87]
	v_fma_f32 v8, v8, v60, v52
	v_cndmask_b32_e64 v63, 1.0, v61, s[88:89]
	v_fma_f32 v65, v8, v56, v53
	v_mov_b32_e32 v61, v62
	v_pk_mul_f32 v[70:71], v[64:65], v[60:61]
	v_pk_fma_f32 v[64:65], v[64:65], v[60:61], v[56:57]
	v_pk_mul_f32 v[70:71], v[70:71], v[56:57]
	v_mov_b32_e32 v66, v63
	v_mov_b32_e32 v71, v65
	;; [unrolled: 1-line block ×3, first 2 shown]
	v_pk_mul_f32 v[64:65], v[70:71], v[62:63]
	v_mov_b32_e32 v58, v63
	v_pk_mul_f32 v[66:67], v[64:65], v[66:67]
	v_pk_fma_f32 v[64:65], v[70:71], v[62:63], v[58:59]
	s_nop 0
	v_mov_b32_dpp v8, v66 row_shr:1 row_mask:0xf bank_mask:0xf
	v_mov_b32_dpp v58, v65 row_shr:1 row_mask:0xf bank_mask:0xf
	v_mul_f32_e32 v61, v66, v8
	v_fma_f32 v58, v66, v58, v65
	v_cndmask_b32_e64 v64, v61, v66, s[0:1]
	v_cndmask_b32_e64 v67, v58, v65, s[0:1]
	v_cndmask_b32_e64 v66, v61, v66, s[0:1]
	v_cndmask_b32_e64 v8, v58, v65, s[0:1]
	v_mov_b32_dpp v61, v67 row_shr:2 row_mask:0xf bank_mask:0xf
	v_mov_b32_dpp v58, v66 row_shr:2 row_mask:0xf bank_mask:0xf
	s_and_saveexec_b64 s[2:3], s[10:11]
; %bb.181:                              ;   in Loop: Header=BB58_110 Depth=2
	v_fmac_f32_e32 v67, v66, v61
	v_mul_f32_e32 v66, v66, v58
	v_mov_b32_e32 v64, v66
	v_mov_b32_e32 v8, v67
; %bb.182:                              ;   in Loop: Header=BB58_110 Depth=2
	s_or_b64 exec, exec, s[2:3]
	v_readlane_b32 s10, v167, 42
	v_mov_b32_dpp v58, v66 row_shr:4 row_mask:0xf bank_mask:0xf
	v_mov_b32_dpp v61, v67 row_shr:4 row_mask:0xf bank_mask:0xf
	v_readlane_b32 s11, v167, 43
	s_and_saveexec_b64 s[2:3], s[10:11]
; %bb.183:                              ;   in Loop: Header=BB58_110 Depth=2
	v_fmac_f32_e32 v67, v66, v61
	v_mul_f32_e32 v66, v66, v58
	v_mov_b32_e32 v64, v66
	v_mov_b32_e32 v8, v67
; %bb.184:                              ;   in Loop: Header=BB58_110 Depth=2
	s_or_b64 exec, exec, s[2:3]
	v_readlane_b32 s10, v167, 44
	v_mov_b32_dpp v58, v66 row_shr:8 row_mask:0xf bank_mask:0xf
	v_mov_b32_dpp v61, v67 row_shr:8 row_mask:0xf bank_mask:0xf
	v_readlane_b32 s11, v167, 45
	s_and_saveexec_b64 s[2:3], s[10:11]
; %bb.185:                              ;   in Loop: Header=BB58_110 Depth=2
	v_fmac_f32_e32 v67, v66, v61
	v_mul_f32_e32 v66, v66, v58
	v_mov_b32_e32 v64, v66
	v_mov_b32_e32 v8, v67
; %bb.186:                              ;   in Loop: Header=BB58_110 Depth=2
	s_or_b64 exec, exec, s[2:3]
	v_readlane_b32 s10, v167, 46
	v_mov_b32_dpp v58, v66 row_bcast:15 row_mask:0xf bank_mask:0xf
	v_mov_b32_dpp v61, v67 row_bcast:15 row_mask:0xf bank_mask:0xf
	v_readlane_b32 s11, v167, 47
	s_and_saveexec_b64 s[2:3], s[10:11]
; %bb.187:                              ;   in Loop: Header=BB58_110 Depth=2
	v_fmac_f32_e32 v67, v66, v61
	v_mul_f32_e32 v66, v66, v58
	v_mov_b32_e32 v64, v66
	v_mov_b32_e32 v8, v67
; %bb.188:                              ;   in Loop: Header=BB58_110 Depth=2
	s_or_b64 exec, exec, s[2:3]
	v_readlane_b32 s10, v167, 48
	v_mov_b32_dpp v61, v66 row_bcast:31 row_mask:0xf bank_mask:0xf
	v_mov_b32_dpp v58, v67 row_bcast:31 row_mask:0xf bank_mask:0xf
	v_readlane_b32 s11, v167, 49
	s_and_saveexec_b64 s[2:3], s[10:11]
; %bb.189:                              ;   in Loop: Header=BB58_110 Depth=2
	v_fmac_f32_e32 v67, v66, v58
	v_mul_f32_e32 v64, v66, v61
	v_mov_b32_e32 v65, v67
	v_mov_b32_e32 v8, v67
	v_mov_b64_e32 v[66:67], v[64:65]
; %bb.190:                              ;   in Loop: Header=BB58_110 Depth=2
	s_or_b64 exec, exec, s[2:3]
	v_readlane_b32 s10, v167, 50
	v_readlane_b32 s11, v167, 51
	s_and_saveexec_b64 s[2:3], s[10:11]
	s_cbranch_execz .LBB58_192
; %bb.191:                              ;   in Loop: Header=BB58_110 Depth=2
	ds_write_b64 v117, v[66:67] offset:8448
.LBB58_192:                             ;   in Loop: Header=BB58_110 Depth=2
	s_or_b64 exec, exec, s[2:3]
	v_readlane_b32 s10, v167, 52
	v_readlane_b32 s11, v167, 53
	s_waitcnt lgkmcnt(0)
	s_barrier
	s_and_saveexec_b64 s[2:3], s[10:11]
	s_cbranch_execz .LBB58_194
; %bb.193:                              ;   in Loop: Header=BB58_110 Depth=2
	ds_read_b64 v[66:67], v118 offset:8448
	v_readlane_b32 s10, v167, 54
	v_readlane_b32 s11, v167, 55
	s_waitcnt lgkmcnt(0)
	v_mov_b32_dpp v58, v66 row_shr:1 row_mask:0xf bank_mask:0xf
	v_mov_b32_dpp v61, v67 row_shr:1 row_mask:0xf bank_mask:0xf
	v_fma_f32 v61, v66, v61, v67
	v_mul_f32_e32 v58, v66, v58
	v_cndmask_b32_e64 v66, v58, v66, s[10:11]
	v_cndmask_b32_e64 v67, v61, v67, s[10:11]
	ds_write_b64 v118, v[66:67] offset:8448
.LBB58_194:                             ;   in Loop: Header=BB58_110 Depth=2
	s_or_b64 exec, exec, s[2:3]
	s_waitcnt lgkmcnt(0)
	s_barrier
	s_waitcnt lgkmcnt(0)
                                        ; implicit-def: $vgpr66
	s_and_saveexec_b64 s[2:3], s[20:21]
	s_cbranch_execz .LBB58_196
; %bb.195:                              ;   in Loop: Header=BB58_110 Depth=2
	ds_read_b64 v[66:67], v117 offset:8440
	s_waitcnt lgkmcnt(0)
	v_mul_f32_e32 v58, v64, v66
	v_fmac_f32_e32 v8, v64, v67
	v_mov_b32_e32 v64, v58
.LBB58_196:                             ;   in Loop: Header=BB58_110 Depth=2
	s_or_b64 exec, exec, s[2:3]
	ds_bpermute_b32 v58, v119, v64
	ds_bpermute_b32 v8, v119, v8
	v_readlane_b32 s10, v167, 56
	s_waitcnt vmcnt(0)
	v_mov_b32_e32 v65, v49
	v_readlane_b32 s11, v167, 57
	s_and_saveexec_b64 s[2:3], s[10:11]
	s_cbranch_execz .LBB58_200
; %bb.197:                              ;   in Loop: Header=BB58_110 Depth=2
	ds_read_b64 v[64:65], v17 offset:8456
	s_and_saveexec_b64 vcc, s[22:23]
	s_cbranch_execz .LBB58_199
; %bb.198:                              ;   in Loop: Header=BB58_110 Depth=2
	ds_write_b64 v17, v[48:49] offset:8456
.LBB58_199:                             ;   in Loop: Header=BB58_110 Depth=2
	s_or_b64 exec, exec, vcc
	s_waitcnt lgkmcnt(0)
	v_fmac_f32_e32 v65, v49, v64
	v_mul_f32_e32 v48, v48, v64
	v_mov_b32_e32 v49, v65
.LBB58_200:                             ;   in Loop: Header=BB58_110 Depth=2
	s_or_b64 exec, exec, s[2:3]
	s_waitcnt lgkmcnt(0)
	s_barrier
	ds_read_b32 v61, v17 offset:8460
	s_and_saveexec_b64 s[2:3], s[22:23]
	s_cbranch_execz .LBB58_109
; %bb.201:                              ;   in Loop: Header=BB58_110 Depth=2
	v_mov_b32_e32 v64, s9
	s_andn2_b64 vcc, exec, s[96:97]
	ds_write_b64 v64, v[48:49]
	s_cbranch_vccnz .LBB58_109
; %bb.202:                              ;   in Loop: Header=BB58_110 Depth=2
	s_mov_b32 s5, s7
	s_lshl_b64 s[10:11], s[4:5], 2
	v_readlane_b32 s5, v167, 28
	s_add_u32 s10, s5, s10
	v_readlane_b32 s5, v167, 29
	s_addc_u32 s11, s5, s11
	global_store_dword v17, v65, s[10:11]
	s_branch .LBB58_109
.LBB58_203:                             ;   in Loop: Header=BB58_13 Depth=1
	s_mov_b32 s6, 0x41a00000
	s_mov_b32 s10, 0x3fb8aa3b
	;; [unrolled: 1-line block ×8, first 2 shown]
.LBB58_204:                             ;   in Loop: Header=BB58_13 Depth=1
	v_bfe_u32 v0, v42, 16, 1
	s_movk_i32 s2, 0x7fff
	v_bfe_u32 v1, v43, 16, 1
	v_add3_u32 v0, v42, v0, s2
	v_bfe_u32 v2, v40, 16, 1
	v_add3_u32 v1, v43, v1, s2
	v_lshrrev_b32_e32 v0, 16, v0
	v_cmp_o_f32_e32 vcc, v42, v42
	v_bfe_u32 v3, v41, 16, 1
	v_add3_u32 v2, v40, v2, s2
	v_lshrrev_b32_e32 v1, 16, v1
	v_cndmask_b32_e32 v0, v139, v0, vcc
	v_cmp_o_f32_e32 vcc, v43, v43
	v_add3_u32 v3, v41, v3, s2
	v_lshrrev_b32_e32 v2, 16, v2
	v_cndmask_b32_e32 v4, v139, v1, vcc
	v_cmp_o_f32_e32 vcc, v40, v40
	v_lshrrev_b32_e32 v3, 16, v3
	v_bfe_u32 v6, v36, 16, 1
	v_cndmask_b32_e32 v1, v139, v2, vcc
	v_cmp_o_f32_e32 vcc, v41, v41
	v_bfe_u32 v2, v38, 16, 1
	v_add3_u32 v2, v38, v2, s2
	v_cndmask_b32_e32 v5, v139, v3, vcc
	v_bfe_u32 v3, v39, 16, 1
	v_add3_u32 v3, v39, v3, s2
	v_lshrrev_b32_e32 v2, 16, v2
	v_cmp_o_f32_e32 vcc, v38, v38
	v_bfe_u32 v7, v37, 16, 1
	v_add3_u32 v6, v36, v6, s2
	v_lshrrev_b32_e32 v3, 16, v3
	v_cndmask_b32_e32 v2, v139, v2, vcc
	v_cmp_o_f32_e32 vcc, v39, v39
	v_add3_u32 v7, v37, v7, s2
	v_lshrrev_b32_e32 v6, 16, v6
	v_cndmask_b32_e32 v8, v139, v3, vcc
	v_cmp_o_f32_e32 vcc, v36, v36
	v_lshrrev_b32_e32 v7, 16, v7
	s_mov_b32 s3, 0x5040100
	v_cndmask_b32_e32 v3, v139, v6, vcc
	v_cmp_o_f32_e32 vcc, v37, v37
	v_perm_b32 v2, v8, v2, s3
	v_perm_b32 v1, v5, v1, s3
	v_cndmask_b32_e32 v6, v139, v7, vcc
	v_perm_b32 v3, v6, v3, s3
	v_perm_b32 v0, v4, v0, s3
	s_barrier
	ds_write_b128 v100, v[0:3]
	v_bfe_u32 v0, v34, 16, 1
	v_bfe_u32 v1, v35, 16, 1
	v_add3_u32 v0, v34, v0, s2
	v_bfe_u32 v2, v32, 16, 1
	v_add3_u32 v1, v35, v1, s2
	v_lshrrev_b32_e32 v0, 16, v0
	v_cmp_o_f32_e32 vcc, v34, v34
	v_bfe_u32 v3, v33, 16, 1
	v_add3_u32 v2, v32, v2, s2
	v_lshrrev_b32_e32 v1, 16, v1
	v_cndmask_b32_e32 v0, v139, v0, vcc
	v_cmp_o_f32_e32 vcc, v35, v35
	v_add3_u32 v3, v33, v3, s2
	v_lshrrev_b32_e32 v2, 16, v2
	v_cndmask_b32_e32 v4, v139, v1, vcc
	v_cmp_o_f32_e32 vcc, v32, v32
	v_lshrrev_b32_e32 v3, 16, v3
	v_bfe_u32 v6, v28, 16, 1
	v_cndmask_b32_e32 v1, v139, v2, vcc
	v_cmp_o_f32_e32 vcc, v33, v33
	v_bfe_u32 v2, v30, 16, 1
	v_add3_u32 v2, v30, v2, s2
	v_cndmask_b32_e32 v5, v139, v3, vcc
	v_bfe_u32 v3, v31, 16, 1
	v_add3_u32 v3, v31, v3, s2
	v_lshrrev_b32_e32 v2, 16, v2
	v_cmp_o_f32_e32 vcc, v30, v30
	v_bfe_u32 v7, v29, 16, 1
	v_add3_u32 v6, v28, v6, s2
	v_lshrrev_b32_e32 v3, 16, v3
	v_cndmask_b32_e32 v2, v139, v2, vcc
	v_cmp_o_f32_e32 vcc, v31, v31
	v_add3_u32 v7, v29, v7, s2
	v_lshrrev_b32_e32 v6, 16, v6
	v_cndmask_b32_e32 v8, v139, v3, vcc
	v_cmp_o_f32_e32 vcc, v28, v28
	v_lshrrev_b32_e32 v7, 16, v7
	v_perm_b32 v2, v8, v2, s3
	v_cndmask_b32_e32 v3, v139, v6, vcc
	v_cmp_o_f32_e32 vcc, v29, v29
	v_perm_b32 v1, v5, v1, s3
	v_perm_b32 v0, v4, v0, s3
	v_cndmask_b32_e32 v6, v139, v7, vcc
	v_perm_b32 v3, v6, v3, s3
	ds_write_b128 v100, v[0:3] offset:16
	; wave barrier
	ds_read_u16 v16, v85 offset:128
	ds_read_u16 v15, v86 offset:256
	;; [unrolled: 1-line block ×15, first 2 shown]
	v_readlane_b32 s2, v167, 60
	v_readlane_b32 s3, v167, 61
	s_mov_b32 s3, s7
	s_nop 0
	v_lshl_add_u64 v[0:1], s[2:3], 1, v[20:21]
	s_and_saveexec_b64 s[2:3], s[26:27]
	s_cbranch_execz .LBB58_206
; %bb.205:                              ;   in Loop: Header=BB58_13 Depth=1
	ds_read_u16 v23, v84
	s_waitcnt lgkmcnt(0)
	global_store_short v[0:1], v23, off
.LBB58_206:                             ;   in Loop: Header=BB58_13 Depth=1
	s_or_b64 exec, exec, s[2:3]
	s_and_saveexec_b64 s[2:3], s[28:29]
	v_readlane_b32 s8, v167, 62
	v_readlane_b32 s9, v167, 63
	s_cbranch_execnz .LBB58_223
; %bb.207:                              ;   in Loop: Header=BB58_13 Depth=1
	s_or_b64 exec, exec, s[2:3]
	s_and_saveexec_b64 s[2:3], s[30:31]
	s_cbranch_execnz .LBB58_224
.LBB58_208:                             ;   in Loop: Header=BB58_13 Depth=1
	s_or_b64 exec, exec, s[2:3]
	s_and_saveexec_b64 s[2:3], s[34:35]
	s_cbranch_execnz .LBB58_225
.LBB58_209:                             ;   in Loop: Header=BB58_13 Depth=1
	s_or_b64 exec, exec, s[2:3]
	s_and_saveexec_b64 s[2:3], s[36:37]
	s_cbranch_execnz .LBB58_226
.LBB58_210:                             ;   in Loop: Header=BB58_13 Depth=1
	s_or_b64 exec, exec, s[2:3]
	s_and_saveexec_b64 s[2:3], s[38:39]
	s_cbranch_execnz .LBB58_227
.LBB58_211:                             ;   in Loop: Header=BB58_13 Depth=1
	s_or_b64 exec, exec, s[2:3]
	s_and_saveexec_b64 s[2:3], s[40:41]
	s_cbranch_execnz .LBB58_228
.LBB58_212:                             ;   in Loop: Header=BB58_13 Depth=1
	s_or_b64 exec, exec, s[2:3]
	s_and_saveexec_b64 s[2:3], s[42:43]
	s_cbranch_execnz .LBB58_229
.LBB58_213:                             ;   in Loop: Header=BB58_13 Depth=1
	s_or_b64 exec, exec, s[2:3]
	s_and_saveexec_b64 s[2:3], s[44:45]
	s_cbranch_execnz .LBB58_230
.LBB58_214:                             ;   in Loop: Header=BB58_13 Depth=1
	s_or_b64 exec, exec, s[2:3]
	s_and_saveexec_b64 s[2:3], s[46:47]
	s_cbranch_execnz .LBB58_231
.LBB58_215:                             ;   in Loop: Header=BB58_13 Depth=1
	s_or_b64 exec, exec, s[2:3]
	s_and_saveexec_b64 s[2:3], s[48:49]
	s_cbranch_execnz .LBB58_232
.LBB58_216:                             ;   in Loop: Header=BB58_13 Depth=1
	s_or_b64 exec, exec, s[2:3]
	s_and_saveexec_b64 s[2:3], s[50:51]
	s_cbranch_execnz .LBB58_233
.LBB58_217:                             ;   in Loop: Header=BB58_13 Depth=1
	s_or_b64 exec, exec, s[2:3]
	s_and_saveexec_b64 s[2:3], s[52:53]
	s_cbranch_execnz .LBB58_234
.LBB58_218:                             ;   in Loop: Header=BB58_13 Depth=1
	s_or_b64 exec, exec, s[2:3]
	s_and_saveexec_b64 s[2:3], s[54:55]
	s_cbranch_execnz .LBB58_235
.LBB58_219:                             ;   in Loop: Header=BB58_13 Depth=1
	s_or_b64 exec, exec, s[2:3]
	s_and_saveexec_b64 s[2:3], s[56:57]
	s_cbranch_execnz .LBB58_236
.LBB58_220:                             ;   in Loop: Header=BB58_13 Depth=1
	s_or_b64 exec, exec, s[2:3]
	s_and_saveexec_b64 s[2:3], s[58:59]
	s_cbranch_execz .LBB58_12
	s_branch .LBB58_237
.LBB58_221:                             ;   in Loop: Header=BB58_13 Depth=1
	global_load_ushort v32, v[8:9], off offset:1664
	s_or_b64 exec, exec, s[2:3]
	s_and_saveexec_b64 s[2:3], s[56:57]
	s_cbranch_execz .LBB58_73
.LBB58_222:                             ;   in Loop: Header=BB58_13 Depth=1
	global_load_ushort v31, v[8:9], off offset:1792
	s_or_b64 exec, exec, s[2:3]
	v_mov_b32_e32 v33, 0
	s_and_saveexec_b64 s[2:3], s[58:59]
	s_cbranch_execnz .LBB58_74
	s_branch .LBB58_75
.LBB58_223:                             ;   in Loop: Header=BB58_13 Depth=1
	s_waitcnt lgkmcnt(14)
	global_store_short v[0:1], v16, off offset:128
	s_or_b64 exec, exec, s[2:3]
	s_and_saveexec_b64 s[2:3], s[30:31]
	s_cbranch_execz .LBB58_208
.LBB58_224:                             ;   in Loop: Header=BB58_13 Depth=1
	s_waitcnt lgkmcnt(13)
	global_store_short v[0:1], v15, off offset:256
	s_or_b64 exec, exec, s[2:3]
	s_and_saveexec_b64 s[2:3], s[34:35]
	s_cbranch_execz .LBB58_209
.LBB58_225:                             ;   in Loop: Header=BB58_13 Depth=1
	s_waitcnt lgkmcnt(12)
	global_store_short v[0:1], v14, off offset:384
	s_or_b64 exec, exec, s[2:3]
	s_and_saveexec_b64 s[2:3], s[36:37]
	s_cbranch_execz .LBB58_210
.LBB58_226:                             ;   in Loop: Header=BB58_13 Depth=1
	s_waitcnt lgkmcnt(11)
	global_store_short v[0:1], v13, off offset:512
	s_or_b64 exec, exec, s[2:3]
	s_and_saveexec_b64 s[2:3], s[38:39]
	s_cbranch_execz .LBB58_211
.LBB58_227:                             ;   in Loop: Header=BB58_13 Depth=1
	s_waitcnt lgkmcnt(10)
	global_store_short v[0:1], v12, off offset:640
	s_or_b64 exec, exec, s[2:3]
	s_and_saveexec_b64 s[2:3], s[40:41]
	s_cbranch_execz .LBB58_212
.LBB58_228:                             ;   in Loop: Header=BB58_13 Depth=1
	s_waitcnt lgkmcnt(9)
	global_store_short v[0:1], v11, off offset:768
	s_or_b64 exec, exec, s[2:3]
	s_and_saveexec_b64 s[2:3], s[42:43]
	s_cbranch_execz .LBB58_213
.LBB58_229:                             ;   in Loop: Header=BB58_13 Depth=1
	s_waitcnt lgkmcnt(8)
	global_store_short v[0:1], v10, off offset:896
	s_or_b64 exec, exec, s[2:3]
	s_and_saveexec_b64 s[2:3], s[44:45]
	s_cbranch_execz .LBB58_214
.LBB58_230:                             ;   in Loop: Header=BB58_13 Depth=1
	s_waitcnt lgkmcnt(7)
	global_store_short v[0:1], v9, off offset:1024
	s_or_b64 exec, exec, s[2:3]
	s_and_saveexec_b64 s[2:3], s[46:47]
	s_cbranch_execz .LBB58_215
.LBB58_231:                             ;   in Loop: Header=BB58_13 Depth=1
	s_waitcnt lgkmcnt(6)
	global_store_short v[0:1], v8, off offset:1152
	s_or_b64 exec, exec, s[2:3]
	s_and_saveexec_b64 s[2:3], s[48:49]
	s_cbranch_execz .LBB58_216
.LBB58_232:                             ;   in Loop: Header=BB58_13 Depth=1
	s_waitcnt lgkmcnt(5)
	global_store_short v[0:1], v7, off offset:1280
	s_or_b64 exec, exec, s[2:3]
	s_and_saveexec_b64 s[2:3], s[50:51]
	s_cbranch_execz .LBB58_217
.LBB58_233:                             ;   in Loop: Header=BB58_13 Depth=1
	s_waitcnt lgkmcnt(4)
	global_store_short v[0:1], v6, off offset:1408
	s_or_b64 exec, exec, s[2:3]
	s_and_saveexec_b64 s[2:3], s[52:53]
	s_cbranch_execz .LBB58_218
.LBB58_234:                             ;   in Loop: Header=BB58_13 Depth=1
	s_waitcnt lgkmcnt(3)
	global_store_short v[0:1], v5, off offset:1536
	s_or_b64 exec, exec, s[2:3]
	s_and_saveexec_b64 s[2:3], s[54:55]
	s_cbranch_execz .LBB58_219
.LBB58_235:                             ;   in Loop: Header=BB58_13 Depth=1
	s_waitcnt lgkmcnt(2)
	global_store_short v[0:1], v4, off offset:1664
	s_or_b64 exec, exec, s[2:3]
	s_and_saveexec_b64 s[2:3], s[56:57]
	s_cbranch_execz .LBB58_220
.LBB58_236:                             ;   in Loop: Header=BB58_13 Depth=1
	s_waitcnt lgkmcnt(1)
	global_store_short v[0:1], v3, off offset:1792
	s_or_b64 exec, exec, s[2:3]
	s_and_saveexec_b64 s[2:3], s[58:59]
	s_cbranch_execz .LBB58_12
.LBB58_237:                             ;   in Loop: Header=BB58_13 Depth=1
	s_waitcnt lgkmcnt(0)
	global_store_short v[0:1], v2, off offset:1920
	s_branch .LBB58_12
.LBB58_238:
	s_endpgm
	.section	.rodata,"a",@progbits
	.p2align	6, 0x0
	.amdhsa_kernel _Z25selective_scan_fwd_kernelI32Selective_Scan_fwd_kernel_traitsILi128ELi16ELi1ELb1ELb1ELb1ELb0ELb1EN3c108BFloat16EffEEv13SSMParamsBase
		.amdhsa_group_segment_fixed_size 0
		.amdhsa_private_segment_fixed_size 0
		.amdhsa_kernarg_size 248
		.amdhsa_user_sgpr_count 2
		.amdhsa_user_sgpr_dispatch_ptr 0
		.amdhsa_user_sgpr_queue_ptr 0
		.amdhsa_user_sgpr_kernarg_segment_ptr 1
		.amdhsa_user_sgpr_dispatch_id 0
		.amdhsa_user_sgpr_kernarg_preload_length 0
		.amdhsa_user_sgpr_kernarg_preload_offset 0
		.amdhsa_user_sgpr_private_segment_size 0
		.amdhsa_uses_dynamic_stack 0
		.amdhsa_enable_private_segment 0
		.amdhsa_system_sgpr_workgroup_id_x 1
		.amdhsa_system_sgpr_workgroup_id_y 1
		.amdhsa_system_sgpr_workgroup_id_z 0
		.amdhsa_system_sgpr_workgroup_info 0
		.amdhsa_system_vgpr_workitem_id 0
		.amdhsa_next_free_vgpr 168
		.amdhsa_next_free_sgpr 100
		.amdhsa_accum_offset 168
		.amdhsa_reserve_vcc 1
		.amdhsa_float_round_mode_32 0
		.amdhsa_float_round_mode_16_64 0
		.amdhsa_float_denorm_mode_32 3
		.amdhsa_float_denorm_mode_16_64 3
		.amdhsa_dx10_clamp 1
		.amdhsa_ieee_mode 1
		.amdhsa_fp16_overflow 0
		.amdhsa_tg_split 0
		.amdhsa_exception_fp_ieee_invalid_op 0
		.amdhsa_exception_fp_denorm_src 0
		.amdhsa_exception_fp_ieee_div_zero 0
		.amdhsa_exception_fp_ieee_overflow 0
		.amdhsa_exception_fp_ieee_underflow 0
		.amdhsa_exception_fp_ieee_inexact 0
		.amdhsa_exception_int_div_zero 0
	.end_amdhsa_kernel
	.section	.text._Z25selective_scan_fwd_kernelI32Selective_Scan_fwd_kernel_traitsILi128ELi16ELi1ELb1ELb1ELb1ELb0ELb1EN3c108BFloat16EffEEv13SSMParamsBase,"axG",@progbits,_Z25selective_scan_fwd_kernelI32Selective_Scan_fwd_kernel_traitsILi128ELi16ELi1ELb1ELb1ELb1ELb0ELb1EN3c108BFloat16EffEEv13SSMParamsBase,comdat
.Lfunc_end58:
	.size	_Z25selective_scan_fwd_kernelI32Selective_Scan_fwd_kernel_traitsILi128ELi16ELi1ELb1ELb1ELb1ELb0ELb1EN3c108BFloat16EffEEv13SSMParamsBase, .Lfunc_end58-_Z25selective_scan_fwd_kernelI32Selective_Scan_fwd_kernel_traitsILi128ELi16ELi1ELb1ELb1ELb1ELb0ELb1EN3c108BFloat16EffEEv13SSMParamsBase
                                        ; -- End function
	.section	.AMDGPU.csdata,"",@progbits
; Kernel info:
; codeLenInByte = 20804
; NumSgprs: 106
; NumVgprs: 168
; NumAgprs: 0
; TotalNumVgprs: 168
; ScratchSize: 0
; MemoryBound: 0
; FloatMode: 240
; IeeeMode: 1
; LDSByteSize: 0 bytes/workgroup (compile time only)
; SGPRBlocks: 13
; VGPRBlocks: 20
; NumSGPRsForWavesPerEU: 106
; NumVGPRsForWavesPerEU: 168
; AccumOffset: 168
; Occupancy: 3
; WaveLimiterHint : 1
; COMPUTE_PGM_RSRC2:SCRATCH_EN: 0
; COMPUTE_PGM_RSRC2:USER_SGPR: 2
; COMPUTE_PGM_RSRC2:TRAP_HANDLER: 0
; COMPUTE_PGM_RSRC2:TGID_X_EN: 1
; COMPUTE_PGM_RSRC2:TGID_Y_EN: 1
; COMPUTE_PGM_RSRC2:TGID_Z_EN: 0
; COMPUTE_PGM_RSRC2:TIDIG_COMP_CNT: 0
; COMPUTE_PGM_RSRC3_GFX90A:ACCUM_OFFSET: 41
; COMPUTE_PGM_RSRC3_GFX90A:TG_SPLIT: 0
	.section	.text._Z25selective_scan_fwd_kernelI32Selective_Scan_fwd_kernel_traitsILi128ELi16ELi1ELb1ELb1ELb1ELb0ELb0EN3c108BFloat16EffEEv13SSMParamsBase,"axG",@progbits,_Z25selective_scan_fwd_kernelI32Selective_Scan_fwd_kernel_traitsILi128ELi16ELi1ELb1ELb1ELb1ELb0ELb0EN3c108BFloat16EffEEv13SSMParamsBase,comdat
	.protected	_Z25selective_scan_fwd_kernelI32Selective_Scan_fwd_kernel_traitsILi128ELi16ELi1ELb1ELb1ELb1ELb0ELb0EN3c108BFloat16EffEEv13SSMParamsBase ; -- Begin function _Z25selective_scan_fwd_kernelI32Selective_Scan_fwd_kernel_traitsILi128ELi16ELi1ELb1ELb1ELb1ELb0ELb0EN3c108BFloat16EffEEv13SSMParamsBase
	.globl	_Z25selective_scan_fwd_kernelI32Selective_Scan_fwd_kernel_traitsILi128ELi16ELi1ELb1ELb1ELb1ELb0ELb0EN3c108BFloat16EffEEv13SSMParamsBase
	.p2align	8
	.type	_Z25selective_scan_fwd_kernelI32Selective_Scan_fwd_kernel_traitsILi128ELi16ELi1ELb1ELb1ELb1ELb0ELb0EN3c108BFloat16EffEEv13SSMParamsBase,@function
_Z25selective_scan_fwd_kernelI32Selective_Scan_fwd_kernel_traitsILi128ELi16ELi1ELb1ELb1ELb1ELb0ELb0EN3c108BFloat16EffEEv13SSMParamsBase: ; @_Z25selective_scan_fwd_kernelI32Selective_Scan_fwd_kernel_traitsILi128ELi16ELi1ELb1ELb1ELb1ELb0ELb0EN3c108BFloat16EffEEv13SSMParamsBase
; %bb.0:
	s_load_dword s25, s[0:1], 0x18
	s_load_dwordx4 s[4:7], s[0:1], 0xe8
	s_mov_b32 s20, s3
                                        ; implicit-def: $vgpr156 : SGPR spill to VGPR lane
	s_waitcnt lgkmcnt(0)
	s_abs_i32 s24, s25
	v_cvt_f32_u32_e32 v1, s24
	s_cmp_eq_u64 s[6:7], 0
	v_rcp_iflag_f32_e32 v1, v1
	s_nop 0
	v_mul_f32_e32 v1, 0x4f7ffffe, v1
	v_cvt_u32_f32_e32 v1, v1
	s_nop 0
	v_readfirstlane_b32 s26, v1
	s_cbranch_scc1 .LBB59_2
; %bb.1:
	s_ashr_i32 s3, s2, 31
	s_add_u32 s6, s6, s2
	s_addc_u32 s7, s7, s3
	v_mov_b32_e32 v1, 0
	global_load_ubyte v1, v1, s[6:7]
	s_waitcnt vmcnt(0)
	v_and_b32_e32 v1, 1, v1
	v_cmp_eq_u32_e64 s[6:7], 1, v1
	s_branch .LBB59_3
.LBB59_2:
	s_mov_b64 s[6:7], 0
.LBB59_3:
	s_nop 0
	v_writelane_b32 v156, s6, 0
	s_cmp_eq_u64 s[4:5], 0
	s_nop 0
	v_writelane_b32 v156, s7, 1
	s_load_dwordx2 s[6:7], s[0:1], 0x20
	s_cbranch_scc1 .LBB59_5
; %bb.4:
	s_ashr_i32 s3, s2, 31
	s_lshl_b64 s[8:9], s[2:3], 2
	s_add_u32 s4, s4, s8
	s_addc_u32 s5, s5, s9
	s_load_dword s22, s[4:5], 0x0
	s_waitcnt lgkmcnt(0)
	s_ashr_i32 s23, s22, 31
	s_cmp_eq_u64 s[6:7], s[22:23]
	s_cbranch_scc0 .LBB59_6
	s_branch .LBB59_86
.LBB59_5:
	s_mov_b32 s22, s2
	s_ashr_i32 s23, s22, 31
	s_waitcnt lgkmcnt(0)
	s_cmp_eq_u64 s[6:7], s[22:23]
	s_cbranch_scc1 .LBB59_86
.LBB59_6:
	s_load_dwordx16 s[36:51], s[0:1], 0x88
	s_load_dwordx2 s[30:31], s[0:1], 0x8
	s_mov_b32 s33, 0
	s_mov_b32 s80, 0
	s_waitcnt lgkmcnt(0)
	s_cmp_eq_u64 s[42:43], 0
	s_cbranch_scc1 .LBB59_8
; %bb.7:
	s_ashr_i32 s21, s20, 31
	s_lshl_b64 s[28:29], s[20:21], 2
	s_add_u32 s10, s42, s28
	s_addc_u32 s11, s43, s29
	s_load_dword s80, s[10:11], 0x0
.LBB59_8:
	s_cmp_eq_u64 s[48:49], 0
	s_cbranch_scc1 .LBB59_10
; %bb.9:
	s_ashr_i32 s21, s20, 31
	s_lshl_b64 s[10:11], s[20:21], 2
	s_add_u32 s10, s48, s10
	s_addc_u32 s11, s49, s11
	s_load_dword s33, s[10:11], 0x0
.LBB59_10:
	s_cmp_lt_i32 s30, 1
	s_cbranch_scc1 .LBB59_86
; %bb.11:
	s_sub_i32 s3, 0, s24
	s_mul_i32 s3, s3, s26
	s_mul_hi_u32 s3, s26, s3
	s_abs_i32 s21, s20
	s_add_i32 s3, s26, s3
	s_load_dwordx8 s[52:59], s[0:1], 0x2c
	s_load_dwordx2 s[16:17], s[0:1], 0x5c
	s_load_dwordx4 s[72:75], s[0:1], 0x4c
	s_load_dwordx4 s[64:67], s[0:1], 0x7c
	s_load_dwordx2 s[6:7], s[0:1], 0x6c
	s_load_dwordx2 s[26:27], s[0:1], 0xc8
	s_mul_hi_u32 s3, s21, s3
	s_load_dword s23, s[0:1], 0x28
	s_ashr_i32 s0, s20, 31
	s_ashr_i32 s1, s25, 31
	s_xor_b32 s0, s0, s1
	s_mul_i32 s1, s3, s24
	s_sub_i32 s1, s21, s1
	s_add_i32 s21, s3, 1
	s_sub_i32 s25, s1, s24
	s_cmp_ge_u32 s1, s24
	s_cselect_b32 s3, s21, s3
	s_cselect_b32 s1, s25, s1
	s_add_i32 s21, s3, 1
	s_cmp_ge_u32 s1, s24
	s_cselect_b32 s1, s21, s3
	s_xor_b32 s1, s1, s0
	s_waitcnt lgkmcnt(0)
	s_mul_i32 s82, s74, s2
	s_mov_b32 s83, 0
	s_sub_i32 s3, s1, s0
	s_lshl_b64 s[0:1], s[82:83], 1
	s_add_u32 s12, s44, s0
	s_mul_i32 s82, s75, s20
	s_addc_u32 s13, s45, s1
	s_lshl_b64 s[0:1], s[82:83], 1
	s_add_u32 s78, s12, s0
	s_mul_i32 s82, s16, s2
	s_addc_u32 s79, s13, s1
	;; [unrolled: 4-line block ×6, first 2 shown]
	s_lshl_b64 s[0:1], s[82:83], 1
	s_add_u32 s0, s4, s0
	s_addc_u32 s1, s5, s1
	v_writelane_b32 v156, s0, 2
	s_mul_i32 s82, s58, s2
	v_mbcnt_lo_u32_b32 v1, -1, 0
	v_writelane_b32 v156, s1, 3
	s_lshl_b64 s[0:1], s[82:83], 1
	s_add_u32 s4, s40, s0
	s_mul_i32 s82, s3, s73
	s_addc_u32 s5, s41, s1
	s_lshl_b64 s[0:1], s[82:83], 1
	s_add_u32 s74, s4, s0
	s_mul_i32 s82, s22, s64
	s_addc_u32 s75, s5, s1
	;; [unrolled: 4-line block ×3, first 2 shown]
	s_lshl_b64 s[0:1], s[82:83], 2
	s_add_u32 s69, s3, s0
	v_mbcnt_hi_u32_b32 v4, -1, v1
	v_lshlrev_b32_e32 v1, 1, v0
	s_addc_u32 s81, s4, s1
	s_add_i32 s0, s30, 0x7ff
	v_and_b32_e32 v2, 0x80, v1
	s_lshr_b32 s8, s0, 11
	v_or_b32_e32 v1, v4, v2
	s_movk_i32 s0, 0x100
	v_cmp_gt_u32_e64 s[4:5], s0, v1
	v_add_u32_e32 v3, 64, v1
	v_cmp_gt_u32_e64 s[0:1], s0, v3
	v_writelane_b32 v156, s4, 4
	s_bitcmp1_b32 s23, 0
	v_lshrrev_b32_e32 v5, 5, v1
	v_writelane_b32 v156, s5, 5
	v_writelane_b32 v156, s0, 6
	v_lshrrev_b32_e32 v3, 5, v3
	s_cselect_b64 s[88:89], -1, 0
	s_cmp_gt_i32 s31, 0
	v_writelane_b32 v156, s1, 7
	v_add_u32_e32 v5, v5, v1
	v_add_lshl_u32 v1, v3, v1, 4
	v_and_b32_e32 v3, 64, v0
	s_cselect_b64 s[0:1], -1, 0
	v_lshl_add_u32 v84, v5, 4, 0
	v_add_u32_e32 v5, v4, v3
	v_writelane_b32 v156, s0, 8
	v_lshlrev_b32_e32 v6, 1, v5
	v_bfe_u32 v5, v5, 4, 27
	v_writelane_b32 v156, s1, 9
	v_add_lshl_u32 v5, v5, v6, 4
	s_add_i32 s0, 0, 0x1080
	v_writelane_b32 v156, s30, 10
	v_add_u32_e32 v87, s0, v1
	v_add_u32_e32 v88, s0, v5
	v_writelane_b32 v156, s31, 11
	s_add_i32 s0, s8, -1
	s_mul_i32 s82, s6, s2
	s_and_b32 s3, s30, 0x7ff
	v_writelane_b32 v156, s0, 12
	s_lshl_b64 s[0:1], s[82:83], 1
	s_add_u32 s2, s50, s0
	s_mul_i32 s82, s7, s20
	s_addc_u32 s4, s51, s1
	s_lshl_b64 s[0:1], s[82:83], 1
	v_add_u32_e32 v85, 0, v1
	s_add_u32 s0, s2, s0
	v_and_b32_e32 v1, 15, v4
	s_addc_u32 s1, s4, s1
	v_cmp_eq_u32_e64 s[4:5], 0, v1
	v_cmp_lt_u32_e64 s[6:7], 1, v1
	v_cmp_lt_u32_e64 s[10:11], 3, v1
	;; [unrolled: 1-line block ×3, first 2 shown]
	v_and_b32_e32 v1, 16, v4
	v_cmp_ne_u32_e64 s[92:93], 0, v1
	v_or_b32_e32 v1, 63, v3
	v_cmp_eq_u32_e64 s[16:17], v1, v0
	v_lshrrev_b32_e32 v1, 3, v0
	v_and_b32_e32 v1, 8, v1
	v_add_u32_e32 v90, 0, v1
	v_and_b32_e32 v1, 1, v4
	s_cmp_eq_u32 s3, 0
	v_cmp_eq_u32_e64 s[20:21], 0, v1
	v_add_u32_e32 v1, -1, v4
	v_and_b32_e32 v3, 64, v4
	v_mov_b32_e32 v35, 0
	s_cselect_b64 s[2:3], -1, 0
	v_cmp_lt_i32_e32 vcc, v1, v3
	v_lshlrev_b32_e32 v34, 4, v4
	v_writelane_b32 v156, s2, 13
	v_lshlrev_b32_e32 v89, 4, v0
	v_cndmask_b32_e32 v1, v1, v4, vcc
	v_lshl_add_u64 v[6:7], s[0:1], 0, v[34:35]
	v_lshlrev_b32_e32 v34, 4, v2
	v_lshlrev_b32_e32 v38, 4, v2
	s_mov_b32 s9, s53
	s_mov_b32 s12, s56
	v_add_u32_e32 v86, 0, v5
	v_writelane_b32 v156, s3, 14
	v_cmp_lt_u32_e64 s[70:71], 31, v4
	v_cmp_gt_u32_e64 s[18:19], 2, v0
	v_lshl_add_u32 v91, v0, 3, 0
	v_cmp_gt_u32_e64 s[22:23], 64, v0
	v_lshlrev_b32_e32 v92, 2, v1
	v_lshl_add_u64 v[36:37], v[6:7], 0, v[34:35]
	v_or_b32_e32 v93, 1, v89
	v_or_b32_e32 v94, 2, v89
	;; [unrolled: 1-line block ×15, first 2 shown]
	v_lshlrev_b32_e32 v34, 4, v4
	v_mov_b32_e32 v108, 0x3ecc95a3
	s_add_i32 s0, 0, 0x2110
	s_mov_b32 s65, 0xc2fc0000
	v_mov_b32_e32 v40, v38
	v_mov_b32_e32 v41, v35
	;; [unrolled: 1-line block ×7, first 2 shown]
	s_mov_b32 s13, 0
	v_cmp_lt_u32_e64 s[24:25], 63, v0
	v_cmp_eq_u32_e64 s[26:27], 0, v0
	v_cmp_eq_u32_e64 s[28:29], 0, v4
                                        ; implicit-def: $vgpr1
	v_writelane_b32 v156, s0, 15
                                        ; implicit-def: $vgpr10_vgpr11
                                        ; implicit-def: $vgpr2_vgpr3
                                        ; implicit-def: $vgpr14_vgpr15
                                        ; implicit-def: $vgpr6_vgpr7
	s_branch .LBB59_14
.LBB59_12:                              ;   in Loop: Header=BB59_14 Depth=1
	s_mov_b32 s13, s34
.LBB59_13:                              ;   in Loop: Header=BB59_14 Depth=1
	v_bfe_u32 v0, v58, 16, 1
	s_movk_i32 s0, 0x7fff
	v_bfe_u32 v1, v59, 16, 1
	v_add3_u32 v0, v58, v0, s0
	v_bfe_u32 v18, v56, 16, 1
	v_add3_u32 v1, v59, v1, s0
	v_lshrrev_b32_e32 v0, 16, v0
	v_cmp_o_f32_e32 vcc, v58, v58
	v_bfe_u32 v19, v57, 16, 1
	v_add3_u32 v18, v56, v18, s0
	v_lshrrev_b32_e32 v1, 16, v1
	v_cndmask_b32_e32 v0, v112, v0, vcc
	v_cmp_o_f32_e32 vcc, v59, v59
	v_add3_u32 v19, v57, v19, s0
	v_lshrrev_b32_e32 v18, 16, v18
	v_cndmask_b32_e32 v1, v112, v1, vcc
	v_cmp_o_f32_e32 vcc, v56, v56
	v_bfe_u32 v20, v54, 16, 1
	v_lshrrev_b32_e32 v19, 16, v19
	v_cndmask_b32_e32 v18, v112, v18, vcc
	v_cmp_o_f32_e32 vcc, v57, v57
	v_bfe_u32 v21, v55, 16, 1
	v_add3_u32 v20, v54, v20, s0
	v_cndmask_b32_e32 v19, v112, v19, vcc
	v_bfe_u32 v22, v52, 16, 1
	v_add3_u32 v21, v55, v21, s0
	v_lshrrev_b32_e32 v20, 16, v20
	v_cmp_o_f32_e32 vcc, v54, v54
	v_bfe_u32 v23, v53, 16, 1
	v_add3_u32 v22, v52, v22, s0
	v_lshrrev_b32_e32 v21, 16, v21
	v_cndmask_b32_e32 v20, v112, v20, vcc
	v_cmp_o_f32_e32 vcc, v55, v55
	v_add3_u32 v23, v53, v23, s0
	v_lshrrev_b32_e32 v22, 16, v22
	v_cndmask_b32_e32 v24, v112, v21, vcc
	v_cmp_o_f32_e32 vcc, v52, v52
	v_lshrrev_b32_e32 v23, 16, v23
	s_mov_b32 s1, 0x5040100
	v_cndmask_b32_e32 v21, v112, v22, vcc
	v_cmp_o_f32_e32 vcc, v53, v53
	v_perm_b32 v19, v19, v18, s1
	v_perm_b32 v18, v1, v0, s1
	v_cndmask_b32_e32 v22, v112, v23, vcc
	v_bfe_u32 v0, v50, 16, 1
	v_perm_b32 v21, v22, v21, s1
	v_perm_b32 v20, v24, v20, s1
	v_bfe_u32 v1, v51, 16, 1
	v_add3_u32 v0, v50, v0, s0
	s_barrier
	ds_write_b128 v86, v[18:21]
	v_bfe_u32 v18, v48, 16, 1
	v_add3_u32 v1, v51, v1, s0
	v_lshrrev_b32_e32 v0, 16, v0
	v_cmp_o_f32_e32 vcc, v50, v50
	v_bfe_u32 v19, v49, 16, 1
	v_add3_u32 v18, v48, v18, s0
	v_lshrrev_b32_e32 v1, 16, v1
	v_cndmask_b32_e32 v0, v112, v0, vcc
	v_cmp_o_f32_e32 vcc, v51, v51
	v_add3_u32 v19, v49, v19, s0
	v_lshrrev_b32_e32 v18, 16, v18
	v_cndmask_b32_e32 v1, v112, v1, vcc
	v_cmp_o_f32_e32 vcc, v48, v48
	v_bfe_u32 v20, v46, 16, 1
	v_lshrrev_b32_e32 v19, 16, v19
	v_cndmask_b32_e32 v18, v112, v18, vcc
	v_cmp_o_f32_e32 vcc, v49, v49
	v_bfe_u32 v21, v47, 16, 1
	v_add3_u32 v20, v46, v20, s0
	v_cndmask_b32_e32 v19, v112, v19, vcc
	v_bfe_u32 v22, v44, 16, 1
	v_add3_u32 v21, v47, v21, s0
	v_lshrrev_b32_e32 v20, 16, v20
	v_cmp_o_f32_e32 vcc, v46, v46
	v_bfe_u32 v23, v45, 16, 1
	v_add3_u32 v22, v44, v22, s0
	v_lshrrev_b32_e32 v21, 16, v21
	v_cndmask_b32_e32 v20, v112, v20, vcc
	v_cmp_o_f32_e32 vcc, v47, v47
	s_add_u32 s86, s86, 0x1000
	v_add3_u32 v23, v45, v23, s0
	v_lshrrev_b32_e32 v22, 16, v22
	v_cndmask_b32_e32 v24, v112, v21, vcc
	v_cmp_o_f32_e32 vcc, v44, v44
	s_addc_u32 s87, s87, 0
	v_lshrrev_b32_e32 v23, 16, v23
	v_cndmask_b32_e32 v21, v112, v22, vcc
	v_cmp_o_f32_e32 vcc, v45, v45
	s_add_u32 s78, s78, 0x1000
	v_perm_b32 v20, v24, v20, s1
	v_cndmask_b32_e32 v22, v112, v23, vcc
	v_perm_b32 v21, v22, v21, s1
	v_perm_b32 v19, v19, v18, s1
	;; [unrolled: 1-line block ×3, first 2 shown]
	s_addc_u32 s79, s79, 0
	v_readlane_b32 s0, v156, 2
	ds_write_b128 v86, v[18:21] offset:16
	; wave barrier
	ds_read_b128 v[18:21], v84
	ds_read_b128 v[22:25], v85 offset:1024
	v_readlane_b32 s1, v156, 3
	s_add_u32 s0, s0, 0x1000
	s_addc_u32 s1, s1, 0
	s_add_u32 s74, s74, 0x1000
	s_mov_b32 s91, s83
	s_addc_u32 s75, s75, 0
	s_add_i32 s13, s13, 1
	v_lshl_add_u64 v[0:1], s[90:91], 1, v[36:37]
	v_writelane_b32 v156, s0, 2
	s_cmp_eq_u32 s13, s8
	s_waitcnt lgkmcnt(1)
	global_store_short v[0:1], v18, off
	v_alignbit_b32 v27, v20, v19, 16
	v_alignbit_b32 v26, v19, v18, 16
	;; [unrolled: 1-line block ×3, first 2 shown]
	global_store_short_d16_hi v[0:1], v21, off offset:14
	global_store_dword v[0:1], v18, off offset:10
	global_store_dwordx2 v[0:1], v[26:27], off offset:2
	v_writelane_b32 v156, s1, 3
	s_waitcnt lgkmcnt(0)
	global_store_dwordx4 v[0:1], v[22:25], off offset:1024
	s_cbranch_scc1 .LBB59_86
.LBB59_14:                              ; =>This Loop Header: Depth=1
                                        ;     Child Loop BB59_57 Depth 2
	v_lshl_add_u64 v[0:1], s[78:79], 0, v[34:35]
	v_lshl_add_u64 v[0:1], v[0:1], 0, v[40:41]
	s_barrier
	s_mov_b64 s[0:1], exec
	v_readlane_b32 s2, v156, 4
	v_readlane_b32 s3, v156, 5
	s_and_b64 s[2:3], s[0:1], s[2:3]
	s_mov_b64 exec, s[2:3]
	s_cbranch_execz .LBB59_16
; %bb.15:                               ;   in Loop: Header=BB59_14 Depth=1
	global_load_dwordx4 v[14:17], v[0:1], off
.LBB59_16:                              ;   in Loop: Header=BB59_14 Depth=1
	s_or_b64 exec, exec, s[0:1]
	s_mov_b64 s[0:1], exec
	v_readlane_b32 s2, v156, 6
	v_readlane_b32 s3, v156, 7
	s_and_b64 s[2:3], s[0:1], s[2:3]
	s_mov_b64 exec, s[2:3]
	s_cbranch_execz .LBB59_18
; %bb.17:                               ;   in Loop: Header=BB59_14 Depth=1
	global_load_dwordx4 v[6:9], v[0:1], off offset:1024
.LBB59_18:                              ;   in Loop: Header=BB59_14 Depth=1
	s_or_b64 exec, exec, s[0:1]
	s_waitcnt vmcnt(0)
	ds_write_b128 v84, v[14:17]
	ds_write_b128 v85, v[6:9] offset:1024
	; wave barrier
	ds_read_b128 v[14:17], v86
	ds_read_b128 v[6:9], v86 offset:16
	v_lshl_add_u64 v[0:1], s[86:87], 0, v[34:35]
	v_mov_b32_e32 v39, v35
	v_lshl_add_u64 v[0:1], v[0:1], 0, v[38:39]
	s_waitcnt lgkmcnt(0)
	s_barrier
	s_mov_b64 s[0:1], exec
	v_readlane_b32 s2, v156, 4
	v_readlane_b32 s3, v156, 5
	s_and_b64 s[2:3], s[0:1], s[2:3]
	s_mov_b64 exec, s[2:3]
	s_cbranch_execz .LBB59_20
; %bb.19:                               ;   in Loop: Header=BB59_14 Depth=1
	global_load_dwordx4 v[10:13], v[0:1], off
.LBB59_20:                              ;   in Loop: Header=BB59_14 Depth=1
	s_or_b64 exec, exec, s[0:1]
	s_mov_b64 s[0:1], exec
	v_readlane_b32 s2, v156, 6
	v_readlane_b32 s3, v156, 7
	s_and_b64 s[2:3], s[0:1], s[2:3]
	s_mov_b64 exec, s[2:3]
	s_cbranch_execz .LBB59_22
; %bb.21:                               ;   in Loop: Header=BB59_14 Depth=1
	global_load_dwordx4 v[2:5], v[0:1], off offset:1024
.LBB59_22:                              ;   in Loop: Header=BB59_14 Depth=1
	s_or_b64 exec, exec, s[0:1]
	s_waitcnt vmcnt(0)
	ds_write_b128 v84, v[10:13]
	ds_write_b128 v85, v[2:5] offset:1024
	; wave barrier
	ds_read_b128 v[10:13], v86
	ds_read_b128 v[2:5], v86 offset:16
	s_mov_b32 s0, 0x41a00000
	s_waitcnt lgkmcnt(1)
	v_lshlrev_b32_e32 v0, 16, v10
	v_add_f32_e32 v113, s33, v0
	v_cmp_ge_f32_e32 vcc, s0, v113
	s_and_b64 s[0:1], s[88:89], vcc
	s_and_saveexec_b64 s[30:31], s[0:1]
	s_cbranch_execz .LBB59_24
; %bb.23:                               ;   in Loop: Header=BB59_14 Depth=1
	v_mul_f32_e32 v0, 0x3fb8aa3b, v113
	v_rndne_f32_e32 v1, v0
	s_mov_b32 s0, 0x3fb8aa3b
	v_sub_f32_e32 v18, v0, v1
	v_fma_f32 v0, v113, s0, -v0
	v_fmac_f32_e32 v0, 0x32a5705f, v113
	v_add_f32_e32 v0, v18, v0
	v_cvt_i32_f32_e32 v1, v1
	v_exp_f32_e32 v0, v0
	s_mov_b32 s0, 0xc2ce8ed0
	v_cmp_ngt_f32_e32 vcc, s0, v113
	s_mov_b32 s0, 0x42b17218
	v_ldexp_f32 v0, v0, v1
	v_cndmask_b32_e32 v0, 0, v0, vcc
	v_cmp_nlt_f32_e32 vcc, s0, v113
	s_mov_b32 s0, 0x3f2aaaab
	s_nop 0
	v_cndmask_b32_e32 v32, v109, v0, vcc
	v_add_f32_e32 v18, 1.0, v32
	v_add_f32_e32 v0, -1.0, v18
	v_sub_f32_e32 v1, v0, v18
	v_add_f32_e32 v1, 1.0, v1
	v_sub_f32_e32 v0, v32, v0
	v_add_f32_e32 v19, v0, v1
	v_frexp_mant_f32_e32 v20, v18
	v_cvt_f64_f32_e32 v[0:1], v18
	v_frexp_exp_i32_f64_e32 v0, v[0:1]
	v_cmp_gt_f32_e32 vcc, s0, v20
	s_mov_b32 s0, 0x3f317218
	s_nop 0
	v_subbrev_co_u32_e32 v24, vcc, 0, v0, vcc
	v_sub_u32_e32 v0, 0, v24
	v_ldexp_f32 v1, v18, v0
	v_add_f32_e32 v18, -1.0, v1
	v_add_f32_e32 v20, 1.0, v1
	v_ldexp_f32 v0, v19, v0
	v_add_f32_e32 v19, 1.0, v18
	v_add_f32_e32 v21, -1.0, v20
	v_sub_f32_e32 v19, v1, v19
	v_sub_f32_e32 v1, v1, v21
	v_add_f32_e32 v19, v0, v19
	v_add_f32_e32 v0, v0, v1
	;; [unrolled: 1-line block ×3, first 2 shown]
	v_rcp_f32_e32 v27, v25
	v_sub_f32_e32 v1, v20, v25
	v_add_f32_e32 v26, v0, v1
	v_add_f32_e32 v1, v18, v19
	v_mul_f32_e32 v29, v1, v27
	v_sub_f32_e32 v0, v18, v1
	v_mul_f32_e32 v18, v25, v29
	v_fma_f32 v20, v29, v25, -v18
	v_fmac_f32_e32 v20, v29, v26
	v_add_f32_e32 v28, v19, v0
	v_add_f32_e32 v0, v18, v20
	v_sub_f32_e32 v19, v1, v0
	v_pk_add_f32 v[22:23], v[0:1], v[18:19] neg_lo:[0,1] neg_hi:[0,1]
	v_mov_b32_e32 v21, v0
	v_pk_add_f32 v[0:1], v[22:23], v[20:21] neg_lo:[0,1] neg_hi:[0,1]
	s_nop 0
	v_add_f32_e32 v1, v28, v1
	v_add_f32_e32 v0, v0, v1
	;; [unrolled: 1-line block ×3, first 2 shown]
	v_mul_f32_e32 v28, v27, v1
	v_mul_f32_e32 v18, v25, v28
	v_fma_f32 v20, v28, v25, -v18
	v_fmac_f32_e32 v20, v28, v26
	v_sub_f32_e32 v19, v19, v1
	v_add_f32_e32 v25, v0, v19
	v_add_f32_e32 v0, v18, v20
	v_sub_f32_e32 v19, v1, v0
	v_pk_add_f32 v[22:23], v[0:1], v[18:19] neg_lo:[0,1] neg_hi:[0,1]
	v_mov_b32_e32 v21, v0
	v_pk_add_f32 v[0:1], v[22:23], v[20:21] neg_lo:[0,1] neg_hi:[0,1]
	s_nop 0
	v_add_f32_e32 v1, v25, v1
	v_add_f32_e32 v0, v0, v1
	v_add_f32_e32 v1, v29, v28
	v_add_f32_e32 v0, v19, v0
	v_sub_f32_e32 v18, v1, v29
	v_mul_f32_e32 v0, v27, v0
	v_sub_f32_e32 v18, v28, v18
	v_add_f32_e32 v18, v18, v0
	v_add_f32_e32 v20, v1, v18
	v_mul_f32_e32 v21, v20, v20
	v_fmamk_f32 v0, v21, 0x3e9b6dac, v108
	v_fmaak_f32 v43, v21, v0, 0x3f2aaada
	v_cvt_f32_i32_e32 v0, v24
	v_sub_f32_e32 v1, v20, v1
	v_sub_f32_e32 v1, v18, v1
	v_ldexp_f32 v22, v1, 1
	v_mul_f32_e32 v1, v20, v21
	v_ldexp_f32 v19, v20, 1
	v_pk_mul_f32 v[20:21], v[0:1], v[42:43]
	s_nop 0
	v_fma_f32 v18, v0, s0, -v20
	v_fmac_f32_e32 v18, 0xb102e308, v0
	v_pk_add_f32 v[0:1], v[20:21], v[18:19]
	s_mov_b32 s0, 0x7f800000
	v_sub_f32_e32 v19, v1, v19
	v_sub_f32_e32 v19, v21, v19
	v_add_f32_e32 v23, v22, v19
	v_mov_b32_e32 v22, v20
	v_pk_add_f32 v[20:21], v[0:1], v[20:21] neg_lo:[0,1] neg_hi:[0,1]
	v_pk_add_f32 v[24:25], v[0:1], v[22:23]
	v_mov_b32_e32 v19, v0
	v_mov_b32_e32 v21, v25
	v_pk_add_f32 v[26:27], v[18:19], v[20:21] neg_lo:[0,1] neg_hi:[0,1]
	v_pk_add_f32 v[18:19], v[18:19], v[20:21]
	v_mov_b32_e32 v22, v23
	v_mov_b32_e32 v20, v19
	v_pk_add_f32 v[28:29], v[20:21], v[0:1] neg_lo:[0,1] neg_hi:[0,1]
	v_mov_b32_e32 v18, v25
	v_mov_b32_e32 v21, v28
	v_pk_add_f32 v[30:31], v[24:25], v[20:21] neg_lo:[0,1] neg_hi:[0,1]
	v_mov_b32_e32 v24, v1
	v_mov_b32_e32 v25, v28
	;; [unrolled: 1-line block ×3, first 2 shown]
	v_pk_add_f32 v[18:19], v[18:19], v[24:25] neg_lo:[0,1] neg_hi:[0,1]
	v_mov_b32_e32 v23, v0
	v_pk_add_f32 v[0:1], v[22:23], v[18:19] neg_lo:[0,1] neg_hi:[0,1]
	v_mov_b32_e32 v30, v26
	v_pk_add_f32 v[18:19], v[30:31], v[0:1]
	v_cmp_eq_f32_e32 vcc, s0, v32
	v_mov_b32_e32 v22, v19
	v_pk_add_f32 v[22:23], v[18:19], v[22:23]
	s_mov_b32 s0, 0x33800000
	v_pk_add_f32 v[20:21], v[20:21], v[22:23]
	v_mov_b32_e32 v1, v22
	v_mov_b32_e32 v19, v20
	v_pk_add_f32 v[24:25], v[18:19], v[26:27] neg_lo:[0,1] neg_hi:[0,1]
	v_cmp_gt_f32_e64 s[2:3], s0, v32
	v_sub_f32_e32 v18, v18, v24
	v_pk_add_f32 v[0:1], v[0:1], v[24:25] neg_lo:[0,1] neg_hi:[0,1]
	v_sub_f32_e32 v18, v26, v18
	v_add_f32_e32 v0, v0, v18
	v_add_f32_e32 v0, v0, v1
	;; [unrolled: 1-line block ×3, first 2 shown]
	s_or_b64 vcc, s[2:3], vcc
	v_cndmask_b32_e32 v113, v0, v32, vcc
.LBB59_24:                              ;   in Loop: Header=BB59_14 Depth=1
	s_or_b64 exec, exec, s[30:31]
	v_and_b32_e32 v0, 0xffff0000, v10
	v_add_f32_e32 v114, s33, v0
	s_mov_b32 s0, 0x41a00000
	v_cmp_ge_f32_e32 vcc, s0, v114
	s_and_b64 s[0:1], s[88:89], vcc
	s_and_saveexec_b64 s[30:31], s[0:1]
	s_cbranch_execz .LBB59_26
; %bb.25:                               ;   in Loop: Header=BB59_14 Depth=1
	v_mul_f32_e32 v0, 0x3fb8aa3b, v114
	v_rndne_f32_e32 v1, v0
	s_mov_b32 s0, 0x3fb8aa3b
	v_sub_f32_e32 v18, v0, v1
	v_fma_f32 v0, v114, s0, -v0
	v_fmac_f32_e32 v0, 0x32a5705f, v114
	v_add_f32_e32 v0, v18, v0
	v_cvt_i32_f32_e32 v1, v1
	v_exp_f32_e32 v0, v0
	s_mov_b32 s0, 0xc2ce8ed0
	v_cmp_ngt_f32_e32 vcc, s0, v114
	s_mov_b32 s0, 0x42b17218
	v_ldexp_f32 v0, v0, v1
	v_cndmask_b32_e32 v0, 0, v0, vcc
	v_cmp_nlt_f32_e32 vcc, s0, v114
	s_mov_b32 s0, 0x3f2aaaab
	s_nop 0
	v_cndmask_b32_e32 v32, v109, v0, vcc
	v_add_f32_e32 v18, 1.0, v32
	v_add_f32_e32 v0, -1.0, v18
	v_sub_f32_e32 v1, v0, v18
	v_add_f32_e32 v1, 1.0, v1
	v_sub_f32_e32 v0, v32, v0
	v_add_f32_e32 v19, v0, v1
	v_frexp_mant_f32_e32 v20, v18
	v_cvt_f64_f32_e32 v[0:1], v18
	v_frexp_exp_i32_f64_e32 v0, v[0:1]
	v_cmp_gt_f32_e32 vcc, s0, v20
	s_mov_b32 s0, 0x3f317218
	s_nop 0
	v_subbrev_co_u32_e32 v24, vcc, 0, v0, vcc
	v_sub_u32_e32 v0, 0, v24
	v_ldexp_f32 v1, v18, v0
	v_add_f32_e32 v18, -1.0, v1
	v_add_f32_e32 v20, 1.0, v1
	v_ldexp_f32 v0, v19, v0
	v_add_f32_e32 v19, 1.0, v18
	v_add_f32_e32 v21, -1.0, v20
	v_sub_f32_e32 v19, v1, v19
	v_sub_f32_e32 v1, v1, v21
	v_add_f32_e32 v19, v0, v19
	v_add_f32_e32 v0, v0, v1
	;; [unrolled: 1-line block ×3, first 2 shown]
	v_rcp_f32_e32 v27, v25
	v_sub_f32_e32 v1, v20, v25
	v_add_f32_e32 v26, v0, v1
	v_add_f32_e32 v1, v18, v19
	v_mul_f32_e32 v29, v1, v27
	v_sub_f32_e32 v0, v18, v1
	v_mul_f32_e32 v18, v25, v29
	v_fma_f32 v20, v29, v25, -v18
	v_fmac_f32_e32 v20, v29, v26
	v_add_f32_e32 v28, v19, v0
	v_add_f32_e32 v0, v18, v20
	v_sub_f32_e32 v19, v1, v0
	v_pk_add_f32 v[22:23], v[0:1], v[18:19] neg_lo:[0,1] neg_hi:[0,1]
	v_mov_b32_e32 v21, v0
	v_pk_add_f32 v[0:1], v[22:23], v[20:21] neg_lo:[0,1] neg_hi:[0,1]
	s_nop 0
	v_add_f32_e32 v1, v28, v1
	v_add_f32_e32 v0, v0, v1
	;; [unrolled: 1-line block ×3, first 2 shown]
	v_mul_f32_e32 v28, v27, v1
	v_mul_f32_e32 v18, v25, v28
	v_fma_f32 v20, v28, v25, -v18
	v_fmac_f32_e32 v20, v28, v26
	v_sub_f32_e32 v19, v19, v1
	v_add_f32_e32 v25, v0, v19
	v_add_f32_e32 v0, v18, v20
	v_sub_f32_e32 v19, v1, v0
	v_pk_add_f32 v[22:23], v[0:1], v[18:19] neg_lo:[0,1] neg_hi:[0,1]
	v_mov_b32_e32 v21, v0
	v_pk_add_f32 v[0:1], v[22:23], v[20:21] neg_lo:[0,1] neg_hi:[0,1]
	s_nop 0
	v_add_f32_e32 v1, v25, v1
	v_add_f32_e32 v0, v0, v1
	;; [unrolled: 1-line block ×4, first 2 shown]
	v_sub_f32_e32 v18, v1, v29
	v_mul_f32_e32 v0, v27, v0
	v_sub_f32_e32 v18, v28, v18
	v_add_f32_e32 v18, v18, v0
	v_add_f32_e32 v20, v1, v18
	v_mul_f32_e32 v21, v20, v20
	v_fmamk_f32 v0, v21, 0x3e9b6dac, v108
	v_fmaak_f32 v43, v21, v0, 0x3f2aaada
	v_cvt_f32_i32_e32 v0, v24
	v_sub_f32_e32 v1, v20, v1
	v_sub_f32_e32 v1, v18, v1
	v_ldexp_f32 v22, v1, 1
	v_mul_f32_e32 v1, v20, v21
	v_ldexp_f32 v19, v20, 1
	v_pk_mul_f32 v[20:21], v[0:1], v[42:43]
	s_nop 0
	v_fma_f32 v18, v0, s0, -v20
	v_fmac_f32_e32 v18, 0xb102e308, v0
	v_pk_add_f32 v[0:1], v[20:21], v[18:19]
	s_mov_b32 s0, 0x7f800000
	v_sub_f32_e32 v19, v1, v19
	v_sub_f32_e32 v19, v21, v19
	v_add_f32_e32 v23, v22, v19
	v_mov_b32_e32 v22, v20
	v_pk_add_f32 v[20:21], v[0:1], v[20:21] neg_lo:[0,1] neg_hi:[0,1]
	v_pk_add_f32 v[24:25], v[0:1], v[22:23]
	v_mov_b32_e32 v19, v0
	v_mov_b32_e32 v21, v25
	v_pk_add_f32 v[26:27], v[18:19], v[20:21] neg_lo:[0,1] neg_hi:[0,1]
	v_pk_add_f32 v[18:19], v[18:19], v[20:21]
	v_mov_b32_e32 v22, v23
	v_mov_b32_e32 v20, v19
	v_pk_add_f32 v[28:29], v[20:21], v[0:1] neg_lo:[0,1] neg_hi:[0,1]
	v_mov_b32_e32 v18, v25
	v_mov_b32_e32 v21, v28
	v_pk_add_f32 v[30:31], v[24:25], v[20:21] neg_lo:[0,1] neg_hi:[0,1]
	v_mov_b32_e32 v24, v1
	v_mov_b32_e32 v25, v28
	;; [unrolled: 1-line block ×3, first 2 shown]
	v_pk_add_f32 v[18:19], v[18:19], v[24:25] neg_lo:[0,1] neg_hi:[0,1]
	v_mov_b32_e32 v23, v0
	v_pk_add_f32 v[0:1], v[22:23], v[18:19] neg_lo:[0,1] neg_hi:[0,1]
	v_mov_b32_e32 v30, v26
	v_pk_add_f32 v[18:19], v[30:31], v[0:1]
	v_cmp_eq_f32_e32 vcc, s0, v32
	v_mov_b32_e32 v22, v19
	v_pk_add_f32 v[22:23], v[18:19], v[22:23]
	s_mov_b32 s0, 0x33800000
	v_pk_add_f32 v[20:21], v[20:21], v[22:23]
	v_mov_b32_e32 v1, v22
	v_mov_b32_e32 v19, v20
	v_pk_add_f32 v[24:25], v[18:19], v[26:27] neg_lo:[0,1] neg_hi:[0,1]
	v_cmp_gt_f32_e64 s[2:3], s0, v32
	v_sub_f32_e32 v18, v18, v24
	v_pk_add_f32 v[0:1], v[0:1], v[24:25] neg_lo:[0,1] neg_hi:[0,1]
	v_sub_f32_e32 v18, v26, v18
	v_add_f32_e32 v0, v0, v18
	v_add_f32_e32 v0, v0, v1
	;; [unrolled: 1-line block ×3, first 2 shown]
	s_or_b64 vcc, s[2:3], vcc
	v_cndmask_b32_e32 v114, v0, v32, vcc
.LBB59_26:                              ;   in Loop: Header=BB59_14 Depth=1
	s_or_b64 exec, exec, s[30:31]
	v_lshlrev_b32_e32 v0, 16, v11
	v_add_f32_e32 v115, s33, v0
	s_mov_b32 s0, 0x41a00000
	v_cmp_ge_f32_e32 vcc, s0, v115
	s_and_b64 s[0:1], s[88:89], vcc
	s_and_saveexec_b64 s[30:31], s[0:1]
	s_cbranch_execz .LBB59_28
; %bb.27:                               ;   in Loop: Header=BB59_14 Depth=1
	v_mul_f32_e32 v0, 0x3fb8aa3b, v115
	v_rndne_f32_e32 v1, v0
	s_mov_b32 s0, 0x3fb8aa3b
	v_sub_f32_e32 v18, v0, v1
	v_fma_f32 v0, v115, s0, -v0
	v_fmac_f32_e32 v0, 0x32a5705f, v115
	v_add_f32_e32 v0, v18, v0
	v_cvt_i32_f32_e32 v1, v1
	v_exp_f32_e32 v0, v0
	s_mov_b32 s0, 0xc2ce8ed0
	v_cmp_ngt_f32_e32 vcc, s0, v115
	s_mov_b32 s0, 0x42b17218
	v_ldexp_f32 v0, v0, v1
	v_cndmask_b32_e32 v0, 0, v0, vcc
	v_cmp_nlt_f32_e32 vcc, s0, v115
	s_mov_b32 s0, 0x3f2aaaab
	s_nop 0
	v_cndmask_b32_e32 v32, v109, v0, vcc
	v_add_f32_e32 v18, 1.0, v32
	v_add_f32_e32 v0, -1.0, v18
	v_sub_f32_e32 v1, v0, v18
	v_add_f32_e32 v1, 1.0, v1
	v_sub_f32_e32 v0, v32, v0
	v_add_f32_e32 v19, v0, v1
	v_frexp_mant_f32_e32 v20, v18
	v_cvt_f64_f32_e32 v[0:1], v18
	v_frexp_exp_i32_f64_e32 v0, v[0:1]
	v_cmp_gt_f32_e32 vcc, s0, v20
	s_mov_b32 s0, 0x3f317218
	s_nop 0
	v_subbrev_co_u32_e32 v24, vcc, 0, v0, vcc
	v_sub_u32_e32 v0, 0, v24
	v_ldexp_f32 v1, v18, v0
	v_add_f32_e32 v18, -1.0, v1
	v_add_f32_e32 v20, 1.0, v1
	v_ldexp_f32 v0, v19, v0
	v_add_f32_e32 v19, 1.0, v18
	v_add_f32_e32 v21, -1.0, v20
	v_sub_f32_e32 v19, v1, v19
	v_sub_f32_e32 v1, v1, v21
	v_add_f32_e32 v19, v0, v19
	v_add_f32_e32 v0, v0, v1
	;; [unrolled: 1-line block ×3, first 2 shown]
	v_rcp_f32_e32 v27, v25
	v_sub_f32_e32 v1, v20, v25
	v_add_f32_e32 v26, v0, v1
	v_add_f32_e32 v1, v18, v19
	v_mul_f32_e32 v29, v1, v27
	v_sub_f32_e32 v0, v18, v1
	v_mul_f32_e32 v18, v25, v29
	v_fma_f32 v20, v29, v25, -v18
	v_fmac_f32_e32 v20, v29, v26
	v_add_f32_e32 v28, v19, v0
	v_add_f32_e32 v0, v18, v20
	v_sub_f32_e32 v19, v1, v0
	v_pk_add_f32 v[22:23], v[0:1], v[18:19] neg_lo:[0,1] neg_hi:[0,1]
	v_mov_b32_e32 v21, v0
	v_pk_add_f32 v[0:1], v[22:23], v[20:21] neg_lo:[0,1] neg_hi:[0,1]
	s_nop 0
	v_add_f32_e32 v1, v28, v1
	v_add_f32_e32 v0, v0, v1
	;; [unrolled: 1-line block ×3, first 2 shown]
	v_mul_f32_e32 v28, v27, v1
	v_mul_f32_e32 v18, v25, v28
	v_fma_f32 v20, v28, v25, -v18
	v_fmac_f32_e32 v20, v28, v26
	v_sub_f32_e32 v19, v19, v1
	v_add_f32_e32 v25, v0, v19
	v_add_f32_e32 v0, v18, v20
	v_sub_f32_e32 v19, v1, v0
	v_pk_add_f32 v[22:23], v[0:1], v[18:19] neg_lo:[0,1] neg_hi:[0,1]
	v_mov_b32_e32 v21, v0
	v_pk_add_f32 v[0:1], v[22:23], v[20:21] neg_lo:[0,1] neg_hi:[0,1]
	s_nop 0
	v_add_f32_e32 v1, v25, v1
	v_add_f32_e32 v0, v0, v1
	;; [unrolled: 1-line block ×4, first 2 shown]
	v_sub_f32_e32 v18, v1, v29
	v_mul_f32_e32 v0, v27, v0
	v_sub_f32_e32 v18, v28, v18
	v_add_f32_e32 v18, v18, v0
	v_add_f32_e32 v20, v1, v18
	v_mul_f32_e32 v21, v20, v20
	v_fmamk_f32 v0, v21, 0x3e9b6dac, v108
	v_fmaak_f32 v43, v21, v0, 0x3f2aaada
	v_cvt_f32_i32_e32 v0, v24
	v_sub_f32_e32 v1, v20, v1
	v_sub_f32_e32 v1, v18, v1
	v_ldexp_f32 v22, v1, 1
	v_mul_f32_e32 v1, v20, v21
	v_ldexp_f32 v19, v20, 1
	v_pk_mul_f32 v[20:21], v[0:1], v[42:43]
	s_nop 0
	v_fma_f32 v18, v0, s0, -v20
	v_fmac_f32_e32 v18, 0xb102e308, v0
	v_pk_add_f32 v[0:1], v[20:21], v[18:19]
	s_mov_b32 s0, 0x7f800000
	v_sub_f32_e32 v19, v1, v19
	v_sub_f32_e32 v19, v21, v19
	v_add_f32_e32 v23, v22, v19
	v_mov_b32_e32 v22, v20
	v_pk_add_f32 v[20:21], v[0:1], v[20:21] neg_lo:[0,1] neg_hi:[0,1]
	v_pk_add_f32 v[24:25], v[0:1], v[22:23]
	v_mov_b32_e32 v19, v0
	v_mov_b32_e32 v21, v25
	v_pk_add_f32 v[26:27], v[18:19], v[20:21] neg_lo:[0,1] neg_hi:[0,1]
	v_pk_add_f32 v[18:19], v[18:19], v[20:21]
	v_mov_b32_e32 v22, v23
	v_mov_b32_e32 v20, v19
	v_pk_add_f32 v[28:29], v[20:21], v[0:1] neg_lo:[0,1] neg_hi:[0,1]
	v_mov_b32_e32 v18, v25
	v_mov_b32_e32 v21, v28
	v_pk_add_f32 v[30:31], v[24:25], v[20:21] neg_lo:[0,1] neg_hi:[0,1]
	v_mov_b32_e32 v24, v1
	v_mov_b32_e32 v25, v28
	;; [unrolled: 1-line block ×3, first 2 shown]
	v_pk_add_f32 v[18:19], v[18:19], v[24:25] neg_lo:[0,1] neg_hi:[0,1]
	v_mov_b32_e32 v23, v0
	v_pk_add_f32 v[0:1], v[22:23], v[18:19] neg_lo:[0,1] neg_hi:[0,1]
	v_mov_b32_e32 v30, v26
	v_pk_add_f32 v[18:19], v[30:31], v[0:1]
	v_cmp_eq_f32_e32 vcc, s0, v32
	v_mov_b32_e32 v22, v19
	v_pk_add_f32 v[22:23], v[18:19], v[22:23]
	s_mov_b32 s0, 0x33800000
	v_pk_add_f32 v[20:21], v[20:21], v[22:23]
	v_mov_b32_e32 v1, v22
	v_mov_b32_e32 v19, v20
	v_pk_add_f32 v[24:25], v[18:19], v[26:27] neg_lo:[0,1] neg_hi:[0,1]
	v_cmp_gt_f32_e64 s[2:3], s0, v32
	v_sub_f32_e32 v18, v18, v24
	v_pk_add_f32 v[0:1], v[0:1], v[24:25] neg_lo:[0,1] neg_hi:[0,1]
	v_sub_f32_e32 v18, v26, v18
	v_add_f32_e32 v0, v0, v18
	v_add_f32_e32 v0, v0, v1
	;; [unrolled: 1-line block ×3, first 2 shown]
	s_or_b64 vcc, s[2:3], vcc
	v_cndmask_b32_e32 v115, v0, v32, vcc
.LBB59_28:                              ;   in Loop: Header=BB59_14 Depth=1
	s_or_b64 exec, exec, s[30:31]
	v_and_b32_e32 v0, 0xffff0000, v11
	v_add_f32_e32 v116, s33, v0
	s_mov_b32 s0, 0x41a00000
	v_cmp_ge_f32_e32 vcc, s0, v116
	s_and_b64 s[0:1], s[88:89], vcc
	s_and_saveexec_b64 s[30:31], s[0:1]
	s_cbranch_execz .LBB59_30
; %bb.29:                               ;   in Loop: Header=BB59_14 Depth=1
	v_mul_f32_e32 v0, 0x3fb8aa3b, v116
	v_rndne_f32_e32 v1, v0
	s_mov_b32 s0, 0x3fb8aa3b
	v_sub_f32_e32 v18, v0, v1
	v_fma_f32 v0, v116, s0, -v0
	v_fmac_f32_e32 v0, 0x32a5705f, v116
	v_add_f32_e32 v0, v18, v0
	v_cvt_i32_f32_e32 v1, v1
	v_exp_f32_e32 v0, v0
	s_mov_b32 s0, 0xc2ce8ed0
	v_cmp_ngt_f32_e32 vcc, s0, v116
	s_mov_b32 s0, 0x42b17218
	v_ldexp_f32 v0, v0, v1
	v_cndmask_b32_e32 v0, 0, v0, vcc
	v_cmp_nlt_f32_e32 vcc, s0, v116
	s_mov_b32 s0, 0x3f2aaaab
	s_nop 0
	v_cndmask_b32_e32 v32, v109, v0, vcc
	v_add_f32_e32 v18, 1.0, v32
	v_add_f32_e32 v0, -1.0, v18
	v_sub_f32_e32 v1, v0, v18
	v_add_f32_e32 v1, 1.0, v1
	v_sub_f32_e32 v0, v32, v0
	v_add_f32_e32 v19, v0, v1
	v_frexp_mant_f32_e32 v20, v18
	v_cvt_f64_f32_e32 v[0:1], v18
	v_frexp_exp_i32_f64_e32 v0, v[0:1]
	v_cmp_gt_f32_e32 vcc, s0, v20
	s_mov_b32 s0, 0x3f317218
	s_nop 0
	v_subbrev_co_u32_e32 v24, vcc, 0, v0, vcc
	v_sub_u32_e32 v0, 0, v24
	v_ldexp_f32 v1, v18, v0
	v_add_f32_e32 v18, -1.0, v1
	v_add_f32_e32 v20, 1.0, v1
	v_ldexp_f32 v0, v19, v0
	v_add_f32_e32 v19, 1.0, v18
	v_add_f32_e32 v21, -1.0, v20
	v_sub_f32_e32 v19, v1, v19
	v_sub_f32_e32 v1, v1, v21
	v_add_f32_e32 v19, v0, v19
	v_add_f32_e32 v0, v0, v1
	;; [unrolled: 1-line block ×3, first 2 shown]
	v_rcp_f32_e32 v27, v25
	v_sub_f32_e32 v1, v20, v25
	v_add_f32_e32 v26, v0, v1
	v_add_f32_e32 v1, v18, v19
	v_mul_f32_e32 v29, v1, v27
	v_sub_f32_e32 v0, v18, v1
	v_mul_f32_e32 v18, v25, v29
	v_fma_f32 v20, v29, v25, -v18
	v_fmac_f32_e32 v20, v29, v26
	v_add_f32_e32 v28, v19, v0
	v_add_f32_e32 v0, v18, v20
	v_sub_f32_e32 v19, v1, v0
	v_pk_add_f32 v[22:23], v[0:1], v[18:19] neg_lo:[0,1] neg_hi:[0,1]
	v_mov_b32_e32 v21, v0
	v_pk_add_f32 v[0:1], v[22:23], v[20:21] neg_lo:[0,1] neg_hi:[0,1]
	s_nop 0
	v_add_f32_e32 v1, v28, v1
	v_add_f32_e32 v0, v0, v1
	;; [unrolled: 1-line block ×3, first 2 shown]
	v_mul_f32_e32 v28, v27, v1
	v_mul_f32_e32 v18, v25, v28
	v_fma_f32 v20, v28, v25, -v18
	v_fmac_f32_e32 v20, v28, v26
	v_sub_f32_e32 v19, v19, v1
	v_add_f32_e32 v25, v0, v19
	v_add_f32_e32 v0, v18, v20
	v_sub_f32_e32 v19, v1, v0
	v_pk_add_f32 v[22:23], v[0:1], v[18:19] neg_lo:[0,1] neg_hi:[0,1]
	v_mov_b32_e32 v21, v0
	v_pk_add_f32 v[0:1], v[22:23], v[20:21] neg_lo:[0,1] neg_hi:[0,1]
	s_nop 0
	v_add_f32_e32 v1, v25, v1
	v_add_f32_e32 v0, v0, v1
	;; [unrolled: 1-line block ×4, first 2 shown]
	v_sub_f32_e32 v18, v1, v29
	v_mul_f32_e32 v0, v27, v0
	v_sub_f32_e32 v18, v28, v18
	v_add_f32_e32 v18, v18, v0
	v_add_f32_e32 v20, v1, v18
	v_mul_f32_e32 v21, v20, v20
	v_fmamk_f32 v0, v21, 0x3e9b6dac, v108
	v_fmaak_f32 v43, v21, v0, 0x3f2aaada
	v_cvt_f32_i32_e32 v0, v24
	v_sub_f32_e32 v1, v20, v1
	v_sub_f32_e32 v1, v18, v1
	v_ldexp_f32 v22, v1, 1
	v_mul_f32_e32 v1, v20, v21
	v_ldexp_f32 v19, v20, 1
	v_pk_mul_f32 v[20:21], v[0:1], v[42:43]
	s_nop 0
	v_fma_f32 v18, v0, s0, -v20
	v_fmac_f32_e32 v18, 0xb102e308, v0
	v_pk_add_f32 v[0:1], v[20:21], v[18:19]
	s_mov_b32 s0, 0x7f800000
	v_sub_f32_e32 v19, v1, v19
	v_sub_f32_e32 v19, v21, v19
	v_add_f32_e32 v23, v22, v19
	v_mov_b32_e32 v22, v20
	v_pk_add_f32 v[20:21], v[0:1], v[20:21] neg_lo:[0,1] neg_hi:[0,1]
	v_pk_add_f32 v[24:25], v[0:1], v[22:23]
	v_mov_b32_e32 v19, v0
	v_mov_b32_e32 v21, v25
	v_pk_add_f32 v[26:27], v[18:19], v[20:21] neg_lo:[0,1] neg_hi:[0,1]
	v_pk_add_f32 v[18:19], v[18:19], v[20:21]
	v_mov_b32_e32 v22, v23
	v_mov_b32_e32 v20, v19
	v_pk_add_f32 v[28:29], v[20:21], v[0:1] neg_lo:[0,1] neg_hi:[0,1]
	v_mov_b32_e32 v18, v25
	v_mov_b32_e32 v21, v28
	v_pk_add_f32 v[30:31], v[24:25], v[20:21] neg_lo:[0,1] neg_hi:[0,1]
	v_mov_b32_e32 v24, v1
	v_mov_b32_e32 v25, v28
	;; [unrolled: 1-line block ×3, first 2 shown]
	v_pk_add_f32 v[18:19], v[18:19], v[24:25] neg_lo:[0,1] neg_hi:[0,1]
	v_mov_b32_e32 v23, v0
	v_pk_add_f32 v[0:1], v[22:23], v[18:19] neg_lo:[0,1] neg_hi:[0,1]
	v_mov_b32_e32 v30, v26
	v_pk_add_f32 v[18:19], v[30:31], v[0:1]
	v_cmp_eq_f32_e32 vcc, s0, v32
	v_mov_b32_e32 v22, v19
	v_pk_add_f32 v[22:23], v[18:19], v[22:23]
	s_mov_b32 s0, 0x33800000
	v_pk_add_f32 v[20:21], v[20:21], v[22:23]
	v_mov_b32_e32 v1, v22
	v_mov_b32_e32 v19, v20
	v_pk_add_f32 v[24:25], v[18:19], v[26:27] neg_lo:[0,1] neg_hi:[0,1]
	v_cmp_gt_f32_e64 s[2:3], s0, v32
	v_sub_f32_e32 v18, v18, v24
	v_pk_add_f32 v[0:1], v[0:1], v[24:25] neg_lo:[0,1] neg_hi:[0,1]
	v_sub_f32_e32 v18, v26, v18
	v_add_f32_e32 v0, v0, v18
	v_add_f32_e32 v0, v0, v1
	;; [unrolled: 1-line block ×3, first 2 shown]
	s_or_b64 vcc, s[2:3], vcc
	v_cndmask_b32_e32 v116, v0, v32, vcc
.LBB59_30:                              ;   in Loop: Header=BB59_14 Depth=1
	s_or_b64 exec, exec, s[30:31]
	v_lshlrev_b32_e32 v0, 16, v12
	v_add_f32_e32 v117, s33, v0
	s_mov_b32 s0, 0x41a00000
	v_cmp_ge_f32_e32 vcc, s0, v117
	s_and_b64 s[0:1], s[88:89], vcc
	s_and_saveexec_b64 s[30:31], s[0:1]
	s_cbranch_execz .LBB59_32
; %bb.31:                               ;   in Loop: Header=BB59_14 Depth=1
	v_mul_f32_e32 v0, 0x3fb8aa3b, v117
	v_rndne_f32_e32 v1, v0
	s_mov_b32 s0, 0x3fb8aa3b
	v_sub_f32_e32 v18, v0, v1
	v_fma_f32 v0, v117, s0, -v0
	v_fmac_f32_e32 v0, 0x32a5705f, v117
	v_add_f32_e32 v0, v18, v0
	v_cvt_i32_f32_e32 v1, v1
	v_exp_f32_e32 v0, v0
	s_mov_b32 s0, 0xc2ce8ed0
	v_cmp_ngt_f32_e32 vcc, s0, v117
	s_mov_b32 s0, 0x42b17218
	v_ldexp_f32 v0, v0, v1
	v_cndmask_b32_e32 v0, 0, v0, vcc
	v_cmp_nlt_f32_e32 vcc, s0, v117
	s_mov_b32 s0, 0x3f2aaaab
	s_nop 0
	v_cndmask_b32_e32 v32, v109, v0, vcc
	v_add_f32_e32 v18, 1.0, v32
	v_add_f32_e32 v0, -1.0, v18
	v_sub_f32_e32 v1, v0, v18
	v_add_f32_e32 v1, 1.0, v1
	v_sub_f32_e32 v0, v32, v0
	v_add_f32_e32 v19, v0, v1
	v_frexp_mant_f32_e32 v20, v18
	v_cvt_f64_f32_e32 v[0:1], v18
	v_frexp_exp_i32_f64_e32 v0, v[0:1]
	v_cmp_gt_f32_e32 vcc, s0, v20
	s_mov_b32 s0, 0x3f317218
	s_nop 0
	v_subbrev_co_u32_e32 v24, vcc, 0, v0, vcc
	v_sub_u32_e32 v0, 0, v24
	v_ldexp_f32 v1, v18, v0
	v_add_f32_e32 v18, -1.0, v1
	v_add_f32_e32 v20, 1.0, v1
	v_ldexp_f32 v0, v19, v0
	v_add_f32_e32 v19, 1.0, v18
	v_add_f32_e32 v21, -1.0, v20
	v_sub_f32_e32 v19, v1, v19
	v_sub_f32_e32 v1, v1, v21
	v_add_f32_e32 v19, v0, v19
	v_add_f32_e32 v0, v0, v1
	;; [unrolled: 1-line block ×3, first 2 shown]
	v_rcp_f32_e32 v27, v25
	v_sub_f32_e32 v1, v20, v25
	v_add_f32_e32 v26, v0, v1
	v_add_f32_e32 v1, v18, v19
	v_mul_f32_e32 v29, v1, v27
	v_sub_f32_e32 v0, v18, v1
	v_mul_f32_e32 v18, v25, v29
	v_fma_f32 v20, v29, v25, -v18
	v_fmac_f32_e32 v20, v29, v26
	v_add_f32_e32 v28, v19, v0
	v_add_f32_e32 v0, v18, v20
	v_sub_f32_e32 v19, v1, v0
	v_pk_add_f32 v[22:23], v[0:1], v[18:19] neg_lo:[0,1] neg_hi:[0,1]
	v_mov_b32_e32 v21, v0
	v_pk_add_f32 v[0:1], v[22:23], v[20:21] neg_lo:[0,1] neg_hi:[0,1]
	s_nop 0
	v_add_f32_e32 v1, v28, v1
	v_add_f32_e32 v0, v0, v1
	;; [unrolled: 1-line block ×3, first 2 shown]
	v_mul_f32_e32 v28, v27, v1
	v_mul_f32_e32 v18, v25, v28
	v_fma_f32 v20, v28, v25, -v18
	v_fmac_f32_e32 v20, v28, v26
	v_sub_f32_e32 v19, v19, v1
	v_add_f32_e32 v25, v0, v19
	v_add_f32_e32 v0, v18, v20
	v_sub_f32_e32 v19, v1, v0
	v_pk_add_f32 v[22:23], v[0:1], v[18:19] neg_lo:[0,1] neg_hi:[0,1]
	v_mov_b32_e32 v21, v0
	v_pk_add_f32 v[0:1], v[22:23], v[20:21] neg_lo:[0,1] neg_hi:[0,1]
	s_nop 0
	v_add_f32_e32 v1, v25, v1
	v_add_f32_e32 v0, v0, v1
	;; [unrolled: 1-line block ×4, first 2 shown]
	v_sub_f32_e32 v18, v1, v29
	v_mul_f32_e32 v0, v27, v0
	v_sub_f32_e32 v18, v28, v18
	v_add_f32_e32 v18, v18, v0
	v_add_f32_e32 v20, v1, v18
	v_mul_f32_e32 v21, v20, v20
	v_fmamk_f32 v0, v21, 0x3e9b6dac, v108
	v_fmaak_f32 v43, v21, v0, 0x3f2aaada
	v_cvt_f32_i32_e32 v0, v24
	v_sub_f32_e32 v1, v20, v1
	v_sub_f32_e32 v1, v18, v1
	v_ldexp_f32 v22, v1, 1
	v_mul_f32_e32 v1, v20, v21
	v_ldexp_f32 v19, v20, 1
	v_pk_mul_f32 v[20:21], v[0:1], v[42:43]
	s_nop 0
	v_fma_f32 v18, v0, s0, -v20
	v_fmac_f32_e32 v18, 0xb102e308, v0
	v_pk_add_f32 v[0:1], v[20:21], v[18:19]
	s_mov_b32 s0, 0x7f800000
	v_sub_f32_e32 v19, v1, v19
	v_sub_f32_e32 v19, v21, v19
	v_add_f32_e32 v23, v22, v19
	v_mov_b32_e32 v22, v20
	v_pk_add_f32 v[20:21], v[0:1], v[20:21] neg_lo:[0,1] neg_hi:[0,1]
	v_pk_add_f32 v[24:25], v[0:1], v[22:23]
	v_mov_b32_e32 v19, v0
	v_mov_b32_e32 v21, v25
	v_pk_add_f32 v[26:27], v[18:19], v[20:21] neg_lo:[0,1] neg_hi:[0,1]
	v_pk_add_f32 v[18:19], v[18:19], v[20:21]
	v_mov_b32_e32 v22, v23
	v_mov_b32_e32 v20, v19
	v_pk_add_f32 v[28:29], v[20:21], v[0:1] neg_lo:[0,1] neg_hi:[0,1]
	v_mov_b32_e32 v18, v25
	v_mov_b32_e32 v21, v28
	v_pk_add_f32 v[30:31], v[24:25], v[20:21] neg_lo:[0,1] neg_hi:[0,1]
	v_mov_b32_e32 v24, v1
	v_mov_b32_e32 v25, v28
	;; [unrolled: 1-line block ×3, first 2 shown]
	v_pk_add_f32 v[18:19], v[18:19], v[24:25] neg_lo:[0,1] neg_hi:[0,1]
	v_mov_b32_e32 v23, v0
	v_pk_add_f32 v[0:1], v[22:23], v[18:19] neg_lo:[0,1] neg_hi:[0,1]
	v_mov_b32_e32 v30, v26
	v_pk_add_f32 v[18:19], v[30:31], v[0:1]
	v_cmp_eq_f32_e32 vcc, s0, v32
	v_mov_b32_e32 v22, v19
	v_pk_add_f32 v[22:23], v[18:19], v[22:23]
	s_mov_b32 s0, 0x33800000
	v_pk_add_f32 v[20:21], v[20:21], v[22:23]
	v_mov_b32_e32 v1, v22
	v_mov_b32_e32 v19, v20
	v_pk_add_f32 v[24:25], v[18:19], v[26:27] neg_lo:[0,1] neg_hi:[0,1]
	v_cmp_gt_f32_e64 s[2:3], s0, v32
	v_sub_f32_e32 v18, v18, v24
	v_pk_add_f32 v[0:1], v[0:1], v[24:25] neg_lo:[0,1] neg_hi:[0,1]
	v_sub_f32_e32 v18, v26, v18
	v_add_f32_e32 v0, v0, v18
	v_add_f32_e32 v0, v0, v1
	v_add_f32_e32 v0, v20, v0
	s_or_b64 vcc, s[2:3], vcc
	v_cndmask_b32_e32 v117, v0, v32, vcc
.LBB59_32:                              ;   in Loop: Header=BB59_14 Depth=1
	s_or_b64 exec, exec, s[30:31]
	v_and_b32_e32 v0, 0xffff0000, v12
	v_add_f32_e32 v118, s33, v0
	s_mov_b32 s0, 0x41a00000
	v_cmp_ge_f32_e32 vcc, s0, v118
	s_and_b64 s[0:1], s[88:89], vcc
	s_and_saveexec_b64 s[30:31], s[0:1]
	s_cbranch_execz .LBB59_34
; %bb.33:                               ;   in Loop: Header=BB59_14 Depth=1
	v_mul_f32_e32 v0, 0x3fb8aa3b, v118
	v_rndne_f32_e32 v1, v0
	s_mov_b32 s0, 0x3fb8aa3b
	v_sub_f32_e32 v18, v0, v1
	v_fma_f32 v0, v118, s0, -v0
	v_fmac_f32_e32 v0, 0x32a5705f, v118
	v_add_f32_e32 v0, v18, v0
	v_cvt_i32_f32_e32 v1, v1
	v_exp_f32_e32 v0, v0
	s_mov_b32 s0, 0xc2ce8ed0
	v_cmp_ngt_f32_e32 vcc, s0, v118
	s_mov_b32 s0, 0x42b17218
	v_ldexp_f32 v0, v0, v1
	v_cndmask_b32_e32 v0, 0, v0, vcc
	v_cmp_nlt_f32_e32 vcc, s0, v118
	s_mov_b32 s0, 0x3f2aaaab
	s_nop 0
	v_cndmask_b32_e32 v32, v109, v0, vcc
	v_add_f32_e32 v18, 1.0, v32
	v_add_f32_e32 v0, -1.0, v18
	v_sub_f32_e32 v1, v0, v18
	v_add_f32_e32 v1, 1.0, v1
	v_sub_f32_e32 v0, v32, v0
	v_add_f32_e32 v19, v0, v1
	v_frexp_mant_f32_e32 v20, v18
	v_cvt_f64_f32_e32 v[0:1], v18
	v_frexp_exp_i32_f64_e32 v0, v[0:1]
	v_cmp_gt_f32_e32 vcc, s0, v20
	s_mov_b32 s0, 0x3f317218
	s_nop 0
	v_subbrev_co_u32_e32 v24, vcc, 0, v0, vcc
	v_sub_u32_e32 v0, 0, v24
	v_ldexp_f32 v1, v18, v0
	v_add_f32_e32 v18, -1.0, v1
	v_add_f32_e32 v20, 1.0, v1
	v_ldexp_f32 v0, v19, v0
	v_add_f32_e32 v19, 1.0, v18
	v_add_f32_e32 v21, -1.0, v20
	v_sub_f32_e32 v19, v1, v19
	v_sub_f32_e32 v1, v1, v21
	v_add_f32_e32 v19, v0, v19
	v_add_f32_e32 v0, v0, v1
	;; [unrolled: 1-line block ×3, first 2 shown]
	v_rcp_f32_e32 v27, v25
	v_sub_f32_e32 v1, v20, v25
	v_add_f32_e32 v26, v0, v1
	v_add_f32_e32 v1, v18, v19
	v_mul_f32_e32 v29, v1, v27
	v_sub_f32_e32 v0, v18, v1
	v_mul_f32_e32 v18, v25, v29
	v_fma_f32 v20, v29, v25, -v18
	v_fmac_f32_e32 v20, v29, v26
	v_add_f32_e32 v28, v19, v0
	v_add_f32_e32 v0, v18, v20
	v_sub_f32_e32 v19, v1, v0
	v_pk_add_f32 v[22:23], v[0:1], v[18:19] neg_lo:[0,1] neg_hi:[0,1]
	v_mov_b32_e32 v21, v0
	v_pk_add_f32 v[0:1], v[22:23], v[20:21] neg_lo:[0,1] neg_hi:[0,1]
	s_nop 0
	v_add_f32_e32 v1, v28, v1
	v_add_f32_e32 v0, v0, v1
	;; [unrolled: 1-line block ×3, first 2 shown]
	v_mul_f32_e32 v28, v27, v1
	v_mul_f32_e32 v18, v25, v28
	v_fma_f32 v20, v28, v25, -v18
	v_fmac_f32_e32 v20, v28, v26
	v_sub_f32_e32 v19, v19, v1
	v_add_f32_e32 v25, v0, v19
	v_add_f32_e32 v0, v18, v20
	v_sub_f32_e32 v19, v1, v0
	v_pk_add_f32 v[22:23], v[0:1], v[18:19] neg_lo:[0,1] neg_hi:[0,1]
	v_mov_b32_e32 v21, v0
	v_pk_add_f32 v[0:1], v[22:23], v[20:21] neg_lo:[0,1] neg_hi:[0,1]
	s_nop 0
	v_add_f32_e32 v1, v25, v1
	v_add_f32_e32 v0, v0, v1
	;; [unrolled: 1-line block ×4, first 2 shown]
	v_sub_f32_e32 v18, v1, v29
	v_mul_f32_e32 v0, v27, v0
	v_sub_f32_e32 v18, v28, v18
	v_add_f32_e32 v18, v18, v0
	v_add_f32_e32 v20, v1, v18
	v_mul_f32_e32 v21, v20, v20
	v_fmamk_f32 v0, v21, 0x3e9b6dac, v108
	v_fmaak_f32 v43, v21, v0, 0x3f2aaada
	v_cvt_f32_i32_e32 v0, v24
	v_sub_f32_e32 v1, v20, v1
	v_sub_f32_e32 v1, v18, v1
	v_ldexp_f32 v22, v1, 1
	v_mul_f32_e32 v1, v20, v21
	v_ldexp_f32 v19, v20, 1
	v_pk_mul_f32 v[20:21], v[0:1], v[42:43]
	s_nop 0
	v_fma_f32 v18, v0, s0, -v20
	v_fmac_f32_e32 v18, 0xb102e308, v0
	v_pk_add_f32 v[0:1], v[20:21], v[18:19]
	s_mov_b32 s0, 0x7f800000
	v_sub_f32_e32 v19, v1, v19
	v_sub_f32_e32 v19, v21, v19
	v_add_f32_e32 v23, v22, v19
	v_mov_b32_e32 v22, v20
	v_pk_add_f32 v[20:21], v[0:1], v[20:21] neg_lo:[0,1] neg_hi:[0,1]
	v_pk_add_f32 v[24:25], v[0:1], v[22:23]
	v_mov_b32_e32 v19, v0
	v_mov_b32_e32 v21, v25
	v_pk_add_f32 v[26:27], v[18:19], v[20:21] neg_lo:[0,1] neg_hi:[0,1]
	v_pk_add_f32 v[18:19], v[18:19], v[20:21]
	v_mov_b32_e32 v22, v23
	v_mov_b32_e32 v20, v19
	v_pk_add_f32 v[28:29], v[20:21], v[0:1] neg_lo:[0,1] neg_hi:[0,1]
	v_mov_b32_e32 v18, v25
	v_mov_b32_e32 v21, v28
	v_pk_add_f32 v[30:31], v[24:25], v[20:21] neg_lo:[0,1] neg_hi:[0,1]
	v_mov_b32_e32 v24, v1
	v_mov_b32_e32 v25, v28
	;; [unrolled: 1-line block ×3, first 2 shown]
	v_pk_add_f32 v[18:19], v[18:19], v[24:25] neg_lo:[0,1] neg_hi:[0,1]
	v_mov_b32_e32 v23, v0
	v_pk_add_f32 v[0:1], v[22:23], v[18:19] neg_lo:[0,1] neg_hi:[0,1]
	v_mov_b32_e32 v30, v26
	v_pk_add_f32 v[18:19], v[30:31], v[0:1]
	v_cmp_eq_f32_e32 vcc, s0, v32
	v_mov_b32_e32 v22, v19
	v_pk_add_f32 v[22:23], v[18:19], v[22:23]
	s_mov_b32 s0, 0x33800000
	v_pk_add_f32 v[20:21], v[20:21], v[22:23]
	v_mov_b32_e32 v1, v22
	v_mov_b32_e32 v19, v20
	v_pk_add_f32 v[24:25], v[18:19], v[26:27] neg_lo:[0,1] neg_hi:[0,1]
	v_cmp_gt_f32_e64 s[2:3], s0, v32
	v_sub_f32_e32 v18, v18, v24
	v_pk_add_f32 v[0:1], v[0:1], v[24:25] neg_lo:[0,1] neg_hi:[0,1]
	v_sub_f32_e32 v18, v26, v18
	v_add_f32_e32 v0, v0, v18
	v_add_f32_e32 v0, v0, v1
	v_add_f32_e32 v0, v20, v0
	s_or_b64 vcc, s[2:3], vcc
	v_cndmask_b32_e32 v118, v0, v32, vcc
.LBB59_34:                              ;   in Loop: Header=BB59_14 Depth=1
	s_or_b64 exec, exec, s[30:31]
	v_lshlrev_b32_e32 v0, 16, v13
	v_add_f32_e32 v119, s33, v0
	s_mov_b32 s0, 0x41a00000
	v_cmp_ge_f32_e32 vcc, s0, v119
	s_and_b64 s[0:1], s[88:89], vcc
	s_and_saveexec_b64 s[30:31], s[0:1]
	s_cbranch_execz .LBB59_36
; %bb.35:                               ;   in Loop: Header=BB59_14 Depth=1
	v_mul_f32_e32 v0, 0x3fb8aa3b, v119
	v_rndne_f32_e32 v1, v0
	s_mov_b32 s0, 0x3fb8aa3b
	v_sub_f32_e32 v18, v0, v1
	v_fma_f32 v0, v119, s0, -v0
	v_fmac_f32_e32 v0, 0x32a5705f, v119
	v_add_f32_e32 v0, v18, v0
	v_cvt_i32_f32_e32 v1, v1
	v_exp_f32_e32 v0, v0
	s_mov_b32 s0, 0xc2ce8ed0
	v_cmp_ngt_f32_e32 vcc, s0, v119
	s_mov_b32 s0, 0x42b17218
	v_ldexp_f32 v0, v0, v1
	v_cndmask_b32_e32 v0, 0, v0, vcc
	v_cmp_nlt_f32_e32 vcc, s0, v119
	s_mov_b32 s0, 0x3f2aaaab
	s_nop 0
	v_cndmask_b32_e32 v32, v109, v0, vcc
	v_add_f32_e32 v18, 1.0, v32
	v_add_f32_e32 v0, -1.0, v18
	v_sub_f32_e32 v1, v0, v18
	v_add_f32_e32 v1, 1.0, v1
	v_sub_f32_e32 v0, v32, v0
	v_add_f32_e32 v19, v0, v1
	v_frexp_mant_f32_e32 v20, v18
	v_cvt_f64_f32_e32 v[0:1], v18
	v_frexp_exp_i32_f64_e32 v0, v[0:1]
	v_cmp_gt_f32_e32 vcc, s0, v20
	s_mov_b32 s0, 0x3f317218
	s_nop 0
	v_subbrev_co_u32_e32 v24, vcc, 0, v0, vcc
	v_sub_u32_e32 v0, 0, v24
	v_ldexp_f32 v1, v18, v0
	v_add_f32_e32 v18, -1.0, v1
	v_add_f32_e32 v20, 1.0, v1
	v_ldexp_f32 v0, v19, v0
	v_add_f32_e32 v19, 1.0, v18
	v_add_f32_e32 v21, -1.0, v20
	v_sub_f32_e32 v19, v1, v19
	v_sub_f32_e32 v1, v1, v21
	v_add_f32_e32 v19, v0, v19
	v_add_f32_e32 v0, v0, v1
	;; [unrolled: 1-line block ×3, first 2 shown]
	v_rcp_f32_e32 v27, v25
	v_sub_f32_e32 v1, v20, v25
	v_add_f32_e32 v26, v0, v1
	v_add_f32_e32 v1, v18, v19
	v_mul_f32_e32 v29, v1, v27
	v_sub_f32_e32 v0, v18, v1
	v_mul_f32_e32 v18, v25, v29
	v_fma_f32 v20, v29, v25, -v18
	v_fmac_f32_e32 v20, v29, v26
	v_add_f32_e32 v28, v19, v0
	v_add_f32_e32 v0, v18, v20
	v_sub_f32_e32 v19, v1, v0
	v_pk_add_f32 v[22:23], v[0:1], v[18:19] neg_lo:[0,1] neg_hi:[0,1]
	v_mov_b32_e32 v21, v0
	v_pk_add_f32 v[0:1], v[22:23], v[20:21] neg_lo:[0,1] neg_hi:[0,1]
	s_nop 0
	v_add_f32_e32 v1, v28, v1
	v_add_f32_e32 v0, v0, v1
	v_add_f32_e32 v1, v19, v0
	v_mul_f32_e32 v28, v27, v1
	v_mul_f32_e32 v18, v25, v28
	v_fma_f32 v20, v28, v25, -v18
	v_fmac_f32_e32 v20, v28, v26
	v_sub_f32_e32 v19, v19, v1
	v_add_f32_e32 v25, v0, v19
	v_add_f32_e32 v0, v18, v20
	v_sub_f32_e32 v19, v1, v0
	v_pk_add_f32 v[22:23], v[0:1], v[18:19] neg_lo:[0,1] neg_hi:[0,1]
	v_mov_b32_e32 v21, v0
	v_pk_add_f32 v[0:1], v[22:23], v[20:21] neg_lo:[0,1] neg_hi:[0,1]
	s_nop 0
	v_add_f32_e32 v1, v25, v1
	v_add_f32_e32 v0, v0, v1
	;; [unrolled: 1-line block ×4, first 2 shown]
	v_sub_f32_e32 v18, v1, v29
	v_mul_f32_e32 v0, v27, v0
	v_sub_f32_e32 v18, v28, v18
	v_add_f32_e32 v18, v18, v0
	v_add_f32_e32 v20, v1, v18
	v_mul_f32_e32 v21, v20, v20
	v_fmamk_f32 v0, v21, 0x3e9b6dac, v108
	v_fmaak_f32 v43, v21, v0, 0x3f2aaada
	v_cvt_f32_i32_e32 v0, v24
	v_sub_f32_e32 v1, v20, v1
	v_sub_f32_e32 v1, v18, v1
	v_ldexp_f32 v22, v1, 1
	v_mul_f32_e32 v1, v20, v21
	v_ldexp_f32 v19, v20, 1
	v_pk_mul_f32 v[20:21], v[0:1], v[42:43]
	s_nop 0
	v_fma_f32 v18, v0, s0, -v20
	v_fmac_f32_e32 v18, 0xb102e308, v0
	v_pk_add_f32 v[0:1], v[20:21], v[18:19]
	s_mov_b32 s0, 0x7f800000
	v_sub_f32_e32 v19, v1, v19
	v_sub_f32_e32 v19, v21, v19
	v_add_f32_e32 v23, v22, v19
	v_mov_b32_e32 v22, v20
	v_pk_add_f32 v[20:21], v[0:1], v[20:21] neg_lo:[0,1] neg_hi:[0,1]
	v_pk_add_f32 v[24:25], v[0:1], v[22:23]
	v_mov_b32_e32 v19, v0
	v_mov_b32_e32 v21, v25
	v_pk_add_f32 v[26:27], v[18:19], v[20:21] neg_lo:[0,1] neg_hi:[0,1]
	v_pk_add_f32 v[18:19], v[18:19], v[20:21]
	v_mov_b32_e32 v22, v23
	v_mov_b32_e32 v20, v19
	v_pk_add_f32 v[28:29], v[20:21], v[0:1] neg_lo:[0,1] neg_hi:[0,1]
	v_mov_b32_e32 v18, v25
	v_mov_b32_e32 v21, v28
	v_pk_add_f32 v[30:31], v[24:25], v[20:21] neg_lo:[0,1] neg_hi:[0,1]
	v_mov_b32_e32 v24, v1
	v_mov_b32_e32 v25, v28
	;; [unrolled: 1-line block ×3, first 2 shown]
	v_pk_add_f32 v[18:19], v[18:19], v[24:25] neg_lo:[0,1] neg_hi:[0,1]
	v_mov_b32_e32 v23, v0
	v_pk_add_f32 v[0:1], v[22:23], v[18:19] neg_lo:[0,1] neg_hi:[0,1]
	v_mov_b32_e32 v30, v26
	v_pk_add_f32 v[18:19], v[30:31], v[0:1]
	v_cmp_eq_f32_e32 vcc, s0, v32
	v_mov_b32_e32 v22, v19
	v_pk_add_f32 v[22:23], v[18:19], v[22:23]
	s_mov_b32 s0, 0x33800000
	v_pk_add_f32 v[20:21], v[20:21], v[22:23]
	v_mov_b32_e32 v1, v22
	v_mov_b32_e32 v19, v20
	v_pk_add_f32 v[24:25], v[18:19], v[26:27] neg_lo:[0,1] neg_hi:[0,1]
	v_cmp_gt_f32_e64 s[2:3], s0, v32
	v_sub_f32_e32 v18, v18, v24
	v_pk_add_f32 v[0:1], v[0:1], v[24:25] neg_lo:[0,1] neg_hi:[0,1]
	v_sub_f32_e32 v18, v26, v18
	v_add_f32_e32 v0, v0, v18
	v_add_f32_e32 v0, v0, v1
	;; [unrolled: 1-line block ×3, first 2 shown]
	s_or_b64 vcc, s[2:3], vcc
	v_cndmask_b32_e32 v119, v0, v32, vcc
.LBB59_36:                              ;   in Loop: Header=BB59_14 Depth=1
	s_or_b64 exec, exec, s[30:31]
	v_and_b32_e32 v0, 0xffff0000, v13
	v_add_f32_e32 v120, s33, v0
	s_mov_b32 s0, 0x41a00000
	v_cmp_ge_f32_e32 vcc, s0, v120
	s_and_b64 s[0:1], s[88:89], vcc
	s_and_saveexec_b64 s[30:31], s[0:1]
	s_cbranch_execz .LBB59_38
; %bb.37:                               ;   in Loop: Header=BB59_14 Depth=1
	v_mul_f32_e32 v0, 0x3fb8aa3b, v120
	v_rndne_f32_e32 v1, v0
	s_mov_b32 s0, 0x3fb8aa3b
	v_sub_f32_e32 v18, v0, v1
	v_fma_f32 v0, v120, s0, -v0
	v_fmac_f32_e32 v0, 0x32a5705f, v120
	v_add_f32_e32 v0, v18, v0
	v_cvt_i32_f32_e32 v1, v1
	v_exp_f32_e32 v0, v0
	s_mov_b32 s0, 0xc2ce8ed0
	v_cmp_ngt_f32_e32 vcc, s0, v120
	s_mov_b32 s0, 0x42b17218
	v_ldexp_f32 v0, v0, v1
	v_cndmask_b32_e32 v0, 0, v0, vcc
	v_cmp_nlt_f32_e32 vcc, s0, v120
	s_mov_b32 s0, 0x3f2aaaab
	s_nop 0
	v_cndmask_b32_e32 v32, v109, v0, vcc
	v_add_f32_e32 v18, 1.0, v32
	v_add_f32_e32 v0, -1.0, v18
	v_sub_f32_e32 v1, v0, v18
	v_add_f32_e32 v1, 1.0, v1
	v_sub_f32_e32 v0, v32, v0
	v_add_f32_e32 v19, v0, v1
	v_frexp_mant_f32_e32 v20, v18
	v_cvt_f64_f32_e32 v[0:1], v18
	v_frexp_exp_i32_f64_e32 v0, v[0:1]
	v_cmp_gt_f32_e32 vcc, s0, v20
	s_mov_b32 s0, 0x3f317218
	s_nop 0
	v_subbrev_co_u32_e32 v24, vcc, 0, v0, vcc
	v_sub_u32_e32 v0, 0, v24
	v_ldexp_f32 v1, v18, v0
	v_add_f32_e32 v18, -1.0, v1
	v_add_f32_e32 v20, 1.0, v1
	v_ldexp_f32 v0, v19, v0
	v_add_f32_e32 v19, 1.0, v18
	v_add_f32_e32 v21, -1.0, v20
	v_sub_f32_e32 v19, v1, v19
	v_sub_f32_e32 v1, v1, v21
	v_add_f32_e32 v19, v0, v19
	v_add_f32_e32 v0, v0, v1
	;; [unrolled: 1-line block ×3, first 2 shown]
	v_rcp_f32_e32 v27, v25
	v_sub_f32_e32 v1, v20, v25
	v_add_f32_e32 v26, v0, v1
	v_add_f32_e32 v1, v18, v19
	v_mul_f32_e32 v29, v1, v27
	v_sub_f32_e32 v0, v18, v1
	v_mul_f32_e32 v18, v25, v29
	v_fma_f32 v20, v29, v25, -v18
	v_fmac_f32_e32 v20, v29, v26
	v_add_f32_e32 v28, v19, v0
	v_add_f32_e32 v0, v18, v20
	v_sub_f32_e32 v19, v1, v0
	v_pk_add_f32 v[22:23], v[0:1], v[18:19] neg_lo:[0,1] neg_hi:[0,1]
	v_mov_b32_e32 v21, v0
	v_pk_add_f32 v[0:1], v[22:23], v[20:21] neg_lo:[0,1] neg_hi:[0,1]
	s_nop 0
	v_add_f32_e32 v1, v28, v1
	v_add_f32_e32 v0, v0, v1
	;; [unrolled: 1-line block ×3, first 2 shown]
	v_mul_f32_e32 v28, v27, v1
	v_mul_f32_e32 v18, v25, v28
	v_fma_f32 v20, v28, v25, -v18
	v_fmac_f32_e32 v20, v28, v26
	v_sub_f32_e32 v19, v19, v1
	v_add_f32_e32 v25, v0, v19
	v_add_f32_e32 v0, v18, v20
	v_sub_f32_e32 v19, v1, v0
	v_pk_add_f32 v[22:23], v[0:1], v[18:19] neg_lo:[0,1] neg_hi:[0,1]
	v_mov_b32_e32 v21, v0
	v_pk_add_f32 v[0:1], v[22:23], v[20:21] neg_lo:[0,1] neg_hi:[0,1]
	s_nop 0
	v_add_f32_e32 v1, v25, v1
	v_add_f32_e32 v0, v0, v1
	v_add_f32_e32 v1, v29, v28
	v_add_f32_e32 v0, v19, v0
	v_sub_f32_e32 v18, v1, v29
	v_mul_f32_e32 v0, v27, v0
	v_sub_f32_e32 v18, v28, v18
	v_add_f32_e32 v18, v18, v0
	v_add_f32_e32 v20, v1, v18
	v_mul_f32_e32 v21, v20, v20
	v_fmamk_f32 v0, v21, 0x3e9b6dac, v108
	v_fmaak_f32 v43, v21, v0, 0x3f2aaada
	v_cvt_f32_i32_e32 v0, v24
	v_sub_f32_e32 v1, v20, v1
	v_sub_f32_e32 v1, v18, v1
	v_ldexp_f32 v22, v1, 1
	v_mul_f32_e32 v1, v20, v21
	v_ldexp_f32 v19, v20, 1
	v_pk_mul_f32 v[20:21], v[0:1], v[42:43]
	s_nop 0
	v_fma_f32 v18, v0, s0, -v20
	v_fmac_f32_e32 v18, 0xb102e308, v0
	v_pk_add_f32 v[0:1], v[20:21], v[18:19]
	s_mov_b32 s0, 0x7f800000
	v_sub_f32_e32 v19, v1, v19
	v_sub_f32_e32 v19, v21, v19
	v_add_f32_e32 v23, v22, v19
	v_mov_b32_e32 v22, v20
	v_pk_add_f32 v[20:21], v[0:1], v[20:21] neg_lo:[0,1] neg_hi:[0,1]
	v_pk_add_f32 v[24:25], v[0:1], v[22:23]
	v_mov_b32_e32 v19, v0
	v_mov_b32_e32 v21, v25
	v_pk_add_f32 v[26:27], v[18:19], v[20:21] neg_lo:[0,1] neg_hi:[0,1]
	v_pk_add_f32 v[18:19], v[18:19], v[20:21]
	v_mov_b32_e32 v22, v23
	v_mov_b32_e32 v20, v19
	v_pk_add_f32 v[28:29], v[20:21], v[0:1] neg_lo:[0,1] neg_hi:[0,1]
	v_mov_b32_e32 v18, v25
	v_mov_b32_e32 v21, v28
	v_pk_add_f32 v[30:31], v[24:25], v[20:21] neg_lo:[0,1] neg_hi:[0,1]
	v_mov_b32_e32 v24, v1
	v_mov_b32_e32 v25, v28
	;; [unrolled: 1-line block ×3, first 2 shown]
	v_pk_add_f32 v[18:19], v[18:19], v[24:25] neg_lo:[0,1] neg_hi:[0,1]
	v_mov_b32_e32 v23, v0
	v_pk_add_f32 v[0:1], v[22:23], v[18:19] neg_lo:[0,1] neg_hi:[0,1]
	v_mov_b32_e32 v30, v26
	v_pk_add_f32 v[18:19], v[30:31], v[0:1]
	v_cmp_eq_f32_e32 vcc, s0, v32
	v_mov_b32_e32 v22, v19
	v_pk_add_f32 v[22:23], v[18:19], v[22:23]
	s_mov_b32 s0, 0x33800000
	v_pk_add_f32 v[20:21], v[20:21], v[22:23]
	v_mov_b32_e32 v1, v22
	v_mov_b32_e32 v19, v20
	v_pk_add_f32 v[24:25], v[18:19], v[26:27] neg_lo:[0,1] neg_hi:[0,1]
	v_cmp_gt_f32_e64 s[2:3], s0, v32
	v_sub_f32_e32 v18, v18, v24
	v_pk_add_f32 v[0:1], v[0:1], v[24:25] neg_lo:[0,1] neg_hi:[0,1]
	v_sub_f32_e32 v18, v26, v18
	v_add_f32_e32 v0, v0, v18
	v_add_f32_e32 v0, v0, v1
	;; [unrolled: 1-line block ×3, first 2 shown]
	s_or_b64 vcc, s[2:3], vcc
	v_cndmask_b32_e32 v120, v0, v32, vcc
.LBB59_38:                              ;   in Loop: Header=BB59_14 Depth=1
	s_or_b64 exec, exec, s[30:31]
	s_waitcnt lgkmcnt(0)
	v_lshlrev_b32_e32 v0, 16, v2
	v_add_f32_e32 v121, s33, v0
	s_mov_b32 s0, 0x41a00000
	v_cmp_ge_f32_e32 vcc, s0, v121
	s_and_b64 s[0:1], s[88:89], vcc
	s_and_saveexec_b64 s[30:31], s[0:1]
	s_cbranch_execz .LBB59_40
; %bb.39:                               ;   in Loop: Header=BB59_14 Depth=1
	v_mul_f32_e32 v0, 0x3fb8aa3b, v121
	v_rndne_f32_e32 v1, v0
	s_mov_b32 s0, 0x3fb8aa3b
	v_sub_f32_e32 v18, v0, v1
	v_fma_f32 v0, v121, s0, -v0
	v_fmac_f32_e32 v0, 0x32a5705f, v121
	v_add_f32_e32 v0, v18, v0
	v_cvt_i32_f32_e32 v1, v1
	v_exp_f32_e32 v0, v0
	s_mov_b32 s0, 0xc2ce8ed0
	v_cmp_ngt_f32_e32 vcc, s0, v121
	s_mov_b32 s0, 0x42b17218
	v_ldexp_f32 v0, v0, v1
	v_cndmask_b32_e32 v0, 0, v0, vcc
	v_cmp_nlt_f32_e32 vcc, s0, v121
	s_mov_b32 s0, 0x3f2aaaab
	s_nop 0
	v_cndmask_b32_e32 v32, v109, v0, vcc
	v_add_f32_e32 v18, 1.0, v32
	v_add_f32_e32 v0, -1.0, v18
	v_sub_f32_e32 v1, v0, v18
	v_add_f32_e32 v1, 1.0, v1
	v_sub_f32_e32 v0, v32, v0
	v_add_f32_e32 v19, v0, v1
	v_frexp_mant_f32_e32 v20, v18
	v_cvt_f64_f32_e32 v[0:1], v18
	v_frexp_exp_i32_f64_e32 v0, v[0:1]
	v_cmp_gt_f32_e32 vcc, s0, v20
	s_mov_b32 s0, 0x3f317218
	s_nop 0
	v_subbrev_co_u32_e32 v24, vcc, 0, v0, vcc
	v_sub_u32_e32 v0, 0, v24
	v_ldexp_f32 v1, v18, v0
	v_add_f32_e32 v18, -1.0, v1
	v_add_f32_e32 v20, 1.0, v1
	v_ldexp_f32 v0, v19, v0
	v_add_f32_e32 v19, 1.0, v18
	v_add_f32_e32 v21, -1.0, v20
	v_sub_f32_e32 v19, v1, v19
	v_sub_f32_e32 v1, v1, v21
	v_add_f32_e32 v19, v0, v19
	v_add_f32_e32 v0, v0, v1
	;; [unrolled: 1-line block ×3, first 2 shown]
	v_rcp_f32_e32 v27, v25
	v_sub_f32_e32 v1, v20, v25
	v_add_f32_e32 v26, v0, v1
	v_add_f32_e32 v1, v18, v19
	v_mul_f32_e32 v29, v1, v27
	v_sub_f32_e32 v0, v18, v1
	v_mul_f32_e32 v18, v25, v29
	v_fma_f32 v20, v29, v25, -v18
	v_fmac_f32_e32 v20, v29, v26
	v_add_f32_e32 v28, v19, v0
	v_add_f32_e32 v0, v18, v20
	v_sub_f32_e32 v19, v1, v0
	v_pk_add_f32 v[22:23], v[0:1], v[18:19] neg_lo:[0,1] neg_hi:[0,1]
	v_mov_b32_e32 v21, v0
	v_pk_add_f32 v[0:1], v[22:23], v[20:21] neg_lo:[0,1] neg_hi:[0,1]
	s_nop 0
	v_add_f32_e32 v1, v28, v1
	v_add_f32_e32 v0, v0, v1
	;; [unrolled: 1-line block ×3, first 2 shown]
	v_mul_f32_e32 v28, v27, v1
	v_mul_f32_e32 v18, v25, v28
	v_fma_f32 v20, v28, v25, -v18
	v_fmac_f32_e32 v20, v28, v26
	v_sub_f32_e32 v19, v19, v1
	v_add_f32_e32 v25, v0, v19
	v_add_f32_e32 v0, v18, v20
	v_sub_f32_e32 v19, v1, v0
	v_pk_add_f32 v[22:23], v[0:1], v[18:19] neg_lo:[0,1] neg_hi:[0,1]
	v_mov_b32_e32 v21, v0
	v_pk_add_f32 v[0:1], v[22:23], v[20:21] neg_lo:[0,1] neg_hi:[0,1]
	s_nop 0
	v_add_f32_e32 v1, v25, v1
	v_add_f32_e32 v0, v0, v1
	;; [unrolled: 1-line block ×4, first 2 shown]
	v_sub_f32_e32 v18, v1, v29
	v_mul_f32_e32 v0, v27, v0
	v_sub_f32_e32 v18, v28, v18
	v_add_f32_e32 v18, v18, v0
	v_add_f32_e32 v20, v1, v18
	v_mul_f32_e32 v21, v20, v20
	v_fmamk_f32 v0, v21, 0x3e9b6dac, v108
	v_fmaak_f32 v43, v21, v0, 0x3f2aaada
	v_cvt_f32_i32_e32 v0, v24
	v_sub_f32_e32 v1, v20, v1
	v_sub_f32_e32 v1, v18, v1
	v_ldexp_f32 v22, v1, 1
	v_mul_f32_e32 v1, v20, v21
	v_ldexp_f32 v19, v20, 1
	v_pk_mul_f32 v[20:21], v[0:1], v[42:43]
	s_nop 0
	v_fma_f32 v18, v0, s0, -v20
	v_fmac_f32_e32 v18, 0xb102e308, v0
	v_pk_add_f32 v[0:1], v[20:21], v[18:19]
	s_mov_b32 s0, 0x7f800000
	v_sub_f32_e32 v19, v1, v19
	v_sub_f32_e32 v19, v21, v19
	v_add_f32_e32 v23, v22, v19
	v_mov_b32_e32 v22, v20
	v_pk_add_f32 v[20:21], v[0:1], v[20:21] neg_lo:[0,1] neg_hi:[0,1]
	v_pk_add_f32 v[24:25], v[0:1], v[22:23]
	v_mov_b32_e32 v19, v0
	v_mov_b32_e32 v21, v25
	v_pk_add_f32 v[26:27], v[18:19], v[20:21] neg_lo:[0,1] neg_hi:[0,1]
	v_pk_add_f32 v[18:19], v[18:19], v[20:21]
	v_mov_b32_e32 v22, v23
	v_mov_b32_e32 v20, v19
	v_pk_add_f32 v[28:29], v[20:21], v[0:1] neg_lo:[0,1] neg_hi:[0,1]
	v_mov_b32_e32 v18, v25
	v_mov_b32_e32 v21, v28
	v_pk_add_f32 v[30:31], v[24:25], v[20:21] neg_lo:[0,1] neg_hi:[0,1]
	v_mov_b32_e32 v24, v1
	v_mov_b32_e32 v25, v28
	;; [unrolled: 1-line block ×3, first 2 shown]
	v_pk_add_f32 v[18:19], v[18:19], v[24:25] neg_lo:[0,1] neg_hi:[0,1]
	v_mov_b32_e32 v23, v0
	v_pk_add_f32 v[0:1], v[22:23], v[18:19] neg_lo:[0,1] neg_hi:[0,1]
	v_mov_b32_e32 v30, v26
	v_pk_add_f32 v[18:19], v[30:31], v[0:1]
	v_cmp_eq_f32_e32 vcc, s0, v32
	v_mov_b32_e32 v22, v19
	v_pk_add_f32 v[22:23], v[18:19], v[22:23]
	s_mov_b32 s0, 0x33800000
	v_pk_add_f32 v[20:21], v[20:21], v[22:23]
	v_mov_b32_e32 v1, v22
	v_mov_b32_e32 v19, v20
	v_pk_add_f32 v[24:25], v[18:19], v[26:27] neg_lo:[0,1] neg_hi:[0,1]
	v_cmp_gt_f32_e64 s[2:3], s0, v32
	v_sub_f32_e32 v18, v18, v24
	v_pk_add_f32 v[0:1], v[0:1], v[24:25] neg_lo:[0,1] neg_hi:[0,1]
	v_sub_f32_e32 v18, v26, v18
	v_add_f32_e32 v0, v0, v18
	v_add_f32_e32 v0, v0, v1
	;; [unrolled: 1-line block ×3, first 2 shown]
	s_or_b64 vcc, s[2:3], vcc
	v_cndmask_b32_e32 v121, v0, v32, vcc
.LBB59_40:                              ;   in Loop: Header=BB59_14 Depth=1
	s_or_b64 exec, exec, s[30:31]
	v_and_b32_e32 v0, 0xffff0000, v2
	v_add_f32_e32 v122, s33, v0
	s_mov_b32 s0, 0x41a00000
	v_cmp_ge_f32_e32 vcc, s0, v122
	s_and_b64 s[0:1], s[88:89], vcc
	s_and_saveexec_b64 s[30:31], s[0:1]
	s_cbranch_execz .LBB59_42
; %bb.41:                               ;   in Loop: Header=BB59_14 Depth=1
	v_mul_f32_e32 v0, 0x3fb8aa3b, v122
	v_rndne_f32_e32 v1, v0
	s_mov_b32 s0, 0x3fb8aa3b
	v_sub_f32_e32 v18, v0, v1
	v_fma_f32 v0, v122, s0, -v0
	v_fmac_f32_e32 v0, 0x32a5705f, v122
	v_add_f32_e32 v0, v18, v0
	v_cvt_i32_f32_e32 v1, v1
	v_exp_f32_e32 v0, v0
	s_mov_b32 s0, 0xc2ce8ed0
	v_cmp_ngt_f32_e32 vcc, s0, v122
	s_mov_b32 s0, 0x42b17218
	v_ldexp_f32 v0, v0, v1
	v_cndmask_b32_e32 v0, 0, v0, vcc
	v_cmp_nlt_f32_e32 vcc, s0, v122
	s_mov_b32 s0, 0x3f2aaaab
	s_nop 0
	v_cndmask_b32_e32 v32, v109, v0, vcc
	v_add_f32_e32 v18, 1.0, v32
	v_add_f32_e32 v0, -1.0, v18
	v_sub_f32_e32 v1, v0, v18
	v_add_f32_e32 v1, 1.0, v1
	v_sub_f32_e32 v0, v32, v0
	v_add_f32_e32 v19, v0, v1
	v_frexp_mant_f32_e32 v20, v18
	v_cvt_f64_f32_e32 v[0:1], v18
	v_frexp_exp_i32_f64_e32 v0, v[0:1]
	v_cmp_gt_f32_e32 vcc, s0, v20
	s_mov_b32 s0, 0x3f317218
	s_nop 0
	v_subbrev_co_u32_e32 v24, vcc, 0, v0, vcc
	v_sub_u32_e32 v0, 0, v24
	v_ldexp_f32 v1, v18, v0
	v_add_f32_e32 v18, -1.0, v1
	v_add_f32_e32 v20, 1.0, v1
	v_ldexp_f32 v0, v19, v0
	v_add_f32_e32 v19, 1.0, v18
	v_add_f32_e32 v21, -1.0, v20
	v_sub_f32_e32 v19, v1, v19
	v_sub_f32_e32 v1, v1, v21
	v_add_f32_e32 v19, v0, v19
	v_add_f32_e32 v0, v0, v1
	;; [unrolled: 1-line block ×3, first 2 shown]
	v_rcp_f32_e32 v27, v25
	v_sub_f32_e32 v1, v20, v25
	v_add_f32_e32 v26, v0, v1
	v_add_f32_e32 v1, v18, v19
	v_mul_f32_e32 v29, v1, v27
	v_sub_f32_e32 v0, v18, v1
	v_mul_f32_e32 v18, v25, v29
	v_fma_f32 v20, v29, v25, -v18
	v_fmac_f32_e32 v20, v29, v26
	v_add_f32_e32 v28, v19, v0
	v_add_f32_e32 v0, v18, v20
	v_sub_f32_e32 v19, v1, v0
	v_pk_add_f32 v[22:23], v[0:1], v[18:19] neg_lo:[0,1] neg_hi:[0,1]
	v_mov_b32_e32 v21, v0
	v_pk_add_f32 v[0:1], v[22:23], v[20:21] neg_lo:[0,1] neg_hi:[0,1]
	s_nop 0
	v_add_f32_e32 v1, v28, v1
	v_add_f32_e32 v0, v0, v1
	;; [unrolled: 1-line block ×3, first 2 shown]
	v_mul_f32_e32 v28, v27, v1
	v_mul_f32_e32 v18, v25, v28
	v_fma_f32 v20, v28, v25, -v18
	v_fmac_f32_e32 v20, v28, v26
	v_sub_f32_e32 v19, v19, v1
	v_add_f32_e32 v25, v0, v19
	v_add_f32_e32 v0, v18, v20
	v_sub_f32_e32 v19, v1, v0
	v_pk_add_f32 v[22:23], v[0:1], v[18:19] neg_lo:[0,1] neg_hi:[0,1]
	v_mov_b32_e32 v21, v0
	v_pk_add_f32 v[0:1], v[22:23], v[20:21] neg_lo:[0,1] neg_hi:[0,1]
	s_nop 0
	v_add_f32_e32 v1, v25, v1
	v_add_f32_e32 v0, v0, v1
	;; [unrolled: 1-line block ×4, first 2 shown]
	v_sub_f32_e32 v18, v1, v29
	v_mul_f32_e32 v0, v27, v0
	v_sub_f32_e32 v18, v28, v18
	v_add_f32_e32 v18, v18, v0
	v_add_f32_e32 v20, v1, v18
	v_mul_f32_e32 v21, v20, v20
	v_fmamk_f32 v0, v21, 0x3e9b6dac, v108
	v_fmaak_f32 v43, v21, v0, 0x3f2aaada
	v_cvt_f32_i32_e32 v0, v24
	v_sub_f32_e32 v1, v20, v1
	v_sub_f32_e32 v1, v18, v1
	v_ldexp_f32 v22, v1, 1
	v_mul_f32_e32 v1, v20, v21
	v_ldexp_f32 v19, v20, 1
	v_pk_mul_f32 v[20:21], v[0:1], v[42:43]
	s_nop 0
	v_fma_f32 v18, v0, s0, -v20
	v_fmac_f32_e32 v18, 0xb102e308, v0
	v_pk_add_f32 v[0:1], v[20:21], v[18:19]
	s_mov_b32 s0, 0x7f800000
	v_sub_f32_e32 v19, v1, v19
	v_sub_f32_e32 v19, v21, v19
	v_add_f32_e32 v23, v22, v19
	v_mov_b32_e32 v22, v20
	v_pk_add_f32 v[20:21], v[0:1], v[20:21] neg_lo:[0,1] neg_hi:[0,1]
	v_pk_add_f32 v[24:25], v[0:1], v[22:23]
	v_mov_b32_e32 v19, v0
	v_mov_b32_e32 v21, v25
	v_pk_add_f32 v[26:27], v[18:19], v[20:21] neg_lo:[0,1] neg_hi:[0,1]
	v_pk_add_f32 v[18:19], v[18:19], v[20:21]
	v_mov_b32_e32 v22, v23
	v_mov_b32_e32 v20, v19
	v_pk_add_f32 v[28:29], v[20:21], v[0:1] neg_lo:[0,1] neg_hi:[0,1]
	v_mov_b32_e32 v18, v25
	v_mov_b32_e32 v21, v28
	v_pk_add_f32 v[30:31], v[24:25], v[20:21] neg_lo:[0,1] neg_hi:[0,1]
	v_mov_b32_e32 v24, v1
	v_mov_b32_e32 v25, v28
	;; [unrolled: 1-line block ×3, first 2 shown]
	v_pk_add_f32 v[18:19], v[18:19], v[24:25] neg_lo:[0,1] neg_hi:[0,1]
	v_mov_b32_e32 v23, v0
	v_pk_add_f32 v[0:1], v[22:23], v[18:19] neg_lo:[0,1] neg_hi:[0,1]
	v_mov_b32_e32 v30, v26
	v_pk_add_f32 v[18:19], v[30:31], v[0:1]
	v_cmp_eq_f32_e32 vcc, s0, v32
	v_mov_b32_e32 v22, v19
	v_pk_add_f32 v[22:23], v[18:19], v[22:23]
	s_mov_b32 s0, 0x33800000
	v_pk_add_f32 v[20:21], v[20:21], v[22:23]
	v_mov_b32_e32 v1, v22
	v_mov_b32_e32 v19, v20
	v_pk_add_f32 v[24:25], v[18:19], v[26:27] neg_lo:[0,1] neg_hi:[0,1]
	v_cmp_gt_f32_e64 s[2:3], s0, v32
	v_sub_f32_e32 v18, v18, v24
	v_pk_add_f32 v[0:1], v[0:1], v[24:25] neg_lo:[0,1] neg_hi:[0,1]
	v_sub_f32_e32 v18, v26, v18
	v_add_f32_e32 v0, v0, v18
	v_add_f32_e32 v0, v0, v1
	;; [unrolled: 1-line block ×3, first 2 shown]
	s_or_b64 vcc, s[2:3], vcc
	v_cndmask_b32_e32 v122, v0, v32, vcc
.LBB59_42:                              ;   in Loop: Header=BB59_14 Depth=1
	s_or_b64 exec, exec, s[30:31]
	v_lshlrev_b32_e32 v0, 16, v3
	v_add_f32_e32 v123, s33, v0
	s_mov_b32 s0, 0x41a00000
	v_cmp_ge_f32_e32 vcc, s0, v123
	s_and_b64 s[0:1], s[88:89], vcc
	s_and_saveexec_b64 s[30:31], s[0:1]
	s_cbranch_execz .LBB59_44
; %bb.43:                               ;   in Loop: Header=BB59_14 Depth=1
	v_mul_f32_e32 v0, 0x3fb8aa3b, v123
	v_rndne_f32_e32 v1, v0
	s_mov_b32 s0, 0x3fb8aa3b
	v_sub_f32_e32 v18, v0, v1
	v_fma_f32 v0, v123, s0, -v0
	v_fmac_f32_e32 v0, 0x32a5705f, v123
	v_add_f32_e32 v0, v18, v0
	v_cvt_i32_f32_e32 v1, v1
	v_exp_f32_e32 v0, v0
	s_mov_b32 s0, 0xc2ce8ed0
	v_cmp_ngt_f32_e32 vcc, s0, v123
	s_mov_b32 s0, 0x42b17218
	v_ldexp_f32 v0, v0, v1
	v_cndmask_b32_e32 v0, 0, v0, vcc
	v_cmp_nlt_f32_e32 vcc, s0, v123
	s_mov_b32 s0, 0x3f2aaaab
	s_nop 0
	v_cndmask_b32_e32 v32, v109, v0, vcc
	v_add_f32_e32 v18, 1.0, v32
	v_add_f32_e32 v0, -1.0, v18
	v_sub_f32_e32 v1, v0, v18
	v_add_f32_e32 v1, 1.0, v1
	v_sub_f32_e32 v0, v32, v0
	v_add_f32_e32 v19, v0, v1
	v_frexp_mant_f32_e32 v20, v18
	v_cvt_f64_f32_e32 v[0:1], v18
	v_frexp_exp_i32_f64_e32 v0, v[0:1]
	v_cmp_gt_f32_e32 vcc, s0, v20
	s_mov_b32 s0, 0x3f317218
	s_nop 0
	v_subbrev_co_u32_e32 v24, vcc, 0, v0, vcc
	v_sub_u32_e32 v0, 0, v24
	v_ldexp_f32 v1, v18, v0
	v_add_f32_e32 v18, -1.0, v1
	v_add_f32_e32 v20, 1.0, v1
	v_ldexp_f32 v0, v19, v0
	v_add_f32_e32 v19, 1.0, v18
	v_add_f32_e32 v21, -1.0, v20
	v_sub_f32_e32 v19, v1, v19
	v_sub_f32_e32 v1, v1, v21
	v_add_f32_e32 v19, v0, v19
	v_add_f32_e32 v0, v0, v1
	;; [unrolled: 1-line block ×3, first 2 shown]
	v_rcp_f32_e32 v27, v25
	v_sub_f32_e32 v1, v20, v25
	v_add_f32_e32 v26, v0, v1
	v_add_f32_e32 v1, v18, v19
	v_mul_f32_e32 v29, v1, v27
	v_sub_f32_e32 v0, v18, v1
	v_mul_f32_e32 v18, v25, v29
	v_fma_f32 v20, v29, v25, -v18
	v_fmac_f32_e32 v20, v29, v26
	v_add_f32_e32 v28, v19, v0
	v_add_f32_e32 v0, v18, v20
	v_sub_f32_e32 v19, v1, v0
	v_pk_add_f32 v[22:23], v[0:1], v[18:19] neg_lo:[0,1] neg_hi:[0,1]
	v_mov_b32_e32 v21, v0
	v_pk_add_f32 v[0:1], v[22:23], v[20:21] neg_lo:[0,1] neg_hi:[0,1]
	s_nop 0
	v_add_f32_e32 v1, v28, v1
	v_add_f32_e32 v0, v0, v1
	;; [unrolled: 1-line block ×3, first 2 shown]
	v_mul_f32_e32 v28, v27, v1
	v_mul_f32_e32 v18, v25, v28
	v_fma_f32 v20, v28, v25, -v18
	v_fmac_f32_e32 v20, v28, v26
	v_sub_f32_e32 v19, v19, v1
	v_add_f32_e32 v25, v0, v19
	v_add_f32_e32 v0, v18, v20
	v_sub_f32_e32 v19, v1, v0
	v_pk_add_f32 v[22:23], v[0:1], v[18:19] neg_lo:[0,1] neg_hi:[0,1]
	v_mov_b32_e32 v21, v0
	v_pk_add_f32 v[0:1], v[22:23], v[20:21] neg_lo:[0,1] neg_hi:[0,1]
	s_nop 0
	v_add_f32_e32 v1, v25, v1
	v_add_f32_e32 v0, v0, v1
	;; [unrolled: 1-line block ×4, first 2 shown]
	v_sub_f32_e32 v18, v1, v29
	v_mul_f32_e32 v0, v27, v0
	v_sub_f32_e32 v18, v28, v18
	v_add_f32_e32 v18, v18, v0
	v_add_f32_e32 v20, v1, v18
	v_mul_f32_e32 v21, v20, v20
	v_fmamk_f32 v0, v21, 0x3e9b6dac, v108
	v_fmaak_f32 v43, v21, v0, 0x3f2aaada
	v_cvt_f32_i32_e32 v0, v24
	v_sub_f32_e32 v1, v20, v1
	v_sub_f32_e32 v1, v18, v1
	v_ldexp_f32 v22, v1, 1
	v_mul_f32_e32 v1, v20, v21
	v_ldexp_f32 v19, v20, 1
	v_pk_mul_f32 v[20:21], v[0:1], v[42:43]
	s_nop 0
	v_fma_f32 v18, v0, s0, -v20
	v_fmac_f32_e32 v18, 0xb102e308, v0
	v_pk_add_f32 v[0:1], v[20:21], v[18:19]
	s_mov_b32 s0, 0x7f800000
	v_sub_f32_e32 v19, v1, v19
	v_sub_f32_e32 v19, v21, v19
	v_add_f32_e32 v23, v22, v19
	v_mov_b32_e32 v22, v20
	v_pk_add_f32 v[20:21], v[0:1], v[20:21] neg_lo:[0,1] neg_hi:[0,1]
	v_pk_add_f32 v[24:25], v[0:1], v[22:23]
	v_mov_b32_e32 v19, v0
	v_mov_b32_e32 v21, v25
	v_pk_add_f32 v[26:27], v[18:19], v[20:21] neg_lo:[0,1] neg_hi:[0,1]
	v_pk_add_f32 v[18:19], v[18:19], v[20:21]
	v_mov_b32_e32 v22, v23
	v_mov_b32_e32 v20, v19
	v_pk_add_f32 v[28:29], v[20:21], v[0:1] neg_lo:[0,1] neg_hi:[0,1]
	v_mov_b32_e32 v18, v25
	v_mov_b32_e32 v21, v28
	v_pk_add_f32 v[30:31], v[24:25], v[20:21] neg_lo:[0,1] neg_hi:[0,1]
	v_mov_b32_e32 v24, v1
	v_mov_b32_e32 v25, v28
	;; [unrolled: 1-line block ×3, first 2 shown]
	v_pk_add_f32 v[18:19], v[18:19], v[24:25] neg_lo:[0,1] neg_hi:[0,1]
	v_mov_b32_e32 v23, v0
	v_pk_add_f32 v[0:1], v[22:23], v[18:19] neg_lo:[0,1] neg_hi:[0,1]
	v_mov_b32_e32 v30, v26
	v_pk_add_f32 v[18:19], v[30:31], v[0:1]
	v_cmp_eq_f32_e32 vcc, s0, v32
	v_mov_b32_e32 v22, v19
	v_pk_add_f32 v[22:23], v[18:19], v[22:23]
	s_mov_b32 s0, 0x33800000
	v_pk_add_f32 v[20:21], v[20:21], v[22:23]
	v_mov_b32_e32 v1, v22
	v_mov_b32_e32 v19, v20
	v_pk_add_f32 v[24:25], v[18:19], v[26:27] neg_lo:[0,1] neg_hi:[0,1]
	v_cmp_gt_f32_e64 s[2:3], s0, v32
	v_sub_f32_e32 v18, v18, v24
	v_pk_add_f32 v[0:1], v[0:1], v[24:25] neg_lo:[0,1] neg_hi:[0,1]
	v_sub_f32_e32 v18, v26, v18
	v_add_f32_e32 v0, v0, v18
	v_add_f32_e32 v0, v0, v1
	;; [unrolled: 1-line block ×3, first 2 shown]
	s_or_b64 vcc, s[2:3], vcc
	v_cndmask_b32_e32 v123, v0, v32, vcc
.LBB59_44:                              ;   in Loop: Header=BB59_14 Depth=1
	s_or_b64 exec, exec, s[30:31]
	v_and_b32_e32 v0, 0xffff0000, v3
	v_add_f32_e32 v124, s33, v0
	s_mov_b32 s0, 0x41a00000
	v_cmp_ge_f32_e32 vcc, s0, v124
	s_and_b64 s[0:1], s[88:89], vcc
	s_and_saveexec_b64 s[30:31], s[0:1]
	s_cbranch_execz .LBB59_46
; %bb.45:                               ;   in Loop: Header=BB59_14 Depth=1
	v_mul_f32_e32 v0, 0x3fb8aa3b, v124
	v_rndne_f32_e32 v1, v0
	s_mov_b32 s0, 0x3fb8aa3b
	v_sub_f32_e32 v18, v0, v1
	v_fma_f32 v0, v124, s0, -v0
	v_fmac_f32_e32 v0, 0x32a5705f, v124
	v_add_f32_e32 v0, v18, v0
	v_cvt_i32_f32_e32 v1, v1
	v_exp_f32_e32 v0, v0
	s_mov_b32 s0, 0xc2ce8ed0
	v_cmp_ngt_f32_e32 vcc, s0, v124
	s_mov_b32 s0, 0x42b17218
	v_ldexp_f32 v0, v0, v1
	v_cndmask_b32_e32 v0, 0, v0, vcc
	v_cmp_nlt_f32_e32 vcc, s0, v124
	s_mov_b32 s0, 0x3f2aaaab
	s_nop 0
	v_cndmask_b32_e32 v32, v109, v0, vcc
	v_add_f32_e32 v18, 1.0, v32
	v_add_f32_e32 v0, -1.0, v18
	v_sub_f32_e32 v1, v0, v18
	v_add_f32_e32 v1, 1.0, v1
	v_sub_f32_e32 v0, v32, v0
	v_add_f32_e32 v19, v0, v1
	v_frexp_mant_f32_e32 v20, v18
	v_cvt_f64_f32_e32 v[0:1], v18
	v_frexp_exp_i32_f64_e32 v0, v[0:1]
	v_cmp_gt_f32_e32 vcc, s0, v20
	s_mov_b32 s0, 0x3f317218
	s_nop 0
	v_subbrev_co_u32_e32 v24, vcc, 0, v0, vcc
	v_sub_u32_e32 v0, 0, v24
	v_ldexp_f32 v1, v18, v0
	v_add_f32_e32 v18, -1.0, v1
	v_add_f32_e32 v20, 1.0, v1
	v_ldexp_f32 v0, v19, v0
	v_add_f32_e32 v19, 1.0, v18
	v_add_f32_e32 v21, -1.0, v20
	v_sub_f32_e32 v19, v1, v19
	v_sub_f32_e32 v1, v1, v21
	v_add_f32_e32 v19, v0, v19
	v_add_f32_e32 v0, v0, v1
	;; [unrolled: 1-line block ×3, first 2 shown]
	v_rcp_f32_e32 v27, v25
	v_sub_f32_e32 v1, v20, v25
	v_add_f32_e32 v26, v0, v1
	v_add_f32_e32 v1, v18, v19
	v_mul_f32_e32 v29, v1, v27
	v_sub_f32_e32 v0, v18, v1
	v_mul_f32_e32 v18, v25, v29
	v_fma_f32 v20, v29, v25, -v18
	v_fmac_f32_e32 v20, v29, v26
	v_add_f32_e32 v28, v19, v0
	v_add_f32_e32 v0, v18, v20
	v_sub_f32_e32 v19, v1, v0
	v_pk_add_f32 v[22:23], v[0:1], v[18:19] neg_lo:[0,1] neg_hi:[0,1]
	v_mov_b32_e32 v21, v0
	v_pk_add_f32 v[0:1], v[22:23], v[20:21] neg_lo:[0,1] neg_hi:[0,1]
	s_nop 0
	v_add_f32_e32 v1, v28, v1
	v_add_f32_e32 v0, v0, v1
	;; [unrolled: 1-line block ×3, first 2 shown]
	v_mul_f32_e32 v28, v27, v1
	v_mul_f32_e32 v18, v25, v28
	v_fma_f32 v20, v28, v25, -v18
	v_fmac_f32_e32 v20, v28, v26
	v_sub_f32_e32 v19, v19, v1
	v_add_f32_e32 v25, v0, v19
	v_add_f32_e32 v0, v18, v20
	v_sub_f32_e32 v19, v1, v0
	v_pk_add_f32 v[22:23], v[0:1], v[18:19] neg_lo:[0,1] neg_hi:[0,1]
	v_mov_b32_e32 v21, v0
	v_pk_add_f32 v[0:1], v[22:23], v[20:21] neg_lo:[0,1] neg_hi:[0,1]
	s_nop 0
	v_add_f32_e32 v1, v25, v1
	v_add_f32_e32 v0, v0, v1
	;; [unrolled: 1-line block ×4, first 2 shown]
	v_sub_f32_e32 v18, v1, v29
	v_mul_f32_e32 v0, v27, v0
	v_sub_f32_e32 v18, v28, v18
	v_add_f32_e32 v18, v18, v0
	v_add_f32_e32 v20, v1, v18
	v_mul_f32_e32 v21, v20, v20
	v_fmamk_f32 v0, v21, 0x3e9b6dac, v108
	v_fmaak_f32 v43, v21, v0, 0x3f2aaada
	v_cvt_f32_i32_e32 v0, v24
	v_sub_f32_e32 v1, v20, v1
	v_sub_f32_e32 v1, v18, v1
	v_ldexp_f32 v22, v1, 1
	v_mul_f32_e32 v1, v20, v21
	v_ldexp_f32 v19, v20, 1
	v_pk_mul_f32 v[20:21], v[0:1], v[42:43]
	s_nop 0
	v_fma_f32 v18, v0, s0, -v20
	v_fmac_f32_e32 v18, 0xb102e308, v0
	v_pk_add_f32 v[0:1], v[20:21], v[18:19]
	s_mov_b32 s0, 0x7f800000
	v_sub_f32_e32 v19, v1, v19
	v_sub_f32_e32 v19, v21, v19
	v_add_f32_e32 v23, v22, v19
	v_mov_b32_e32 v22, v20
	v_pk_add_f32 v[20:21], v[0:1], v[20:21] neg_lo:[0,1] neg_hi:[0,1]
	v_pk_add_f32 v[24:25], v[0:1], v[22:23]
	v_mov_b32_e32 v19, v0
	v_mov_b32_e32 v21, v25
	v_pk_add_f32 v[26:27], v[18:19], v[20:21] neg_lo:[0,1] neg_hi:[0,1]
	v_pk_add_f32 v[18:19], v[18:19], v[20:21]
	v_mov_b32_e32 v22, v23
	v_mov_b32_e32 v20, v19
	v_pk_add_f32 v[28:29], v[20:21], v[0:1] neg_lo:[0,1] neg_hi:[0,1]
	v_mov_b32_e32 v18, v25
	v_mov_b32_e32 v21, v28
	v_pk_add_f32 v[30:31], v[24:25], v[20:21] neg_lo:[0,1] neg_hi:[0,1]
	v_mov_b32_e32 v24, v1
	v_mov_b32_e32 v25, v28
	;; [unrolled: 1-line block ×3, first 2 shown]
	v_pk_add_f32 v[18:19], v[18:19], v[24:25] neg_lo:[0,1] neg_hi:[0,1]
	v_mov_b32_e32 v23, v0
	v_pk_add_f32 v[0:1], v[22:23], v[18:19] neg_lo:[0,1] neg_hi:[0,1]
	v_mov_b32_e32 v30, v26
	v_pk_add_f32 v[18:19], v[30:31], v[0:1]
	v_cmp_eq_f32_e32 vcc, s0, v32
	v_mov_b32_e32 v22, v19
	v_pk_add_f32 v[22:23], v[18:19], v[22:23]
	s_mov_b32 s0, 0x33800000
	v_pk_add_f32 v[20:21], v[20:21], v[22:23]
	v_mov_b32_e32 v1, v22
	v_mov_b32_e32 v19, v20
	v_pk_add_f32 v[24:25], v[18:19], v[26:27] neg_lo:[0,1] neg_hi:[0,1]
	v_cmp_gt_f32_e64 s[2:3], s0, v32
	v_sub_f32_e32 v18, v18, v24
	v_pk_add_f32 v[0:1], v[0:1], v[24:25] neg_lo:[0,1] neg_hi:[0,1]
	v_sub_f32_e32 v18, v26, v18
	v_add_f32_e32 v0, v0, v18
	v_add_f32_e32 v0, v0, v1
	;; [unrolled: 1-line block ×3, first 2 shown]
	s_or_b64 vcc, s[2:3], vcc
	v_cndmask_b32_e32 v124, v0, v32, vcc
.LBB59_46:                              ;   in Loop: Header=BB59_14 Depth=1
	s_or_b64 exec, exec, s[30:31]
	v_lshlrev_b32_e32 v0, 16, v4
	v_add_f32_e32 v125, s33, v0
	s_mov_b32 s0, 0x41a00000
	v_cmp_ge_f32_e32 vcc, s0, v125
	s_and_b64 s[0:1], s[88:89], vcc
	s_and_saveexec_b64 s[30:31], s[0:1]
	s_cbranch_execz .LBB59_48
; %bb.47:                               ;   in Loop: Header=BB59_14 Depth=1
	v_mul_f32_e32 v0, 0x3fb8aa3b, v125
	v_rndne_f32_e32 v1, v0
	s_mov_b32 s0, 0x3fb8aa3b
	v_sub_f32_e32 v18, v0, v1
	v_fma_f32 v0, v125, s0, -v0
	v_fmac_f32_e32 v0, 0x32a5705f, v125
	v_add_f32_e32 v0, v18, v0
	v_cvt_i32_f32_e32 v1, v1
	v_exp_f32_e32 v0, v0
	s_mov_b32 s0, 0xc2ce8ed0
	v_cmp_ngt_f32_e32 vcc, s0, v125
	s_mov_b32 s0, 0x42b17218
	v_ldexp_f32 v0, v0, v1
	v_cndmask_b32_e32 v0, 0, v0, vcc
	v_cmp_nlt_f32_e32 vcc, s0, v125
	s_mov_b32 s0, 0x3f2aaaab
	s_nop 0
	v_cndmask_b32_e32 v32, v109, v0, vcc
	v_add_f32_e32 v18, 1.0, v32
	v_add_f32_e32 v0, -1.0, v18
	v_sub_f32_e32 v1, v0, v18
	v_add_f32_e32 v1, 1.0, v1
	v_sub_f32_e32 v0, v32, v0
	v_add_f32_e32 v19, v0, v1
	v_frexp_mant_f32_e32 v20, v18
	v_cvt_f64_f32_e32 v[0:1], v18
	v_frexp_exp_i32_f64_e32 v0, v[0:1]
	v_cmp_gt_f32_e32 vcc, s0, v20
	s_mov_b32 s0, 0x3f317218
	s_nop 0
	v_subbrev_co_u32_e32 v24, vcc, 0, v0, vcc
	v_sub_u32_e32 v0, 0, v24
	v_ldexp_f32 v1, v18, v0
	v_add_f32_e32 v18, -1.0, v1
	v_add_f32_e32 v20, 1.0, v1
	v_ldexp_f32 v0, v19, v0
	v_add_f32_e32 v19, 1.0, v18
	v_add_f32_e32 v21, -1.0, v20
	v_sub_f32_e32 v19, v1, v19
	v_sub_f32_e32 v1, v1, v21
	v_add_f32_e32 v19, v0, v19
	v_add_f32_e32 v0, v0, v1
	;; [unrolled: 1-line block ×3, first 2 shown]
	v_rcp_f32_e32 v27, v25
	v_sub_f32_e32 v1, v20, v25
	v_add_f32_e32 v26, v0, v1
	v_add_f32_e32 v1, v18, v19
	v_mul_f32_e32 v29, v1, v27
	v_sub_f32_e32 v0, v18, v1
	v_mul_f32_e32 v18, v25, v29
	v_fma_f32 v20, v29, v25, -v18
	v_fmac_f32_e32 v20, v29, v26
	v_add_f32_e32 v28, v19, v0
	v_add_f32_e32 v0, v18, v20
	v_sub_f32_e32 v19, v1, v0
	v_pk_add_f32 v[22:23], v[0:1], v[18:19] neg_lo:[0,1] neg_hi:[0,1]
	v_mov_b32_e32 v21, v0
	v_pk_add_f32 v[0:1], v[22:23], v[20:21] neg_lo:[0,1] neg_hi:[0,1]
	s_nop 0
	v_add_f32_e32 v1, v28, v1
	v_add_f32_e32 v0, v0, v1
	;; [unrolled: 1-line block ×3, first 2 shown]
	v_mul_f32_e32 v28, v27, v1
	v_mul_f32_e32 v18, v25, v28
	v_fma_f32 v20, v28, v25, -v18
	v_fmac_f32_e32 v20, v28, v26
	v_sub_f32_e32 v19, v19, v1
	v_add_f32_e32 v25, v0, v19
	v_add_f32_e32 v0, v18, v20
	v_sub_f32_e32 v19, v1, v0
	v_pk_add_f32 v[22:23], v[0:1], v[18:19] neg_lo:[0,1] neg_hi:[0,1]
	v_mov_b32_e32 v21, v0
	v_pk_add_f32 v[0:1], v[22:23], v[20:21] neg_lo:[0,1] neg_hi:[0,1]
	s_nop 0
	v_add_f32_e32 v1, v25, v1
	v_add_f32_e32 v0, v0, v1
	v_add_f32_e32 v1, v29, v28
	v_add_f32_e32 v0, v19, v0
	v_sub_f32_e32 v18, v1, v29
	v_mul_f32_e32 v0, v27, v0
	v_sub_f32_e32 v18, v28, v18
	v_add_f32_e32 v18, v18, v0
	v_add_f32_e32 v20, v1, v18
	v_mul_f32_e32 v21, v20, v20
	v_fmamk_f32 v0, v21, 0x3e9b6dac, v108
	v_fmaak_f32 v43, v21, v0, 0x3f2aaada
	v_cvt_f32_i32_e32 v0, v24
	v_sub_f32_e32 v1, v20, v1
	v_sub_f32_e32 v1, v18, v1
	v_ldexp_f32 v22, v1, 1
	v_mul_f32_e32 v1, v20, v21
	v_ldexp_f32 v19, v20, 1
	v_pk_mul_f32 v[20:21], v[0:1], v[42:43]
	s_nop 0
	v_fma_f32 v18, v0, s0, -v20
	v_fmac_f32_e32 v18, 0xb102e308, v0
	v_pk_add_f32 v[0:1], v[20:21], v[18:19]
	s_mov_b32 s0, 0x7f800000
	v_sub_f32_e32 v19, v1, v19
	v_sub_f32_e32 v19, v21, v19
	v_add_f32_e32 v23, v22, v19
	v_mov_b32_e32 v22, v20
	v_pk_add_f32 v[20:21], v[0:1], v[20:21] neg_lo:[0,1] neg_hi:[0,1]
	v_pk_add_f32 v[24:25], v[0:1], v[22:23]
	v_mov_b32_e32 v19, v0
	v_mov_b32_e32 v21, v25
	v_pk_add_f32 v[26:27], v[18:19], v[20:21] neg_lo:[0,1] neg_hi:[0,1]
	v_pk_add_f32 v[18:19], v[18:19], v[20:21]
	v_mov_b32_e32 v22, v23
	v_mov_b32_e32 v20, v19
	v_pk_add_f32 v[28:29], v[20:21], v[0:1] neg_lo:[0,1] neg_hi:[0,1]
	v_mov_b32_e32 v18, v25
	v_mov_b32_e32 v21, v28
	v_pk_add_f32 v[30:31], v[24:25], v[20:21] neg_lo:[0,1] neg_hi:[0,1]
	v_mov_b32_e32 v24, v1
	v_mov_b32_e32 v25, v28
	;; [unrolled: 1-line block ×3, first 2 shown]
	v_pk_add_f32 v[18:19], v[18:19], v[24:25] neg_lo:[0,1] neg_hi:[0,1]
	v_mov_b32_e32 v23, v0
	v_pk_add_f32 v[0:1], v[22:23], v[18:19] neg_lo:[0,1] neg_hi:[0,1]
	v_mov_b32_e32 v30, v26
	v_pk_add_f32 v[18:19], v[30:31], v[0:1]
	v_cmp_eq_f32_e32 vcc, s0, v32
	v_mov_b32_e32 v22, v19
	v_pk_add_f32 v[22:23], v[18:19], v[22:23]
	s_mov_b32 s0, 0x33800000
	v_pk_add_f32 v[20:21], v[20:21], v[22:23]
	v_mov_b32_e32 v1, v22
	v_mov_b32_e32 v19, v20
	v_pk_add_f32 v[24:25], v[18:19], v[26:27] neg_lo:[0,1] neg_hi:[0,1]
	v_cmp_gt_f32_e64 s[2:3], s0, v32
	v_sub_f32_e32 v18, v18, v24
	v_pk_add_f32 v[0:1], v[0:1], v[24:25] neg_lo:[0,1] neg_hi:[0,1]
	v_sub_f32_e32 v18, v26, v18
	v_add_f32_e32 v0, v0, v18
	v_add_f32_e32 v0, v0, v1
	;; [unrolled: 1-line block ×3, first 2 shown]
	s_or_b64 vcc, s[2:3], vcc
	v_cndmask_b32_e32 v125, v0, v32, vcc
.LBB59_48:                              ;   in Loop: Header=BB59_14 Depth=1
	s_or_b64 exec, exec, s[30:31]
	v_and_b32_e32 v0, 0xffff0000, v4
	v_add_f32_e32 v126, s33, v0
	s_mov_b32 s0, 0x41a00000
	v_cmp_ge_f32_e32 vcc, s0, v126
	s_and_b64 s[0:1], s[88:89], vcc
	s_and_saveexec_b64 s[30:31], s[0:1]
	s_cbranch_execz .LBB59_50
; %bb.49:                               ;   in Loop: Header=BB59_14 Depth=1
	v_mul_f32_e32 v0, 0x3fb8aa3b, v126
	v_rndne_f32_e32 v1, v0
	s_mov_b32 s0, 0x3fb8aa3b
	v_sub_f32_e32 v18, v0, v1
	v_fma_f32 v0, v126, s0, -v0
	v_fmac_f32_e32 v0, 0x32a5705f, v126
	v_add_f32_e32 v0, v18, v0
	v_cvt_i32_f32_e32 v1, v1
	v_exp_f32_e32 v0, v0
	s_mov_b32 s0, 0xc2ce8ed0
	v_cmp_ngt_f32_e32 vcc, s0, v126
	s_mov_b32 s0, 0x42b17218
	v_ldexp_f32 v0, v0, v1
	v_cndmask_b32_e32 v0, 0, v0, vcc
	v_cmp_nlt_f32_e32 vcc, s0, v126
	s_mov_b32 s0, 0x3f2aaaab
	s_nop 0
	v_cndmask_b32_e32 v32, v109, v0, vcc
	v_add_f32_e32 v18, 1.0, v32
	v_add_f32_e32 v0, -1.0, v18
	v_sub_f32_e32 v1, v0, v18
	v_add_f32_e32 v1, 1.0, v1
	v_sub_f32_e32 v0, v32, v0
	v_add_f32_e32 v19, v0, v1
	v_frexp_mant_f32_e32 v20, v18
	v_cvt_f64_f32_e32 v[0:1], v18
	v_frexp_exp_i32_f64_e32 v0, v[0:1]
	v_cmp_gt_f32_e32 vcc, s0, v20
	s_mov_b32 s0, 0x3f317218
	s_nop 0
	v_subbrev_co_u32_e32 v24, vcc, 0, v0, vcc
	v_sub_u32_e32 v0, 0, v24
	v_ldexp_f32 v1, v18, v0
	v_add_f32_e32 v18, -1.0, v1
	v_add_f32_e32 v20, 1.0, v1
	v_ldexp_f32 v0, v19, v0
	v_add_f32_e32 v19, 1.0, v18
	v_add_f32_e32 v21, -1.0, v20
	v_sub_f32_e32 v19, v1, v19
	v_sub_f32_e32 v1, v1, v21
	v_add_f32_e32 v19, v0, v19
	v_add_f32_e32 v0, v0, v1
	;; [unrolled: 1-line block ×3, first 2 shown]
	v_rcp_f32_e32 v27, v25
	v_sub_f32_e32 v1, v20, v25
	v_add_f32_e32 v26, v0, v1
	v_add_f32_e32 v1, v18, v19
	v_mul_f32_e32 v29, v1, v27
	v_sub_f32_e32 v0, v18, v1
	v_mul_f32_e32 v18, v25, v29
	v_fma_f32 v20, v29, v25, -v18
	v_fmac_f32_e32 v20, v29, v26
	v_add_f32_e32 v28, v19, v0
	v_add_f32_e32 v0, v18, v20
	v_sub_f32_e32 v19, v1, v0
	v_pk_add_f32 v[22:23], v[0:1], v[18:19] neg_lo:[0,1] neg_hi:[0,1]
	v_mov_b32_e32 v21, v0
	v_pk_add_f32 v[0:1], v[22:23], v[20:21] neg_lo:[0,1] neg_hi:[0,1]
	s_nop 0
	v_add_f32_e32 v1, v28, v1
	v_add_f32_e32 v0, v0, v1
	;; [unrolled: 1-line block ×3, first 2 shown]
	v_mul_f32_e32 v28, v27, v1
	v_mul_f32_e32 v18, v25, v28
	v_fma_f32 v20, v28, v25, -v18
	v_fmac_f32_e32 v20, v28, v26
	v_sub_f32_e32 v19, v19, v1
	v_add_f32_e32 v25, v0, v19
	v_add_f32_e32 v0, v18, v20
	v_sub_f32_e32 v19, v1, v0
	v_pk_add_f32 v[22:23], v[0:1], v[18:19] neg_lo:[0,1] neg_hi:[0,1]
	v_mov_b32_e32 v21, v0
	v_pk_add_f32 v[0:1], v[22:23], v[20:21] neg_lo:[0,1] neg_hi:[0,1]
	s_nop 0
	v_add_f32_e32 v1, v25, v1
	v_add_f32_e32 v0, v0, v1
	;; [unrolled: 1-line block ×4, first 2 shown]
	v_sub_f32_e32 v18, v1, v29
	v_mul_f32_e32 v0, v27, v0
	v_sub_f32_e32 v18, v28, v18
	v_add_f32_e32 v18, v18, v0
	v_add_f32_e32 v20, v1, v18
	v_mul_f32_e32 v21, v20, v20
	v_fmamk_f32 v0, v21, 0x3e9b6dac, v108
	v_fmaak_f32 v43, v21, v0, 0x3f2aaada
	v_cvt_f32_i32_e32 v0, v24
	v_sub_f32_e32 v1, v20, v1
	v_sub_f32_e32 v1, v18, v1
	v_ldexp_f32 v22, v1, 1
	v_mul_f32_e32 v1, v20, v21
	v_ldexp_f32 v19, v20, 1
	v_pk_mul_f32 v[20:21], v[0:1], v[42:43]
	s_nop 0
	v_fma_f32 v18, v0, s0, -v20
	v_fmac_f32_e32 v18, 0xb102e308, v0
	v_pk_add_f32 v[0:1], v[20:21], v[18:19]
	s_mov_b32 s0, 0x7f800000
	v_sub_f32_e32 v19, v1, v19
	v_sub_f32_e32 v19, v21, v19
	v_add_f32_e32 v23, v22, v19
	v_mov_b32_e32 v22, v20
	v_pk_add_f32 v[20:21], v[0:1], v[20:21] neg_lo:[0,1] neg_hi:[0,1]
	v_pk_add_f32 v[24:25], v[0:1], v[22:23]
	v_mov_b32_e32 v19, v0
	v_mov_b32_e32 v21, v25
	v_pk_add_f32 v[26:27], v[18:19], v[20:21] neg_lo:[0,1] neg_hi:[0,1]
	v_pk_add_f32 v[18:19], v[18:19], v[20:21]
	v_mov_b32_e32 v22, v23
	v_mov_b32_e32 v20, v19
	v_pk_add_f32 v[28:29], v[20:21], v[0:1] neg_lo:[0,1] neg_hi:[0,1]
	v_mov_b32_e32 v18, v25
	v_mov_b32_e32 v21, v28
	v_pk_add_f32 v[30:31], v[24:25], v[20:21] neg_lo:[0,1] neg_hi:[0,1]
	v_mov_b32_e32 v24, v1
	v_mov_b32_e32 v25, v28
	;; [unrolled: 1-line block ×3, first 2 shown]
	v_pk_add_f32 v[18:19], v[18:19], v[24:25] neg_lo:[0,1] neg_hi:[0,1]
	v_mov_b32_e32 v23, v0
	v_pk_add_f32 v[0:1], v[22:23], v[18:19] neg_lo:[0,1] neg_hi:[0,1]
	v_mov_b32_e32 v30, v26
	v_pk_add_f32 v[18:19], v[30:31], v[0:1]
	v_cmp_eq_f32_e32 vcc, s0, v32
	v_mov_b32_e32 v22, v19
	v_pk_add_f32 v[22:23], v[18:19], v[22:23]
	s_mov_b32 s0, 0x33800000
	v_pk_add_f32 v[20:21], v[20:21], v[22:23]
	v_mov_b32_e32 v1, v22
	v_mov_b32_e32 v19, v20
	v_pk_add_f32 v[24:25], v[18:19], v[26:27] neg_lo:[0,1] neg_hi:[0,1]
	v_cmp_gt_f32_e64 s[2:3], s0, v32
	v_sub_f32_e32 v18, v18, v24
	v_pk_add_f32 v[0:1], v[0:1], v[24:25] neg_lo:[0,1] neg_hi:[0,1]
	v_sub_f32_e32 v18, v26, v18
	v_add_f32_e32 v0, v0, v18
	v_add_f32_e32 v0, v0, v1
	v_add_f32_e32 v0, v20, v0
	s_or_b64 vcc, s[2:3], vcc
	v_cndmask_b32_e32 v126, v0, v32, vcc
.LBB59_50:                              ;   in Loop: Header=BB59_14 Depth=1
	s_or_b64 exec, exec, s[30:31]
	v_lshlrev_b32_e32 v0, 16, v5
	v_add_f32_e32 v0, s33, v0
	s_mov_b32 s0, 0x41a00000
	v_cmp_ge_f32_e32 vcc, s0, v0
	s_and_b64 s[0:1], s[88:89], vcc
	s_and_saveexec_b64 s[30:31], s[0:1]
	s_cbranch_execz .LBB59_52
; %bb.51:                               ;   in Loop: Header=BB59_14 Depth=1
	v_mul_f32_e32 v1, 0x3fb8aa3b, v0
	v_rndne_f32_e32 v18, v1
	s_mov_b32 s0, 0x3fb8aa3b
	v_sub_f32_e32 v19, v1, v18
	v_fma_f32 v1, v0, s0, -v1
	v_fmac_f32_e32 v1, 0x32a5705f, v0
	v_add_f32_e32 v1, v19, v1
	v_cvt_i32_f32_e32 v18, v18
	v_exp_f32_e32 v1, v1
	s_mov_b32 s0, 0xc2ce8ed0
	v_cmp_ngt_f32_e32 vcc, s0, v0
	s_mov_b32 s0, 0x42b17218
	v_ldexp_f32 v1, v1, v18
	v_cndmask_b32_e32 v1, 0, v1, vcc
	v_cmp_nlt_f32_e32 vcc, s0, v0
	s_mov_b32 s0, 0x3f2aaaab
	s_nop 0
	v_cndmask_b32_e32 v32, v109, v1, vcc
	v_add_f32_e32 v18, 1.0, v32
	v_add_f32_e32 v0, -1.0, v18
	v_sub_f32_e32 v1, v0, v18
	v_add_f32_e32 v1, 1.0, v1
	v_sub_f32_e32 v0, v32, v0
	v_add_f32_e32 v19, v0, v1
	v_frexp_mant_f32_e32 v20, v18
	v_cvt_f64_f32_e32 v[0:1], v18
	v_frexp_exp_i32_f64_e32 v0, v[0:1]
	v_cmp_gt_f32_e32 vcc, s0, v20
	s_mov_b32 s0, 0x3f317218
	s_nop 0
	v_subbrev_co_u32_e32 v24, vcc, 0, v0, vcc
	v_sub_u32_e32 v0, 0, v24
	v_ldexp_f32 v1, v18, v0
	v_add_f32_e32 v18, -1.0, v1
	v_add_f32_e32 v20, 1.0, v1
	v_ldexp_f32 v0, v19, v0
	v_add_f32_e32 v19, 1.0, v18
	v_add_f32_e32 v21, -1.0, v20
	v_sub_f32_e32 v19, v1, v19
	v_sub_f32_e32 v1, v1, v21
	v_add_f32_e32 v19, v0, v19
	v_add_f32_e32 v0, v0, v1
	;; [unrolled: 1-line block ×3, first 2 shown]
	v_rcp_f32_e32 v27, v25
	v_sub_f32_e32 v1, v20, v25
	v_add_f32_e32 v26, v0, v1
	v_add_f32_e32 v1, v18, v19
	v_mul_f32_e32 v29, v1, v27
	v_sub_f32_e32 v0, v18, v1
	v_mul_f32_e32 v18, v25, v29
	v_fma_f32 v20, v29, v25, -v18
	v_fmac_f32_e32 v20, v29, v26
	v_add_f32_e32 v28, v19, v0
	v_add_f32_e32 v0, v18, v20
	v_sub_f32_e32 v19, v1, v0
	v_pk_add_f32 v[22:23], v[0:1], v[18:19] neg_lo:[0,1] neg_hi:[0,1]
	v_mov_b32_e32 v21, v0
	v_pk_add_f32 v[0:1], v[22:23], v[20:21] neg_lo:[0,1] neg_hi:[0,1]
	s_nop 0
	v_add_f32_e32 v1, v28, v1
	v_add_f32_e32 v0, v0, v1
	v_add_f32_e32 v1, v19, v0
	v_mul_f32_e32 v28, v27, v1
	v_mul_f32_e32 v18, v25, v28
	v_fma_f32 v20, v28, v25, -v18
	v_fmac_f32_e32 v20, v28, v26
	v_sub_f32_e32 v19, v19, v1
	v_add_f32_e32 v25, v0, v19
	v_add_f32_e32 v0, v18, v20
	v_sub_f32_e32 v19, v1, v0
	v_pk_add_f32 v[22:23], v[0:1], v[18:19] neg_lo:[0,1] neg_hi:[0,1]
	v_mov_b32_e32 v21, v0
	v_pk_add_f32 v[0:1], v[22:23], v[20:21] neg_lo:[0,1] neg_hi:[0,1]
	s_nop 0
	v_add_f32_e32 v1, v25, v1
	v_add_f32_e32 v0, v0, v1
	;; [unrolled: 1-line block ×4, first 2 shown]
	v_sub_f32_e32 v18, v1, v29
	v_mul_f32_e32 v0, v27, v0
	v_sub_f32_e32 v18, v28, v18
	v_add_f32_e32 v18, v18, v0
	v_add_f32_e32 v20, v1, v18
	v_mul_f32_e32 v21, v20, v20
	v_fmamk_f32 v0, v21, 0x3e9b6dac, v108
	v_fmaak_f32 v43, v21, v0, 0x3f2aaada
	v_cvt_f32_i32_e32 v0, v24
	v_sub_f32_e32 v1, v20, v1
	v_sub_f32_e32 v1, v18, v1
	v_ldexp_f32 v22, v1, 1
	v_mul_f32_e32 v1, v20, v21
	v_ldexp_f32 v19, v20, 1
	v_pk_mul_f32 v[20:21], v[0:1], v[42:43]
	s_nop 0
	v_fma_f32 v18, v0, s0, -v20
	v_fmac_f32_e32 v18, 0xb102e308, v0
	v_pk_add_f32 v[0:1], v[20:21], v[18:19]
	s_mov_b32 s0, 0x7f800000
	v_sub_f32_e32 v19, v1, v19
	v_sub_f32_e32 v19, v21, v19
	v_add_f32_e32 v23, v22, v19
	v_mov_b32_e32 v22, v20
	v_pk_add_f32 v[20:21], v[0:1], v[20:21] neg_lo:[0,1] neg_hi:[0,1]
	v_pk_add_f32 v[24:25], v[0:1], v[22:23]
	v_mov_b32_e32 v19, v0
	v_mov_b32_e32 v21, v25
	v_pk_add_f32 v[26:27], v[18:19], v[20:21] neg_lo:[0,1] neg_hi:[0,1]
	v_pk_add_f32 v[18:19], v[18:19], v[20:21]
	v_mov_b32_e32 v22, v23
	v_mov_b32_e32 v20, v19
	v_pk_add_f32 v[28:29], v[20:21], v[0:1] neg_lo:[0,1] neg_hi:[0,1]
	v_mov_b32_e32 v18, v25
	v_mov_b32_e32 v21, v28
	v_pk_add_f32 v[30:31], v[24:25], v[20:21] neg_lo:[0,1] neg_hi:[0,1]
	v_mov_b32_e32 v24, v1
	v_mov_b32_e32 v25, v28
	;; [unrolled: 1-line block ×3, first 2 shown]
	v_pk_add_f32 v[18:19], v[18:19], v[24:25] neg_lo:[0,1] neg_hi:[0,1]
	v_mov_b32_e32 v23, v0
	v_pk_add_f32 v[0:1], v[22:23], v[18:19] neg_lo:[0,1] neg_hi:[0,1]
	v_mov_b32_e32 v30, v26
	v_pk_add_f32 v[18:19], v[30:31], v[0:1]
	v_cmp_eq_f32_e32 vcc, s0, v32
	v_mov_b32_e32 v22, v19
	v_pk_add_f32 v[22:23], v[18:19], v[22:23]
	s_mov_b32 s0, 0x33800000
	v_pk_add_f32 v[20:21], v[20:21], v[22:23]
	v_mov_b32_e32 v1, v22
	v_mov_b32_e32 v19, v20
	v_pk_add_f32 v[24:25], v[18:19], v[26:27] neg_lo:[0,1] neg_hi:[0,1]
	v_cmp_gt_f32_e64 s[2:3], s0, v32
	v_sub_f32_e32 v18, v18, v24
	v_pk_add_f32 v[0:1], v[0:1], v[24:25] neg_lo:[0,1] neg_hi:[0,1]
	v_sub_f32_e32 v18, v26, v18
	v_add_f32_e32 v0, v0, v18
	v_add_f32_e32 v0, v0, v1
	;; [unrolled: 1-line block ×3, first 2 shown]
	s_or_b64 vcc, s[2:3], vcc
	v_cndmask_b32_e32 v0, v0, v32, vcc
.LBB59_52:                              ;   in Loop: Header=BB59_14 Depth=1
	s_or_b64 exec, exec, s[30:31]
	v_and_b32_e32 v1, 0xffff0000, v5
	v_add_f32_e32 v1, s33, v1
	s_mov_b32 s0, 0x41a00000
	v_cmp_ge_f32_e32 vcc, s0, v1
	s_and_b64 s[0:1], s[88:89], vcc
	s_and_saveexec_b64 s[30:31], s[0:1]
	s_cbranch_execz .LBB59_54
; %bb.53:                               ;   in Loop: Header=BB59_14 Depth=1
	v_mul_f32_e32 v18, 0x3fb8aa3b, v1
	v_rndne_f32_e32 v19, v18
	s_mov_b32 s0, 0x3fb8aa3b
	v_sub_f32_e32 v20, v18, v19
	v_fma_f32 v18, v1, s0, -v18
	v_fmac_f32_e32 v18, 0x32a5705f, v1
	v_add_f32_e32 v18, v20, v18
	v_cvt_i32_f32_e32 v19, v19
	v_exp_f32_e32 v18, v18
	s_mov_b32 s0, 0xc2ce8ed0
	v_cmp_ngt_f32_e32 vcc, s0, v1
	s_mov_b32 s0, 0x42b17218
	v_ldexp_f32 v18, v18, v19
	v_cndmask_b32_e32 v18, 0, v18, vcc
	v_cmp_nlt_f32_e32 vcc, s0, v1
	s_mov_b32 s0, 0x3f2aaaab
	s_nop 0
	v_cndmask_b32_e32 v39, v109, v18, vcc
	v_add_f32_e32 v1, 1.0, v39
	v_add_f32_e32 v18, -1.0, v1
	v_sub_f32_e32 v19, v18, v1
	v_add_f32_e32 v19, 1.0, v19
	v_sub_f32_e32 v18, v39, v18
	v_add_f32_e32 v20, v18, v19
	v_frexp_mant_f32_e32 v21, v1
	v_cvt_f64_f32_e32 v[18:19], v1
	v_frexp_exp_i32_f64_e32 v18, v[18:19]
	v_cmp_gt_f32_e32 vcc, s0, v21
	s_mov_b32 s0, 0x3f317218
	s_nop 0
	v_subbrev_co_u32_e32 v26, vcc, 0, v18, vcc
	v_sub_u32_e32 v18, 0, v26
	v_ldexp_f32 v1, v1, v18
	v_ldexp_f32 v18, v20, v18
	v_add_f32_e32 v20, -1.0, v1
	v_add_f32_e32 v19, 1.0, v20
	v_sub_f32_e32 v19, v1, v19
	v_add_f32_e32 v21, v18, v19
	v_add_f32_e32 v19, 1.0, v1
	v_add_f32_e32 v22, -1.0, v19
	v_sub_f32_e32 v1, v1, v22
	v_add_f32_e32 v1, v18, v1
	v_add_f32_e32 v27, v19, v1
	v_rcp_f32_e32 v28, v27
	v_sub_f32_e32 v18, v19, v27
	v_add_f32_e32 v19, v20, v21
	v_add_f32_e32 v1, v1, v18
	v_mul_f32_e32 v30, v19, v28
	v_sub_f32_e32 v18, v20, v19
	v_mul_f32_e32 v20, v27, v30
	v_fma_f32 v22, v30, v27, -v20
	v_fmac_f32_e32 v22, v30, v1
	v_add_f32_e32 v29, v21, v18
	v_add_f32_e32 v18, v20, v22
	v_sub_f32_e32 v21, v19, v18
	v_pk_add_f32 v[24:25], v[18:19], v[20:21] neg_lo:[0,1] neg_hi:[0,1]
	v_mov_b32_e32 v23, v18
	v_pk_add_f32 v[18:19], v[24:25], v[22:23] neg_lo:[0,1] neg_hi:[0,1]
	s_nop 0
	v_add_f32_e32 v19, v29, v19
	v_add_f32_e32 v18, v18, v19
	;; [unrolled: 1-line block ×3, first 2 shown]
	v_mul_f32_e32 v29, v28, v19
	v_mul_f32_e32 v20, v27, v29
	v_fma_f32 v22, v29, v27, -v20
	v_fmac_f32_e32 v22, v29, v1
	v_sub_f32_e32 v1, v21, v19
	v_add_f32_e32 v1, v18, v1
	v_add_f32_e32 v18, v20, v22
	v_sub_f32_e32 v21, v19, v18
	v_pk_add_f32 v[24:25], v[18:19], v[20:21] neg_lo:[0,1] neg_hi:[0,1]
	v_mov_b32_e32 v23, v18
	v_pk_add_f32 v[18:19], v[24:25], v[22:23] neg_lo:[0,1] neg_hi:[0,1]
	s_nop 0
	v_add_f32_e32 v1, v1, v19
	v_add_f32_e32 v1, v18, v1
	v_add_f32_e32 v19, v30, v29
	v_add_f32_e32 v1, v21, v1
	v_sub_f32_e32 v18, v19, v30
	v_mul_f32_e32 v1, v28, v1
	v_sub_f32_e32 v18, v29, v18
	v_add_f32_e32 v1, v18, v1
	v_add_f32_e32 v20, v19, v1
	v_mul_f32_e32 v22, v20, v20
	v_fmamk_f32 v18, v22, 0x3e9b6dac, v108
	v_fmaak_f32 v43, v22, v18, 0x3f2aaada
	v_cvt_f32_i32_e32 v18, v26
	v_sub_f32_e32 v19, v20, v19
	v_sub_f32_e32 v1, v1, v19
	v_mul_f32_e32 v19, v20, v22
	v_pk_mul_f32 v[22:23], v[18:19], v[42:43]
	v_ldexp_f32 v21, v20, 1
	v_fma_f32 v20, v18, s0, -v22
	v_fmac_f32_e32 v20, 0xb102e308, v18
	v_pk_add_f32 v[18:19], v[22:23], v[20:21]
	v_ldexp_f32 v1, v1, 1
	v_sub_f32_e32 v21, v19, v21
	v_sub_f32_e32 v21, v23, v21
	v_add_f32_e32 v25, v1, v21
	v_mov_b32_e32 v24, v22
	v_pk_add_f32 v[22:23], v[18:19], v[22:23] neg_lo:[0,1] neg_hi:[0,1]
	v_pk_add_f32 v[26:27], v[18:19], v[24:25]
	v_mov_b32_e32 v21, v18
	v_mov_b32_e32 v23, v27
	v_pk_add_f32 v[28:29], v[20:21], v[22:23] neg_lo:[0,1] neg_hi:[0,1]
	v_pk_add_f32 v[20:21], v[20:21], v[22:23]
	v_mov_b32_e32 v24, v25
	v_mov_b32_e32 v22, v21
	v_pk_add_f32 v[30:31], v[22:23], v[18:19] neg_lo:[0,1] neg_hi:[0,1]
	v_mov_b32_e32 v20, v27
	v_mov_b32_e32 v1, v30
	v_pk_add_f32 v[32:33], v[26:27], v[0:1] neg_lo:[0,1] neg_hi:[0,1]
	v_mov_b32_e32 v26, v19
	v_mov_b32_e32 v27, v30
	;; [unrolled: 1-line block ×3, first 2 shown]
	v_pk_add_f32 v[20:21], v[20:21], v[26:27] neg_lo:[0,1] neg_hi:[0,1]
	v_mov_b32_e32 v25, v18
	v_pk_add_f32 v[18:19], v[24:25], v[20:21] neg_lo:[0,1] neg_hi:[0,1]
	v_mov_b32_e32 v32, v28
	v_pk_add_f32 v[20:21], v[32:33], v[18:19]
	s_mov_b32 s0, 0x7f800000
	v_mov_b32_e32 v24, v21
	v_pk_add_f32 v[24:25], v[20:21], v[24:25]
	v_cmp_eq_f32_e32 vcc, s0, v39
	v_pk_add_f32 v[22:23], v[22:23], v[24:25]
	v_mov_b32_e32 v19, v24
	v_mov_b32_e32 v21, v22
	v_pk_add_f32 v[26:27], v[20:21], v[28:29] neg_lo:[0,1] neg_hi:[0,1]
	s_mov_b32 s0, 0x33800000
	v_sub_f32_e32 v1, v20, v26
	v_pk_add_f32 v[18:19], v[18:19], v[26:27] neg_lo:[0,1] neg_hi:[0,1]
	v_sub_f32_e32 v1, v28, v1
	v_add_f32_e32 v1, v18, v1
	v_add_f32_e32 v1, v1, v19
	v_cmp_gt_f32_e64 s[2:3], s0, v39
	v_add_f32_e32 v1, v22, v1
	s_or_b64 vcc, s[2:3], vcc
	v_cndmask_b32_e32 v1, v1, v39, vcc
.LBB59_54:                              ;   in Loop: Header=BB59_14 Depth=1
	s_or_b64 exec, exec, s[30:31]
	v_readlane_b32 s0, v156, 8
	v_lshlrev_b32_e32 v18, 16, v9
	v_and_b32_e32 v26, 0xffff0000, v9
	v_and_b32_e32 v19, 0xffff0000, v8
	v_lshlrev_b32_e32 v20, 16, v8
	v_and_b32_e32 v21, 0xffff0000, v7
	v_lshlrev_b32_e32 v22, 16, v7
	;; [unrolled: 2-line block ×7, first 2 shown]
	v_readlane_b32 s1, v156, 9
	v_mul_f32_e32 v44, s80, v18
	v_mul_f32_e32 v47, s80, v19
	;; [unrolled: 1-line block ×15, first 2 shown]
	s_mov_b32 s34, s13
	s_lshl_b32 s90, s13, 11
	v_mul_f32_e32 v45, s80, v26
	s_and_b64 vcc, exec, s[0:1]
	s_barrier
	s_cbranch_vccz .LBB59_12
; %bb.55:                               ;   in Loop: Header=BB59_14 Depth=1
	v_readlane_b32 s0, v156, 2
	v_readlane_b32 s1, v156, 3
	;; [unrolled: 1-line block ×4, first 2 shown]
	v_lshl_add_u64 v[60:61], s[0:1], 0, v[34:35]
	v_readlane_b32 s0, v156, 10
	s_sub_i32 s0, s0, s90
	s_cmp_lg_u32 s34, 0
	s_cselect_b64 s[96:97], -1, 0
	s_cmp_eq_u32 s34, s2
	v_cmp_gt_u32_e32 vcc, s0, v89
	v_readlane_b32 s63, v156, 14
	s_cselect_b64 s[98:99], -1, 0
	s_or_b64 s[30:31], s[62:63], vcc
	v_cmp_gt_u32_e32 vcc, s0, v93
	s_mov_b32 s13, s34
	s_or_b64 s[34:35], s[62:63], vcc
	v_cmp_gt_u32_e32 vcc, s0, v94
	s_or_b64 s[36:37], s[62:63], vcc
	v_cmp_gt_u32_e32 vcc, s0, v95
	;; [unrolled: 2-line block ×12, first 2 shown]
	v_mov_b32_e32 v39, v35
	v_lshl_add_u64 v[62:63], s[74:75], 0, v[34:35]
	v_readlane_b32 s1, v156, 11
	s_mov_b32 s82, 0
	s_or_b64 s[58:59], s[62:63], vcc
	v_cmp_gt_u32_e32 vcc, s0, v106
	v_cmp_gt_u32_e64 s[2:3], s0, v107
	v_mul_f32_e32 v43, v1, v26
	v_lshl_add_u64 v[60:61], v[60:61], 0, v[38:39]
	v_lshl_add_u64 v[62:63], v[62:63], 0, v[38:39]
	v_mul_f32_e32 v39, v0, v18
	v_mul_f32_e32 v127, v126, v19
	;; [unrolled: 1-line block ×15, first 2 shown]
	s_or_b64 s[60:61], s[62:63], s[2:3]
	s_or_b64 s[62:63], s[62:63], vcc
	s_mov_b32 s2, s82
	s_mov_b32 s84, s82
	;; [unrolled: 1-line block ×4, first 2 shown]
	v_readlane_b32 s64, v156, 15
	s_branch .LBB59_57
.LBB59_56:                              ;   in Loop: Header=BB59_57 Depth=2
	s_or_b64 exec, exec, s[0:1]
	v_cndmask_b32_e64 v64, v74, v83, s[28:29]
	v_cndmask_b32_e64 v65, v77, v82, s[28:29]
	v_mul_f32_e32 v65, v65, v141
	v_fma_f32 v64, v64, v141, v26
	v_cndmask_b32_e64 v26, v64, v26, s[26:27]
	v_cndmask_b32_e64 v64, v65, v141, s[26:27]
	s_waitcnt lgkmcnt(0)
	v_fmac_f32_e32 v26, v80, v64
	v_fmac_f32_e32 v27, v26, v142
	;; [unrolled: 1-line block ×16, first 2 shown]
	v_and_b32_e32 v65, 0xffff0000, v22
	v_and_b32_e32 v77, 0xffff0000, v23
	v_lshlrev_b32_e32 v64, 16, v22
	v_lshlrev_b32_e32 v76, 16, v23
	v_and_b32_e32 v23, 0xffff0000, v24
	v_and_b32_e32 v79, 0xffff0000, v25
	v_lshlrev_b32_e32 v22, 16, v24
	v_lshlrev_b32_e32 v78, 16, v25
	;; [unrolled: 4-line block ×4, first 2 shown]
	v_mov_b32_e32 v74, v73
	s_add_i32 s64, s64, 8
	s_add_i32 s91, s91, -1
	s_add_i32 s94, s94, s66
	s_add_i32 s84, s84, s72
	;; [unrolled: 1-line block ×4, first 2 shown]
	v_pk_fma_f32 v[56:57], v[28:29], v[76:77], v[56:57]
	v_pk_fma_f32 v[58:59], v[26:27], v[64:65], v[58:59]
	;; [unrolled: 1-line block ×7, first 2 shown]
	s_cmp_eq_u32 s91, 0
	v_pk_fma_f32 v[46:47], v[68:69], v[18:19], v[46:47]
	s_mov_b32 s73, s9
	s_cbranch_scc1 .LBB59_13
.LBB59_57:                              ;   Parent Loop BB59_14 Depth=1
                                        ; =>  This Inner Loop Header: Depth=2
	s_mov_b32 s3, s83
	v_lshl_add_u64 v[22:23], s[2:3], 1, v[60:61]
	global_load_dwordx4 v[18:21], v[22:23], off
	s_nop 0
	global_load_dwordx4 v[22:25], v[22:23], off offset:1024
	s_lshl_b64 s[0:1], s[82:83], 2
	s_mov_b32 s85, s83
	s_add_u32 s0, s67, s0
	v_lshl_add_u64 v[26:27], s[84:85], 1, v[62:63]
	s_addc_u32 s1, s68, s1
	global_load_dword v66, v35, s[0:1]
	s_andn2_b64 vcc, exec, s[96:97]
	s_waitcnt vmcnt(2)
	ds_write_b128 v84, v[18:21]
	s_waitcnt vmcnt(1)
	ds_write_b128 v85, v[22:25] offset:1024
	; wave barrier
	global_load_dwordx4 v[18:21], v[26:27], off
	global_load_dwordx4 v[22:25], v[26:27], off offset:1024
	ds_read_b128 v[30:33], v86
	ds_read_b128 v[26:29], v86 offset:16
	s_waitcnt vmcnt(1)
	ds_write_b128 v84, v[18:21] offset:4224
	s_waitcnt vmcnt(0)
	ds_write_b128 v87, v[22:25] offset:1024
	; wave barrier
	ds_read_b128 v[22:25], v86 offset:4224
	ds_read_b128 v[18:21], v88 offset:16
	s_cbranch_vccnz .LBB59_59
; %bb.58:                               ;   in Loop: Header=BB59_57 Depth=2
	v_mov_b32_e32 v64, s64
	ds_read_b64 v[64:65], v64
	s_cbranch_execz .LBB59_60
	s_branch .LBB59_63
.LBB59_59:                              ;   in Loop: Header=BB59_57 Depth=2
                                        ; implicit-def: $vgpr65
.LBB59_60:                              ;   in Loop: Header=BB59_57 Depth=2
	v_readlane_b32 s0, v156, 0
	v_readlane_b32 s1, v156, 1
	s_andn2_b64 vcc, exec, s[0:1]
	s_waitcnt lgkmcnt(0)
	v_mov_b32_e32 v65, 0
	s_cbranch_vccnz .LBB59_62
; %bb.61:                               ;   in Loop: Header=BB59_57 Depth=2
	s_mov_b32 s95, s83
	s_lshl_b64 s[0:1], s[94:95], 2
	s_add_u32 s0, s69, s0
	s_addc_u32 s1, s81, s1
	global_load_dword v65, v35, s[0:1]
.LBB59_62:                              ;   in Loop: Header=BB59_57 Depth=2
	v_mov_b32_e32 v64, 1.0
.LBB59_63:                              ;   in Loop: Header=BB59_57 Depth=2
	v_mul_f32_e32 v74, 0x3fb8aa3b, v66
	s_waitcnt lgkmcnt(4)
	v_lshlrev_b32_e32 v70, 16, v26
	v_and_b32_e32 v71, 0xffff0000, v26
	v_mul_f32_e32 v26, v74, v113
	v_cmp_gt_f32_e32 vcc, s65, v26
	v_lshlrev_b32_e32 v72, 16, v27
	v_and_b32_e32 v73, 0xffff0000, v27
	v_cndmask_b32_e32 v26, 0, v110, vcc
	v_fmac_f32_e32 v26, v74, v113
	v_exp_f32_e32 v26, v26
	v_cndmask_b32_e32 v27, 1.0, v111, vcc
	v_lshlrev_b32_e32 v76, 16, v28
	v_and_b32_e32 v77, 0xffff0000, v28
	v_mul_f32_e32 v27, v26, v27
	v_cndmask_b32_e64 v141, 1.0, v27, s[30:31]
	v_mul_f32_e32 v27, v74, v114
	v_cmp_gt_f32_e32 vcc, s65, v27
	v_lshlrev_b32_e32 v78, 16, v29
	v_and_b32_e32 v75, 0xffff0000, v29
	v_cndmask_b32_e32 v27, 0, v110, vcc
	v_fmac_f32_e32 v27, v74, v114
	v_exp_f32_e32 v27, v27
	v_cndmask_b32_e32 v28, 1.0, v111, vcc
	v_lshlrev_b32_e32 v66, 16, v30
	v_and_b32_e32 v30, 0xffff0000, v30
	v_mul_f32_e32 v28, v27, v28
	v_cndmask_b32_e64 v142, 1.0, v28, s[34:35]
	v_mul_f32_e32 v28, v74, v115
	v_cmp_gt_f32_e32 vcc, s65, v28
	v_mul_f32_e32 v27, v139, v30
	v_lshlrev_b32_e32 v67, 16, v31
	v_cndmask_b32_e32 v28, 0, v110, vcc
	v_fmac_f32_e32 v28, v74, v115
	v_exp_f32_e32 v28, v28
	v_cndmask_b32_e32 v29, 1.0, v111, vcc
	v_and_b32_e32 v31, 0xffff0000, v31
	v_lshlrev_b32_e32 v68, 16, v32
	v_mul_f32_e32 v29, v28, v29
	v_cndmask_b32_e64 v143, 1.0, v29, s[36:37]
	v_mul_f32_e32 v29, v74, v116
	v_cmp_gt_f32_e32 vcc, s65, v29
	v_and_b32_e32 v32, 0xffff0000, v32
	v_mul_f32_e32 v26, v140, v66
	v_cndmask_b32_e32 v29, 0, v110, vcc
	v_fmac_f32_e32 v29, v74, v116
	v_exp_f32_e32 v29, v29
	v_cndmask_b32_e32 v30, 1.0, v111, vcc
	v_mul_f32_e32 v28, v138, v67
	v_lshlrev_b32_e32 v69, 16, v33
	v_mul_f32_e32 v30, v29, v30
	v_cndmask_b32_e64 v144, 1.0, v30, s[38:39]
	v_mul_f32_e32 v30, v74, v117
	v_cmp_gt_f32_e32 vcc, s65, v30
	v_mul_f32_e32 v29, v137, v31
	v_cndmask_b32_e64 v26, 0, v26, s[30:31]
	v_cndmask_b32_e32 v30, 0, v110, vcc
	v_fmac_f32_e32 v30, v74, v117
	v_exp_f32_e32 v30, v30
	v_cndmask_b32_e32 v31, 1.0, v111, vcc
	v_cndmask_b32_e64 v27, 0, v27, s[34:35]
	v_cndmask_b32_e64 v28, 0, v28, s[36:37]
	v_mul_f32_e32 v31, v30, v31
	v_cndmask_b32_e64 v145, 1.0, v31, s[40:41]
	v_mul_f32_e32 v31, v74, v118
	v_cmp_gt_f32_e32 vcc, s65, v31
	v_mul_f32_e32 v30, v136, v68
	v_cndmask_b32_e64 v29, 0, v29, s[38:39]
	v_cndmask_b32_e32 v31, 0, v110, vcc
	v_fmac_f32_e32 v31, v74, v118
	v_exp_f32_e32 v31, v31
	v_cndmask_b32_e32 v66, 1.0, v111, vcc
	v_cndmask_b32_e64 v30, 0, v30, s[40:41]
	v_and_b32_e32 v33, 0xffff0000, v33
	v_mul_f32_e32 v66, v31, v66
	v_mul_f32_e32 v31, v135, v32
	v_mul_f32_e32 v32, v74, v119
	v_cmp_gt_f32_e32 vcc, s65, v32
	v_cndmask_b32_e64 v146, 1.0, v66, s[42:43]
	v_cndmask_b32_e64 v31, 0, v31, s[42:43]
	v_cndmask_b32_e32 v32, 0, v110, vcc
	v_fmac_f32_e32 v32, v74, v119
	v_exp_f32_e32 v32, v32
	v_cndmask_b32_e32 v66, 1.0, v111, vcc
	v_mul_f32_e32 v33, v133, v33
	v_cndmask_b32_e64 v33, 0, v33, s[46:47]
	v_mul_f32_e32 v66, v32, v66
	v_cndmask_b32_e64 v147, 1.0, v66, s[44:45]
	v_mul_f32_e32 v66, v74, v120
	v_cmp_gt_f32_e32 vcc, s65, v66
	v_mul_f32_e32 v32, v134, v69
	v_cndmask_b32_e64 v32, 0, v32, s[44:45]
	v_cndmask_b32_e32 v66, 0, v110, vcc
	v_fmac_f32_e32 v66, v74, v120
	v_exp_f32_e32 v66, v66
	v_cndmask_b32_e32 v67, 1.0, v111, vcc
	v_mul_f32_e32 v66, v66, v67
	v_cndmask_b32_e64 v148, 1.0, v66, s[46:47]
	v_mul_f32_e32 v66, v74, v121
	v_cmp_gt_f32_e32 vcc, s65, v66
	s_nop 1
	v_cndmask_b32_e32 v66, 0, v110, vcc
	v_fmac_f32_e32 v66, v74, v121
	v_exp_f32_e32 v66, v66
	v_cndmask_b32_e32 v67, 1.0, v111, vcc
	v_mul_f32_e32 v67, v66, v67
	v_cndmask_b32_e64 v149, 1.0, v67, s[48:49]
	v_mul_f32_e32 v67, v74, v122
	v_cmp_gt_f32_e32 vcc, s65, v67
	v_mul_f32_e32 v66, v132, v70
	v_cndmask_b32_e64 v66, 0, v66, s[48:49]
	v_cndmask_b32_e32 v67, 0, v110, vcc
	v_fmac_f32_e32 v67, v74, v122
	v_exp_f32_e32 v67, v67
	v_cndmask_b32_e32 v68, 1.0, v111, vcc
	v_mul_f32_e32 v68, v67, v68
	v_cndmask_b32_e64 v150, 1.0, v68, s[50:51]
	v_mul_f32_e32 v68, v74, v123
	v_cmp_gt_f32_e32 vcc, s65, v68
	v_mul_f32_e32 v67, v131, v71
	v_cndmask_b32_e64 v67, 0, v67, s[50:51]
	;; [unrolled: 10-line block ×4, first 2 shown]
	v_cndmask_b32_e32 v68, 0, v110, vcc
	v_fmac_f32_e32 v68, v74, v125
	v_exp_f32_e32 v68, v68
	v_cndmask_b32_e32 v69, 1.0, v111, vcc
	v_mul_f32_e32 v73, v39, v78
	v_pk_mul_f32 v[78:79], v[74:75], v[0:1] op_sel_hi:[0,1]
	v_mul_f32_e32 v69, v68, v69
	v_mul_f32_e32 v68, v128, v76
	v_cndmask_b32_e64 v76, 1.0, v69, s[56:57]
	v_mul_f32_e32 v69, v74, v126
	v_cmp_gt_f32_e32 vcc, s65, v69
	v_cndmask_b32_e64 v68, 0, v68, s[56:57]
	v_cndmask_b32_e64 v73, 0, v73, s[62:63]
	v_cndmask_b32_e32 v69, 0, v110, vcc
	v_cndmask_b32_e32 v72, 1.0, v111, vcc
	v_cmp_gt_f32_e32 vcc, s65, v78
	v_fmac_f32_e32 v69, v74, v126
	v_exp_f32_e32 v69, v69
	v_cndmask_b32_e32 v74, 0, v110, vcc
	v_add_f32_e32 v74, v78, v74
	v_exp_f32_e32 v74, v74
	v_mul_f32_e32 v72, v69, v72
	v_mul_f32_e32 v69, v127, v77
	v_cndmask_b32_e32 v77, 1.0, v111, vcc
	v_cmp_gt_f32_e32 vcc, s65, v79
	v_mul_f32_e32 v74, v74, v77
	v_cndmask_b32_e64 v69, 0, v69, s[58:59]
	v_cndmask_b32_e32 v77, 0, v110, vcc
	v_add_f32_e32 v77, v79, v77
	v_exp_f32_e32 v77, v77
	v_cndmask_b32_e32 v78, 1.0, v111, vcc
	v_cndmask_b32_e64 v72, 1.0, v72, s[58:59]
	v_mul_f32_e32 v75, v43, v75
	v_mul_f32_e32 v77, v77, v78
	v_cndmask_b32_e64 v79, 1.0, v77, s[60:61]
	v_cndmask_b32_e64 v78, 1.0, v74, s[62:63]
	v_mul_f32_e32 v74, v142, v141
	v_fma_f32 v77, v142, v26, v27
	v_mul_f32_e32 v74, v74, v143
	v_fma_f32 v77, v77, v143, v28
	;; [unrolled: 2-line block ×11, first 2 shown]
	v_fma_f32 v74, v74, v76, v68
	v_fma_f32 v81, v74, v72, v69
	v_mov_b32_e32 v77, v78
	v_pk_mul_f32 v[154:155], v[80:81], v[76:77]
	v_pk_fma_f32 v[80:81], v[80:81], v[76:77], v[72:73]
	v_pk_mul_f32 v[154:155], v[154:155], v[72:73]
	v_cndmask_b32_e64 v75, 0, v75, s[60:61]
	v_mov_b32_e32 v155, v81
	v_mov_b32_e32 v82, v79
	;; [unrolled: 1-line block ×3, first 2 shown]
	v_pk_mul_f32 v[80:81], v[154:155], v[78:79]
	v_mov_b32_e32 v74, v79
	v_pk_mul_f32 v[82:83], v[80:81], v[82:83]
	v_pk_fma_f32 v[80:81], v[154:155], v[78:79], v[74:75]
	s_nop 0
	v_mov_b32_dpp v74, v82 row_shr:1 row_mask:0xf bank_mask:0xf
	v_mov_b32_dpp v77, v81 row_shr:1 row_mask:0xf bank_mask:0xf
	v_mul_f32_e32 v153, v82, v74
	v_fma_f32 v77, v82, v77, v81
	v_cndmask_b32_e64 v80, v153, v82, s[4:5]
	v_cndmask_b32_e64 v83, v77, v81, s[4:5]
	;; [unrolled: 1-line block ×4, first 2 shown]
	v_mov_b32_dpp v81, v83 row_shr:2 row_mask:0xf bank_mask:0xf
	v_mov_b32_dpp v77, v82 row_shr:2 row_mask:0xf bank_mask:0xf
	s_and_saveexec_b64 s[0:1], s[6:7]
; %bb.64:                               ;   in Loop: Header=BB59_57 Depth=2
	v_fmac_f32_e32 v83, v82, v81
	v_mul_f32_e32 v82, v82, v77
	v_mov_b32_e32 v80, v82
	v_mov_b32_e32 v74, v83
; %bb.65:                               ;   in Loop: Header=BB59_57 Depth=2
	s_or_b64 exec, exec, s[0:1]
	v_mov_b32_dpp v77, v82 row_shr:4 row_mask:0xf bank_mask:0xf
	v_mov_b32_dpp v81, v83 row_shr:4 row_mask:0xf bank_mask:0xf
	s_and_saveexec_b64 s[0:1], s[10:11]
; %bb.66:                               ;   in Loop: Header=BB59_57 Depth=2
	v_fmac_f32_e32 v83, v82, v81
	v_mul_f32_e32 v82, v82, v77
	v_mov_b32_e32 v80, v82
	v_mov_b32_e32 v74, v83
; %bb.67:                               ;   in Loop: Header=BB59_57 Depth=2
	s_or_b64 exec, exec, s[0:1]
	;; [unrolled: 10-line block ×3, first 2 shown]
	v_mov_b32_dpp v77, v82 row_bcast:15 row_mask:0xf bank_mask:0xf
	v_mov_b32_dpp v81, v83 row_bcast:15 row_mask:0xf bank_mask:0xf
	s_and_saveexec_b64 s[0:1], s[92:93]
; %bb.70:                               ;   in Loop: Header=BB59_57 Depth=2
	v_fmac_f32_e32 v83, v82, v81
	v_mul_f32_e32 v82, v82, v77
	v_mov_b32_e32 v80, v82
	v_mov_b32_e32 v74, v83
; %bb.71:                               ;   in Loop: Header=BB59_57 Depth=2
	s_or_b64 exec, exec, s[0:1]
	v_mov_b32_dpp v81, v82 row_bcast:31 row_mask:0xf bank_mask:0xf
	v_mov_b32_dpp v77, v83 row_bcast:31 row_mask:0xf bank_mask:0xf
	s_and_saveexec_b64 s[0:1], s[70:71]
; %bb.72:                               ;   in Loop: Header=BB59_57 Depth=2
	v_fmac_f32_e32 v83, v82, v77
	v_mul_f32_e32 v80, v82, v81
	v_mov_b32_e32 v81, v83
	v_mov_b32_e32 v74, v83
	v_mov_b64_e32 v[82:83], v[80:81]
; %bb.73:                               ;   in Loop: Header=BB59_57 Depth=2
	s_or_b64 exec, exec, s[0:1]
	s_and_saveexec_b64 s[0:1], s[16:17]
	s_cbranch_execz .LBB59_75
; %bb.74:                               ;   in Loop: Header=BB59_57 Depth=2
	ds_write_b64 v90, v[82:83] offset:8448
.LBB59_75:                              ;   in Loop: Header=BB59_57 Depth=2
	s_or_b64 exec, exec, s[0:1]
	s_waitcnt lgkmcnt(0)
	s_barrier
	s_and_saveexec_b64 s[0:1], s[18:19]
	s_cbranch_execz .LBB59_77
; %bb.76:                               ;   in Loop: Header=BB59_57 Depth=2
	ds_read_b64 v[82:83], v91 offset:8448
	s_waitcnt lgkmcnt(0)
	s_nop 0
	v_mov_b32_dpp v77, v82 row_shr:1 row_mask:0xf bank_mask:0xf
	v_mov_b32_dpp v81, v83 row_shr:1 row_mask:0xf bank_mask:0xf
	v_fma_f32 v81, v82, v81, v83
	v_mul_f32_e32 v77, v82, v77
	v_cndmask_b32_e64 v82, v77, v82, s[20:21]
	v_cndmask_b32_e64 v83, v81, v83, s[20:21]
	ds_write_b64 v91, v[82:83] offset:8448
.LBB59_77:                              ;   in Loop: Header=BB59_57 Depth=2
	s_or_b64 exec, exec, s[0:1]
	s_waitcnt lgkmcnt(0)
	s_barrier
	s_waitcnt lgkmcnt(0)
                                        ; implicit-def: $vgpr82
	s_and_saveexec_b64 s[0:1], s[24:25]
	s_cbranch_execz .LBB59_79
; %bb.78:                               ;   in Loop: Header=BB59_57 Depth=2
	ds_read_b64 v[82:83], v90 offset:8440
	s_waitcnt lgkmcnt(0)
	v_mul_f32_e32 v77, v80, v82
	v_fmac_f32_e32 v74, v80, v83
	v_mov_b32_e32 v80, v77
.LBB59_79:                              ;   in Loop: Header=BB59_57 Depth=2
	s_or_b64 exec, exec, s[0:1]
	ds_bpermute_b32 v77, v92, v80
	ds_bpermute_b32 v74, v92, v74
	s_waitcnt vmcnt(0)
	v_mov_b32_e32 v81, v65
	s_and_saveexec_b64 s[0:1], s[22:23]
	s_cbranch_execz .LBB59_83
; %bb.80:                               ;   in Loop: Header=BB59_57 Depth=2
	ds_read_b64 v[80:81], v35 offset:8456
	s_and_saveexec_b64 vcc, s[26:27]
	s_cbranch_execz .LBB59_82
; %bb.81:                               ;   in Loop: Header=BB59_57 Depth=2
	ds_write_b64 v35, v[64:65] offset:8456
.LBB59_82:                              ;   in Loop: Header=BB59_57 Depth=2
	s_or_b64 exec, exec, vcc
	s_waitcnt lgkmcnt(0)
	v_fmac_f32_e32 v81, v65, v80
	v_mul_f32_e32 v64, v64, v80
	v_mov_b32_e32 v65, v81
.LBB59_83:                              ;   in Loop: Header=BB59_57 Depth=2
	s_or_b64 exec, exec, s[0:1]
	s_waitcnt lgkmcnt(0)
	s_barrier
	ds_read_b32 v80, v35 offset:8460
	s_and_saveexec_b64 s[0:1], s[26:27]
	s_cbranch_execz .LBB59_56
; %bb.84:                               ;   in Loop: Header=BB59_57 Depth=2
	v_mov_b32_e32 v153, s64
	s_andn2_b64 vcc, exec, s[98:99]
	ds_write_b64 v153, v[64:65]
	s_cbranch_vccnz .LBB59_56
; %bb.85:                               ;   in Loop: Header=BB59_57 Depth=2
	s_mov_b32 s95, s83
	s_lshl_b64 s[76:77], s[94:95], 2
	s_add_u32 s76, s69, s76
	s_addc_u32 s77, s81, s77
	global_store_dword v35, v81, s[76:77]
	s_branch .LBB59_56
.LBB59_86:
	s_endpgm
	.section	.rodata,"a",@progbits
	.p2align	6, 0x0
	.amdhsa_kernel _Z25selective_scan_fwd_kernelI32Selective_Scan_fwd_kernel_traitsILi128ELi16ELi1ELb1ELb1ELb1ELb0ELb0EN3c108BFloat16EffEEv13SSMParamsBase
		.amdhsa_group_segment_fixed_size 0
		.amdhsa_private_segment_fixed_size 0
		.amdhsa_kernarg_size 248
		.amdhsa_user_sgpr_count 2
		.amdhsa_user_sgpr_dispatch_ptr 0
		.amdhsa_user_sgpr_queue_ptr 0
		.amdhsa_user_sgpr_kernarg_segment_ptr 1
		.amdhsa_user_sgpr_dispatch_id 0
		.amdhsa_user_sgpr_kernarg_preload_length 0
		.amdhsa_user_sgpr_kernarg_preload_offset 0
		.amdhsa_user_sgpr_private_segment_size 0
		.amdhsa_uses_dynamic_stack 0
		.amdhsa_enable_private_segment 0
		.amdhsa_system_sgpr_workgroup_id_x 1
		.amdhsa_system_sgpr_workgroup_id_y 1
		.amdhsa_system_sgpr_workgroup_id_z 0
		.amdhsa_system_sgpr_workgroup_info 0
		.amdhsa_system_vgpr_workitem_id 0
		.amdhsa_next_free_vgpr 157
		.amdhsa_next_free_sgpr 100
		.amdhsa_accum_offset 160
		.amdhsa_reserve_vcc 1
		.amdhsa_float_round_mode_32 0
		.amdhsa_float_round_mode_16_64 0
		.amdhsa_float_denorm_mode_32 3
		.amdhsa_float_denorm_mode_16_64 3
		.amdhsa_dx10_clamp 1
		.amdhsa_ieee_mode 1
		.amdhsa_fp16_overflow 0
		.amdhsa_tg_split 0
		.amdhsa_exception_fp_ieee_invalid_op 0
		.amdhsa_exception_fp_denorm_src 0
		.amdhsa_exception_fp_ieee_div_zero 0
		.amdhsa_exception_fp_ieee_overflow 0
		.amdhsa_exception_fp_ieee_underflow 0
		.amdhsa_exception_fp_ieee_inexact 0
		.amdhsa_exception_int_div_zero 0
	.end_amdhsa_kernel
	.section	.text._Z25selective_scan_fwd_kernelI32Selective_Scan_fwd_kernel_traitsILi128ELi16ELi1ELb1ELb1ELb1ELb0ELb0EN3c108BFloat16EffEEv13SSMParamsBase,"axG",@progbits,_Z25selective_scan_fwd_kernelI32Selective_Scan_fwd_kernel_traitsILi128ELi16ELi1ELb1ELb1ELb1ELb0ELb0EN3c108BFloat16EffEEv13SSMParamsBase,comdat
.Lfunc_end59:
	.size	_Z25selective_scan_fwd_kernelI32Selective_Scan_fwd_kernel_traitsILi128ELi16ELi1ELb1ELb1ELb1ELb0ELb0EN3c108BFloat16EffEEv13SSMParamsBase, .Lfunc_end59-_Z25selective_scan_fwd_kernelI32Selective_Scan_fwd_kernel_traitsILi128ELi16ELi1ELb1ELb1ELb1ELb0ELb0EN3c108BFloat16EffEEv13SSMParamsBase
                                        ; -- End function
	.section	.AMDGPU.csdata,"",@progbits
; Kernel info:
; codeLenInByte = 17268
; NumSgprs: 106
; NumVgprs: 157
; NumAgprs: 0
; TotalNumVgprs: 157
; ScratchSize: 0
; MemoryBound: 1
; FloatMode: 240
; IeeeMode: 1
; LDSByteSize: 0 bytes/workgroup (compile time only)
; SGPRBlocks: 13
; VGPRBlocks: 19
; NumSGPRsForWavesPerEU: 106
; NumVGPRsForWavesPerEU: 157
; AccumOffset: 160
; Occupancy: 3
; WaveLimiterHint : 1
; COMPUTE_PGM_RSRC2:SCRATCH_EN: 0
; COMPUTE_PGM_RSRC2:USER_SGPR: 2
; COMPUTE_PGM_RSRC2:TRAP_HANDLER: 0
; COMPUTE_PGM_RSRC2:TGID_X_EN: 1
; COMPUTE_PGM_RSRC2:TGID_Y_EN: 1
; COMPUTE_PGM_RSRC2:TGID_Z_EN: 0
; COMPUTE_PGM_RSRC2:TIDIG_COMP_CNT: 0
; COMPUTE_PGM_RSRC3_GFX90A:ACCUM_OFFSET: 39
; COMPUTE_PGM_RSRC3_GFX90A:TG_SPLIT: 0
	.section	.text._Z25selective_scan_fwd_kernelI32Selective_Scan_fwd_kernel_traitsILi128ELi16ELi1ELb0ELb1ELb1ELb1ELb1EN3c108BFloat16EffEEv13SSMParamsBase,"axG",@progbits,_Z25selective_scan_fwd_kernelI32Selective_Scan_fwd_kernel_traitsILi128ELi16ELi1ELb0ELb1ELb1ELb1ELb1EN3c108BFloat16EffEEv13SSMParamsBase,comdat
	.protected	_Z25selective_scan_fwd_kernelI32Selective_Scan_fwd_kernel_traitsILi128ELi16ELi1ELb0ELb1ELb1ELb1ELb1EN3c108BFloat16EffEEv13SSMParamsBase ; -- Begin function _Z25selective_scan_fwd_kernelI32Selective_Scan_fwd_kernel_traitsILi128ELi16ELi1ELb0ELb1ELb1ELb1ELb1EN3c108BFloat16EffEEv13SSMParamsBase
	.globl	_Z25selective_scan_fwd_kernelI32Selective_Scan_fwd_kernel_traitsILi128ELi16ELi1ELb0ELb1ELb1ELb1ELb1EN3c108BFloat16EffEEv13SSMParamsBase
	.p2align	8
	.type	_Z25selective_scan_fwd_kernelI32Selective_Scan_fwd_kernel_traitsILi128ELi16ELi1ELb0ELb1ELb1ELb1ELb1EN3c108BFloat16EffEEv13SSMParamsBase,@function
_Z25selective_scan_fwd_kernelI32Selective_Scan_fwd_kernel_traitsILi128ELi16ELi1ELb0ELb1ELb1ELb1ELb1EN3c108BFloat16EffEEv13SSMParamsBase: ; @_Z25selective_scan_fwd_kernelI32Selective_Scan_fwd_kernel_traitsILi128ELi16ELi1ELb0ELb1ELb1ELb1ELb1EN3c108BFloat16EffEEv13SSMParamsBase
; %bb.0:
	s_load_dword s15, s[0:1], 0x18
	s_load_dwordx4 s[4:7], s[0:1], 0xe8
	s_load_dwordx8 s[20:27], s[0:1], 0xc8
	s_mov_b32 s8, s3
	s_ashr_i32 s3, s2, 31
	s_lshl_b64 s[12:13], s[2:3], 2
	s_waitcnt lgkmcnt(0)
	s_abs_i32 s14, s15
	v_cvt_f32_u32_e32 v1, s14
	s_add_u32 s10, s26, s12
	s_addc_u32 s11, s27, s13
	s_cmp_eq_u64 s[6:7], 0
	v_rcp_iflag_f32_e32 v1, v1
                                        ; implicit-def: $vgpr166 : SGPR spill to VGPR lane
	s_nop 0
	v_mul_f32_e32 v1, 0x4f7ffffe, v1
	v_cvt_u32_f32_e32 v1, v1
	s_nop 0
	v_readfirstlane_b32 s16, v1
	s_cbranch_scc1 .LBB60_2
; %bb.1:
	s_add_u32 s6, s6, s2
	s_addc_u32 s7, s7, s3
	v_mov_b32_e32 v1, 0
	global_load_ubyte v1, v1, s[6:7]
	s_waitcnt vmcnt(0)
	v_and_b32_e32 v1, 1, v1
	v_cmp_eq_u32_e64 s[6:7], 1, v1
	s_branch .LBB60_3
.LBB60_2:
	s_mov_b64 s[6:7], 0
.LBB60_3:
	s_nop 0
	v_writelane_b32 v166, s6, 0
	s_cmp_eq_u64 s[4:5], 0
	s_nop 0
	v_writelane_b32 v166, s7, 1
	s_load_dwordx2 s[6:7], s[0:1], 0x20
	s_cbranch_scc1 .LBB60_5
; %bb.4:
	s_add_u32 s2, s4, s12
	s_addc_u32 s3, s5, s13
	s_load_dword s2, s[2:3], 0x0
	s_waitcnt lgkmcnt(0)
	s_ashr_i32 s3, s2, 31
.LBB60_5:
	s_waitcnt lgkmcnt(0)
	s_cmp_eq_u64 s[6:7], s[2:3]
	s_cbranch_scc1 .LBB60_302
; %bb.6:
	s_load_dwordx16 s[36:51], s[0:1], 0x88
	s_load_dwordx2 s[4:5], s[10:11], 0x0
	s_mov_b32 s3, 0
	v_writelane_b32 v166, s3, 2
	v_writelane_b32 v166, s3, 3
	s_waitcnt lgkmcnt(0)
	s_cmp_eq_u64 s[42:43], 0
	s_cbranch_scc1 .LBB60_8
; %bb.7:
	s_ashr_i32 s9, s8, 31
	s_lshl_b64 s[6:7], s[8:9], 2
	s_add_u32 s6, s42, s6
	s_addc_u32 s7, s43, s7
	s_load_dword s3, s[6:7], 0x0
	s_waitcnt lgkmcnt(0)
	v_writelane_b32 v166, s3, 3
.LBB60_8:
	s_cmp_eq_u64 s[48:49], 0
	s_cbranch_scc1 .LBB60_10
; %bb.9:
	s_ashr_i32 s9, s8, 31
	s_lshl_b64 s[6:7], s[8:9], 2
	s_add_u32 s6, s48, s6
	s_addc_u32 s7, s49, s7
	s_load_dword s3, s[6:7], 0x0
	s_waitcnt lgkmcnt(0)
	v_writelane_b32 v166, s3, 2
.LBB60_10:
	s_sub_i32 s17, s5, s4
	s_cmp_lt_i32 s17, 1
	s_cbranch_scc1 .LBB60_302
; %bb.11:
	s_sub_i32 s3, 0, s14
	s_mul_i32 s3, s3, s16
	s_mul_hi_u32 s3, s16, s3
	s_add_i32 s16, s16, s3
	s_load_dword s3, s[0:1], 0x84
	s_abs_i32 s5, s8
	s_load_dwordx8 s[52:59], s[0:1], 0x2c
	s_load_dwordx2 s[10:11], s[0:1], 0x7c
	s_load_dwordx4 s[28:31], s[0:1], 0x6c
	s_load_dwordx8 s[60:67], s[0:1], 0x4c
	s_load_dword s13, s[0:1], 0xc
	s_load_dword s9, s[0:1], 0x28
	s_ashr_i32 s0, s8, 31
	s_waitcnt lgkmcnt(0)
	v_writelane_b32 v166, s3, 4
	s_mul_hi_u32 s3, s5, s16
	s_ashr_i32 s1, s15, 31
	s_xor_b32 s0, s0, s1
	s_mul_i32 s1, s3, s14
	s_sub_i32 s1, s5, s1
	s_add_i32 s5, s3, 1
	s_sub_i32 s6, s1, s14
	s_cmp_ge_u32 s1, s14
	s_cselect_b32 s3, s5, s3
	s_cselect_b32 s1, s6, s1
	s_add_i32 s5, s3, 1
	s_cmp_ge_u32 s1, s14
	s_cselect_b32 s1, s5, s3
	s_xor_b32 s1, s1, s0
	s_mul_i32 s6, s4, s62
	s_mov_b32 s7, 0
	s_sub_i32 s3, s1, s0
	s_lshl_b64 s[0:1], s[6:7], 1
	s_add_u32 s5, s44, s0
	s_mul_i32 s6, s63, s8
	s_addc_u32 s12, s45, s1
	s_lshl_b64 s[0:1], s[6:7], 1
	s_add_u32 s14, s5, s0
	s_mul_i32 s6, s4, s64
	s_addc_u32 s15, s12, s1
	s_lshl_b64 s[0:1], s[6:7], 1
	s_add_u32 s5, s46, s0
	s_mul_i32 s6, s65, s8
	s_addc_u32 s12, s47, s1
	s_lshl_b64 s[0:1], s[6:7], 1
	s_add_u32 s0, s5, s0
	s_addc_u32 s1, s12, s1
	v_writelane_b32 v166, s0, 5
	s_mul_i32 s6, s52, s8
	v_mbcnt_lo_u32_b32 v1, -1, 0
	v_writelane_b32 v166, s1, 6
	s_lshl_b64 s[0:1], s[6:7], 2
	s_add_u32 s0, s36, s0
	v_writelane_b32 v166, s0, 7
	s_addc_u32 s0, s37, s1
	s_mul_i32 s6, s4, s54
	v_writelane_b32 v166, s0, 8
	s_lshl_b64 s[0:1], s[6:7], 1
	s_add_u32 s5, s38, s0
	s_mul_i32 s6, s3, s57
	s_addc_u32 s12, s39, s1
	s_lshl_b64 s[0:1], s[6:7], 1
	s_add_u32 s0, s5, s0
	s_addc_u32 s1, s12, s1
	v_writelane_b32 v166, s0, 9
	v_lshlrev_b32_e32 v19, 4, v0
	v_mbcnt_hi_u32_b32 v18, -1, v1
	v_writelane_b32 v166, s1, 10
	v_writelane_b32 v166, s52, 11
	v_and_b32_e32 v2, 0x400, v19
	v_or_b32_e32 v72, v18, v2
	v_writelane_b32 v166, s53, 12
	v_writelane_b32 v166, s54, 13
	s_mul_i32 s6, s4, s58
	v_lshrrev_b32_e32 v1, 5, v72
	v_writelane_b32 v166, s55, 14
	s_lshl_b64 s[0:1], s[6:7], 1
	v_and_b32_e32 v1, 34, v1
	v_writelane_b32 v166, s56, 15
	s_add_u32 s5, s40, s0
	s_mul_i32 s6, s3, s61
	v_add_u32_e32 v3, 64, v72
	v_or_b32_e32 v4, 0x80, v72
	v_add_u32_e32 v5, 0xc0, v72
	v_add_u32_e32 v1, v1, v72
	v_writelane_b32 v166, s57, 16
	s_addc_u32 s12, s41, s1
	s_lshl_b64 s[0:1], s[6:7], 1
	v_lshl_add_u32 v88, v1, 1, 0
	v_lshrrev_b32_e32 v1, 5, v3
	v_lshrrev_b32_e32 v3, 5, v4
	;; [unrolled: 1-line block ×3, first 2 shown]
	v_writelane_b32 v166, s58, 17
	s_add_u32 s0, s5, s0
	v_or_b32_e32 v6, 0x100, v72
	v_and_b32_e32 v4, 46, v4
	v_writelane_b32 v166, s59, 18
	s_addc_u32 s1, s12, s1
	v_add_lshl_u32 v8, v4, v72, 1
	v_lshrrev_b32_e32 v4, 5, v6
	v_writelane_b32 v166, s0, 19
	s_mul_i32 s6, s2, s10
	v_add_u32_e32 v7, 0x140, v72
	v_and_b32_e32 v4, 42, v4
	v_writelane_b32 v166, s1, 20
	s_lshl_b64 s[0:1], s[6:7], 2
	v_add_lshl_u32 v9, v4, v72, 1
	v_lshrrev_b32_e32 v4, 5, v7
	s_add_u32 s2, s20, s0
	s_mul_i32 s6, s11, s8
	v_or_b32_e32 v78, 0x180, v72
	v_and_b32_e32 v4, 46, v4
	s_addc_u32 s3, s21, s1
	s_lshl_b64 s[0:1], s[6:7], 2
	v_add_lshl_u32 v10, v4, v72, 1
	v_lshrrev_b32_e32 v4, 5, v78
	s_add_u32 s0, s2, s0
	v_add_u32_e32 v79, 0x1c0, v72
	v_and_b32_e32 v4, 46, v4
	v_writelane_b32 v166, s0, 21
	s_addc_u32 s0, s3, s1
	v_add_lshl_u32 v11, v4, v72, 1
	v_lshrrev_b32_e32 v4, 5, v79
	v_writelane_b32 v166, s0, 22
	s_add_i32 s0, s17, 0x7ff
	v_or_b32_e32 v80, 0x200, v72
	v_and_b32_e32 v4, 62, v4
	s_lshr_b32 s0, s0, 11
	v_add_lshl_u32 v12, v4, v72, 1
	v_lshrrev_b32_e32 v4, 5, v80
	v_add_u32_e32 v81, 0x240, v72
	v_and_b32_e32 v4, 50, v4
	s_bitcmp1_b32 s9, 0
	v_add_lshl_u32 v13, v4, v72, 1
	v_lshrrev_b32_e32 v4, 5, v81
	s_cselect_b64 s[2:3], -1, 0
	v_or_b32_e32 v82, 0x280, v72
	v_and_b32_e32 v4, 54, v4
	v_writelane_b32 v166, s2, 23
	v_add_lshl_u32 v14, v4, v72, 1
	v_lshrrev_b32_e32 v4, 5, v82
	v_writelane_b32 v166, s3, 24
	s_cmp_gt_i32 s13, 0
	v_add_u32_e32 v83, 0x2c0, v72
	v_and_b32_e32 v4, 54, v4
	v_writelane_b32 v166, s13, 25
	s_cselect_b64 s[2:3], -1, 0
	v_add_lshl_u32 v15, v4, v72, 1
	v_lshrrev_b32_e32 v4, 5, v83
	v_writelane_b32 v166, s2, 26
	v_or_b32_e32 v84, 0x300, v72
	v_and_b32_e32 v4, 62, v4
	v_writelane_b32 v166, s3, 27
	v_add_lshl_u32 v26, v4, v72, 1
	v_lshrrev_b32_e32 v4, 5, v84
	v_writelane_b32 v166, s17, 28
	v_add_u32_e32 v85, 0x340, v72
	v_and_b32_e32 v4, 58, v4
	v_writelane_b32 v166, s0, 29
	s_add_i32 s0, s0, -1
	s_mul_i32 s6, s4, s28
	v_add_lshl_u32 v27, v4, v72, 1
	v_lshrrev_b32_e32 v4, 5, v85
	s_add_i32 s9, 0, 0x1080
	s_and_b32 s10, s17, 0x7ff
	v_writelane_b32 v166, s0, 30
	s_lshl_b64 s[0:1], s[6:7], 1
	v_or_b32_e32 v86, 0x380, v72
	v_and_b32_e32 v4, 62, v4
	s_add_u32 s2, s50, s0
	s_mul_i32 s6, s29, s8
	v_add_lshl_u32 v28, v4, v72, 1
	v_lshrrev_b32_e32 v4, 5, v86
	s_addc_u32 s3, s51, s1
	s_lshl_b64 s[0:1], s[6:7], 1
	s_mul_i32 s6, s4, s66
	v_writelane_b32 v166, s60, 31
	v_and_b32_e32 v4, 62, v4
	v_add_lshl_u32 v29, v4, v72, 1
	v_writelane_b32 v166, s61, 32
	v_and_b32_e32 v4, 64, v0
	v_writelane_b32 v166, s62, 33
	v_add_u16_e32 v6, v18, v4
	s_add_u32 s2, s2, s0
	v_writelane_b32 v166, s63, 34
	v_lshrrev_b16_e32 v6, 1, v6
	s_addc_u32 s3, s3, s1
	s_lshl_b64 s[0:1], s[6:7], 1
	v_writelane_b32 v166, s64, 35
	v_add_lshl_u32 v5, v18, v4, 4
	v_and_b32_e32 v6, 0x7e, v6
	s_add_u32 s5, s22, s0
	v_writelane_b32 v166, s65, 36
	s_mul_i32 s6, s67, s8
	v_add_lshl_u32 v30, v6, v5, 1
	s_addc_u32 s11, s23, s1
	v_writelane_b32 v166, s66, 37
	s_lshl_b64 s[0:1], s[6:7], 1
	v_and_b32_e32 v5, 15, v18
	v_writelane_b32 v166, s67, 38
	s_add_u32 s12, s5, s0
	s_mul_i32 s6, s4, s30
	v_cmp_lt_u32_e64 s[16:17], 1, v5
	s_addc_u32 s13, s11, s1
	s_lshl_b64 s[0:1], s[6:7], 1
	v_writelane_b32 v166, s16, 39
	s_add_u32 s4, s24, s0
	s_mul_i32 s6, s31, s8
	v_writelane_b32 v166, s17, 40
	v_cmp_lt_u32_e64 s[16:17], 3, v5
	s_addc_u32 s5, s25, s1
	s_lshl_b64 s[0:1], s[6:7], 1
	v_writelane_b32 v166, s16, 41
	s_add_u32 s4, s4, s0
	s_addc_u32 s5, s5, s1
	v_writelane_b32 v166, s17, 42
	v_cmp_lt_u32_e64 s[16:17], 7, v5
	v_cmp_eq_u32_e64 s[0:1], 0, v5
	v_and_b32_e32 v5, 16, v18
	v_writelane_b32 v166, s16, 43
	v_or_b32_e32 v4, 63, v4
	v_mov_b32_e32 v17, 0
	v_writelane_b32 v166, s17, 44
	v_cmp_ne_u32_e64 s[16:17], 0, v5
	v_lshlrev_b32_e32 v16, 1, v18
	s_cmp_eq_u32 s10, 0
	v_writelane_b32 v166, s16, 45
	v_lshlrev_b32_e32 v6, 1, v2
	v_mov_b32_e32 v7, v17
	v_writelane_b32 v166, s17, 46
	v_cmp_eq_u32_e64 s[16:17], v4, v0
	v_and_b32_e32 v4, 1, v18
	v_add_u32_e32 v87, 0x3c0, v72
	v_writelane_b32 v166, s16, 47
	v_and_b32_e32 v1, 38, v1
	v_add_lshl_u32 v1, v1, v72, 1
	v_writelane_b32 v166, s17, 48
	v_cmp_eq_u32_e64 s[16:17], 0, v4
	v_lshl_add_u64 v[4:5], s[2:3], 0, v[16:17]
	s_cselect_b64 s[2:3], -1, 0
	v_writelane_b32 v166, s16, 49
	v_lshl_add_u64 v[20:21], v[4:5], 0, v[6:7]
	v_lshl_add_u64 v[4:5], s[12:13], 0, v[16:17]
	v_writelane_b32 v166, s17, 50
	v_writelane_b32 v166, s2, 51
	v_lshl_add_u64 v[22:23], v[4:5], 0, v[6:7]
	v_lshl_add_u64 v[4:5], s[4:5], 0, v[16:17]
	v_writelane_b32 v166, s3, 52
	v_cmp_lt_u32_e64 s[2:3], 31, v18
	v_lshl_add_u64 v[24:25], v[4:5], 0, v[6:7]
	v_add_u32_e32 v4, -1, v18
	v_writelane_b32 v166, s2, 53
	v_and_b32_e32 v5, 64, v18
	v_lshrrev_b32_e32 v6, 5, v87
	v_writelane_b32 v166, s3, 54
	v_cmp_gt_u32_e64 s[2:3], 2, v0
	v_add_u32_e32 v89, 0, v1
	v_and_b32_e32 v3, 38, v3
	v_writelane_b32 v166, s2, 55
	v_and_b32_e32 v6, 0x7e, v6
	v_add_u32_e32 v101, s9, v1
	v_writelane_b32 v166, s3, 56
	v_cmp_gt_u32_e64 s[2:3], 64, v0
	v_lshrrev_b32_e32 v1, 3, v0
	v_cmp_lt_i32_e32 vcc, v4, v5
	v_writelane_b32 v166, s2, 57
	v_add_lshl_u32 v3, v3, v72, 1
	v_add_lshl_u32 v6, v6, v72, 1
	v_and_b32_e32 v1, 8, v1
	v_writelane_b32 v166, s3, 58
	v_cmp_lt_u32_e64 s[20:21], 63, v0
	v_cmp_eq_u32_e64 s[22:23], 0, v0
	v_lshl_add_u32 v122, v0, 3, 0
	v_cndmask_b32_e32 v0, v4, v18, vcc
	s_add_i32 s2, 0, 0x2110
	v_add_u32_e32 v90, 0, v3
	v_add_u32_e32 v91, 0, v8
	;; [unrolled: 1-line block ×31, first 2 shown]
	v_lshlrev_b32_e32 v123, 2, v0
	v_cmp_eq_u32_e64 s[24:25], 0, v18
	v_lshlrev_b32_e32 v26, 1, v2
	s_mov_b32 s6, 0x41a00000
	s_mov_b32 s8, 0x3fb8aa3b
	;; [unrolled: 1-line block ×8, first 2 shown]
	v_writelane_b32 v166, s2, 59
	s_mov_b32 s33, 0xc2fc0000
	s_mov_b32 s3, 0
	v_mov_b32_e32 v139, 0x3ecc95a3
	v_mov_b32_e32 v140, 0x7f800000
	;; [unrolled: 1-line block ×6, first 2 shown]
                                        ; implicit-def: $vgpr0
	s_branch .LBB60_13
.LBB60_12:                              ;   in Loop: Header=BB60_13 Depth=1
	s_or_b64 exec, exec, s[2:3]
	v_readlane_b32 s2, v166, 5
	v_readlane_b32 s3, v166, 6
	s_add_u32 s2, s2, 0x1000
	s_addc_u32 s3, s3, 0
	v_writelane_b32 v166, s2, 5
	s_nop 1
	v_writelane_b32 v166, s3, 6
	s_nop 0
	v_readlane_b32 s14, v166, 63
	v_readlane_b32 s15, v167, 0
	s_add_u32 s14, s14, 0x1000
	s_addc_u32 s15, s15, 0
	v_readlane_b32 s2, v166, 9
	v_readlane_b32 s3, v166, 10
	s_add_u32 s2, s2, 0x1000
	s_addc_u32 s3, s3, 0
	v_writelane_b32 v166, s2, 9
	s_nop 1
	v_writelane_b32 v166, s3, 10
	s_nop 0
	v_readlane_b32 s2, v166, 19
	v_readlane_b32 s3, v166, 20
	s_add_u32 s2, s2, 0x1000
	s_addc_u32 s3, s3, 0
	v_writelane_b32 v166, s2, 19
	s_nop 1
	v_writelane_b32 v166, s3, 20
	s_nop 0
	v_readlane_b32 s3, v166, 60
	s_add_i32 s3, s3, 1
	v_readlane_b32 s2, v166, 29
	s_cmp_lg_u32 s3, s2
	s_cbranch_scc0 .LBB60_302
.LBB60_13:                              ; =>This Loop Header: Depth=1
                                        ;     Child Loop BB60_110 Depth 2
	s_lshl_b32 s18, s3, 11
	v_writelane_b32 v166, s3, 60
	s_mov_b32 s4, s18
	v_readlane_b32 s2, v166, 28
	v_writelane_b32 v166, s4, 61
	s_waitcnt lgkmcnt(14)
	v_lshlrev_b32_e32 v16, 1, v18
	s_sub_i32 s88, s2, s18
	v_writelane_b32 v166, s5, 62
                                        ; implicit-def: $vgpr167 : SGPR spill to VGPR lane
	v_writelane_b32 v166, s14, 63
	v_mov_b32_e32 v27, v17
	v_cmp_gt_u32_e64 s[26:27], s88, v72
	v_lshl_add_u64 v[0:1], s[14:15], 0, v[16:17]
	v_writelane_b32 v167, s15, 0
	v_lshl_add_u64 v[0:1], v[0:1], 0, v[26:27]
	s_waitcnt lgkmcnt(0)
	v_mov_b32_e32 v2, 0
	s_barrier
	s_and_saveexec_b64 s[2:3], s[26:27]
	s_cbranch_execz .LBB60_15
; %bb.14:                               ;   in Loop: Header=BB60_13 Depth=1
	global_load_ushort v2, v[0:1], off
.LBB60_15:                              ;   in Loop: Header=BB60_13 Depth=1
	s_or_b64 exec, exec, s[2:3]
	v_add_u32_e32 v3, 64, v72
	v_cmp_gt_u32_e64 s[28:29], s88, v3
	v_mov_b32_e32 v3, 0
	v_mov_b32_e32 v4, 0
	s_and_saveexec_b64 s[2:3], s[28:29]
	s_cbranch_execz .LBB60_17
; %bb.16:                               ;   in Loop: Header=BB60_13 Depth=1
	global_load_ushort v4, v[0:1], off offset:128
.LBB60_17:                              ;   in Loop: Header=BB60_13 Depth=1
	s_or_b64 exec, exec, s[2:3]
	v_or_b32_e32 v5, 0x80, v72
	v_cmp_gt_u32_e64 s[30:31], s88, v5
	s_and_saveexec_b64 s[2:3], s[30:31]
	s_cbranch_execz .LBB60_19
; %bb.18:                               ;   in Loop: Header=BB60_13 Depth=1
	global_load_ushort v3, v[0:1], off offset:256
.LBB60_19:                              ;   in Loop: Header=BB60_13 Depth=1
	s_or_b64 exec, exec, s[2:3]
	v_add_u32_e32 v5, 0xc0, v72
	v_cmp_gt_u32_e64 s[34:35], s88, v5
	v_mov_b32_e32 v5, 0
	v_mov_b32_e32 v6, 0
	s_and_saveexec_b64 s[2:3], s[34:35]
	s_cbranch_execz .LBB60_21
; %bb.20:                               ;   in Loop: Header=BB60_13 Depth=1
	global_load_ushort v6, v[0:1], off offset:384
.LBB60_21:                              ;   in Loop: Header=BB60_13 Depth=1
	s_or_b64 exec, exec, s[2:3]
	v_or_b32_e32 v7, 0x100, v72
	v_cmp_gt_u32_e64 s[36:37], s88, v7
	s_and_saveexec_b64 s[2:3], s[36:37]
	s_cbranch_execz .LBB60_23
; %bb.22:                               ;   in Loop: Header=BB60_13 Depth=1
	global_load_ushort v5, v[0:1], off offset:512
.LBB60_23:                              ;   in Loop: Header=BB60_13 Depth=1
	s_or_b64 exec, exec, s[2:3]
	v_add_u32_e32 v7, 0x140, v72
	v_cmp_gt_u32_e64 s[38:39], s88, v7
	v_mov_b32_e32 v7, 0
	v_mov_b32_e32 v8, 0
	s_and_saveexec_b64 s[2:3], s[38:39]
	s_cbranch_execz .LBB60_25
; %bb.24:                               ;   in Loop: Header=BB60_13 Depth=1
	global_load_ushort v8, v[0:1], off offset:640
.LBB60_25:                              ;   in Loop: Header=BB60_13 Depth=1
	s_or_b64 exec, exec, s[2:3]
	v_cmp_gt_u32_e64 s[40:41], s88, v78
	s_and_saveexec_b64 s[2:3], s[40:41]
	s_cbranch_execz .LBB60_27
; %bb.26:                               ;   in Loop: Header=BB60_13 Depth=1
	global_load_ushort v7, v[0:1], off offset:768
.LBB60_27:                              ;   in Loop: Header=BB60_13 Depth=1
	s_or_b64 exec, exec, s[2:3]
	v_cmp_gt_u32_e64 s[42:43], s88, v79
	v_mov_b32_e32 v9, 0
	v_mov_b32_e32 v11, 0
	s_and_saveexec_b64 s[2:3], s[42:43]
	s_cbranch_execz .LBB60_29
; %bb.28:                               ;   in Loop: Header=BB60_13 Depth=1
	global_load_ushort v11, v[0:1], off offset:896
.LBB60_29:                              ;   in Loop: Header=BB60_13 Depth=1
	s_or_b64 exec, exec, s[2:3]
	v_cmp_gt_u32_e64 s[44:45], s88, v80
	s_and_saveexec_b64 s[2:3], s[44:45]
	s_cbranch_execz .LBB60_31
; %bb.30:                               ;   in Loop: Header=BB60_13 Depth=1
	global_load_ushort v9, v[0:1], off offset:1024
.LBB60_31:                              ;   in Loop: Header=BB60_13 Depth=1
	s_or_b64 exec, exec, s[2:3]
	;; [unrolled: 16-line block ×5, first 2 shown]
	v_cmp_gt_u32_e64 s[58:59], s88, v87
	v_mov_b32_e32 v10, 0
	v_mov_b32_e32 v30, 0
	s_and_saveexec_b64 s[2:3], s[58:59]
	s_cbranch_execz .LBB60_45
; %bb.44:                               ;   in Loop: Header=BB60_13 Depth=1
	global_load_ushort v30, v[0:1], off offset:1920
.LBB60_45:                              ;   in Loop: Header=BB60_13 Depth=1
	s_or_b64 exec, exec, s[2:3]
	s_waitcnt vmcnt(0)
	ds_write_b16 v88, v2
	ds_write_b16 v89, v4 offset:128
	ds_write_b16 v90, v3 offset:256
	;; [unrolled: 1-line block ×15, first 2 shown]
	; wave barrier
	ds_read_b128 v[0:3], v119
	ds_read_b128 v[4:7], v119 offset:16
	v_readlane_b32 s2, v166, 5
	v_readlane_b32 s3, v166, 6
	v_mov_b32_e32 v27, v17
	s_waitcnt lgkmcnt(0)
	v_lshl_add_u64 v[8:9], s[2:3], 0, v[16:17]
	v_lshl_add_u64 v[8:9], v[8:9], 0, v[26:27]
	s_barrier
	s_and_saveexec_b64 s[2:3], s[26:27]
	s_cbranch_execz .LBB60_47
; %bb.46:                               ;   in Loop: Header=BB60_13 Depth=1
	global_load_ushort v10, v[8:9], off
.LBB60_47:                              ;   in Loop: Header=BB60_13 Depth=1
	s_or_b64 exec, exec, s[2:3]
	v_mov_b32_e32 v11, 0
	v_mov_b32_e32 v12, 0
	s_and_saveexec_b64 s[2:3], s[28:29]
	s_cbranch_execz .LBB60_49
; %bb.48:                               ;   in Loop: Header=BB60_13 Depth=1
	global_load_ushort v12, v[8:9], off offset:128
.LBB60_49:                              ;   in Loop: Header=BB60_13 Depth=1
	s_or_b64 exec, exec, s[2:3]
	s_and_saveexec_b64 s[2:3], s[30:31]
	s_cbranch_execz .LBB60_51
; %bb.50:                               ;   in Loop: Header=BB60_13 Depth=1
	global_load_ushort v11, v[8:9], off offset:256
.LBB60_51:                              ;   in Loop: Header=BB60_13 Depth=1
	s_or_b64 exec, exec, s[2:3]
	v_mov_b32_e32 v13, 0
	v_mov_b32_e32 v14, 0
	s_and_saveexec_b64 s[2:3], s[34:35]
	s_cbranch_execz .LBB60_53
; %bb.52:                               ;   in Loop: Header=BB60_13 Depth=1
	global_load_ushort v14, v[8:9], off offset:384
.LBB60_53:                              ;   in Loop: Header=BB60_13 Depth=1
	s_or_b64 exec, exec, s[2:3]
	s_and_saveexec_b64 s[2:3], s[36:37]
	s_cbranch_execz .LBB60_55
; %bb.54:                               ;   in Loop: Header=BB60_13 Depth=1
	global_load_ushort v13, v[8:9], off offset:512
.LBB60_55:                              ;   in Loop: Header=BB60_13 Depth=1
	;; [unrolled: 14-line block ×6, first 2 shown]
	s_or_b64 exec, exec, s[2:3]
	v_mov_b32_e32 v35, 0
	v_mov_b32_e32 v36, 0
	s_and_saveexec_b64 s[2:3], s[54:55]
	s_cbranch_execnz .LBB60_269
; %bb.72:                               ;   in Loop: Header=BB60_13 Depth=1
	s_or_b64 exec, exec, s[2:3]
	s_and_saveexec_b64 s[2:3], s[56:57]
	s_cbranch_execnz .LBB60_270
.LBB60_73:                              ;   in Loop: Header=BB60_13 Depth=1
	s_or_b64 exec, exec, s[2:3]
	v_mov_b32_e32 v37, 0
	s_and_saveexec_b64 s[2:3], s[58:59]
	s_cbranch_execz .LBB60_75
.LBB60_74:                              ;   in Loop: Header=BB60_13 Depth=1
	global_load_ushort v37, v[8:9], off offset:1920
.LBB60_75:                              ;   in Loop: Header=BB60_13 Depth=1
	s_or_b64 exec, exec, s[2:3]
	s_waitcnt vmcnt(0)
	ds_write_b16 v88, v10
	ds_write_b16 v89, v12 offset:128
	ds_write_b16 v90, v11 offset:256
	;; [unrolled: 1-line block ×15, first 2 shown]
	; wave barrier
	ds_read_b128 v[12:15], v119
	ds_read_b128 v[8:11], v119 offset:16
	v_readlane_b32 s2, v166, 2
	s_waitcnt lgkmcnt(1)
	v_lshlrev_b32_e32 v27, 16, v12
	v_add_f32_e32 v144, s2, v27
	v_readlane_b32 s2, v166, 23
	v_cmp_ge_f32_e32 vcc, s6, v144
	v_readlane_b32 s3, v166, 24
	s_and_b64 s[2:3], s[2:3], vcc
	s_and_saveexec_b64 s[4:5], s[2:3]
	s_cbranch_execz .LBB60_77
; %bb.76:                               ;   in Loop: Header=BB60_13 Depth=1
	v_mul_f32_e32 v27, 0x3fb8aa3b, v144
	v_rndne_f32_e32 v29, v27
	v_sub_f32_e32 v30, v27, v29
	v_fma_f32 v27, v144, s8, -v27
	v_fmac_f32_e32 v27, 0x32a5705f, v144
	v_add_f32_e32 v27, v30, v27
	v_cvt_i32_f32_e32 v29, v29
	v_exp_f32_e32 v27, v27
	v_cmp_ngt_f32_e32 vcc, s9, v144
	v_ldexp_f32 v27, v27, v29
	s_nop 0
	v_cndmask_b32_e32 v27, 0, v27, vcc
	v_cmp_nlt_f32_e32 vcc, s10, v144
	s_nop 1
	v_cndmask_b32_e32 v46, v140, v27, vcc
	v_add_f32_e32 v27, 1.0, v46
	v_add_f32_e32 v29, -1.0, v27
	v_sub_f32_e32 v30, v29, v27
	v_add_f32_e32 v30, 1.0, v30
	v_sub_f32_e32 v29, v46, v29
	v_add_f32_e32 v29, v29, v30
	v_frexp_mant_f32_e32 v32, v27
	v_cvt_f64_f32_e32 v[30:31], v27
	v_frexp_exp_i32_f64_e32 v30, v[30:31]
	v_cmp_gt_f32_e32 vcc, s12, v32
	v_cmp_gt_f32_e64 s[60:61], s16, v46
	s_nop 0
	v_subbrev_co_u32_e32 v38, vcc, 0, v30, vcc
	v_sub_u32_e32 v30, 0, v38
	v_ldexp_f32 v27, v27, v30
	v_ldexp_f32 v29, v29, v30
	v_add_f32_e32 v30, -1.0, v27
	v_add_f32_e32 v31, 1.0, v30
	v_sub_f32_e32 v31, v27, v31
	v_add_f32_e32 v32, v29, v31
	v_add_f32_e32 v31, 1.0, v27
	v_add_f32_e32 v33, -1.0, v31
	v_sub_f32_e32 v27, v27, v33
	v_add_f32_e32 v27, v29, v27
	v_add_f32_e32 v29, v31, v27
	v_rcp_f32_e32 v39, v29
	v_sub_f32_e32 v31, v31, v29
	v_add_f32_e32 v27, v27, v31
	v_add_f32_e32 v31, v30, v32
	v_sub_f32_e32 v30, v30, v31
	v_mul_f32_e32 v41, v31, v39
	v_add_f32_e32 v40, v32, v30
	v_mul_f32_e32 v32, v29, v41
	v_fma_f32 v34, v41, v29, -v32
	v_fmac_f32_e32 v34, v41, v27
	v_add_f32_e32 v30, v32, v34
	v_sub_f32_e32 v33, v31, v30
	v_pk_add_f32 v[36:37], v[30:31], v[32:33] neg_lo:[0,1] neg_hi:[0,1]
	v_mov_b32_e32 v35, v30
	v_pk_add_f32 v[30:31], v[36:37], v[34:35] neg_lo:[0,1] neg_hi:[0,1]
	v_cmp_eq_f32_e32 vcc, s11, v46
	v_add_f32_e32 v31, v40, v31
	v_add_f32_e32 v30, v30, v31
	;; [unrolled: 1-line block ×3, first 2 shown]
	v_mul_f32_e32 v40, v39, v31
	v_mul_f32_e32 v32, v29, v40
	v_fma_f32 v34, v40, v29, -v32
	v_fmac_f32_e32 v34, v40, v27
	v_sub_f32_e32 v27, v33, v31
	v_add_f32_e32 v27, v30, v27
	v_add_f32_e32 v30, v32, v34
	v_sub_f32_e32 v33, v31, v30
	v_pk_add_f32 v[36:37], v[30:31], v[32:33] neg_lo:[0,1] neg_hi:[0,1]
	v_mov_b32_e32 v35, v30
	v_pk_add_f32 v[30:31], v[36:37], v[34:35] neg_lo:[0,1] neg_hi:[0,1]
	s_or_b64 vcc, s[60:61], vcc
	v_add_f32_e32 v27, v27, v31
	v_add_f32_e32 v27, v30, v27
	;; [unrolled: 1-line block ×4, first 2 shown]
	v_sub_f32_e32 v29, v31, v41
	v_mul_f32_e32 v27, v39, v27
	v_sub_f32_e32 v29, v40, v29
	v_add_f32_e32 v27, v29, v27
	v_add_f32_e32 v32, v31, v27
	v_cvt_f32_i32_e32 v30, v38
	v_mul_f32_e32 v34, v32, v32
	v_fmamk_f32 v29, v34, 0x3e9b6dac, v139
	v_sub_f32_e32 v31, v32, v31
	v_fmaak_f32 v29, v34, v29, 0x3f2aaada
	v_sub_f32_e32 v27, v27, v31
	v_mul_f32_e32 v31, v32, v34
	v_pk_mul_f32 v[34:35], v[30:31], v[28:29]
	v_ldexp_f32 v33, v32, 1
	v_fma_f32 v32, v30, s13, -v34
	v_fmac_f32_e32 v32, 0xb102e308, v30
	v_pk_add_f32 v[30:31], v[34:35], v[32:33]
	v_ldexp_f32 v27, v27, 1
	v_sub_f32_e32 v29, v31, v33
	v_sub_f32_e32 v29, v35, v29
	v_add_f32_e32 v37, v27, v29
	v_mov_b32_e32 v36, v34
	v_pk_add_f32 v[34:35], v[30:31], v[34:35] neg_lo:[0,1] neg_hi:[0,1]
	v_pk_add_f32 v[38:39], v[30:31], v[36:37]
	v_mov_b32_e32 v33, v30
	v_mov_b32_e32 v35, v39
	v_pk_add_f32 v[40:41], v[32:33], v[34:35] neg_lo:[0,1] neg_hi:[0,1]
	v_pk_add_f32 v[32:33], v[32:33], v[34:35]
	v_mov_b32_e32 v36, v37
	v_mov_b32_e32 v34, v33
	v_pk_add_f32 v[42:43], v[34:35], v[30:31] neg_lo:[0,1] neg_hi:[0,1]
	v_mov_b32_e32 v32, v39
	v_mov_b32_e32 v27, v42
	v_pk_add_f32 v[44:45], v[38:39], v[26:27] neg_lo:[0,1] neg_hi:[0,1]
	v_mov_b32_e32 v38, v31
	v_mov_b32_e32 v39, v42
	;; [unrolled: 1-line block ×3, first 2 shown]
	v_pk_add_f32 v[32:33], v[32:33], v[38:39] neg_lo:[0,1] neg_hi:[0,1]
	v_mov_b32_e32 v37, v30
	v_pk_add_f32 v[30:31], v[36:37], v[32:33] neg_lo:[0,1] neg_hi:[0,1]
	v_mov_b32_e32 v44, v40
	v_pk_add_f32 v[32:33], v[44:45], v[30:31]
	s_nop 0
	v_mov_b32_e32 v36, v33
	v_pk_add_f32 v[36:37], v[32:33], v[36:37]
	s_nop 0
	v_pk_add_f32 v[34:35], v[34:35], v[36:37]
	v_mov_b32_e32 v31, v36
	v_mov_b32_e32 v33, v34
	v_pk_add_f32 v[38:39], v[32:33], v[40:41] neg_lo:[0,1] neg_hi:[0,1]
	s_nop 0
	v_sub_f32_e32 v27, v32, v38
	v_pk_add_f32 v[30:31], v[30:31], v[38:39] neg_lo:[0,1] neg_hi:[0,1]
	v_sub_f32_e32 v27, v40, v27
	v_add_f32_e32 v27, v30, v27
	v_add_f32_e32 v27, v27, v31
	;; [unrolled: 1-line block ×3, first 2 shown]
	v_cndmask_b32_e32 v144, v27, v46, vcc
.LBB60_77:                              ;   in Loop: Header=BB60_13 Depth=1
	s_or_b64 exec, exec, s[4:5]
	v_and_b32_e32 v12, 0xffff0000, v12
	v_readlane_b32 s2, v166, 2
	s_nop 1
	v_add_f32_e32 v145, s2, v12
	v_readlane_b32 s2, v166, 23
	v_cmp_ge_f32_e32 vcc, s6, v145
	v_readlane_b32 s3, v166, 24
	s_and_b64 s[2:3], s[2:3], vcc
	s_and_saveexec_b64 s[4:5], s[2:3]
	s_cbranch_execz .LBB60_79
; %bb.78:                               ;   in Loop: Header=BB60_13 Depth=1
	v_mul_f32_e32 v12, 0x3fb8aa3b, v145
	v_rndne_f32_e32 v27, v12
	v_sub_f32_e32 v29, v12, v27
	v_fma_f32 v12, v145, s8, -v12
	v_fmac_f32_e32 v12, 0x32a5705f, v145
	v_add_f32_e32 v12, v29, v12
	v_cvt_i32_f32_e32 v27, v27
	v_exp_f32_e32 v12, v12
	v_cmp_ngt_f32_e32 vcc, s9, v145
	v_ldexp_f32 v12, v12, v27
	s_nop 0
	v_cndmask_b32_e32 v12, 0, v12, vcc
	v_cmp_nlt_f32_e32 vcc, s10, v145
	s_nop 1
	v_cndmask_b32_e32 v44, v140, v12, vcc
	v_add_f32_e32 v12, 1.0, v44
	v_add_f32_e32 v27, -1.0, v12
	v_sub_f32_e32 v29, v27, v12
	v_add_f32_e32 v29, 1.0, v29
	v_sub_f32_e32 v27, v44, v27
	v_add_f32_e32 v27, v27, v29
	v_frexp_mant_f32_e32 v29, v12
	v_cvt_f64_f32_e32 v[30:31], v12
	v_frexp_exp_i32_f64_e32 v30, v[30:31]
	v_cmp_gt_f32_e32 vcc, s12, v29
	v_cmp_gt_f32_e64 s[60:61], s16, v44
	s_nop 0
	v_subbrev_co_u32_e32 v38, vcc, 0, v30, vcc
	v_sub_u32_e32 v29, 0, v38
	v_ldexp_f32 v12, v12, v29
	v_ldexp_f32 v27, v27, v29
	v_add_f32_e32 v29, -1.0, v12
	v_add_f32_e32 v31, 1.0, v12
	v_add_f32_e32 v30, 1.0, v29
	v_add_f32_e32 v32, -1.0, v31
	v_sub_f32_e32 v30, v12, v30
	v_sub_f32_e32 v12, v12, v32
	v_add_f32_e32 v12, v27, v12
	v_add_f32_e32 v30, v27, v30
	;; [unrolled: 1-line block ×3, first 2 shown]
	v_rcp_f32_e32 v39, v27
	v_sub_f32_e32 v31, v31, v27
	v_add_f32_e32 v12, v12, v31
	v_add_f32_e32 v31, v29, v30
	v_mul_f32_e32 v40, v31, v39
	v_mul_f32_e32 v32, v27, v40
	v_fma_f32 v34, v40, v27, -v32
	v_sub_f32_e32 v29, v29, v31
	v_fmac_f32_e32 v34, v40, v12
	v_add_f32_e32 v29, v30, v29
	v_add_f32_e32 v30, v32, v34
	v_sub_f32_e32 v33, v31, v30
	v_pk_add_f32 v[36:37], v[30:31], v[32:33] neg_lo:[0,1] neg_hi:[0,1]
	v_mov_b32_e32 v35, v30
	v_pk_add_f32 v[30:31], v[36:37], v[34:35] neg_lo:[0,1] neg_hi:[0,1]
	v_cmp_eq_f32_e32 vcc, s11, v44
	v_add_f32_e32 v29, v29, v31
	v_add_f32_e32 v29, v30, v29
	;; [unrolled: 1-line block ×3, first 2 shown]
	v_mul_f32_e32 v41, v39, v31
	v_mul_f32_e32 v32, v27, v41
	v_fma_f32 v34, v41, v27, -v32
	v_fmac_f32_e32 v34, v41, v12
	v_add_f32_e32 v30, v32, v34
	v_sub_f32_e32 v12, v33, v31
	v_sub_f32_e32 v33, v31, v30
	v_pk_add_f32 v[36:37], v[30:31], v[32:33] neg_lo:[0,1] neg_hi:[0,1]
	v_mov_b32_e32 v35, v30
	v_add_f32_e32 v12, v29, v12
	v_pk_add_f32 v[30:31], v[36:37], v[34:35] neg_lo:[0,1] neg_hi:[0,1]
	v_add_f32_e32 v27, v40, v41
	v_add_f32_e32 v12, v12, v31
	;; [unrolled: 1-line block ×4, first 2 shown]
	v_sub_f32_e32 v29, v27, v40
	v_mul_f32_e32 v12, v39, v12
	v_sub_f32_e32 v29, v41, v29
	v_add_f32_e32 v12, v29, v12
	v_add_f32_e32 v31, v27, v12
	v_cvt_f32_i32_e32 v30, v38
	v_mul_f32_e32 v32, v31, v31
	v_fmamk_f32 v29, v32, 0x3e9b6dac, v139
	v_fmaak_f32 v29, v32, v29, 0x3f2aaada
	v_sub_f32_e32 v27, v31, v27
	v_ldexp_f32 v33, v31, 1
	v_mul_f32_e32 v31, v31, v32
	v_pk_mul_f32 v[34:35], v[30:31], v[28:29]
	v_sub_f32_e32 v12, v12, v27
	v_fma_f32 v32, v30, s13, -v34
	v_fmac_f32_e32 v32, 0xb102e308, v30
	v_pk_add_f32 v[30:31], v[34:35], v[32:33]
	v_ldexp_f32 v12, v12, 1
	v_sub_f32_e32 v27, v31, v33
	v_sub_f32_e32 v27, v35, v27
	v_add_f32_e32 v37, v12, v27
	v_mov_b32_e32 v36, v34
	v_pk_add_f32 v[34:35], v[30:31], v[34:35] neg_lo:[0,1] neg_hi:[0,1]
	v_pk_add_f32 v[38:39], v[30:31], v[36:37]
	v_mov_b32_e32 v33, v30
	v_mov_b32_e32 v35, v39
	v_pk_add_f32 v[40:41], v[32:33], v[34:35] neg_lo:[0,1] neg_hi:[0,1]
	v_pk_add_f32 v[32:33], v[32:33], v[34:35]
	s_or_b64 vcc, s[60:61], vcc
	v_mov_b32_e32 v12, v33
	v_pk_add_f32 v[34:35], v[12:13], v[30:31] neg_lo:[0,1] neg_hi:[0,1]
	v_mov_b32_e32 v32, v39
	v_mov_b32_e32 v27, v34
	v_pk_add_f32 v[42:43], v[38:39], v[26:27] neg_lo:[0,1] neg_hi:[0,1]
	v_mov_b32_e32 v38, v31
	v_mov_b32_e32 v39, v34
	;; [unrolled: 1-line block ×3, first 2 shown]
	v_pk_add_f32 v[32:33], v[32:33], v[38:39] neg_lo:[0,1] neg_hi:[0,1]
	v_mov_b32_e32 v34, v37
	v_mov_b32_e32 v35, v30
	v_pk_add_f32 v[30:31], v[34:35], v[32:33] neg_lo:[0,1] neg_hi:[0,1]
	v_mov_b32_e32 v42, v40
	v_pk_add_f32 v[32:33], v[42:43], v[30:31]
	s_nop 0
	v_mov_b32_e32 v34, v33
	v_pk_add_f32 v[34:35], v[32:33], v[34:35]
	s_nop 0
	v_pk_add_f32 v[36:37], v[12:13], v[34:35]
	v_mov_b32_e32 v31, v34
	v_mov_b32_e32 v33, v36
	v_pk_add_f32 v[38:39], v[32:33], v[40:41] neg_lo:[0,1] neg_hi:[0,1]
	s_nop 0
	v_sub_f32_e32 v12, v32, v38
	v_pk_add_f32 v[30:31], v[30:31], v[38:39] neg_lo:[0,1] neg_hi:[0,1]
	v_sub_f32_e32 v12, v40, v12
	v_add_f32_e32 v12, v30, v12
	v_add_f32_e32 v12, v12, v31
	;; [unrolled: 1-line block ×3, first 2 shown]
	v_cndmask_b32_e32 v145, v12, v44, vcc
.LBB60_79:                              ;   in Loop: Header=BB60_13 Depth=1
	s_or_b64 exec, exec, s[4:5]
	v_lshlrev_b32_e32 v12, 16, v13
	v_readlane_b32 s2, v166, 2
	s_nop 1
	v_add_f32_e32 v146, s2, v12
	v_readlane_b32 s2, v166, 23
	v_cmp_ge_f32_e32 vcc, s6, v146
	v_readlane_b32 s3, v166, 24
	s_and_b64 s[2:3], s[2:3], vcc
	s_and_saveexec_b64 s[4:5], s[2:3]
	s_cbranch_execz .LBB60_81
; %bb.80:                               ;   in Loop: Header=BB60_13 Depth=1
	v_mul_f32_e32 v12, 0x3fb8aa3b, v146
	v_rndne_f32_e32 v27, v12
	v_sub_f32_e32 v29, v12, v27
	v_fma_f32 v12, v146, s8, -v12
	v_fmac_f32_e32 v12, 0x32a5705f, v146
	v_add_f32_e32 v12, v29, v12
	v_cvt_i32_f32_e32 v27, v27
	v_exp_f32_e32 v12, v12
	v_cmp_ngt_f32_e32 vcc, s9, v146
	v_ldexp_f32 v12, v12, v27
	s_nop 0
	v_cndmask_b32_e32 v12, 0, v12, vcc
	v_cmp_nlt_f32_e32 vcc, s10, v146
	s_nop 1
	v_cndmask_b32_e32 v44, v140, v12, vcc
	v_add_f32_e32 v12, 1.0, v44
	v_add_f32_e32 v27, -1.0, v12
	v_sub_f32_e32 v29, v27, v12
	v_add_f32_e32 v29, 1.0, v29
	v_sub_f32_e32 v27, v44, v27
	v_add_f32_e32 v27, v27, v29
	v_frexp_mant_f32_e32 v29, v12
	v_cvt_f64_f32_e32 v[30:31], v12
	v_frexp_exp_i32_f64_e32 v30, v[30:31]
	v_cmp_gt_f32_e32 vcc, s12, v29
	v_cmp_gt_f32_e64 s[60:61], s16, v44
	s_nop 0
	v_subbrev_co_u32_e32 v38, vcc, 0, v30, vcc
	v_sub_u32_e32 v29, 0, v38
	v_ldexp_f32 v12, v12, v29
	v_ldexp_f32 v27, v27, v29
	v_add_f32_e32 v29, -1.0, v12
	v_add_f32_e32 v31, 1.0, v12
	v_add_f32_e32 v30, 1.0, v29
	v_add_f32_e32 v32, -1.0, v31
	v_sub_f32_e32 v30, v12, v30
	v_sub_f32_e32 v12, v12, v32
	v_add_f32_e32 v12, v27, v12
	v_add_f32_e32 v30, v27, v30
	;; [unrolled: 1-line block ×3, first 2 shown]
	v_rcp_f32_e32 v39, v27
	v_sub_f32_e32 v31, v31, v27
	v_add_f32_e32 v12, v12, v31
	v_add_f32_e32 v31, v29, v30
	v_mul_f32_e32 v40, v31, v39
	v_mul_f32_e32 v32, v27, v40
	v_fma_f32 v34, v40, v27, -v32
	v_sub_f32_e32 v29, v29, v31
	v_fmac_f32_e32 v34, v40, v12
	v_add_f32_e32 v29, v30, v29
	v_add_f32_e32 v30, v32, v34
	v_sub_f32_e32 v33, v31, v30
	v_pk_add_f32 v[36:37], v[30:31], v[32:33] neg_lo:[0,1] neg_hi:[0,1]
	v_mov_b32_e32 v35, v30
	v_pk_add_f32 v[30:31], v[36:37], v[34:35] neg_lo:[0,1] neg_hi:[0,1]
	v_cmp_eq_f32_e32 vcc, s11, v44
	v_add_f32_e32 v29, v29, v31
	v_add_f32_e32 v29, v30, v29
	;; [unrolled: 1-line block ×3, first 2 shown]
	v_mul_f32_e32 v41, v39, v31
	v_mul_f32_e32 v32, v27, v41
	v_fma_f32 v34, v41, v27, -v32
	v_fmac_f32_e32 v34, v41, v12
	v_add_f32_e32 v30, v32, v34
	v_sub_f32_e32 v12, v33, v31
	v_sub_f32_e32 v33, v31, v30
	v_pk_add_f32 v[36:37], v[30:31], v[32:33] neg_lo:[0,1] neg_hi:[0,1]
	v_mov_b32_e32 v35, v30
	v_add_f32_e32 v12, v29, v12
	v_pk_add_f32 v[30:31], v[36:37], v[34:35] neg_lo:[0,1] neg_hi:[0,1]
	v_add_f32_e32 v27, v40, v41
	v_add_f32_e32 v12, v12, v31
	;; [unrolled: 1-line block ×4, first 2 shown]
	v_sub_f32_e32 v29, v27, v40
	v_mul_f32_e32 v12, v39, v12
	v_sub_f32_e32 v29, v41, v29
	v_add_f32_e32 v12, v29, v12
	v_add_f32_e32 v31, v27, v12
	v_cvt_f32_i32_e32 v30, v38
	v_mul_f32_e32 v32, v31, v31
	v_fmamk_f32 v29, v32, 0x3e9b6dac, v139
	v_fmaak_f32 v29, v32, v29, 0x3f2aaada
	v_sub_f32_e32 v27, v31, v27
	v_ldexp_f32 v33, v31, 1
	v_mul_f32_e32 v31, v31, v32
	v_pk_mul_f32 v[34:35], v[30:31], v[28:29]
	v_sub_f32_e32 v12, v12, v27
	v_fma_f32 v32, v30, s13, -v34
	v_fmac_f32_e32 v32, 0xb102e308, v30
	v_pk_add_f32 v[30:31], v[34:35], v[32:33]
	v_ldexp_f32 v12, v12, 1
	v_sub_f32_e32 v27, v31, v33
	v_sub_f32_e32 v27, v35, v27
	v_add_f32_e32 v37, v12, v27
	v_mov_b32_e32 v36, v34
	v_pk_add_f32 v[34:35], v[30:31], v[34:35] neg_lo:[0,1] neg_hi:[0,1]
	v_pk_add_f32 v[38:39], v[30:31], v[36:37]
	v_mov_b32_e32 v33, v30
	v_mov_b32_e32 v35, v39
	v_pk_add_f32 v[40:41], v[32:33], v[34:35] neg_lo:[0,1] neg_hi:[0,1]
	v_pk_add_f32 v[32:33], v[32:33], v[34:35]
	s_or_b64 vcc, s[60:61], vcc
	v_mov_b32_e32 v12, v33
	v_pk_add_f32 v[34:35], v[12:13], v[30:31] neg_lo:[0,1] neg_hi:[0,1]
	v_mov_b32_e32 v32, v39
	v_mov_b32_e32 v27, v34
	v_pk_add_f32 v[42:43], v[38:39], v[26:27] neg_lo:[0,1] neg_hi:[0,1]
	v_mov_b32_e32 v38, v31
	v_mov_b32_e32 v39, v34
	;; [unrolled: 1-line block ×3, first 2 shown]
	v_pk_add_f32 v[32:33], v[32:33], v[38:39] neg_lo:[0,1] neg_hi:[0,1]
	v_mov_b32_e32 v34, v37
	v_mov_b32_e32 v35, v30
	v_pk_add_f32 v[30:31], v[34:35], v[32:33] neg_lo:[0,1] neg_hi:[0,1]
	v_mov_b32_e32 v42, v40
	v_pk_add_f32 v[32:33], v[42:43], v[30:31]
	s_nop 0
	v_mov_b32_e32 v34, v33
	v_pk_add_f32 v[34:35], v[32:33], v[34:35]
	s_nop 0
	v_pk_add_f32 v[36:37], v[12:13], v[34:35]
	v_mov_b32_e32 v31, v34
	v_mov_b32_e32 v33, v36
	v_pk_add_f32 v[38:39], v[32:33], v[40:41] neg_lo:[0,1] neg_hi:[0,1]
	s_nop 0
	v_sub_f32_e32 v12, v32, v38
	v_pk_add_f32 v[30:31], v[30:31], v[38:39] neg_lo:[0,1] neg_hi:[0,1]
	v_sub_f32_e32 v12, v40, v12
	v_add_f32_e32 v12, v30, v12
	v_add_f32_e32 v12, v12, v31
	v_add_f32_e32 v12, v36, v12
	v_cndmask_b32_e32 v146, v12, v44, vcc
.LBB60_81:                              ;   in Loop: Header=BB60_13 Depth=1
	s_or_b64 exec, exec, s[4:5]
	v_and_b32_e32 v12, 0xffff0000, v13
	v_readlane_b32 s2, v166, 2
	s_nop 1
	v_add_f32_e32 v147, s2, v12
	v_readlane_b32 s2, v166, 23
	v_cmp_ge_f32_e32 vcc, s6, v147
	v_readlane_b32 s3, v166, 24
	s_and_b64 s[2:3], s[2:3], vcc
	s_and_saveexec_b64 s[4:5], s[2:3]
	s_cbranch_execz .LBB60_83
; %bb.82:                               ;   in Loop: Header=BB60_13 Depth=1
	v_mul_f32_e32 v12, 0x3fb8aa3b, v147
	v_rndne_f32_e32 v13, v12
	v_sub_f32_e32 v27, v12, v13
	v_fma_f32 v12, v147, s8, -v12
	v_fmac_f32_e32 v12, 0x32a5705f, v147
	v_add_f32_e32 v12, v27, v12
	v_cvt_i32_f32_e32 v13, v13
	v_exp_f32_e32 v12, v12
	v_cmp_ngt_f32_e32 vcc, s9, v147
	v_ldexp_f32 v12, v12, v13
	s_nop 0
	v_cndmask_b32_e32 v12, 0, v12, vcc
	v_cmp_nlt_f32_e32 vcc, s10, v147
	s_nop 1
	v_cndmask_b32_e32 v44, v140, v12, vcc
	v_add_f32_e32 v27, 1.0, v44
	v_add_f32_e32 v12, -1.0, v27
	v_sub_f32_e32 v13, v12, v27
	v_add_f32_e32 v13, 1.0, v13
	v_sub_f32_e32 v12, v44, v12
	v_add_f32_e32 v29, v12, v13
	v_frexp_mant_f32_e32 v30, v27
	v_cvt_f64_f32_e32 v[12:13], v27
	v_frexp_exp_i32_f64_e32 v12, v[12:13]
	v_cmp_gt_f32_e32 vcc, s12, v30
	v_cmp_gt_f32_e64 s[60:61], s16, v44
	s_nop 0
	v_subbrev_co_u32_e32 v36, vcc, 0, v12, vcc
	v_sub_u32_e32 v12, 0, v36
	v_ldexp_f32 v13, v27, v12
	v_add_f32_e32 v27, -1.0, v13
	v_add_f32_e32 v30, 1.0, v13
	v_ldexp_f32 v12, v29, v12
	v_add_f32_e32 v29, 1.0, v27
	v_add_f32_e32 v31, -1.0, v30
	v_sub_f32_e32 v29, v13, v29
	v_sub_f32_e32 v13, v13, v31
	v_add_f32_e32 v29, v12, v29
	v_add_f32_e32 v12, v12, v13
	;; [unrolled: 1-line block ×3, first 2 shown]
	v_rcp_f32_e32 v39, v37
	v_sub_f32_e32 v13, v30, v37
	v_add_f32_e32 v38, v12, v13
	v_add_f32_e32 v13, v27, v29
	v_sub_f32_e32 v12, v27, v13
	v_add_f32_e32 v27, v29, v12
	v_mul_f32_e32 v29, v13, v39
	v_mul_f32_e32 v30, v37, v29
	v_fma_f32 v32, v29, v37, -v30
	v_fmac_f32_e32 v32, v29, v38
	v_add_f32_e32 v12, v30, v32
	v_sub_f32_e32 v31, v13, v12
	v_pk_add_f32 v[34:35], v[12:13], v[30:31] neg_lo:[0,1] neg_hi:[0,1]
	v_mov_b32_e32 v33, v12
	v_pk_add_f32 v[12:13], v[34:35], v[32:33] neg_lo:[0,1] neg_hi:[0,1]
	v_cmp_eq_f32_e32 vcc, s11, v44
	v_add_f32_e32 v13, v27, v13
	v_add_f32_e32 v12, v12, v13
	;; [unrolled: 1-line block ×3, first 2 shown]
	v_mul_f32_e32 v27, v39, v13
	v_mul_f32_e32 v30, v37, v27
	v_fma_f32 v32, v27, v37, -v30
	v_fmac_f32_e32 v32, v27, v38
	v_sub_f32_e32 v31, v31, v13
	v_add_f32_e32 v37, v12, v31
	v_add_f32_e32 v12, v30, v32
	v_sub_f32_e32 v31, v13, v12
	v_pk_add_f32 v[34:35], v[12:13], v[30:31] neg_lo:[0,1] neg_hi:[0,1]
	v_mov_b32_e32 v33, v12
	v_pk_add_f32 v[12:13], v[34:35], v[32:33] neg_lo:[0,1] neg_hi:[0,1]
	s_or_b64 vcc, s[60:61], vcc
	v_add_f32_e32 v13, v37, v13
	v_add_f32_e32 v12, v12, v13
	;; [unrolled: 1-line block ×4, first 2 shown]
	v_sub_f32_e32 v29, v13, v29
	v_mul_f32_e32 v12, v39, v12
	v_sub_f32_e32 v27, v27, v29
	v_add_f32_e32 v27, v27, v12
	v_add_f32_e32 v30, v13, v27
	v_mul_f32_e32 v32, v30, v30
	v_fmamk_f32 v12, v32, 0x3e9b6dac, v139
	v_fmaak_f32 v29, v32, v12, 0x3f2aaada
	v_cvt_f32_i32_e32 v12, v36
	v_sub_f32_e32 v13, v30, v13
	v_sub_f32_e32 v13, v27, v13
	v_ldexp_f32 v27, v13, 1
	v_mul_f32_e32 v13, v30, v32
	v_pk_mul_f32 v[32:33], v[12:13], v[28:29]
	v_ldexp_f32 v31, v30, 1
	v_fma_f32 v30, v12, s13, -v32
	v_fmac_f32_e32 v30, 0xb102e308, v12
	v_pk_add_f32 v[12:13], v[32:33], v[30:31]
	v_mov_b32_e32 v34, v32
	v_sub_f32_e32 v29, v13, v31
	v_sub_f32_e32 v29, v33, v29
	v_add_f32_e32 v35, v27, v29
	v_pk_add_f32 v[32:33], v[12:13], v[32:33] neg_lo:[0,1] neg_hi:[0,1]
	v_pk_add_f32 v[36:37], v[12:13], v[34:35]
	v_mov_b32_e32 v31, v12
	v_mov_b32_e32 v33, v37
	v_pk_add_f32 v[38:39], v[30:31], v[32:33] neg_lo:[0,1] neg_hi:[0,1]
	v_pk_add_f32 v[30:31], v[30:31], v[32:33]
	v_mov_b32_e32 v34, v35
	v_mov_b32_e32 v32, v31
	v_pk_add_f32 v[40:41], v[32:33], v[12:13] neg_lo:[0,1] neg_hi:[0,1]
	v_mov_b32_e32 v30, v37
	v_mov_b32_e32 v27, v40
	v_pk_add_f32 v[42:43], v[36:37], v[26:27] neg_lo:[0,1] neg_hi:[0,1]
	v_mov_b32_e32 v36, v13
	v_mov_b32_e32 v37, v40
	;; [unrolled: 1-line block ×3, first 2 shown]
	v_pk_add_f32 v[30:31], v[30:31], v[36:37] neg_lo:[0,1] neg_hi:[0,1]
	v_mov_b32_e32 v35, v12
	v_pk_add_f32 v[12:13], v[34:35], v[30:31] neg_lo:[0,1] neg_hi:[0,1]
	v_mov_b32_e32 v42, v38
	v_pk_add_f32 v[30:31], v[42:43], v[12:13]
	s_nop 0
	v_mov_b32_e32 v34, v31
	v_pk_add_f32 v[34:35], v[30:31], v[34:35]
	s_nop 0
	v_pk_add_f32 v[32:33], v[32:33], v[34:35]
	v_mov_b32_e32 v13, v34
	v_mov_b32_e32 v31, v32
	v_pk_add_f32 v[36:37], v[30:31], v[38:39] neg_lo:[0,1] neg_hi:[0,1]
	s_nop 0
	v_sub_f32_e32 v27, v30, v36
	v_pk_add_f32 v[12:13], v[12:13], v[36:37] neg_lo:[0,1] neg_hi:[0,1]
	v_sub_f32_e32 v27, v38, v27
	v_add_f32_e32 v12, v12, v27
	v_add_f32_e32 v12, v12, v13
	;; [unrolled: 1-line block ×3, first 2 shown]
	v_cndmask_b32_e32 v147, v12, v44, vcc
.LBB60_83:                              ;   in Loop: Header=BB60_13 Depth=1
	s_or_b64 exec, exec, s[4:5]
	v_lshlrev_b32_e32 v12, 16, v14
	v_readlane_b32 s2, v166, 2
	s_nop 1
	v_add_f32_e32 v148, s2, v12
	v_readlane_b32 s2, v166, 23
	v_cmp_ge_f32_e32 vcc, s6, v148
	v_readlane_b32 s3, v166, 24
	s_and_b64 s[2:3], s[2:3], vcc
	s_and_saveexec_b64 s[4:5], s[2:3]
	s_cbranch_execz .LBB60_85
; %bb.84:                               ;   in Loop: Header=BB60_13 Depth=1
	v_mul_f32_e32 v12, 0x3fb8aa3b, v148
	v_rndne_f32_e32 v13, v12
	v_sub_f32_e32 v27, v12, v13
	v_fma_f32 v12, v148, s8, -v12
	v_fmac_f32_e32 v12, 0x32a5705f, v148
	v_add_f32_e32 v12, v27, v12
	v_cvt_i32_f32_e32 v13, v13
	v_exp_f32_e32 v12, v12
	v_cmp_ngt_f32_e32 vcc, s9, v148
	v_ldexp_f32 v12, v12, v13
	s_nop 0
	v_cndmask_b32_e32 v12, 0, v12, vcc
	v_cmp_nlt_f32_e32 vcc, s10, v148
	s_nop 1
	v_cndmask_b32_e32 v44, v140, v12, vcc
	v_add_f32_e32 v27, 1.0, v44
	v_add_f32_e32 v12, -1.0, v27
	v_sub_f32_e32 v13, v12, v27
	v_add_f32_e32 v13, 1.0, v13
	v_sub_f32_e32 v12, v44, v12
	v_add_f32_e32 v29, v12, v13
	v_frexp_mant_f32_e32 v30, v27
	v_cvt_f64_f32_e32 v[12:13], v27
	v_frexp_exp_i32_f64_e32 v12, v[12:13]
	v_cmp_gt_f32_e32 vcc, s12, v30
	v_cmp_gt_f32_e64 s[60:61], s16, v44
	s_nop 0
	v_subbrev_co_u32_e32 v36, vcc, 0, v12, vcc
	v_sub_u32_e32 v12, 0, v36
	v_ldexp_f32 v13, v27, v12
	v_add_f32_e32 v27, -1.0, v13
	v_add_f32_e32 v30, 1.0, v13
	v_ldexp_f32 v12, v29, v12
	v_add_f32_e32 v29, 1.0, v27
	v_add_f32_e32 v31, -1.0, v30
	v_sub_f32_e32 v29, v13, v29
	v_sub_f32_e32 v13, v13, v31
	v_add_f32_e32 v29, v12, v29
	v_add_f32_e32 v12, v12, v13
	;; [unrolled: 1-line block ×3, first 2 shown]
	v_rcp_f32_e32 v39, v37
	v_sub_f32_e32 v13, v30, v37
	v_add_f32_e32 v38, v12, v13
	v_add_f32_e32 v13, v27, v29
	v_sub_f32_e32 v12, v27, v13
	v_add_f32_e32 v27, v29, v12
	v_mul_f32_e32 v29, v13, v39
	v_mul_f32_e32 v30, v37, v29
	v_fma_f32 v32, v29, v37, -v30
	v_fmac_f32_e32 v32, v29, v38
	v_add_f32_e32 v12, v30, v32
	v_sub_f32_e32 v31, v13, v12
	v_pk_add_f32 v[34:35], v[12:13], v[30:31] neg_lo:[0,1] neg_hi:[0,1]
	v_mov_b32_e32 v33, v12
	v_pk_add_f32 v[12:13], v[34:35], v[32:33] neg_lo:[0,1] neg_hi:[0,1]
	v_cmp_eq_f32_e32 vcc, s11, v44
	v_add_f32_e32 v13, v27, v13
	v_add_f32_e32 v12, v12, v13
	;; [unrolled: 1-line block ×3, first 2 shown]
	v_mul_f32_e32 v27, v39, v13
	v_mul_f32_e32 v30, v37, v27
	v_fma_f32 v32, v27, v37, -v30
	v_fmac_f32_e32 v32, v27, v38
	v_sub_f32_e32 v31, v31, v13
	v_add_f32_e32 v37, v12, v31
	v_add_f32_e32 v12, v30, v32
	v_sub_f32_e32 v31, v13, v12
	v_pk_add_f32 v[34:35], v[12:13], v[30:31] neg_lo:[0,1] neg_hi:[0,1]
	v_mov_b32_e32 v33, v12
	v_pk_add_f32 v[12:13], v[34:35], v[32:33] neg_lo:[0,1] neg_hi:[0,1]
	s_or_b64 vcc, s[60:61], vcc
	v_add_f32_e32 v13, v37, v13
	v_add_f32_e32 v12, v12, v13
	;; [unrolled: 1-line block ×4, first 2 shown]
	v_sub_f32_e32 v29, v13, v29
	v_mul_f32_e32 v12, v39, v12
	v_sub_f32_e32 v27, v27, v29
	v_add_f32_e32 v27, v27, v12
	v_add_f32_e32 v30, v13, v27
	v_mul_f32_e32 v32, v30, v30
	v_fmamk_f32 v12, v32, 0x3e9b6dac, v139
	v_fmaak_f32 v29, v32, v12, 0x3f2aaada
	v_cvt_f32_i32_e32 v12, v36
	v_sub_f32_e32 v13, v30, v13
	v_sub_f32_e32 v13, v27, v13
	v_ldexp_f32 v27, v13, 1
	v_mul_f32_e32 v13, v30, v32
	v_pk_mul_f32 v[32:33], v[12:13], v[28:29]
	v_ldexp_f32 v31, v30, 1
	v_fma_f32 v30, v12, s13, -v32
	v_fmac_f32_e32 v30, 0xb102e308, v12
	v_pk_add_f32 v[12:13], v[32:33], v[30:31]
	v_mov_b32_e32 v34, v32
	v_sub_f32_e32 v29, v13, v31
	v_sub_f32_e32 v29, v33, v29
	v_add_f32_e32 v35, v27, v29
	v_pk_add_f32 v[32:33], v[12:13], v[32:33] neg_lo:[0,1] neg_hi:[0,1]
	v_pk_add_f32 v[36:37], v[12:13], v[34:35]
	v_mov_b32_e32 v31, v12
	v_mov_b32_e32 v33, v37
	v_pk_add_f32 v[38:39], v[30:31], v[32:33] neg_lo:[0,1] neg_hi:[0,1]
	v_pk_add_f32 v[30:31], v[30:31], v[32:33]
	v_mov_b32_e32 v34, v35
	v_mov_b32_e32 v32, v31
	v_pk_add_f32 v[40:41], v[32:33], v[12:13] neg_lo:[0,1] neg_hi:[0,1]
	v_mov_b32_e32 v30, v37
	v_mov_b32_e32 v27, v40
	v_pk_add_f32 v[42:43], v[36:37], v[26:27] neg_lo:[0,1] neg_hi:[0,1]
	v_mov_b32_e32 v36, v13
	v_mov_b32_e32 v37, v40
	;; [unrolled: 1-line block ×3, first 2 shown]
	v_pk_add_f32 v[30:31], v[30:31], v[36:37] neg_lo:[0,1] neg_hi:[0,1]
	v_mov_b32_e32 v35, v12
	v_pk_add_f32 v[12:13], v[34:35], v[30:31] neg_lo:[0,1] neg_hi:[0,1]
	v_mov_b32_e32 v42, v38
	v_pk_add_f32 v[30:31], v[42:43], v[12:13]
	s_nop 0
	v_mov_b32_e32 v34, v31
	v_pk_add_f32 v[34:35], v[30:31], v[34:35]
	s_nop 0
	v_pk_add_f32 v[32:33], v[32:33], v[34:35]
	v_mov_b32_e32 v13, v34
	v_mov_b32_e32 v31, v32
	v_pk_add_f32 v[36:37], v[30:31], v[38:39] neg_lo:[0,1] neg_hi:[0,1]
	s_nop 0
	v_sub_f32_e32 v27, v30, v36
	v_pk_add_f32 v[12:13], v[12:13], v[36:37] neg_lo:[0,1] neg_hi:[0,1]
	v_sub_f32_e32 v27, v38, v27
	v_add_f32_e32 v12, v12, v27
	v_add_f32_e32 v12, v12, v13
	;; [unrolled: 1-line block ×3, first 2 shown]
	v_cndmask_b32_e32 v148, v12, v44, vcc
.LBB60_85:                              ;   in Loop: Header=BB60_13 Depth=1
	s_or_b64 exec, exec, s[4:5]
	v_and_b32_e32 v12, 0xffff0000, v14
	v_readlane_b32 s2, v166, 2
	s_nop 1
	v_add_f32_e32 v149, s2, v12
	v_readlane_b32 s2, v166, 23
	v_cmp_ge_f32_e32 vcc, s6, v149
	v_readlane_b32 s3, v166, 24
	s_and_b64 s[2:3], s[2:3], vcc
	s_and_saveexec_b64 s[4:5], s[2:3]
	s_cbranch_execz .LBB60_87
; %bb.86:                               ;   in Loop: Header=BB60_13 Depth=1
	v_mul_f32_e32 v12, 0x3fb8aa3b, v149
	v_rndne_f32_e32 v13, v12
	v_sub_f32_e32 v14, v12, v13
	v_fma_f32 v12, v149, s8, -v12
	v_fmac_f32_e32 v12, 0x32a5705f, v149
	v_add_f32_e32 v12, v14, v12
	v_cvt_i32_f32_e32 v13, v13
	v_exp_f32_e32 v12, v12
	v_cmp_ngt_f32_e32 vcc, s9, v149
	v_ldexp_f32 v12, v12, v13
	s_nop 0
	v_cndmask_b32_e32 v12, 0, v12, vcc
	v_cmp_nlt_f32_e32 vcc, s10, v149
	s_nop 1
	v_cndmask_b32_e32 v42, v140, v12, vcc
	v_add_f32_e32 v14, 1.0, v42
	v_add_f32_e32 v12, -1.0, v14
	v_sub_f32_e32 v13, v12, v14
	v_add_f32_e32 v13, 1.0, v13
	v_sub_f32_e32 v12, v42, v12
	v_add_f32_e32 v27, v12, v13
	v_frexp_mant_f32_e32 v29, v14
	v_cvt_f64_f32_e32 v[12:13], v14
	v_frexp_exp_i32_f64_e32 v12, v[12:13]
	v_cmp_gt_f32_e32 vcc, s12, v29
	v_cmp_gt_f32_e64 s[60:61], s16, v42
	s_nop 0
	v_subbrev_co_u32_e32 v36, vcc, 0, v12, vcc
	v_sub_u32_e32 v12, 0, v36
	v_ldexp_f32 v13, v14, v12
	v_add_f32_e32 v14, -1.0, v13
	v_add_f32_e32 v29, 1.0, v13
	v_ldexp_f32 v12, v27, v12
	v_add_f32_e32 v27, 1.0, v14
	v_add_f32_e32 v30, -1.0, v29
	v_sub_f32_e32 v27, v13, v27
	v_sub_f32_e32 v13, v13, v30
	v_add_f32_e32 v27, v12, v27
	v_add_f32_e32 v12, v12, v13
	;; [unrolled: 1-line block ×3, first 2 shown]
	v_rcp_f32_e32 v38, v37
	v_sub_f32_e32 v13, v29, v37
	v_add_f32_e32 v29, v12, v13
	v_add_f32_e32 v13, v14, v27
	v_sub_f32_e32 v12, v14, v13
	v_add_f32_e32 v14, v27, v12
	v_mul_f32_e32 v27, v13, v38
	v_mul_f32_e32 v30, v37, v27
	v_fma_f32 v32, v27, v37, -v30
	v_fmac_f32_e32 v32, v27, v29
	v_add_f32_e32 v12, v30, v32
	v_sub_f32_e32 v31, v13, v12
	v_pk_add_f32 v[34:35], v[12:13], v[30:31] neg_lo:[0,1] neg_hi:[0,1]
	v_mov_b32_e32 v33, v12
	v_pk_add_f32 v[12:13], v[34:35], v[32:33] neg_lo:[0,1] neg_hi:[0,1]
	v_cmp_eq_f32_e32 vcc, s11, v42
	v_add_f32_e32 v13, v14, v13
	v_add_f32_e32 v12, v12, v13
	;; [unrolled: 1-line block ×3, first 2 shown]
	v_mul_f32_e32 v14, v38, v13
	v_mul_f32_e32 v30, v37, v14
	v_fma_f32 v32, v14, v37, -v30
	v_fmac_f32_e32 v32, v14, v29
	v_sub_f32_e32 v29, v31, v13
	v_add_f32_e32 v29, v12, v29
	v_add_f32_e32 v12, v30, v32
	v_sub_f32_e32 v31, v13, v12
	v_pk_add_f32 v[34:35], v[12:13], v[30:31] neg_lo:[0,1] neg_hi:[0,1]
	v_mov_b32_e32 v33, v12
	v_pk_add_f32 v[12:13], v[34:35], v[32:33] neg_lo:[0,1] neg_hi:[0,1]
	s_or_b64 vcc, s[60:61], vcc
	v_add_f32_e32 v13, v29, v13
	v_add_f32_e32 v12, v12, v13
	;; [unrolled: 1-line block ×4, first 2 shown]
	v_sub_f32_e32 v27, v13, v27
	v_mul_f32_e32 v12, v38, v12
	v_sub_f32_e32 v14, v14, v27
	v_add_f32_e32 v14, v14, v12
	v_add_f32_e32 v27, v13, v14
	v_mul_f32_e32 v30, v27, v27
	v_fmamk_f32 v12, v30, 0x3e9b6dac, v139
	v_fmaak_f32 v29, v30, v12, 0x3f2aaada
	v_cvt_f32_i32_e32 v12, v36
	v_sub_f32_e32 v13, v27, v13
	v_sub_f32_e32 v13, v14, v13
	v_ldexp_f32 v14, v13, 1
	v_mul_f32_e32 v13, v27, v30
	v_pk_mul_f32 v[32:33], v[12:13], v[28:29]
	v_ldexp_f32 v31, v27, 1
	v_fma_f32 v30, v12, s13, -v32
	v_fmac_f32_e32 v30, 0xb102e308, v12
	v_pk_add_f32 v[12:13], v[32:33], v[30:31]
	v_mov_b32_e32 v34, v32
	v_sub_f32_e32 v27, v13, v31
	v_sub_f32_e32 v27, v33, v27
	v_add_f32_e32 v35, v14, v27
	v_pk_add_f32 v[32:33], v[12:13], v[32:33] neg_lo:[0,1] neg_hi:[0,1]
	v_pk_add_f32 v[36:37], v[12:13], v[34:35]
	v_mov_b32_e32 v31, v12
	v_mov_b32_e32 v33, v37
	v_pk_add_f32 v[38:39], v[30:31], v[32:33] neg_lo:[0,1] neg_hi:[0,1]
	v_pk_add_f32 v[30:31], v[30:31], v[32:33]
	s_nop 0
	v_mov_b32_e32 v14, v31
	v_pk_add_f32 v[32:33], v[14:15], v[12:13] neg_lo:[0,1] neg_hi:[0,1]
	v_mov_b32_e32 v30, v37
	v_mov_b32_e32 v27, v32
	v_pk_add_f32 v[40:41], v[36:37], v[26:27] neg_lo:[0,1] neg_hi:[0,1]
	v_mov_b32_e32 v36, v13
	v_mov_b32_e32 v37, v32
	;; [unrolled: 1-line block ×3, first 2 shown]
	v_pk_add_f32 v[30:31], v[30:31], v[36:37] neg_lo:[0,1] neg_hi:[0,1]
	v_mov_b32_e32 v32, v35
	v_mov_b32_e32 v33, v12
	v_pk_add_f32 v[12:13], v[32:33], v[30:31] neg_lo:[0,1] neg_hi:[0,1]
	v_mov_b32_e32 v40, v38
	v_pk_add_f32 v[30:31], v[40:41], v[12:13]
	s_nop 0
	v_mov_b32_e32 v32, v31
	v_pk_add_f32 v[32:33], v[30:31], v[32:33]
	s_nop 0
	v_pk_add_f32 v[34:35], v[14:15], v[32:33]
	v_mov_b32_e32 v13, v32
	v_mov_b32_e32 v31, v34
	v_pk_add_f32 v[36:37], v[30:31], v[38:39] neg_lo:[0,1] neg_hi:[0,1]
	s_nop 0
	v_sub_f32_e32 v14, v30, v36
	v_pk_add_f32 v[12:13], v[12:13], v[36:37] neg_lo:[0,1] neg_hi:[0,1]
	v_sub_f32_e32 v14, v38, v14
	v_add_f32_e32 v12, v12, v14
	v_add_f32_e32 v12, v12, v13
	;; [unrolled: 1-line block ×3, first 2 shown]
	v_cndmask_b32_e32 v149, v12, v42, vcc
.LBB60_87:                              ;   in Loop: Header=BB60_13 Depth=1
	s_or_b64 exec, exec, s[4:5]
	v_lshlrev_b32_e32 v12, 16, v15
	v_readlane_b32 s2, v166, 2
	s_nop 1
	v_add_f32_e32 v150, s2, v12
	v_readlane_b32 s2, v166, 23
	v_cmp_ge_f32_e32 vcc, s6, v150
	v_readlane_b32 s3, v166, 24
	s_and_b64 s[2:3], s[2:3], vcc
	s_and_saveexec_b64 s[4:5], s[2:3]
	s_cbranch_execz .LBB60_89
; %bb.88:                               ;   in Loop: Header=BB60_13 Depth=1
	v_mul_f32_e32 v12, 0x3fb8aa3b, v150
	v_rndne_f32_e32 v13, v12
	v_sub_f32_e32 v14, v12, v13
	v_fma_f32 v12, v150, s8, -v12
	v_fmac_f32_e32 v12, 0x32a5705f, v150
	v_add_f32_e32 v12, v14, v12
	v_cvt_i32_f32_e32 v13, v13
	v_exp_f32_e32 v12, v12
	v_cmp_ngt_f32_e32 vcc, s9, v150
	v_ldexp_f32 v12, v12, v13
	s_nop 0
	v_cndmask_b32_e32 v12, 0, v12, vcc
	v_cmp_nlt_f32_e32 vcc, s10, v150
	s_nop 1
	v_cndmask_b32_e32 v42, v140, v12, vcc
	v_add_f32_e32 v14, 1.0, v42
	v_add_f32_e32 v12, -1.0, v14
	v_sub_f32_e32 v13, v12, v14
	v_add_f32_e32 v13, 1.0, v13
	v_sub_f32_e32 v12, v42, v12
	v_add_f32_e32 v27, v12, v13
	v_frexp_mant_f32_e32 v29, v14
	v_cvt_f64_f32_e32 v[12:13], v14
	v_frexp_exp_i32_f64_e32 v12, v[12:13]
	v_cmp_gt_f32_e32 vcc, s12, v29
	v_cmp_gt_f32_e64 s[60:61], s16, v42
	s_nop 0
	v_subbrev_co_u32_e32 v36, vcc, 0, v12, vcc
	v_sub_u32_e32 v12, 0, v36
	v_ldexp_f32 v13, v14, v12
	v_add_f32_e32 v14, -1.0, v13
	v_add_f32_e32 v29, 1.0, v13
	v_ldexp_f32 v12, v27, v12
	v_add_f32_e32 v27, 1.0, v14
	v_add_f32_e32 v30, -1.0, v29
	v_sub_f32_e32 v27, v13, v27
	v_sub_f32_e32 v13, v13, v30
	v_add_f32_e32 v27, v12, v27
	v_add_f32_e32 v12, v12, v13
	;; [unrolled: 1-line block ×3, first 2 shown]
	v_rcp_f32_e32 v38, v37
	v_sub_f32_e32 v13, v29, v37
	v_add_f32_e32 v29, v12, v13
	v_add_f32_e32 v13, v14, v27
	v_sub_f32_e32 v12, v14, v13
	v_add_f32_e32 v14, v27, v12
	v_mul_f32_e32 v27, v13, v38
	v_mul_f32_e32 v30, v37, v27
	v_fma_f32 v32, v27, v37, -v30
	v_fmac_f32_e32 v32, v27, v29
	v_add_f32_e32 v12, v30, v32
	v_sub_f32_e32 v31, v13, v12
	v_pk_add_f32 v[34:35], v[12:13], v[30:31] neg_lo:[0,1] neg_hi:[0,1]
	v_mov_b32_e32 v33, v12
	v_pk_add_f32 v[12:13], v[34:35], v[32:33] neg_lo:[0,1] neg_hi:[0,1]
	v_cmp_eq_f32_e32 vcc, s11, v42
	v_add_f32_e32 v13, v14, v13
	v_add_f32_e32 v12, v12, v13
	v_add_f32_e32 v13, v31, v12
	v_mul_f32_e32 v14, v38, v13
	v_mul_f32_e32 v30, v37, v14
	v_fma_f32 v32, v14, v37, -v30
	v_fmac_f32_e32 v32, v14, v29
	v_sub_f32_e32 v29, v31, v13
	v_add_f32_e32 v29, v12, v29
	v_add_f32_e32 v12, v30, v32
	v_sub_f32_e32 v31, v13, v12
	v_pk_add_f32 v[34:35], v[12:13], v[30:31] neg_lo:[0,1] neg_hi:[0,1]
	v_mov_b32_e32 v33, v12
	v_pk_add_f32 v[12:13], v[34:35], v[32:33] neg_lo:[0,1] neg_hi:[0,1]
	s_or_b64 vcc, s[60:61], vcc
	v_add_f32_e32 v13, v29, v13
	v_add_f32_e32 v12, v12, v13
	;; [unrolled: 1-line block ×4, first 2 shown]
	v_sub_f32_e32 v27, v13, v27
	v_mul_f32_e32 v12, v38, v12
	v_sub_f32_e32 v14, v14, v27
	v_add_f32_e32 v14, v14, v12
	v_add_f32_e32 v27, v13, v14
	v_mul_f32_e32 v30, v27, v27
	v_fmamk_f32 v12, v30, 0x3e9b6dac, v139
	v_fmaak_f32 v29, v30, v12, 0x3f2aaada
	v_cvt_f32_i32_e32 v12, v36
	v_sub_f32_e32 v13, v27, v13
	v_sub_f32_e32 v13, v14, v13
	v_ldexp_f32 v14, v13, 1
	v_mul_f32_e32 v13, v27, v30
	v_pk_mul_f32 v[32:33], v[12:13], v[28:29]
	v_ldexp_f32 v31, v27, 1
	v_fma_f32 v30, v12, s13, -v32
	v_fmac_f32_e32 v30, 0xb102e308, v12
	v_pk_add_f32 v[12:13], v[32:33], v[30:31]
	v_mov_b32_e32 v34, v32
	v_sub_f32_e32 v27, v13, v31
	v_sub_f32_e32 v27, v33, v27
	v_add_f32_e32 v35, v14, v27
	v_pk_add_f32 v[32:33], v[12:13], v[32:33] neg_lo:[0,1] neg_hi:[0,1]
	v_pk_add_f32 v[36:37], v[12:13], v[34:35]
	v_mov_b32_e32 v31, v12
	v_mov_b32_e32 v33, v37
	v_pk_add_f32 v[38:39], v[30:31], v[32:33] neg_lo:[0,1] neg_hi:[0,1]
	v_pk_add_f32 v[30:31], v[30:31], v[32:33]
	s_nop 0
	v_mov_b32_e32 v14, v31
	v_pk_add_f32 v[32:33], v[14:15], v[12:13] neg_lo:[0,1] neg_hi:[0,1]
	v_mov_b32_e32 v30, v37
	v_mov_b32_e32 v27, v32
	v_pk_add_f32 v[40:41], v[36:37], v[26:27] neg_lo:[0,1] neg_hi:[0,1]
	v_mov_b32_e32 v36, v13
	v_mov_b32_e32 v37, v32
	;; [unrolled: 1-line block ×3, first 2 shown]
	v_pk_add_f32 v[30:31], v[30:31], v[36:37] neg_lo:[0,1] neg_hi:[0,1]
	v_mov_b32_e32 v32, v35
	v_mov_b32_e32 v33, v12
	v_pk_add_f32 v[12:13], v[32:33], v[30:31] neg_lo:[0,1] neg_hi:[0,1]
	v_mov_b32_e32 v40, v38
	v_pk_add_f32 v[30:31], v[40:41], v[12:13]
	s_nop 0
	v_mov_b32_e32 v32, v31
	v_pk_add_f32 v[32:33], v[30:31], v[32:33]
	s_nop 0
	v_pk_add_f32 v[34:35], v[14:15], v[32:33]
	v_mov_b32_e32 v13, v32
	v_mov_b32_e32 v31, v34
	v_pk_add_f32 v[36:37], v[30:31], v[38:39] neg_lo:[0,1] neg_hi:[0,1]
	s_nop 0
	v_sub_f32_e32 v14, v30, v36
	v_pk_add_f32 v[12:13], v[12:13], v[36:37] neg_lo:[0,1] neg_hi:[0,1]
	v_sub_f32_e32 v14, v38, v14
	v_add_f32_e32 v12, v12, v14
	v_add_f32_e32 v12, v12, v13
	;; [unrolled: 1-line block ×3, first 2 shown]
	v_cndmask_b32_e32 v150, v12, v42, vcc
.LBB60_89:                              ;   in Loop: Header=BB60_13 Depth=1
	s_or_b64 exec, exec, s[4:5]
	v_and_b32_e32 v12, 0xffff0000, v15
	v_readlane_b32 s2, v166, 2
	s_nop 1
	v_add_f32_e32 v151, s2, v12
	v_readlane_b32 s2, v166, 23
	v_cmp_ge_f32_e32 vcc, s6, v151
	v_readlane_b32 s3, v166, 24
	s_and_b64 s[2:3], s[2:3], vcc
	s_and_saveexec_b64 s[4:5], s[2:3]
	s_cbranch_execz .LBB60_91
; %bb.90:                               ;   in Loop: Header=BB60_13 Depth=1
	v_mul_f32_e32 v12, 0x3fb8aa3b, v151
	v_rndne_f32_e32 v13, v12
	v_sub_f32_e32 v14, v12, v13
	v_fma_f32 v12, v151, s8, -v12
	v_fmac_f32_e32 v12, 0x32a5705f, v151
	v_add_f32_e32 v12, v14, v12
	v_cvt_i32_f32_e32 v13, v13
	v_exp_f32_e32 v12, v12
	v_cmp_ngt_f32_e32 vcc, s9, v151
	v_ldexp_f32 v12, v12, v13
	s_nop 0
	v_cndmask_b32_e32 v12, 0, v12, vcc
	v_cmp_nlt_f32_e32 vcc, s10, v151
	s_nop 1
	v_cndmask_b32_e32 v42, v140, v12, vcc
	v_add_f32_e32 v14, 1.0, v42
	v_add_f32_e32 v12, -1.0, v14
	v_sub_f32_e32 v13, v12, v14
	v_add_f32_e32 v13, 1.0, v13
	v_sub_f32_e32 v12, v42, v12
	v_add_f32_e32 v15, v12, v13
	v_frexp_mant_f32_e32 v27, v14
	v_cvt_f64_f32_e32 v[12:13], v14
	v_frexp_exp_i32_f64_e32 v12, v[12:13]
	v_cmp_gt_f32_e32 vcc, s12, v27
	v_cmp_gt_f32_e64 s[60:61], s16, v42
	s_nop 0
	v_subbrev_co_u32_e32 v27, vcc, 0, v12, vcc
	v_sub_u32_e32 v12, 0, v27
	v_ldexp_f32 v13, v14, v12
	v_add_f32_e32 v14, -1.0, v13
	v_add_f32_e32 v29, 1.0, v13
	v_ldexp_f32 v12, v15, v12
	v_add_f32_e32 v15, 1.0, v14
	v_add_f32_e32 v30, -1.0, v29
	v_sub_f32_e32 v15, v13, v15
	v_sub_f32_e32 v13, v13, v30
	v_add_f32_e32 v15, v12, v15
	v_add_f32_e32 v12, v12, v13
	;; [unrolled: 1-line block ×3, first 2 shown]
	v_rcp_f32_e32 v35, v34
	v_sub_f32_e32 v13, v29, v34
	v_add_f32_e32 v29, v12, v13
	v_add_f32_e32 v13, v14, v15
	v_mul_f32_e32 v37, v13, v35
	v_sub_f32_e32 v12, v14, v13
	v_mul_f32_e32 v14, v34, v37
	v_fma_f32 v30, v37, v34, -v14
	v_fmac_f32_e32 v30, v37, v29
	v_add_f32_e32 v36, v15, v12
	v_add_f32_e32 v12, v14, v30
	v_sub_f32_e32 v15, v13, v12
	v_pk_add_f32 v[32:33], v[12:13], v[14:15] neg_lo:[0,1] neg_hi:[0,1]
	v_mov_b32_e32 v31, v12
	v_pk_add_f32 v[12:13], v[32:33], v[30:31] neg_lo:[0,1] neg_hi:[0,1]
	v_cmp_eq_f32_e32 vcc, s11, v42
	v_add_f32_e32 v13, v36, v13
	v_add_f32_e32 v12, v12, v13
	;; [unrolled: 1-line block ×3, first 2 shown]
	v_mul_f32_e32 v36, v35, v13
	v_mul_f32_e32 v14, v34, v36
	v_fma_f32 v30, v36, v34, -v14
	v_fmac_f32_e32 v30, v36, v29
	v_sub_f32_e32 v15, v15, v13
	v_add_f32_e32 v29, v12, v15
	v_add_f32_e32 v12, v14, v30
	v_sub_f32_e32 v15, v13, v12
	v_pk_add_f32 v[32:33], v[12:13], v[14:15] neg_lo:[0,1] neg_hi:[0,1]
	v_mov_b32_e32 v31, v12
	v_pk_add_f32 v[12:13], v[32:33], v[30:31] neg_lo:[0,1] neg_hi:[0,1]
	s_or_b64 vcc, s[60:61], vcc
	v_add_f32_e32 v13, v29, v13
	v_add_f32_e32 v12, v12, v13
	;; [unrolled: 1-line block ×4, first 2 shown]
	v_sub_f32_e32 v14, v13, v37
	v_mul_f32_e32 v12, v35, v12
	v_sub_f32_e32 v14, v36, v14
	v_add_f32_e32 v14, v14, v12
	v_add_f32_e32 v30, v13, v14
	v_mul_f32_e32 v31, v30, v30
	v_fmamk_f32 v12, v31, 0x3e9b6dac, v139
	v_fmaak_f32 v29, v31, v12, 0x3f2aaada
	v_cvt_f32_i32_e32 v12, v27
	v_sub_f32_e32 v13, v30, v13
	v_sub_f32_e32 v13, v14, v13
	v_ldexp_f32 v27, v13, 1
	v_mul_f32_e32 v13, v30, v31
	v_ldexp_f32 v15, v30, 1
	v_pk_mul_f32 v[30:31], v[12:13], v[28:29]
	s_nop 0
	v_fma_f32 v14, v12, s13, -v30
	v_fmac_f32_e32 v14, 0xb102e308, v12
	v_pk_add_f32 v[12:13], v[30:31], v[14:15]
	v_mov_b32_e32 v32, v30
	v_sub_f32_e32 v15, v13, v15
	v_sub_f32_e32 v15, v31, v15
	v_add_f32_e32 v33, v27, v15
	v_pk_add_f32 v[30:31], v[12:13], v[30:31] neg_lo:[0,1] neg_hi:[0,1]
	v_pk_add_f32 v[34:35], v[12:13], v[32:33]
	v_mov_b32_e32 v15, v12
	v_mov_b32_e32 v31, v35
	v_pk_add_f32 v[36:37], v[14:15], v[30:31] neg_lo:[0,1] neg_hi:[0,1]
	v_pk_add_f32 v[14:15], v[14:15], v[30:31]
	v_mov_b32_e32 v32, v33
	v_mov_b32_e32 v30, v15
	v_pk_add_f32 v[38:39], v[30:31], v[12:13] neg_lo:[0,1] neg_hi:[0,1]
	v_mov_b32_e32 v14, v35
	v_mov_b32_e32 v27, v38
	v_pk_add_f32 v[40:41], v[34:35], v[26:27] neg_lo:[0,1] neg_hi:[0,1]
	v_mov_b32_e32 v34, v13
	v_mov_b32_e32 v35, v38
	;; [unrolled: 1-line block ×3, first 2 shown]
	v_pk_add_f32 v[14:15], v[14:15], v[34:35] neg_lo:[0,1] neg_hi:[0,1]
	v_mov_b32_e32 v33, v12
	v_pk_add_f32 v[12:13], v[32:33], v[14:15] neg_lo:[0,1] neg_hi:[0,1]
	v_mov_b32_e32 v40, v36
	v_pk_add_f32 v[14:15], v[40:41], v[12:13]
	s_nop 0
	v_mov_b32_e32 v32, v15
	v_pk_add_f32 v[32:33], v[14:15], v[32:33]
	s_nop 0
	v_pk_add_f32 v[30:31], v[30:31], v[32:33]
	v_mov_b32_e32 v13, v32
	v_mov_b32_e32 v15, v30
	v_pk_add_f32 v[34:35], v[14:15], v[36:37] neg_lo:[0,1] neg_hi:[0,1]
	s_nop 0
	v_sub_f32_e32 v14, v14, v34
	v_pk_add_f32 v[12:13], v[12:13], v[34:35] neg_lo:[0,1] neg_hi:[0,1]
	v_sub_f32_e32 v14, v36, v14
	v_add_f32_e32 v12, v12, v14
	v_add_f32_e32 v12, v12, v13
	;; [unrolled: 1-line block ×3, first 2 shown]
	v_cndmask_b32_e32 v151, v12, v42, vcc
.LBB60_91:                              ;   in Loop: Header=BB60_13 Depth=1
	s_or_b64 exec, exec, s[4:5]
	s_waitcnt lgkmcnt(0)
	v_lshlrev_b32_e32 v12, 16, v8
	v_readlane_b32 s2, v166, 2
	s_nop 1
	v_add_f32_e32 v152, s2, v12
	v_readlane_b32 s2, v166, 23
	v_cmp_ge_f32_e32 vcc, s6, v152
	v_readlane_b32 s3, v166, 24
	s_and_b64 s[2:3], s[2:3], vcc
	s_and_saveexec_b64 s[4:5], s[2:3]
	s_cbranch_execz .LBB60_93
; %bb.92:                               ;   in Loop: Header=BB60_13 Depth=1
	v_mul_f32_e32 v12, 0x3fb8aa3b, v152
	v_rndne_f32_e32 v13, v12
	v_sub_f32_e32 v14, v12, v13
	v_fma_f32 v12, v152, s8, -v12
	v_fmac_f32_e32 v12, 0x32a5705f, v152
	v_add_f32_e32 v12, v14, v12
	v_cvt_i32_f32_e32 v13, v13
	v_exp_f32_e32 v12, v12
	v_cmp_ngt_f32_e32 vcc, s9, v152
	v_ldexp_f32 v12, v12, v13
	s_nop 0
	v_cndmask_b32_e32 v12, 0, v12, vcc
	v_cmp_nlt_f32_e32 vcc, s10, v152
	s_nop 1
	v_cndmask_b32_e32 v42, v140, v12, vcc
	v_add_f32_e32 v14, 1.0, v42
	v_add_f32_e32 v12, -1.0, v14
	v_sub_f32_e32 v13, v12, v14
	v_add_f32_e32 v13, 1.0, v13
	v_sub_f32_e32 v12, v42, v12
	v_add_f32_e32 v15, v12, v13
	v_frexp_mant_f32_e32 v27, v14
	v_cvt_f64_f32_e32 v[12:13], v14
	v_frexp_exp_i32_f64_e32 v12, v[12:13]
	v_cmp_gt_f32_e32 vcc, s12, v27
	v_cmp_gt_f32_e64 s[60:61], s16, v42
	s_nop 0
	v_subbrev_co_u32_e32 v27, vcc, 0, v12, vcc
	v_sub_u32_e32 v12, 0, v27
	v_ldexp_f32 v13, v14, v12
	v_add_f32_e32 v14, -1.0, v13
	v_add_f32_e32 v29, 1.0, v13
	v_ldexp_f32 v12, v15, v12
	v_add_f32_e32 v15, 1.0, v14
	v_add_f32_e32 v30, -1.0, v29
	v_sub_f32_e32 v15, v13, v15
	v_sub_f32_e32 v13, v13, v30
	v_add_f32_e32 v15, v12, v15
	v_add_f32_e32 v12, v12, v13
	;; [unrolled: 1-line block ×3, first 2 shown]
	v_rcp_f32_e32 v35, v34
	v_sub_f32_e32 v13, v29, v34
	v_add_f32_e32 v29, v12, v13
	v_add_f32_e32 v13, v14, v15
	v_mul_f32_e32 v37, v13, v35
	v_sub_f32_e32 v12, v14, v13
	v_mul_f32_e32 v14, v34, v37
	v_fma_f32 v30, v37, v34, -v14
	v_fmac_f32_e32 v30, v37, v29
	v_add_f32_e32 v36, v15, v12
	v_add_f32_e32 v12, v14, v30
	v_sub_f32_e32 v15, v13, v12
	v_pk_add_f32 v[32:33], v[12:13], v[14:15] neg_lo:[0,1] neg_hi:[0,1]
	v_mov_b32_e32 v31, v12
	v_pk_add_f32 v[12:13], v[32:33], v[30:31] neg_lo:[0,1] neg_hi:[0,1]
	v_cmp_eq_f32_e32 vcc, s11, v42
	v_add_f32_e32 v13, v36, v13
	v_add_f32_e32 v12, v12, v13
	;; [unrolled: 1-line block ×3, first 2 shown]
	v_mul_f32_e32 v36, v35, v13
	v_mul_f32_e32 v14, v34, v36
	v_fma_f32 v30, v36, v34, -v14
	v_fmac_f32_e32 v30, v36, v29
	v_sub_f32_e32 v15, v15, v13
	v_add_f32_e32 v29, v12, v15
	v_add_f32_e32 v12, v14, v30
	v_sub_f32_e32 v15, v13, v12
	v_pk_add_f32 v[32:33], v[12:13], v[14:15] neg_lo:[0,1] neg_hi:[0,1]
	v_mov_b32_e32 v31, v12
	v_pk_add_f32 v[12:13], v[32:33], v[30:31] neg_lo:[0,1] neg_hi:[0,1]
	s_or_b64 vcc, s[60:61], vcc
	v_add_f32_e32 v13, v29, v13
	v_add_f32_e32 v12, v12, v13
	;; [unrolled: 1-line block ×4, first 2 shown]
	v_sub_f32_e32 v14, v13, v37
	v_mul_f32_e32 v12, v35, v12
	v_sub_f32_e32 v14, v36, v14
	v_add_f32_e32 v14, v14, v12
	v_add_f32_e32 v30, v13, v14
	v_mul_f32_e32 v31, v30, v30
	v_fmamk_f32 v12, v31, 0x3e9b6dac, v139
	v_fmaak_f32 v29, v31, v12, 0x3f2aaada
	v_cvt_f32_i32_e32 v12, v27
	v_sub_f32_e32 v13, v30, v13
	v_sub_f32_e32 v13, v14, v13
	v_ldexp_f32 v27, v13, 1
	v_mul_f32_e32 v13, v30, v31
	v_ldexp_f32 v15, v30, 1
	v_pk_mul_f32 v[30:31], v[12:13], v[28:29]
	s_nop 0
	v_fma_f32 v14, v12, s13, -v30
	v_fmac_f32_e32 v14, 0xb102e308, v12
	v_pk_add_f32 v[12:13], v[30:31], v[14:15]
	v_mov_b32_e32 v32, v30
	v_sub_f32_e32 v15, v13, v15
	v_sub_f32_e32 v15, v31, v15
	v_add_f32_e32 v33, v27, v15
	v_pk_add_f32 v[30:31], v[12:13], v[30:31] neg_lo:[0,1] neg_hi:[0,1]
	v_pk_add_f32 v[34:35], v[12:13], v[32:33]
	v_mov_b32_e32 v15, v12
	v_mov_b32_e32 v31, v35
	v_pk_add_f32 v[36:37], v[14:15], v[30:31] neg_lo:[0,1] neg_hi:[0,1]
	v_pk_add_f32 v[14:15], v[14:15], v[30:31]
	v_mov_b32_e32 v32, v33
	v_mov_b32_e32 v30, v15
	v_pk_add_f32 v[38:39], v[30:31], v[12:13] neg_lo:[0,1] neg_hi:[0,1]
	v_mov_b32_e32 v14, v35
	v_mov_b32_e32 v27, v38
	v_pk_add_f32 v[40:41], v[34:35], v[26:27] neg_lo:[0,1] neg_hi:[0,1]
	v_mov_b32_e32 v34, v13
	v_mov_b32_e32 v35, v38
	;; [unrolled: 1-line block ×3, first 2 shown]
	v_pk_add_f32 v[14:15], v[14:15], v[34:35] neg_lo:[0,1] neg_hi:[0,1]
	v_mov_b32_e32 v33, v12
	v_pk_add_f32 v[12:13], v[32:33], v[14:15] neg_lo:[0,1] neg_hi:[0,1]
	v_mov_b32_e32 v40, v36
	v_pk_add_f32 v[14:15], v[40:41], v[12:13]
	s_nop 0
	v_mov_b32_e32 v32, v15
	v_pk_add_f32 v[32:33], v[14:15], v[32:33]
	s_nop 0
	v_pk_add_f32 v[30:31], v[30:31], v[32:33]
	v_mov_b32_e32 v13, v32
	v_mov_b32_e32 v15, v30
	v_pk_add_f32 v[34:35], v[14:15], v[36:37] neg_lo:[0,1] neg_hi:[0,1]
	s_nop 0
	v_sub_f32_e32 v14, v14, v34
	v_pk_add_f32 v[12:13], v[12:13], v[34:35] neg_lo:[0,1] neg_hi:[0,1]
	v_sub_f32_e32 v14, v36, v14
	v_add_f32_e32 v12, v12, v14
	v_add_f32_e32 v12, v12, v13
	;; [unrolled: 1-line block ×3, first 2 shown]
	v_cndmask_b32_e32 v152, v12, v42, vcc
.LBB60_93:                              ;   in Loop: Header=BB60_13 Depth=1
	s_or_b64 exec, exec, s[4:5]
	v_and_b32_e32 v8, 0xffff0000, v8
	v_readlane_b32 s2, v166, 2
	s_nop 1
	v_add_f32_e32 v153, s2, v8
	v_readlane_b32 s2, v166, 23
	v_cmp_ge_f32_e32 vcc, s6, v153
	v_readlane_b32 s3, v166, 24
	s_and_b64 s[2:3], s[2:3], vcc
	s_and_saveexec_b64 s[4:5], s[2:3]
	s_cbranch_execz .LBB60_95
; %bb.94:                               ;   in Loop: Header=BB60_13 Depth=1
	v_mul_f32_e32 v8, 0x3fb8aa3b, v153
	v_rndne_f32_e32 v12, v8
	v_sub_f32_e32 v13, v8, v12
	v_fma_f32 v8, v153, s8, -v8
	v_fmac_f32_e32 v8, 0x32a5705f, v153
	v_add_f32_e32 v8, v13, v8
	v_cvt_i32_f32_e32 v12, v12
	v_exp_f32_e32 v8, v8
	v_cmp_ngt_f32_e32 vcc, s9, v153
	v_ldexp_f32 v8, v8, v12
	s_nop 0
	v_cndmask_b32_e32 v8, 0, v8, vcc
	v_cmp_nlt_f32_e32 vcc, s10, v153
	s_nop 1
	v_cndmask_b32_e32 v40, v140, v8, vcc
	v_add_f32_e32 v8, 1.0, v40
	v_add_f32_e32 v12, -1.0, v8
	v_sub_f32_e32 v13, v12, v8
	v_add_f32_e32 v13, 1.0, v13
	v_sub_f32_e32 v12, v40, v12
	v_add_f32_e32 v14, v12, v13
	v_frexp_mant_f32_e32 v15, v8
	v_cvt_f64_f32_e32 v[12:13], v8
	v_frexp_exp_i32_f64_e32 v12, v[12:13]
	v_cmp_gt_f32_e32 vcc, s12, v15
	v_cmp_gt_f32_e64 s[60:61], s16, v40
	s_nop 0
	v_subbrev_co_u32_e32 v27, vcc, 0, v12, vcc
	v_sub_u32_e32 v12, 0, v27
	v_ldexp_f32 v8, v8, v12
	v_ldexp_f32 v12, v14, v12
	v_add_f32_e32 v14, -1.0, v8
	v_add_f32_e32 v13, 1.0, v14
	v_sub_f32_e32 v13, v8, v13
	v_add_f32_e32 v15, v12, v13
	v_add_f32_e32 v13, 1.0, v8
	v_add_f32_e32 v29, -1.0, v13
	v_sub_f32_e32 v8, v8, v29
	v_add_f32_e32 v8, v12, v8
	v_add_f32_e32 v29, v13, v8
	v_rcp_f32_e32 v34, v29
	v_sub_f32_e32 v12, v13, v29
	v_add_f32_e32 v13, v14, v15
	v_add_f32_e32 v8, v8, v12
	v_mul_f32_e32 v36, v13, v34
	v_sub_f32_e32 v12, v14, v13
	v_mul_f32_e32 v14, v29, v36
	v_fma_f32 v30, v36, v29, -v14
	v_fmac_f32_e32 v30, v36, v8
	v_add_f32_e32 v35, v15, v12
	v_add_f32_e32 v12, v14, v30
	v_sub_f32_e32 v15, v13, v12
	v_pk_add_f32 v[32:33], v[12:13], v[14:15] neg_lo:[0,1] neg_hi:[0,1]
	v_mov_b32_e32 v31, v12
	v_pk_add_f32 v[12:13], v[32:33], v[30:31] neg_lo:[0,1] neg_hi:[0,1]
	v_cmp_eq_f32_e32 vcc, s11, v40
	v_add_f32_e32 v13, v35, v13
	v_add_f32_e32 v12, v12, v13
	;; [unrolled: 1-line block ×3, first 2 shown]
	v_mul_f32_e32 v35, v34, v13
	v_mul_f32_e32 v14, v29, v35
	v_fma_f32 v30, v35, v29, -v14
	v_fmac_f32_e32 v30, v35, v8
	v_sub_f32_e32 v8, v15, v13
	v_add_f32_e32 v8, v12, v8
	v_add_f32_e32 v12, v14, v30
	v_sub_f32_e32 v15, v13, v12
	v_pk_add_f32 v[32:33], v[12:13], v[14:15] neg_lo:[0,1] neg_hi:[0,1]
	v_mov_b32_e32 v31, v12
	v_pk_add_f32 v[12:13], v[32:33], v[30:31] neg_lo:[0,1] neg_hi:[0,1]
	s_or_b64 vcc, s[60:61], vcc
	v_add_f32_e32 v8, v8, v13
	v_add_f32_e32 v8, v12, v8
	;; [unrolled: 1-line block ×4, first 2 shown]
	v_sub_f32_e32 v12, v13, v36
	v_mul_f32_e32 v8, v34, v8
	v_sub_f32_e32 v12, v35, v12
	v_add_f32_e32 v8, v12, v8
	v_add_f32_e32 v14, v13, v8
	v_mul_f32_e32 v30, v14, v14
	v_fmamk_f32 v12, v30, 0x3e9b6dac, v139
	v_fmaak_f32 v29, v30, v12, 0x3f2aaada
	v_cvt_f32_i32_e32 v12, v27
	v_sub_f32_e32 v13, v14, v13
	v_sub_f32_e32 v8, v8, v13
	v_mul_f32_e32 v13, v14, v30
	v_pk_mul_f32 v[30:31], v[12:13], v[28:29]
	v_ldexp_f32 v15, v14, 1
	v_fma_f32 v14, v12, s13, -v30
	v_fmac_f32_e32 v14, 0xb102e308, v12
	v_pk_add_f32 v[12:13], v[30:31], v[14:15]
	v_ldexp_f32 v8, v8, 1
	v_sub_f32_e32 v15, v13, v15
	v_sub_f32_e32 v15, v31, v15
	v_add_f32_e32 v33, v8, v15
	v_mov_b32_e32 v32, v30
	v_pk_add_f32 v[30:31], v[12:13], v[30:31] neg_lo:[0,1] neg_hi:[0,1]
	v_pk_add_f32 v[34:35], v[12:13], v[32:33]
	v_mov_b32_e32 v15, v12
	v_mov_b32_e32 v31, v35
	v_pk_add_f32 v[36:37], v[14:15], v[30:31] neg_lo:[0,1] neg_hi:[0,1]
	v_pk_add_f32 v[14:15], v[14:15], v[30:31]
	s_nop 0
	v_mov_b32_e32 v8, v15
	v_pk_add_f32 v[30:31], v[8:9], v[12:13] neg_lo:[0,1] neg_hi:[0,1]
	v_mov_b32_e32 v14, v35
	v_mov_b32_e32 v27, v30
	v_pk_add_f32 v[38:39], v[34:35], v[26:27] neg_lo:[0,1] neg_hi:[0,1]
	v_mov_b32_e32 v34, v13
	v_mov_b32_e32 v35, v30
	;; [unrolled: 1-line block ×3, first 2 shown]
	v_pk_add_f32 v[14:15], v[14:15], v[34:35] neg_lo:[0,1] neg_hi:[0,1]
	v_mov_b32_e32 v30, v33
	v_mov_b32_e32 v31, v12
	v_pk_add_f32 v[12:13], v[30:31], v[14:15] neg_lo:[0,1] neg_hi:[0,1]
	v_mov_b32_e32 v38, v36
	v_pk_add_f32 v[14:15], v[38:39], v[12:13]
	s_nop 0
	v_mov_b32_e32 v30, v15
	v_pk_add_f32 v[30:31], v[14:15], v[30:31]
	s_nop 0
	v_pk_add_f32 v[32:33], v[8:9], v[30:31]
	v_mov_b32_e32 v13, v30
	v_mov_b32_e32 v15, v32
	v_pk_add_f32 v[34:35], v[14:15], v[36:37] neg_lo:[0,1] neg_hi:[0,1]
	s_nop 0
	v_sub_f32_e32 v8, v14, v34
	v_pk_add_f32 v[12:13], v[12:13], v[34:35] neg_lo:[0,1] neg_hi:[0,1]
	v_sub_f32_e32 v8, v36, v8
	v_add_f32_e32 v8, v12, v8
	v_add_f32_e32 v8, v8, v13
	v_add_f32_e32 v8, v32, v8
	v_cndmask_b32_e32 v153, v8, v40, vcc
.LBB60_95:                              ;   in Loop: Header=BB60_13 Depth=1
	s_or_b64 exec, exec, s[4:5]
	v_lshlrev_b32_e32 v8, 16, v9
	v_readlane_b32 s2, v166, 2
	s_nop 1
	v_add_f32_e32 v154, s2, v8
	v_readlane_b32 s2, v166, 23
	v_cmp_ge_f32_e32 vcc, s6, v154
	v_readlane_b32 s3, v166, 24
	s_and_b64 s[2:3], s[2:3], vcc
	s_and_saveexec_b64 s[4:5], s[2:3]
	s_cbranch_execz .LBB60_97
; %bb.96:                               ;   in Loop: Header=BB60_13 Depth=1
	v_mul_f32_e32 v8, 0x3fb8aa3b, v154
	v_rndne_f32_e32 v12, v8
	v_sub_f32_e32 v13, v8, v12
	v_fma_f32 v8, v154, s8, -v8
	v_fmac_f32_e32 v8, 0x32a5705f, v154
	v_add_f32_e32 v8, v13, v8
	v_cvt_i32_f32_e32 v12, v12
	v_exp_f32_e32 v8, v8
	v_cmp_ngt_f32_e32 vcc, s9, v154
	v_ldexp_f32 v8, v8, v12
	s_nop 0
	v_cndmask_b32_e32 v8, 0, v8, vcc
	v_cmp_nlt_f32_e32 vcc, s10, v154
	s_nop 1
	v_cndmask_b32_e32 v40, v140, v8, vcc
	v_add_f32_e32 v8, 1.0, v40
	v_add_f32_e32 v12, -1.0, v8
	v_sub_f32_e32 v13, v12, v8
	v_add_f32_e32 v13, 1.0, v13
	v_sub_f32_e32 v12, v40, v12
	v_add_f32_e32 v14, v12, v13
	v_frexp_mant_f32_e32 v15, v8
	v_cvt_f64_f32_e32 v[12:13], v8
	v_frexp_exp_i32_f64_e32 v12, v[12:13]
	v_cmp_gt_f32_e32 vcc, s12, v15
	v_cmp_gt_f32_e64 s[60:61], s16, v40
	s_nop 0
	v_subbrev_co_u32_e32 v27, vcc, 0, v12, vcc
	v_sub_u32_e32 v12, 0, v27
	v_ldexp_f32 v8, v8, v12
	v_ldexp_f32 v12, v14, v12
	v_add_f32_e32 v14, -1.0, v8
	v_add_f32_e32 v13, 1.0, v14
	v_sub_f32_e32 v13, v8, v13
	v_add_f32_e32 v15, v12, v13
	v_add_f32_e32 v13, 1.0, v8
	v_add_f32_e32 v29, -1.0, v13
	v_sub_f32_e32 v8, v8, v29
	v_add_f32_e32 v8, v12, v8
	v_add_f32_e32 v29, v13, v8
	v_rcp_f32_e32 v34, v29
	v_sub_f32_e32 v12, v13, v29
	v_add_f32_e32 v13, v14, v15
	v_add_f32_e32 v8, v8, v12
	v_mul_f32_e32 v36, v13, v34
	v_sub_f32_e32 v12, v14, v13
	v_mul_f32_e32 v14, v29, v36
	v_fma_f32 v30, v36, v29, -v14
	v_fmac_f32_e32 v30, v36, v8
	v_add_f32_e32 v35, v15, v12
	v_add_f32_e32 v12, v14, v30
	v_sub_f32_e32 v15, v13, v12
	v_pk_add_f32 v[32:33], v[12:13], v[14:15] neg_lo:[0,1] neg_hi:[0,1]
	v_mov_b32_e32 v31, v12
	v_pk_add_f32 v[12:13], v[32:33], v[30:31] neg_lo:[0,1] neg_hi:[0,1]
	v_cmp_eq_f32_e32 vcc, s11, v40
	v_add_f32_e32 v13, v35, v13
	v_add_f32_e32 v12, v12, v13
	v_add_f32_e32 v13, v15, v12
	v_mul_f32_e32 v35, v34, v13
	v_mul_f32_e32 v14, v29, v35
	v_fma_f32 v30, v35, v29, -v14
	v_fmac_f32_e32 v30, v35, v8
	v_sub_f32_e32 v8, v15, v13
	v_add_f32_e32 v8, v12, v8
	v_add_f32_e32 v12, v14, v30
	v_sub_f32_e32 v15, v13, v12
	v_pk_add_f32 v[32:33], v[12:13], v[14:15] neg_lo:[0,1] neg_hi:[0,1]
	v_mov_b32_e32 v31, v12
	v_pk_add_f32 v[12:13], v[32:33], v[30:31] neg_lo:[0,1] neg_hi:[0,1]
	s_or_b64 vcc, s[60:61], vcc
	v_add_f32_e32 v8, v8, v13
	v_add_f32_e32 v8, v12, v8
	;; [unrolled: 1-line block ×4, first 2 shown]
	v_sub_f32_e32 v12, v13, v36
	v_mul_f32_e32 v8, v34, v8
	v_sub_f32_e32 v12, v35, v12
	v_add_f32_e32 v8, v12, v8
	v_add_f32_e32 v14, v13, v8
	v_mul_f32_e32 v30, v14, v14
	v_fmamk_f32 v12, v30, 0x3e9b6dac, v139
	v_fmaak_f32 v29, v30, v12, 0x3f2aaada
	v_cvt_f32_i32_e32 v12, v27
	v_sub_f32_e32 v13, v14, v13
	v_sub_f32_e32 v8, v8, v13
	v_mul_f32_e32 v13, v14, v30
	v_pk_mul_f32 v[30:31], v[12:13], v[28:29]
	v_ldexp_f32 v15, v14, 1
	v_fma_f32 v14, v12, s13, -v30
	v_fmac_f32_e32 v14, 0xb102e308, v12
	v_pk_add_f32 v[12:13], v[30:31], v[14:15]
	v_ldexp_f32 v8, v8, 1
	v_sub_f32_e32 v15, v13, v15
	v_sub_f32_e32 v15, v31, v15
	v_add_f32_e32 v33, v8, v15
	v_mov_b32_e32 v32, v30
	v_pk_add_f32 v[30:31], v[12:13], v[30:31] neg_lo:[0,1] neg_hi:[0,1]
	v_pk_add_f32 v[34:35], v[12:13], v[32:33]
	v_mov_b32_e32 v15, v12
	v_mov_b32_e32 v31, v35
	v_pk_add_f32 v[36:37], v[14:15], v[30:31] neg_lo:[0,1] neg_hi:[0,1]
	v_pk_add_f32 v[14:15], v[14:15], v[30:31]
	s_nop 0
	v_mov_b32_e32 v8, v15
	v_pk_add_f32 v[30:31], v[8:9], v[12:13] neg_lo:[0,1] neg_hi:[0,1]
	v_mov_b32_e32 v14, v35
	v_mov_b32_e32 v27, v30
	v_pk_add_f32 v[38:39], v[34:35], v[26:27] neg_lo:[0,1] neg_hi:[0,1]
	v_mov_b32_e32 v34, v13
	v_mov_b32_e32 v35, v30
	;; [unrolled: 1-line block ×3, first 2 shown]
	v_pk_add_f32 v[14:15], v[14:15], v[34:35] neg_lo:[0,1] neg_hi:[0,1]
	v_mov_b32_e32 v30, v33
	v_mov_b32_e32 v31, v12
	v_pk_add_f32 v[12:13], v[30:31], v[14:15] neg_lo:[0,1] neg_hi:[0,1]
	v_mov_b32_e32 v38, v36
	v_pk_add_f32 v[14:15], v[38:39], v[12:13]
	s_nop 0
	v_mov_b32_e32 v30, v15
	v_pk_add_f32 v[30:31], v[14:15], v[30:31]
	s_nop 0
	v_pk_add_f32 v[32:33], v[8:9], v[30:31]
	v_mov_b32_e32 v13, v30
	v_mov_b32_e32 v15, v32
	v_pk_add_f32 v[34:35], v[14:15], v[36:37] neg_lo:[0,1] neg_hi:[0,1]
	s_nop 0
	v_sub_f32_e32 v8, v14, v34
	v_pk_add_f32 v[12:13], v[12:13], v[34:35] neg_lo:[0,1] neg_hi:[0,1]
	v_sub_f32_e32 v8, v36, v8
	v_add_f32_e32 v8, v12, v8
	v_add_f32_e32 v8, v8, v13
	;; [unrolled: 1-line block ×3, first 2 shown]
	v_cndmask_b32_e32 v154, v8, v40, vcc
.LBB60_97:                              ;   in Loop: Header=BB60_13 Depth=1
	s_or_b64 exec, exec, s[4:5]
	v_and_b32_e32 v8, 0xffff0000, v9
	v_readlane_b32 s2, v166, 2
	s_nop 1
	v_add_f32_e32 v155, s2, v8
	v_readlane_b32 s2, v166, 23
	v_cmp_ge_f32_e32 vcc, s6, v155
	v_readlane_b32 s3, v166, 24
	s_and_b64 s[2:3], s[2:3], vcc
	s_and_saveexec_b64 s[4:5], s[2:3]
	s_cbranch_execz .LBB60_99
; %bb.98:                               ;   in Loop: Header=BB60_13 Depth=1
	v_mul_f32_e32 v8, 0x3fb8aa3b, v155
	v_rndne_f32_e32 v9, v8
	v_sub_f32_e32 v12, v8, v9
	v_fma_f32 v8, v155, s8, -v8
	v_fmac_f32_e32 v8, 0x32a5705f, v155
	v_add_f32_e32 v8, v12, v8
	v_cvt_i32_f32_e32 v9, v9
	v_exp_f32_e32 v8, v8
	v_cmp_ngt_f32_e32 vcc, s9, v155
	v_ldexp_f32 v8, v8, v9
	s_nop 0
	v_cndmask_b32_e32 v8, 0, v8, vcc
	v_cmp_nlt_f32_e32 vcc, s10, v155
	s_nop 1
	v_cndmask_b32_e32 v27, v140, v8, vcc
	v_add_f32_e32 v12, 1.0, v27
	v_add_f32_e32 v8, -1.0, v12
	v_sub_f32_e32 v9, v8, v12
	v_add_f32_e32 v9, 1.0, v9
	v_sub_f32_e32 v8, v27, v8
	v_add_f32_e32 v13, v8, v9
	v_frexp_mant_f32_e32 v14, v12
	v_cvt_f64_f32_e32 v[8:9], v12
	v_frexp_exp_i32_f64_e32 v8, v[8:9]
	v_cmp_gt_f32_e32 vcc, s12, v14
	v_cmp_gt_f32_e64 s[60:61], s16, v27
	s_nop 0
	v_subbrev_co_u32_e32 v32, vcc, 0, v8, vcc
	v_sub_u32_e32 v8, 0, v32
	v_ldexp_f32 v9, v12, v8
	v_add_f32_e32 v12, -1.0, v9
	v_add_f32_e32 v14, 1.0, v9
	v_ldexp_f32 v8, v13, v8
	v_add_f32_e32 v13, 1.0, v12
	v_add_f32_e32 v15, -1.0, v14
	v_sub_f32_e32 v13, v9, v13
	v_sub_f32_e32 v9, v9, v15
	v_add_f32_e32 v13, v8, v13
	v_add_f32_e32 v8, v8, v9
	v_add_f32_e32 v29, v14, v8
	v_rcp_f32_e32 v34, v29
	v_sub_f32_e32 v9, v14, v29
	v_add_f32_e32 v33, v8, v9
	v_add_f32_e32 v9, v12, v13
	v_mul_f32_e32 v36, v9, v34
	v_sub_f32_e32 v8, v12, v9
	v_mul_f32_e32 v12, v29, v36
	v_fma_f32 v14, v36, v29, -v12
	v_fmac_f32_e32 v14, v36, v33
	v_add_f32_e32 v35, v13, v8
	v_add_f32_e32 v8, v12, v14
	v_sub_f32_e32 v13, v9, v8
	v_pk_add_f32 v[30:31], v[8:9], v[12:13] neg_lo:[0,1] neg_hi:[0,1]
	v_mov_b32_e32 v15, v8
	v_pk_add_f32 v[8:9], v[30:31], v[14:15] neg_lo:[0,1] neg_hi:[0,1]
	v_cmp_eq_f32_e32 vcc, s11, v27
	v_add_f32_e32 v9, v35, v9
	v_add_f32_e32 v8, v8, v9
	;; [unrolled: 1-line block ×3, first 2 shown]
	v_mul_f32_e32 v35, v34, v9
	v_mul_f32_e32 v12, v29, v35
	v_fma_f32 v14, v35, v29, -v12
	v_fmac_f32_e32 v14, v35, v33
	v_sub_f32_e32 v13, v13, v9
	v_add_f32_e32 v29, v8, v13
	v_add_f32_e32 v8, v12, v14
	v_sub_f32_e32 v13, v9, v8
	v_pk_add_f32 v[30:31], v[8:9], v[12:13] neg_lo:[0,1] neg_hi:[0,1]
	v_mov_b32_e32 v15, v8
	v_pk_add_f32 v[8:9], v[30:31], v[14:15] neg_lo:[0,1] neg_hi:[0,1]
	s_or_b64 vcc, s[60:61], vcc
	v_add_f32_e32 v9, v29, v9
	v_add_f32_e32 v8, v8, v9
	;; [unrolled: 1-line block ×4, first 2 shown]
	v_sub_f32_e32 v12, v9, v36
	v_mul_f32_e32 v8, v34, v8
	v_sub_f32_e32 v12, v35, v12
	v_add_f32_e32 v12, v12, v8
	v_add_f32_e32 v14, v9, v12
	v_mul_f32_e32 v15, v14, v14
	v_fmamk_f32 v8, v15, 0x3e9b6dac, v139
	v_fmaak_f32 v29, v15, v8, 0x3f2aaada
	v_cvt_f32_i32_e32 v8, v32
	v_sub_f32_e32 v9, v14, v9
	v_sub_f32_e32 v9, v12, v9
	v_ldexp_f32 v30, v9, 1
	v_mul_f32_e32 v9, v14, v15
	v_ldexp_f32 v13, v14, 1
	v_pk_mul_f32 v[14:15], v[8:9], v[28:29]
	s_nop 0
	v_fma_f32 v12, v8, s13, -v14
	v_fmac_f32_e32 v12, 0xb102e308, v8
	v_pk_add_f32 v[8:9], v[14:15], v[12:13]
	s_nop 0
	v_sub_f32_e32 v13, v9, v13
	v_sub_f32_e32 v13, v15, v13
	v_add_f32_e32 v31, v30, v13
	v_mov_b32_e32 v30, v14
	v_pk_add_f32 v[14:15], v[8:9], v[14:15] neg_lo:[0,1] neg_hi:[0,1]
	v_pk_add_f32 v[32:33], v[8:9], v[30:31]
	v_mov_b32_e32 v13, v8
	v_mov_b32_e32 v15, v33
	v_pk_add_f32 v[34:35], v[12:13], v[14:15] neg_lo:[0,1] neg_hi:[0,1]
	v_pk_add_f32 v[12:13], v[12:13], v[14:15]
	v_mov_b32_e32 v30, v31
	v_mov_b32_e32 v14, v13
	v_pk_add_f32 v[36:37], v[14:15], v[8:9] neg_lo:[0,1] neg_hi:[0,1]
	v_mov_b32_e32 v12, v33
	v_mov_b32_e32 v15, v36
	v_pk_add_f32 v[38:39], v[32:33], v[14:15] neg_lo:[0,1] neg_hi:[0,1]
	v_mov_b32_e32 v32, v9
	v_mov_b32_e32 v33, v36
	v_mov_b32_e32 v35, v13
	v_pk_add_f32 v[12:13], v[12:13], v[32:33] neg_lo:[0,1] neg_hi:[0,1]
	v_mov_b32_e32 v31, v8
	v_pk_add_f32 v[8:9], v[30:31], v[12:13] neg_lo:[0,1] neg_hi:[0,1]
	v_mov_b32_e32 v38, v34
	v_pk_add_f32 v[12:13], v[38:39], v[8:9]
	s_nop 0
	v_mov_b32_e32 v30, v13
	v_pk_add_f32 v[30:31], v[12:13], v[30:31]
	s_nop 0
	v_pk_add_f32 v[14:15], v[14:15], v[30:31]
	v_mov_b32_e32 v9, v30
	v_mov_b32_e32 v13, v14
	v_pk_add_f32 v[32:33], v[12:13], v[34:35] neg_lo:[0,1] neg_hi:[0,1]
	s_nop 0
	v_sub_f32_e32 v12, v12, v32
	v_pk_add_f32 v[8:9], v[8:9], v[32:33] neg_lo:[0,1] neg_hi:[0,1]
	v_sub_f32_e32 v12, v34, v12
	v_add_f32_e32 v8, v8, v12
	v_add_f32_e32 v8, v8, v9
	;; [unrolled: 1-line block ×3, first 2 shown]
	v_cndmask_b32_e32 v155, v8, v27, vcc
.LBB60_99:                              ;   in Loop: Header=BB60_13 Depth=1
	s_or_b64 exec, exec, s[4:5]
	v_lshlrev_b32_e32 v8, 16, v10
	v_readlane_b32 s2, v166, 2
	s_nop 1
	v_add_f32_e32 v156, s2, v8
	v_readlane_b32 s2, v166, 23
	v_cmp_ge_f32_e32 vcc, s6, v156
	v_readlane_b32 s3, v166, 24
	s_and_b64 s[2:3], s[2:3], vcc
	s_and_saveexec_b64 s[4:5], s[2:3]
	s_cbranch_execz .LBB60_101
; %bb.100:                              ;   in Loop: Header=BB60_13 Depth=1
	v_mul_f32_e32 v8, 0x3fb8aa3b, v156
	v_rndne_f32_e32 v9, v8
	v_sub_f32_e32 v12, v8, v9
	v_fma_f32 v8, v156, s8, -v8
	v_fmac_f32_e32 v8, 0x32a5705f, v156
	v_add_f32_e32 v8, v12, v8
	v_cvt_i32_f32_e32 v9, v9
	v_exp_f32_e32 v8, v8
	v_cmp_ngt_f32_e32 vcc, s9, v156
	v_ldexp_f32 v8, v8, v9
	s_nop 0
	v_cndmask_b32_e32 v8, 0, v8, vcc
	v_cmp_nlt_f32_e32 vcc, s10, v156
	s_nop 1
	v_cndmask_b32_e32 v27, v140, v8, vcc
	v_add_f32_e32 v12, 1.0, v27
	v_add_f32_e32 v8, -1.0, v12
	v_sub_f32_e32 v9, v8, v12
	v_add_f32_e32 v9, 1.0, v9
	v_sub_f32_e32 v8, v27, v8
	v_add_f32_e32 v13, v8, v9
	v_frexp_mant_f32_e32 v14, v12
	v_cvt_f64_f32_e32 v[8:9], v12
	v_frexp_exp_i32_f64_e32 v8, v[8:9]
	v_cmp_gt_f32_e32 vcc, s12, v14
	v_cmp_gt_f32_e64 s[60:61], s16, v27
	s_nop 0
	v_subbrev_co_u32_e32 v32, vcc, 0, v8, vcc
	v_sub_u32_e32 v8, 0, v32
	v_ldexp_f32 v9, v12, v8
	v_add_f32_e32 v12, -1.0, v9
	v_add_f32_e32 v14, 1.0, v9
	v_ldexp_f32 v8, v13, v8
	v_add_f32_e32 v13, 1.0, v12
	v_add_f32_e32 v15, -1.0, v14
	v_sub_f32_e32 v13, v9, v13
	v_sub_f32_e32 v9, v9, v15
	v_add_f32_e32 v13, v8, v13
	v_add_f32_e32 v8, v8, v9
	;; [unrolled: 1-line block ×3, first 2 shown]
	v_rcp_f32_e32 v34, v29
	v_sub_f32_e32 v9, v14, v29
	v_add_f32_e32 v33, v8, v9
	v_add_f32_e32 v9, v12, v13
	v_mul_f32_e32 v36, v9, v34
	v_sub_f32_e32 v8, v12, v9
	v_mul_f32_e32 v12, v29, v36
	v_fma_f32 v14, v36, v29, -v12
	v_fmac_f32_e32 v14, v36, v33
	v_add_f32_e32 v35, v13, v8
	v_add_f32_e32 v8, v12, v14
	v_sub_f32_e32 v13, v9, v8
	v_pk_add_f32 v[30:31], v[8:9], v[12:13] neg_lo:[0,1] neg_hi:[0,1]
	v_mov_b32_e32 v15, v8
	v_pk_add_f32 v[8:9], v[30:31], v[14:15] neg_lo:[0,1] neg_hi:[0,1]
	v_cmp_eq_f32_e32 vcc, s11, v27
	v_add_f32_e32 v9, v35, v9
	v_add_f32_e32 v8, v8, v9
	;; [unrolled: 1-line block ×3, first 2 shown]
	v_mul_f32_e32 v35, v34, v9
	v_mul_f32_e32 v12, v29, v35
	v_fma_f32 v14, v35, v29, -v12
	v_fmac_f32_e32 v14, v35, v33
	v_sub_f32_e32 v13, v13, v9
	v_add_f32_e32 v29, v8, v13
	v_add_f32_e32 v8, v12, v14
	v_sub_f32_e32 v13, v9, v8
	v_pk_add_f32 v[30:31], v[8:9], v[12:13] neg_lo:[0,1] neg_hi:[0,1]
	v_mov_b32_e32 v15, v8
	v_pk_add_f32 v[8:9], v[30:31], v[14:15] neg_lo:[0,1] neg_hi:[0,1]
	s_or_b64 vcc, s[60:61], vcc
	v_add_f32_e32 v9, v29, v9
	v_add_f32_e32 v8, v8, v9
	;; [unrolled: 1-line block ×4, first 2 shown]
	v_sub_f32_e32 v12, v9, v36
	v_mul_f32_e32 v8, v34, v8
	v_sub_f32_e32 v12, v35, v12
	v_add_f32_e32 v12, v12, v8
	v_add_f32_e32 v14, v9, v12
	v_mul_f32_e32 v15, v14, v14
	v_fmamk_f32 v8, v15, 0x3e9b6dac, v139
	v_fmaak_f32 v29, v15, v8, 0x3f2aaada
	v_cvt_f32_i32_e32 v8, v32
	v_sub_f32_e32 v9, v14, v9
	v_sub_f32_e32 v9, v12, v9
	v_ldexp_f32 v30, v9, 1
	v_mul_f32_e32 v9, v14, v15
	v_ldexp_f32 v13, v14, 1
	v_pk_mul_f32 v[14:15], v[8:9], v[28:29]
	s_nop 0
	v_fma_f32 v12, v8, s13, -v14
	v_fmac_f32_e32 v12, 0xb102e308, v8
	v_pk_add_f32 v[8:9], v[14:15], v[12:13]
	s_nop 0
	v_sub_f32_e32 v13, v9, v13
	v_sub_f32_e32 v13, v15, v13
	v_add_f32_e32 v31, v30, v13
	v_mov_b32_e32 v30, v14
	v_pk_add_f32 v[14:15], v[8:9], v[14:15] neg_lo:[0,1] neg_hi:[0,1]
	v_pk_add_f32 v[32:33], v[8:9], v[30:31]
	v_mov_b32_e32 v13, v8
	v_mov_b32_e32 v15, v33
	v_pk_add_f32 v[34:35], v[12:13], v[14:15] neg_lo:[0,1] neg_hi:[0,1]
	v_pk_add_f32 v[12:13], v[12:13], v[14:15]
	v_mov_b32_e32 v30, v31
	v_mov_b32_e32 v14, v13
	v_pk_add_f32 v[36:37], v[14:15], v[8:9] neg_lo:[0,1] neg_hi:[0,1]
	v_mov_b32_e32 v12, v33
	v_mov_b32_e32 v15, v36
	v_pk_add_f32 v[38:39], v[32:33], v[14:15] neg_lo:[0,1] neg_hi:[0,1]
	v_mov_b32_e32 v32, v9
	v_mov_b32_e32 v33, v36
	;; [unrolled: 1-line block ×3, first 2 shown]
	v_pk_add_f32 v[12:13], v[12:13], v[32:33] neg_lo:[0,1] neg_hi:[0,1]
	v_mov_b32_e32 v31, v8
	v_pk_add_f32 v[8:9], v[30:31], v[12:13] neg_lo:[0,1] neg_hi:[0,1]
	v_mov_b32_e32 v38, v34
	v_pk_add_f32 v[12:13], v[38:39], v[8:9]
	s_nop 0
	v_mov_b32_e32 v30, v13
	v_pk_add_f32 v[30:31], v[12:13], v[30:31]
	s_nop 0
	v_pk_add_f32 v[14:15], v[14:15], v[30:31]
	v_mov_b32_e32 v9, v30
	v_mov_b32_e32 v13, v14
	v_pk_add_f32 v[32:33], v[12:13], v[34:35] neg_lo:[0,1] neg_hi:[0,1]
	s_nop 0
	v_sub_f32_e32 v12, v12, v32
	v_pk_add_f32 v[8:9], v[8:9], v[32:33] neg_lo:[0,1] neg_hi:[0,1]
	v_sub_f32_e32 v12, v34, v12
	v_add_f32_e32 v8, v8, v12
	v_add_f32_e32 v8, v8, v9
	;; [unrolled: 1-line block ×3, first 2 shown]
	v_cndmask_b32_e32 v156, v8, v27, vcc
.LBB60_101:                             ;   in Loop: Header=BB60_13 Depth=1
	s_or_b64 exec, exec, s[4:5]
	v_and_b32_e32 v8, 0xffff0000, v10
	v_readlane_b32 s2, v166, 2
	s_nop 1
	v_add_f32_e32 v157, s2, v8
	v_readlane_b32 s2, v166, 23
	v_cmp_ge_f32_e32 vcc, s6, v157
	v_readlane_b32 s3, v166, 24
	s_and_b64 s[2:3], s[2:3], vcc
	s_and_saveexec_b64 s[4:5], s[2:3]
	s_cbranch_execz .LBB60_103
; %bb.102:                              ;   in Loop: Header=BB60_13 Depth=1
	v_mul_f32_e32 v8, 0x3fb8aa3b, v157
	v_rndne_f32_e32 v9, v8
	v_sub_f32_e32 v10, v8, v9
	v_fma_f32 v8, v157, s8, -v8
	v_fmac_f32_e32 v8, 0x32a5705f, v157
	v_add_f32_e32 v8, v10, v8
	v_cvt_i32_f32_e32 v9, v9
	v_exp_f32_e32 v8, v8
	v_cmp_ngt_f32_e32 vcc, s9, v157
	v_ldexp_f32 v8, v8, v9
	s_nop 0
	v_cndmask_b32_e32 v8, 0, v8, vcc
	v_cmp_nlt_f32_e32 vcc, s10, v157
	s_nop 1
	v_cndmask_b32_e32 v27, v140, v8, vcc
	v_add_f32_e32 v10, 1.0, v27
	v_add_f32_e32 v8, -1.0, v10
	v_sub_f32_e32 v9, v8, v10
	v_add_f32_e32 v9, 1.0, v9
	v_sub_f32_e32 v8, v27, v8
	v_add_f32_e32 v12, v8, v9
	v_frexp_mant_f32_e32 v13, v10
	v_cvt_f64_f32_e32 v[8:9], v10
	v_frexp_exp_i32_f64_e32 v8, v[8:9]
	v_cmp_gt_f32_e32 vcc, s12, v13
	v_cmp_gt_f32_e64 s[60:61], s16, v27
	s_nop 0
	v_subbrev_co_u32_e32 v32, vcc, 0, v8, vcc
	v_sub_u32_e32 v8, 0, v32
	v_ldexp_f32 v9, v10, v8
	v_add_f32_e32 v10, -1.0, v9
	v_add_f32_e32 v13, 1.0, v9
	v_ldexp_f32 v8, v12, v8
	v_add_f32_e32 v12, 1.0, v10
	v_add_f32_e32 v14, -1.0, v13
	v_sub_f32_e32 v12, v9, v12
	v_sub_f32_e32 v9, v9, v14
	v_add_f32_e32 v12, v8, v12
	v_add_f32_e32 v8, v8, v9
	;; [unrolled: 1-line block ×3, first 2 shown]
	v_rcp_f32_e32 v34, v29
	v_sub_f32_e32 v9, v13, v29
	v_add_f32_e32 v33, v8, v9
	v_add_f32_e32 v9, v10, v12
	v_sub_f32_e32 v8, v10, v9
	v_mul_f32_e32 v35, v9, v34
	v_add_f32_e32 v10, v12, v8
	v_mul_f32_e32 v12, v29, v35
	v_fma_f32 v14, v35, v29, -v12
	v_fmac_f32_e32 v14, v35, v33
	v_add_f32_e32 v8, v12, v14
	v_sub_f32_e32 v13, v9, v8
	v_pk_add_f32 v[30:31], v[8:9], v[12:13] neg_lo:[0,1] neg_hi:[0,1]
	v_mov_b32_e32 v15, v8
	v_pk_add_f32 v[8:9], v[30:31], v[14:15] neg_lo:[0,1] neg_hi:[0,1]
	v_cmp_eq_f32_e32 vcc, s11, v27
	v_add_f32_e32 v9, v10, v9
	v_add_f32_e32 v8, v8, v9
	;; [unrolled: 1-line block ×3, first 2 shown]
	v_mul_f32_e32 v10, v34, v9
	v_mul_f32_e32 v12, v29, v10
	v_fma_f32 v14, v10, v29, -v12
	v_fmac_f32_e32 v14, v10, v33
	v_sub_f32_e32 v13, v13, v9
	v_add_f32_e32 v29, v8, v13
	v_add_f32_e32 v8, v12, v14
	v_sub_f32_e32 v13, v9, v8
	v_pk_add_f32 v[30:31], v[8:9], v[12:13] neg_lo:[0,1] neg_hi:[0,1]
	v_mov_b32_e32 v15, v8
	v_pk_add_f32 v[8:9], v[30:31], v[14:15] neg_lo:[0,1] neg_hi:[0,1]
	s_or_b64 vcc, s[60:61], vcc
	v_add_f32_e32 v9, v29, v9
	v_add_f32_e32 v8, v8, v9
	;; [unrolled: 1-line block ×4, first 2 shown]
	v_sub_f32_e32 v12, v9, v35
	v_mul_f32_e32 v8, v34, v8
	v_sub_f32_e32 v10, v10, v12
	v_add_f32_e32 v10, v10, v8
	v_add_f32_e32 v12, v9, v10
	v_mul_f32_e32 v14, v12, v12
	v_fmamk_f32 v8, v14, 0x3e9b6dac, v139
	v_fmaak_f32 v29, v14, v8, 0x3f2aaada
	v_cvt_f32_i32_e32 v8, v32
	v_sub_f32_e32 v9, v12, v9
	v_sub_f32_e32 v9, v10, v9
	v_ldexp_f32 v10, v9, 1
	v_mul_f32_e32 v9, v12, v14
	v_pk_mul_f32 v[14:15], v[8:9], v[28:29]
	v_ldexp_f32 v13, v12, 1
	v_fma_f32 v12, v8, s13, -v14
	v_fmac_f32_e32 v12, 0xb102e308, v8
	v_pk_add_f32 v[8:9], v[14:15], v[12:13]
	v_mov_b32_e32 v30, v14
	v_sub_f32_e32 v13, v9, v13
	v_sub_f32_e32 v13, v15, v13
	v_add_f32_e32 v31, v10, v13
	v_pk_add_f32 v[14:15], v[8:9], v[14:15] neg_lo:[0,1] neg_hi:[0,1]
	v_pk_add_f32 v[32:33], v[8:9], v[30:31]
	v_mov_b32_e32 v13, v8
	v_mov_b32_e32 v15, v33
	v_pk_add_f32 v[34:35], v[12:13], v[14:15] neg_lo:[0,1] neg_hi:[0,1]
	v_pk_add_f32 v[12:13], v[12:13], v[14:15]
	s_nop 0
	v_mov_b32_e32 v10, v13
	v_pk_add_f32 v[14:15], v[10:11], v[8:9] neg_lo:[0,1] neg_hi:[0,1]
	v_mov_b32_e32 v12, v33
	v_mov_b32_e32 v15, v14
	v_pk_add_f32 v[36:37], v[32:33], v[14:15] neg_lo:[0,1] neg_hi:[0,1]
	v_mov_b32_e32 v32, v9
	v_mov_b32_e32 v33, v14
	;; [unrolled: 1-line block ×3, first 2 shown]
	v_pk_add_f32 v[12:13], v[12:13], v[32:33] neg_lo:[0,1] neg_hi:[0,1]
	v_mov_b32_e32 v14, v31
	v_mov_b32_e32 v15, v8
	v_pk_add_f32 v[8:9], v[14:15], v[12:13] neg_lo:[0,1] neg_hi:[0,1]
	v_mov_b32_e32 v36, v34
	v_pk_add_f32 v[12:13], v[36:37], v[8:9]
	s_nop 0
	v_mov_b32_e32 v14, v13
	v_pk_add_f32 v[14:15], v[12:13], v[14:15]
	s_nop 0
	v_pk_add_f32 v[30:31], v[10:11], v[14:15]
	v_mov_b32_e32 v9, v14
	v_mov_b32_e32 v13, v30
	v_pk_add_f32 v[32:33], v[12:13], v[34:35] neg_lo:[0,1] neg_hi:[0,1]
	s_nop 0
	v_sub_f32_e32 v10, v12, v32
	v_pk_add_f32 v[8:9], v[8:9], v[32:33] neg_lo:[0,1] neg_hi:[0,1]
	v_sub_f32_e32 v10, v34, v10
	v_add_f32_e32 v8, v8, v10
	v_add_f32_e32 v8, v8, v9
	;; [unrolled: 1-line block ×3, first 2 shown]
	v_cndmask_b32_e32 v157, v8, v27, vcc
.LBB60_103:                             ;   in Loop: Header=BB60_13 Depth=1
	s_or_b64 exec, exec, s[4:5]
	v_lshlrev_b32_e32 v8, 16, v11
	v_readlane_b32 s2, v166, 2
	s_nop 1
	v_add_f32_e32 v46, s2, v8
	v_readlane_b32 s2, v166, 23
	v_cmp_ge_f32_e32 vcc, s6, v46
	v_readlane_b32 s3, v166, 24
	s_and_b64 s[2:3], s[2:3], vcc
	s_and_saveexec_b64 s[4:5], s[2:3]
	s_cbranch_execz .LBB60_105
; %bb.104:                              ;   in Loop: Header=BB60_13 Depth=1
	v_mul_f32_e32 v8, 0x3fb8aa3b, v46
	v_rndne_f32_e32 v9, v8
	v_sub_f32_e32 v10, v8, v9
	v_fma_f32 v8, v46, s8, -v8
	v_fmac_f32_e32 v8, 0x32a5705f, v46
	v_add_f32_e32 v8, v10, v8
	v_cvt_i32_f32_e32 v9, v9
	v_exp_f32_e32 v8, v8
	v_cmp_ngt_f32_e32 vcc, s9, v46
	v_ldexp_f32 v8, v8, v9
	s_nop 0
	v_cndmask_b32_e32 v8, 0, v8, vcc
	v_cmp_nlt_f32_e32 vcc, s10, v46
	s_nop 1
	v_cndmask_b32_e32 v27, v140, v8, vcc
	v_add_f32_e32 v10, 1.0, v27
	v_add_f32_e32 v8, -1.0, v10
	v_sub_f32_e32 v9, v8, v10
	v_add_f32_e32 v9, 1.0, v9
	v_sub_f32_e32 v8, v27, v8
	v_add_f32_e32 v12, v8, v9
	v_frexp_mant_f32_e32 v13, v10
	v_cvt_f64_f32_e32 v[8:9], v10
	v_frexp_exp_i32_f64_e32 v8, v[8:9]
	v_cmp_gt_f32_e32 vcc, s12, v13
	v_cmp_gt_f32_e64 s[60:61], s16, v27
	s_nop 0
	v_subbrev_co_u32_e32 v32, vcc, 0, v8, vcc
	v_sub_u32_e32 v8, 0, v32
	v_ldexp_f32 v9, v10, v8
	v_add_f32_e32 v10, -1.0, v9
	v_add_f32_e32 v13, 1.0, v9
	v_ldexp_f32 v8, v12, v8
	v_add_f32_e32 v12, 1.0, v10
	v_add_f32_e32 v14, -1.0, v13
	v_sub_f32_e32 v12, v9, v12
	v_sub_f32_e32 v9, v9, v14
	v_add_f32_e32 v12, v8, v12
	v_add_f32_e32 v8, v8, v9
	;; [unrolled: 1-line block ×3, first 2 shown]
	v_rcp_f32_e32 v34, v29
	v_sub_f32_e32 v9, v13, v29
	v_add_f32_e32 v33, v8, v9
	v_add_f32_e32 v9, v10, v12
	v_sub_f32_e32 v8, v10, v9
	v_mul_f32_e32 v35, v9, v34
	v_add_f32_e32 v10, v12, v8
	v_mul_f32_e32 v12, v29, v35
	v_fma_f32 v14, v35, v29, -v12
	v_fmac_f32_e32 v14, v35, v33
	v_add_f32_e32 v8, v12, v14
	v_sub_f32_e32 v13, v9, v8
	v_pk_add_f32 v[30:31], v[8:9], v[12:13] neg_lo:[0,1] neg_hi:[0,1]
	v_mov_b32_e32 v15, v8
	v_pk_add_f32 v[8:9], v[30:31], v[14:15] neg_lo:[0,1] neg_hi:[0,1]
	v_cmp_eq_f32_e32 vcc, s11, v27
	v_add_f32_e32 v9, v10, v9
	v_add_f32_e32 v8, v8, v9
	;; [unrolled: 1-line block ×3, first 2 shown]
	v_mul_f32_e32 v10, v34, v9
	v_mul_f32_e32 v12, v29, v10
	v_fma_f32 v14, v10, v29, -v12
	v_fmac_f32_e32 v14, v10, v33
	v_sub_f32_e32 v13, v13, v9
	v_add_f32_e32 v29, v8, v13
	v_add_f32_e32 v8, v12, v14
	v_sub_f32_e32 v13, v9, v8
	v_pk_add_f32 v[30:31], v[8:9], v[12:13] neg_lo:[0,1] neg_hi:[0,1]
	v_mov_b32_e32 v15, v8
	v_pk_add_f32 v[8:9], v[30:31], v[14:15] neg_lo:[0,1] neg_hi:[0,1]
	s_or_b64 vcc, s[60:61], vcc
	v_add_f32_e32 v9, v29, v9
	v_add_f32_e32 v8, v8, v9
	;; [unrolled: 1-line block ×4, first 2 shown]
	v_sub_f32_e32 v12, v9, v35
	v_mul_f32_e32 v8, v34, v8
	v_sub_f32_e32 v10, v10, v12
	v_add_f32_e32 v10, v10, v8
	v_add_f32_e32 v12, v9, v10
	v_mul_f32_e32 v14, v12, v12
	v_fmamk_f32 v8, v14, 0x3e9b6dac, v139
	v_fmaak_f32 v29, v14, v8, 0x3f2aaada
	v_cvt_f32_i32_e32 v8, v32
	v_sub_f32_e32 v9, v12, v9
	v_sub_f32_e32 v9, v10, v9
	v_ldexp_f32 v10, v9, 1
	v_mul_f32_e32 v9, v12, v14
	v_pk_mul_f32 v[14:15], v[8:9], v[28:29]
	v_ldexp_f32 v13, v12, 1
	v_fma_f32 v12, v8, s13, -v14
	v_fmac_f32_e32 v12, 0xb102e308, v8
	v_pk_add_f32 v[8:9], v[14:15], v[12:13]
	v_mov_b32_e32 v30, v14
	v_sub_f32_e32 v13, v9, v13
	v_sub_f32_e32 v13, v15, v13
	v_add_f32_e32 v31, v10, v13
	v_pk_add_f32 v[14:15], v[8:9], v[14:15] neg_lo:[0,1] neg_hi:[0,1]
	v_pk_add_f32 v[32:33], v[8:9], v[30:31]
	v_mov_b32_e32 v13, v8
	v_mov_b32_e32 v15, v33
	v_pk_add_f32 v[34:35], v[12:13], v[14:15] neg_lo:[0,1] neg_hi:[0,1]
	v_pk_add_f32 v[12:13], v[12:13], v[14:15]
	s_nop 0
	v_mov_b32_e32 v10, v13
	v_pk_add_f32 v[14:15], v[10:11], v[8:9] neg_lo:[0,1] neg_hi:[0,1]
	v_mov_b32_e32 v12, v33
	v_mov_b32_e32 v15, v14
	v_pk_add_f32 v[36:37], v[32:33], v[14:15] neg_lo:[0,1] neg_hi:[0,1]
	v_mov_b32_e32 v32, v9
	v_mov_b32_e32 v33, v14
	;; [unrolled: 1-line block ×3, first 2 shown]
	v_pk_add_f32 v[12:13], v[12:13], v[32:33] neg_lo:[0,1] neg_hi:[0,1]
	v_mov_b32_e32 v14, v31
	v_mov_b32_e32 v15, v8
	v_pk_add_f32 v[8:9], v[14:15], v[12:13] neg_lo:[0,1] neg_hi:[0,1]
	v_mov_b32_e32 v36, v34
	v_pk_add_f32 v[12:13], v[36:37], v[8:9]
	s_nop 0
	v_mov_b32_e32 v14, v13
	v_pk_add_f32 v[14:15], v[12:13], v[14:15]
	s_nop 0
	v_pk_add_f32 v[30:31], v[10:11], v[14:15]
	v_mov_b32_e32 v9, v14
	v_mov_b32_e32 v13, v30
	v_pk_add_f32 v[32:33], v[12:13], v[34:35] neg_lo:[0,1] neg_hi:[0,1]
	s_nop 0
	v_sub_f32_e32 v10, v12, v32
	v_pk_add_f32 v[8:9], v[8:9], v[32:33] neg_lo:[0,1] neg_hi:[0,1]
	v_sub_f32_e32 v10, v34, v10
	v_add_f32_e32 v8, v8, v10
	v_add_f32_e32 v8, v8, v9
	;; [unrolled: 1-line block ×3, first 2 shown]
	v_cndmask_b32_e32 v46, v8, v27, vcc
.LBB60_105:                             ;   in Loop: Header=BB60_13 Depth=1
	s_or_b64 exec, exec, s[4:5]
	v_and_b32_e32 v8, 0xffff0000, v11
	v_readlane_b32 s2, v166, 2
	s_nop 1
	v_add_f32_e32 v47, s2, v8
	v_readlane_b32 s2, v166, 23
	v_cmp_ge_f32_e32 vcc, s6, v47
	v_readlane_b32 s3, v166, 24
	s_and_b64 s[2:3], s[2:3], vcc
	s_and_saveexec_b64 s[4:5], s[2:3]
	s_cbranch_execz .LBB60_107
; %bb.106:                              ;   in Loop: Header=BB60_13 Depth=1
	v_mul_f32_e32 v8, 0x3fb8aa3b, v47
	v_rndne_f32_e32 v9, v8
	v_sub_f32_e32 v10, v8, v9
	v_fma_f32 v8, v47, s8, -v8
	v_fmac_f32_e32 v8, 0x32a5705f, v47
	v_add_f32_e32 v8, v10, v8
	v_cvt_i32_f32_e32 v9, v9
	v_exp_f32_e32 v8, v8
	v_cmp_ngt_f32_e32 vcc, s9, v47
	v_ldexp_f32 v8, v8, v9
	s_nop 0
	v_cndmask_b32_e32 v8, 0, v8, vcc
	v_cmp_nlt_f32_e32 vcc, s10, v47
	s_nop 1
	v_cndmask_b32_e32 v27, v140, v8, vcc
	v_add_f32_e32 v10, 1.0, v27
	v_add_f32_e32 v8, -1.0, v10
	v_sub_f32_e32 v9, v8, v10
	v_add_f32_e32 v9, 1.0, v9
	v_sub_f32_e32 v8, v27, v8
	v_add_f32_e32 v11, v8, v9
	v_frexp_mant_f32_e32 v12, v10
	v_cvt_f64_f32_e32 v[8:9], v10
	v_frexp_exp_i32_f64_e32 v8, v[8:9]
	v_cmp_gt_f32_e32 vcc, s12, v12
	v_cmp_gt_f32_e64 s[60:61], s16, v27
	s_nop 0
	v_subbrev_co_u32_e32 v30, vcc, 0, v8, vcc
	v_sub_u32_e32 v8, 0, v30
	v_ldexp_f32 v9, v10, v8
	v_add_f32_e32 v10, -1.0, v9
	v_add_f32_e32 v12, 1.0, v9
	v_ldexp_f32 v8, v11, v8
	v_add_f32_e32 v11, 1.0, v10
	v_add_f32_e32 v13, -1.0, v12
	v_sub_f32_e32 v11, v9, v11
	v_sub_f32_e32 v9, v9, v13
	v_add_f32_e32 v11, v8, v11
	v_add_f32_e32 v8, v8, v9
	;; [unrolled: 1-line block ×3, first 2 shown]
	v_rcp_f32_e32 v32, v29
	v_sub_f32_e32 v9, v12, v29
	v_add_f32_e32 v31, v8, v9
	v_add_f32_e32 v9, v10, v11
	v_mul_f32_e32 v34, v9, v32
	v_sub_f32_e32 v8, v10, v9
	v_mul_f32_e32 v10, v29, v34
	v_fma_f32 v12, v34, v29, -v10
	v_fmac_f32_e32 v12, v34, v31
	v_add_f32_e32 v33, v11, v8
	v_add_f32_e32 v8, v10, v12
	v_sub_f32_e32 v11, v9, v8
	v_pk_add_f32 v[14:15], v[8:9], v[10:11] neg_lo:[0,1] neg_hi:[0,1]
	v_mov_b32_e32 v13, v8
	v_pk_add_f32 v[8:9], v[14:15], v[12:13] neg_lo:[0,1] neg_hi:[0,1]
	v_cmp_eq_f32_e32 vcc, s11, v27
	v_add_f32_e32 v9, v33, v9
	v_add_f32_e32 v8, v8, v9
	v_add_f32_e32 v9, v11, v8
	v_mul_f32_e32 v33, v32, v9
	v_mul_f32_e32 v10, v29, v33
	v_fma_f32 v12, v33, v29, -v10
	v_fmac_f32_e32 v12, v33, v31
	v_sub_f32_e32 v11, v11, v9
	v_add_f32_e32 v29, v8, v11
	v_add_f32_e32 v8, v10, v12
	v_sub_f32_e32 v11, v9, v8
	v_pk_add_f32 v[14:15], v[8:9], v[10:11] neg_lo:[0,1] neg_hi:[0,1]
	v_mov_b32_e32 v13, v8
	v_pk_add_f32 v[8:9], v[14:15], v[12:13] neg_lo:[0,1] neg_hi:[0,1]
	s_or_b64 vcc, s[60:61], vcc
	v_add_f32_e32 v9, v29, v9
	v_add_f32_e32 v8, v8, v9
	v_add_f32_e32 v9, v34, v33
	v_add_f32_e32 v8, v11, v8
	v_sub_f32_e32 v10, v9, v34
	v_mul_f32_e32 v8, v32, v8
	v_sub_f32_e32 v10, v33, v10
	v_add_f32_e32 v10, v10, v8
	v_add_f32_e32 v12, v9, v10
	v_mul_f32_e32 v13, v12, v12
	v_fmamk_f32 v8, v13, 0x3e9b6dac, v139
	v_fmaak_f32 v29, v13, v8, 0x3f2aaada
	v_cvt_f32_i32_e32 v8, v30
	v_sub_f32_e32 v9, v12, v9
	v_sub_f32_e32 v9, v10, v9
	v_ldexp_f32 v14, v9, 1
	v_mul_f32_e32 v9, v12, v13
	v_ldexp_f32 v11, v12, 1
	v_pk_mul_f32 v[12:13], v[8:9], v[28:29]
	s_nop 0
	v_fma_f32 v10, v8, s13, -v12
	v_fmac_f32_e32 v10, 0xb102e308, v8
	v_pk_add_f32 v[8:9], v[12:13], v[10:11]
	s_nop 0
	v_sub_f32_e32 v11, v9, v11
	v_sub_f32_e32 v11, v13, v11
	v_add_f32_e32 v15, v14, v11
	v_mov_b32_e32 v14, v12
	v_pk_add_f32 v[12:13], v[8:9], v[12:13] neg_lo:[0,1] neg_hi:[0,1]
	v_pk_add_f32 v[30:31], v[8:9], v[14:15]
	v_mov_b32_e32 v11, v8
	v_mov_b32_e32 v13, v31
	v_pk_add_f32 v[32:33], v[10:11], v[12:13] neg_lo:[0,1] neg_hi:[0,1]
	v_pk_add_f32 v[10:11], v[10:11], v[12:13]
	v_mov_b32_e32 v14, v15
	v_mov_b32_e32 v12, v11
	v_pk_add_f32 v[34:35], v[12:13], v[8:9] neg_lo:[0,1] neg_hi:[0,1]
	v_mov_b32_e32 v10, v31
	v_mov_b32_e32 v13, v34
	v_pk_add_f32 v[36:37], v[30:31], v[12:13] neg_lo:[0,1] neg_hi:[0,1]
	v_mov_b32_e32 v30, v9
	v_mov_b32_e32 v31, v34
	;; [unrolled: 1-line block ×3, first 2 shown]
	v_pk_add_f32 v[10:11], v[10:11], v[30:31] neg_lo:[0,1] neg_hi:[0,1]
	v_mov_b32_e32 v15, v8
	v_pk_add_f32 v[8:9], v[14:15], v[10:11] neg_lo:[0,1] neg_hi:[0,1]
	v_mov_b32_e32 v36, v32
	v_pk_add_f32 v[10:11], v[36:37], v[8:9]
	s_nop 0
	v_mov_b32_e32 v14, v11
	v_pk_add_f32 v[14:15], v[10:11], v[14:15]
	s_nop 0
	v_pk_add_f32 v[12:13], v[12:13], v[14:15]
	v_mov_b32_e32 v9, v14
	v_mov_b32_e32 v11, v12
	v_pk_add_f32 v[30:31], v[10:11], v[32:33] neg_lo:[0,1] neg_hi:[0,1]
	s_nop 0
	v_sub_f32_e32 v10, v10, v30
	v_pk_add_f32 v[8:9], v[8:9], v[30:31] neg_lo:[0,1] neg_hi:[0,1]
	v_sub_f32_e32 v10, v32, v10
	v_add_f32_e32 v8, v8, v10
	v_add_f32_e32 v8, v8, v9
	;; [unrolled: 1-line block ×3, first 2 shown]
	v_cndmask_b32_e32 v47, v8, v27, vcc
.LBB60_107:                             ;   in Loop: Header=BB60_13 Depth=1
	s_or_b64 exec, exec, s[4:5]
	v_lshlrev_b32_e32 v8, 16, v7
	v_readlane_b32 s2, v166, 3
	v_and_b32_e32 v15, 0xffff0000, v7
	v_and_b32_e32 v7, 0xffff0000, v6
	v_lshlrev_b32_e32 v6, 16, v6
	v_and_b32_e32 v9, 0xffff0000, v5
	v_lshlrev_b32_e32 v5, 16, v5
	;; [unrolled: 2-line block ×7, first 2 shown]
	v_mul_f32_e32 v30, s2, v8
	v_mul_f32_e32 v33, s2, v7
	;; [unrolled: 1-line block ×16, first 2 shown]
	v_readlane_b32 s2, v166, 26
	v_readlane_b32 s3, v166, 27
	s_and_b64 vcc, exec, s[2:3]
	s_barrier
	s_cbranch_vccz .LBB60_204
; %bb.108:                              ;   in Loop: Header=BB60_13 Depth=1
	v_readlane_b32 s2, v166, 9
	v_readlane_b32 s3, v166, 10
	v_mul_f32_e32 v128, v144, v0
	v_cmp_gt_u32_e32 vcc, s88, v19
	v_lshl_add_u64 v[48:49], s[2:3], 0, v[16:17]
	v_readlane_b32 s2, v166, 19
	v_readlane_b32 s3, v166, 20
	v_or_b32_e32 v0, 1, v19
	v_mov_b32_e32 v27, v17
	v_lshl_add_u64 v[50:51], s[2:3], 0, v[16:17]
	v_readlane_b32 s3, v166, 60
	s_cmp_lg_u32 s3, 0
	v_readlane_b32 s2, v166, 30
	s_cselect_b64 s[94:95], -1, 0
	s_cmp_eq_u32 s3, s2
	v_readlane_b32 s2, v166, 51
	v_readlane_b32 s3, v166, 52
	s_cselect_b64 s[96:97], -1, 0
	s_or_b64 s[60:61], s[2:3], vcc
	v_cmp_gt_u32_e32 vcc, s88, v0
	v_or_b32_e32 v0, 2, v19
	s_or_b64 s[62:63], s[2:3], vcc
	v_cmp_gt_u32_e32 vcc, s88, v0
	v_or_b32_e32 v0, 3, v19
	;; [unrolled: 3-line block ×14, first 2 shown]
	s_mov_b32 s6, 0
	v_cmp_gt_u32_e64 s[88:89], s88, v0
	v_mul_f32_e32 v29, v47, v15
	v_lshl_add_u64 v[48:49], v[48:49], 0, v[26:27]
	v_lshl_add_u64 v[50:51], v[50:51], 0, v[26:27]
	v_mul_f32_e32 v16, v46, v8
	v_mul_f32_e32 v27, v157, v7
	;; [unrolled: 1-line block ×14, first 2 shown]
	s_or_b64 s[88:89], s[2:3], s[88:89]
	s_or_b64 s[90:91], s[2:3], vcc
	s_mov_b32 s92, s6
	s_mov_b32 s98, s6
	s_mov_b32 s4, s6
	v_readlane_b32 s8, v166, 25
	v_readlane_b32 s9, v166, 59
	s_branch .LBB60_110
.LBB60_109:                             ;   in Loop: Header=BB60_110 Depth=2
	s_or_b64 exec, exec, s[2:3]
	v_cndmask_b32_e64 v8, v8, v71, s[24:25]
	v_cndmask_b32_e64 v52, v62, v70, s[24:25]
	v_mul_f32_e32 v52, v52, v130
	v_fma_f32 v8, v8, v130, v129
	v_cndmask_b32_e64 v8, v8, v129, s[22:23]
	v_cndmask_b32_e64 v52, v52, v130, s[22:23]
	s_waitcnt lgkmcnt(0)
	v_fmac_f32_e32 v8, v65, v52
	v_fmac_f32_e32 v9, v8, v131
	v_fmac_f32_e32 v10, v9, v132
	v_fmac_f32_e32 v11, v10, v133
	v_fmac_f32_e32 v12, v11, v134
	v_fmac_f32_e32 v13, v12, v135
	v_fmac_f32_e32 v14, v13, v136
	v_fmac_f32_e32 v15, v14, v137
	v_fmac_f32_e32 v54, v15, v138
	v_fmac_f32_e32 v55, v54, v73
	v_fmac_f32_e32 v58, v55, v74
	v_fmac_f32_e32 v59, v58, v75
	v_readlane_b32 s12, v166, 31
	v_fmac_f32_e32 v56, v59, v64
	v_readlane_b32 s13, v166, 32
	v_readlane_b32 s14, v166, 33
	v_readlane_b32 s15, v166, 34
	v_readlane_b32 s16, v166, 35
	v_readlane_b32 s17, v166, 36
	v_readlane_b32 s18, v166, 37
	v_readlane_b32 s19, v166, 38
	v_fmac_f32_e32 v57, v56, v60
	s_add_i32 s98, s98, s12
	v_readlane_b32 s12, v166, 11
	v_fmac_f32_e32 v61, v57, v66
	v_readlane_b32 s2, v166, 4
	v_readlane_b32 s13, v166, 12
	;; [unrolled: 1-line block ×3, first 2 shown]
	v_fmac_f32_e32 v63, v61, v67
	v_and_b32_e32 v53, 0xffff0000, v4
	v_and_b32_e32 v65, 0xffff0000, v5
	v_lshlrev_b32_e32 v52, 16, v4
	v_lshlrev_b32_e32 v64, 16, v5
	v_and_b32_e32 v5, 0xffff0000, v6
	v_and_b32_e32 v67, 0xffff0000, v7
	v_lshlrev_b32_e32 v4, 16, v6
	v_lshlrev_b32_e32 v66, 16, v7
	;; [unrolled: 4-line block ×4, first 2 shown]
	v_mov_b32_e32 v62, v61
	s_add_i32 s9, s9, 8
	s_add_i32 s8, s8, -1
	s_add_i32 s4, s4, s2
	s_add_i32 s92, s92, s16
	;; [unrolled: 1-line block ×3, first 2 shown]
	v_pk_fma_f32 v[42:43], v[10:11], v[64:65], v[42:43]
	v_pk_fma_f32 v[44:45], v[8:9], v[52:53], v[44:45]
	;; [unrolled: 1-line block ×7, first 2 shown]
	s_cmp_eq_u32 s8, 0
	v_pk_fma_f32 v[32:33], v[56:57], v[0:1], v[32:33]
	v_readlane_b32 s14, v166, 13
	v_readlane_b32 s15, v166, 14
	;; [unrolled: 1-line block ×5, first 2 shown]
	s_cbranch_scc1 .LBB60_203
.LBB60_110:                             ;   Parent Loop BB60_13 Depth=1
                                        ; =>  This Inner Loop Header: Depth=2
	s_lshl_b64 s[2:3], s[6:7], 2
	v_readlane_b32 s5, v166, 7
	s_add_u32 s2, s5, s2
	v_readlane_b32 s5, v166, 8
	s_addc_u32 s3, s5, s3
	global_load_dword v54, v17, s[2:3]
	s_mov_b32 s93, s7
	v_lshl_add_u64 v[0:1], s[92:93], 1, v[48:49]
	v_mov_b32_e32 v2, 0
	v_mov_b32_e32 v3, 0
	s_and_saveexec_b64 s[2:3], s[26:27]
	s_cbranch_execz .LBB60_112
; %bb.111:                              ;   in Loop: Header=BB60_110 Depth=2
	global_load_ushort v3, v[0:1], off
.LBB60_112:                             ;   in Loop: Header=BB60_110 Depth=2
	s_or_b64 exec, exec, s[2:3]
	s_and_saveexec_b64 s[2:3], s[28:29]
	s_cbranch_execz .LBB60_114
; %bb.113:                              ;   in Loop: Header=BB60_110 Depth=2
	global_load_ushort v2, v[0:1], off offset:128
.LBB60_114:                             ;   in Loop: Header=BB60_110 Depth=2
	s_or_b64 exec, exec, s[2:3]
	v_mov_b32_e32 v4, 0
	v_mov_b32_e32 v5, 0
	s_and_saveexec_b64 s[2:3], s[30:31]
	s_cbranch_execz .LBB60_116
; %bb.115:                              ;   in Loop: Header=BB60_110 Depth=2
	global_load_ushort v5, v[0:1], off offset:256
.LBB60_116:                             ;   in Loop: Header=BB60_110 Depth=2
	s_or_b64 exec, exec, s[2:3]
	s_and_saveexec_b64 s[2:3], s[34:35]
	s_cbranch_execz .LBB60_118
; %bb.117:                              ;   in Loop: Header=BB60_110 Depth=2
	global_load_ushort v4, v[0:1], off offset:384
.LBB60_118:                             ;   in Loop: Header=BB60_110 Depth=2
	s_or_b64 exec, exec, s[2:3]
	v_mov_b32_e32 v6, 0
	v_mov_b32_e32 v7, 0
	s_and_saveexec_b64 s[2:3], s[36:37]
	s_cbranch_execz .LBB60_120
; %bb.119:                              ;   in Loop: Header=BB60_110 Depth=2
	global_load_ushort v7, v[0:1], off offset:512
.LBB60_120:                             ;   in Loop: Header=BB60_110 Depth=2
	;; [unrolled: 14-line block ×7, first 2 shown]
	s_or_b64 exec, exec, s[2:3]
	s_and_saveexec_b64 s[2:3], s[58:59]
	s_cbranch_execz .LBB60_142
; %bb.141:                              ;   in Loop: Header=BB60_110 Depth=2
	global_load_ushort v52, v[0:1], off offset:1920
.LBB60_142:                             ;   in Loop: Header=BB60_110 Depth=2
	s_or_b64 exec, exec, s[2:3]
	s_waitcnt vmcnt(0)
	ds_write_b16 v88, v3
	ds_write_b16 v89, v2 offset:128
	ds_write_b16 v90, v5 offset:256
	;; [unrolled: 1-line block ×15, first 2 shown]
	; wave barrier
	ds_read_b128 v[12:15], v119
	ds_read_b128 v[8:11], v119 offset:16
	s_mov_b32 s99, s7
	v_lshl_add_u64 v[0:1], s[98:99], 1, v[50:51]
	v_mov_b32_e32 v2, 0
	v_mov_b32_e32 v3, 0
	s_and_saveexec_b64 s[2:3], s[26:27]
	s_cbranch_execz .LBB60_144
; %bb.143:                              ;   in Loop: Header=BB60_110 Depth=2
	global_load_ushort v3, v[0:1], off
.LBB60_144:                             ;   in Loop: Header=BB60_110 Depth=2
	s_or_b64 exec, exec, s[2:3]
	s_and_saveexec_b64 s[2:3], s[28:29]
	s_cbranch_execz .LBB60_146
; %bb.145:                              ;   in Loop: Header=BB60_110 Depth=2
	global_load_ushort v2, v[0:1], off offset:128
.LBB60_146:                             ;   in Loop: Header=BB60_110 Depth=2
	s_or_b64 exec, exec, s[2:3]
	v_mov_b32_e32 v4, 0
	v_mov_b32_e32 v5, 0
	s_and_saveexec_b64 s[2:3], s[30:31]
	s_cbranch_execz .LBB60_148
; %bb.147:                              ;   in Loop: Header=BB60_110 Depth=2
	global_load_ushort v5, v[0:1], off offset:256
.LBB60_148:                             ;   in Loop: Header=BB60_110 Depth=2
	s_or_b64 exec, exec, s[2:3]
	s_and_saveexec_b64 s[2:3], s[34:35]
	s_cbranch_execz .LBB60_150
; %bb.149:                              ;   in Loop: Header=BB60_110 Depth=2
	global_load_ushort v4, v[0:1], off offset:384
.LBB60_150:                             ;   in Loop: Header=BB60_110 Depth=2
	s_or_b64 exec, exec, s[2:3]
	v_mov_b32_e32 v6, 0
	v_mov_b32_e32 v7, 0
	s_and_saveexec_b64 s[2:3], s[36:37]
	s_cbranch_execz .LBB60_152
; %bb.151:                              ;   in Loop: Header=BB60_110 Depth=2
	global_load_ushort v7, v[0:1], off offset:512
.LBB60_152:                             ;   in Loop: Header=BB60_110 Depth=2
	;; [unrolled: 14-line block ×7, first 2 shown]
	s_or_b64 exec, exec, s[2:3]
	s_and_saveexec_b64 s[2:3], s[58:59]
	s_cbranch_execz .LBB60_174
; %bb.173:                              ;   in Loop: Header=BB60_110 Depth=2
	global_load_ushort v61, v[0:1], off offset:1920
.LBB60_174:                             ;   in Loop: Header=BB60_110 Depth=2
	s_or_b64 exec, exec, s[2:3]
	s_waitcnt vmcnt(0)
	ds_write_b16 v88, v3 offset:4224
	ds_write_b16 v101, v2 offset:128
	;; [unrolled: 1-line block ×16, first 2 shown]
	; wave barrier
	ds_read_b128 v[4:7], v119 offset:4224
	ds_read_b128 v[0:3], v120 offset:16
	s_andn2_b64 vcc, exec, s[94:95]
	s_cbranch_vccnz .LBB60_176
; %bb.175:                              ;   in Loop: Header=BB60_110 Depth=2
	v_mov_b32_e32 v52, s9
	ds_read_b64 v[52:53], v52
	s_cbranch_execz .LBB60_177
	s_branch .LBB60_180
.LBB60_176:                             ;   in Loop: Header=BB60_110 Depth=2
                                        ; implicit-def: $vgpr53
.LBB60_177:                             ;   in Loop: Header=BB60_110 Depth=2
	v_readlane_b32 s2, v166, 0
	v_readlane_b32 s3, v166, 1
	s_andn2_b64 vcc, exec, s[2:3]
	s_waitcnt lgkmcnt(0)
	v_mov_b32_e32 v53, 0
	s_cbranch_vccnz .LBB60_179
; %bb.178:                              ;   in Loop: Header=BB60_110 Depth=2
	s_mov_b32 s5, s7
	s_lshl_b64 s[2:3], s[4:5], 2
	v_readlane_b32 s5, v166, 21
	s_add_u32 s2, s5, s2
	v_readlane_b32 s5, v166, 22
	s_addc_u32 s3, s5, s3
	global_load_dword v53, v17, s[2:3]
.LBB60_179:                             ;   in Loop: Header=BB60_110 Depth=2
	v_mov_b32_e32 v52, 1.0
.LBB60_180:                             ;   in Loop: Header=BB60_110 Depth=2
	s_waitcnt lgkmcnt(14)
	v_lshlrev_b32_e32 v59, 16, v8
	v_and_b32_e32 v60, 0xffff0000, v8
	v_mul_f32_e32 v8, 0x3fb8aa3b, v54
	v_lshlrev_b32_e32 v61, 16, v9
	v_and_b32_e32 v63, 0xffff0000, v9
	v_mul_f32_e32 v9, v8, v144
	v_cmp_gt_f32_e32 vcc, s33, v9
	v_lshlrev_b32_e32 v64, 16, v10
	v_and_b32_e32 v65, 0xffff0000, v10
	v_cndmask_b32_e32 v9, 0, v141, vcc
	v_fmac_f32_e32 v9, v8, v144
	v_exp_f32_e32 v9, v9
	v_cndmask_b32_e32 v10, 1.0, v142, vcc
	v_lshlrev_b32_e32 v55, 16, v12
	v_lshlrev_b32_e32 v68, 16, v11
	v_mul_f32_e32 v9, v9, v10
	v_cndmask_b32_e64 v130, 1.0, v9, s[60:61]
	v_mul_f32_e32 v9, v8, v145
	v_cmp_gt_f32_e32 vcc, s33, v9
	v_mul_f32_e32 v10, v128, v55
	v_cndmask_b32_e64 v129, 0, v10, s[60:61]
	v_cndmask_b32_e32 v9, 0, v141, vcc
	v_fmac_f32_e32 v9, v8, v145
	v_exp_f32_e32 v9, v9
	v_cndmask_b32_e32 v10, 1.0, v142, vcc
	v_and_b32_e32 v62, 0xffff0000, v11
	v_and_b32_e32 v12, 0xffff0000, v12
	v_mul_f32_e32 v10, v9, v10
	v_cndmask_b32_e64 v131, 1.0, v10, s[62:63]
	v_mul_f32_e32 v10, v8, v146
	v_cmp_gt_f32_e32 vcc, s33, v10
	v_mul_f32_e32 v9, v127, v12
	v_lshlrev_b32_e32 v56, 16, v13
	v_cndmask_b32_e32 v10, 0, v141, vcc
	v_fmac_f32_e32 v10, v8, v146
	v_exp_f32_e32 v10, v10
	v_cndmask_b32_e32 v11, 1.0, v142, vcc
	v_and_b32_e32 v13, 0xffff0000, v13
	v_lshlrev_b32_e32 v57, 16, v14
	v_mul_f32_e32 v11, v10, v11
	v_cndmask_b32_e64 v132, 1.0, v11, s[64:65]
	v_mul_f32_e32 v11, v8, v147
	v_cmp_gt_f32_e32 vcc, s33, v11
	v_and_b32_e32 v14, 0xffff0000, v14
	v_mul_f32_e32 v10, v126, v56
	v_cndmask_b32_e32 v11, 0, v141, vcc
	v_fmac_f32_e32 v11, v8, v147
	v_exp_f32_e32 v11, v11
	v_cndmask_b32_e32 v12, 1.0, v142, vcc
	v_lshlrev_b32_e32 v58, 16, v15
	v_cndmask_b32_e64 v9, 0, v9, s[62:63]
	v_mul_f32_e32 v12, v11, v12
	v_cndmask_b32_e64 v133, 1.0, v12, s[66:67]
	v_mul_f32_e32 v12, v8, v148
	v_cmp_gt_f32_e32 vcc, s33, v12
	v_mul_f32_e32 v11, v125, v13
	v_pk_mul_f32 v[66:67], v[8:9], v[46:47] op_sel_hi:[0,1]
	v_cndmask_b32_e32 v12, 0, v141, vcc
	v_fmac_f32_e32 v12, v8, v148
	v_exp_f32_e32 v12, v12
	v_cndmask_b32_e32 v13, 1.0, v142, vcc
	v_mul_f32_e32 v62, v29, v62
	v_cndmask_b32_e64 v10, 0, v10, s[64:65]
	v_mul_f32_e32 v13, v12, v13
	v_cndmask_b32_e64 v134, 1.0, v13, s[68:69]
	v_mul_f32_e32 v13, v8, v149
	v_cmp_gt_f32_e32 vcc, s33, v13
	v_mul_f32_e32 v12, v124, v57
	v_cndmask_b32_e64 v11, 0, v11, s[66:67]
	v_cndmask_b32_e32 v13, 0, v141, vcc
	v_fmac_f32_e32 v13, v8, v149
	v_exp_f32_e32 v13, v13
	v_cndmask_b32_e32 v54, 1.0, v142, vcc
	v_cndmask_b32_e64 v12, 0, v12, s[68:69]
	v_and_b32_e32 v15, 0xffff0000, v15
	v_mul_f32_e32 v54, v13, v54
	v_mul_f32_e32 v13, v165, v14
	v_mul_f32_e32 v14, v8, v150
	v_cmp_gt_f32_e32 vcc, s33, v14
	v_cndmask_b32_e64 v135, 1.0, v54, s[70:71]
	v_cndmask_b32_e64 v13, 0, v13, s[70:71]
	v_cndmask_b32_e32 v14, 0, v141, vcc
	v_fmac_f32_e32 v14, v8, v150
	v_exp_f32_e32 v14, v14
	v_cndmask_b32_e32 v54, 1.0, v142, vcc
	v_mul_f32_e32 v15, v163, v15
	v_cndmask_b32_e64 v15, 0, v15, s[74:75]
	v_mul_f32_e32 v54, v14, v54
	v_cndmask_b32_e64 v136, 1.0, v54, s[72:73]
	v_mul_f32_e32 v54, v8, v151
	v_cmp_gt_f32_e32 vcc, s33, v54
	v_mul_f32_e32 v14, v164, v58
	v_cndmask_b32_e64 v14, 0, v14, s[72:73]
	v_cndmask_b32_e32 v54, 0, v141, vcc
	v_fmac_f32_e32 v54, v8, v151
	v_exp_f32_e32 v54, v54
	v_cndmask_b32_e32 v55, 1.0, v142, vcc
	v_readlane_b32 s10, v166, 39
	v_readlane_b32 s11, v166, 40
	v_mul_f32_e32 v54, v54, v55
	v_cndmask_b32_e64 v137, 1.0, v54, s[74:75]
	v_mul_f32_e32 v54, v8, v152
	v_cmp_gt_f32_e32 vcc, s33, v54
	s_nop 1
	v_cndmask_b32_e32 v54, 0, v141, vcc
	v_fmac_f32_e32 v54, v8, v152
	v_exp_f32_e32 v54, v54
	v_cndmask_b32_e32 v55, 1.0, v142, vcc
	v_mul_f32_e32 v55, v54, v55
	v_cndmask_b32_e64 v138, 1.0, v55, s[76:77]
	v_mul_f32_e32 v55, v8, v153
	v_cmp_gt_f32_e32 vcc, s33, v55
	v_mul_f32_e32 v54, v162, v59
	v_cndmask_b32_e64 v54, 0, v54, s[76:77]
	v_cndmask_b32_e32 v55, 0, v141, vcc
	v_fmac_f32_e32 v55, v8, v153
	v_exp_f32_e32 v55, v55
	v_cndmask_b32_e32 v56, 1.0, v142, vcc
	v_mul_f32_e32 v56, v55, v56
	v_cndmask_b32_e64 v73, 1.0, v56, s[78:79]
	v_mul_f32_e32 v56, v8, v154
	v_cmp_gt_f32_e32 vcc, s33, v56
	v_mul_f32_e32 v55, v161, v60
	v_cndmask_b32_e64 v55, 0, v55, s[78:79]
	;; [unrolled: 10-line block ×4, first 2 shown]
	v_cndmask_b32_e32 v56, 0, v141, vcc
	v_fmac_f32_e32 v56, v8, v156
	v_exp_f32_e32 v56, v56
	v_cndmask_b32_e32 v57, 1.0, v142, vcc
	v_mul_f32_e32 v57, v56, v57
	v_mul_f32_e32 v56, v158, v64
	v_cndmask_b32_e64 v64, 1.0, v57, s[84:85]
	v_mul_f32_e32 v57, v8, v157
	v_cmp_gt_f32_e32 vcc, s33, v57
	v_cndmask_b32_e64 v56, 0, v56, s[84:85]
	s_nop 0
	v_cndmask_b32_e32 v57, 0, v141, vcc
	v_fmac_f32_e32 v57, v8, v157
	v_cndmask_b32_e32 v60, 1.0, v142, vcc
	v_mul_f32_e32 v8, v16, v68
	v_cmp_gt_f32_e32 vcc, s33, v66
	v_cndmask_b32_e64 v61, 0, v8, s[90:91]
	v_exp_f32_e32 v57, v57
	v_cndmask_b32_e32 v8, 0, v141, vcc
	v_add_f32_e32 v8, v66, v8
	v_exp_f32_e32 v8, v8
	v_cndmask_b32_e32 v63, 1.0, v142, vcc
	v_cmp_gt_f32_e32 vcc, s33, v67
	v_mul_f32_e32 v60, v57, v60
	v_mul_f32_e32 v8, v8, v63
	v_cndmask_b32_e32 v63, 0, v141, vcc
	v_add_f32_e32 v63, v67, v63
	v_exp_f32_e32 v63, v63
	v_mul_f32_e32 v57, v27, v65
	v_cndmask_b32_e32 v65, 1.0, v142, vcc
	v_cndmask_b32_e64 v66, 1.0, v8, s[90:91]
	v_mul_f32_e32 v65, v63, v65
	v_cndmask_b32_e64 v63, 0, v62, s[88:89]
	v_mul_f32_e32 v8, v131, v130
	v_fma_f32 v62, v131, v129, v9
	v_mul_f32_e32 v8, v8, v132
	v_fma_f32 v62, v62, v132, v10
	;; [unrolled: 2-line block ×11, first 2 shown]
	v_cndmask_b32_e64 v57, 0, v57, s[86:87]
	v_cndmask_b32_e64 v60, 1.0, v60, s[86:87]
	v_fma_f32 v8, v8, v64, v56
	v_cndmask_b32_e64 v67, 1.0, v65, s[88:89]
	v_fma_f32 v69, v8, v60, v57
	v_mov_b32_e32 v65, v66
	v_pk_mul_f32 v[76:77], v[68:69], v[64:65]
	v_pk_fma_f32 v[68:69], v[68:69], v[64:65], v[60:61]
	v_pk_mul_f32 v[76:77], v[76:77], v[60:61]
	v_mov_b32_e32 v70, v67
	v_mov_b32_e32 v77, v69
	;; [unrolled: 1-line block ×3, first 2 shown]
	v_pk_mul_f32 v[68:69], v[76:77], v[66:67]
	v_mov_b32_e32 v62, v67
	v_pk_mul_f32 v[70:71], v[68:69], v[70:71]
	v_pk_fma_f32 v[68:69], v[76:77], v[66:67], v[62:63]
	s_nop 0
	v_mov_b32_dpp v8, v70 row_shr:1 row_mask:0xf bank_mask:0xf
	v_mov_b32_dpp v62, v69 row_shr:1 row_mask:0xf bank_mask:0xf
	v_mul_f32_e32 v65, v70, v8
	v_fma_f32 v62, v70, v62, v69
	v_cndmask_b32_e64 v68, v65, v70, s[0:1]
	v_cndmask_b32_e64 v71, v62, v69, s[0:1]
	;; [unrolled: 1-line block ×4, first 2 shown]
	v_mov_b32_dpp v65, v71 row_shr:2 row_mask:0xf bank_mask:0xf
	v_mov_b32_dpp v62, v70 row_shr:2 row_mask:0xf bank_mask:0xf
	s_and_saveexec_b64 s[2:3], s[10:11]
; %bb.181:                              ;   in Loop: Header=BB60_110 Depth=2
	v_fmac_f32_e32 v71, v70, v65
	v_mul_f32_e32 v70, v70, v62
	v_mov_b32_e32 v68, v70
	v_mov_b32_e32 v8, v71
; %bb.182:                              ;   in Loop: Header=BB60_110 Depth=2
	s_or_b64 exec, exec, s[2:3]
	v_readlane_b32 s10, v166, 41
	v_mov_b32_dpp v62, v70 row_shr:4 row_mask:0xf bank_mask:0xf
	v_mov_b32_dpp v65, v71 row_shr:4 row_mask:0xf bank_mask:0xf
	v_readlane_b32 s11, v166, 42
	s_and_saveexec_b64 s[2:3], s[10:11]
; %bb.183:                              ;   in Loop: Header=BB60_110 Depth=2
	v_fmac_f32_e32 v71, v70, v65
	v_mul_f32_e32 v70, v70, v62
	v_mov_b32_e32 v68, v70
	v_mov_b32_e32 v8, v71
; %bb.184:                              ;   in Loop: Header=BB60_110 Depth=2
	s_or_b64 exec, exec, s[2:3]
	v_readlane_b32 s10, v166, 43
	v_mov_b32_dpp v62, v70 row_shr:8 row_mask:0xf bank_mask:0xf
	v_mov_b32_dpp v65, v71 row_shr:8 row_mask:0xf bank_mask:0xf
	v_readlane_b32 s11, v166, 44
	s_and_saveexec_b64 s[2:3], s[10:11]
; %bb.185:                              ;   in Loop: Header=BB60_110 Depth=2
	v_fmac_f32_e32 v71, v70, v65
	v_mul_f32_e32 v70, v70, v62
	v_mov_b32_e32 v68, v70
	v_mov_b32_e32 v8, v71
; %bb.186:                              ;   in Loop: Header=BB60_110 Depth=2
	s_or_b64 exec, exec, s[2:3]
	v_readlane_b32 s10, v166, 45
	v_mov_b32_dpp v62, v70 row_bcast:15 row_mask:0xf bank_mask:0xf
	v_mov_b32_dpp v65, v71 row_bcast:15 row_mask:0xf bank_mask:0xf
	v_readlane_b32 s11, v166, 46
	s_and_saveexec_b64 s[2:3], s[10:11]
; %bb.187:                              ;   in Loop: Header=BB60_110 Depth=2
	v_fmac_f32_e32 v71, v70, v65
	v_mul_f32_e32 v70, v70, v62
	v_mov_b32_e32 v68, v70
	v_mov_b32_e32 v8, v71
; %bb.188:                              ;   in Loop: Header=BB60_110 Depth=2
	s_or_b64 exec, exec, s[2:3]
	v_readlane_b32 s10, v166, 53
	v_mov_b32_dpp v65, v70 row_bcast:31 row_mask:0xf bank_mask:0xf
	v_mov_b32_dpp v62, v71 row_bcast:31 row_mask:0xf bank_mask:0xf
	v_readlane_b32 s11, v166, 54
	s_and_saveexec_b64 s[2:3], s[10:11]
; %bb.189:                              ;   in Loop: Header=BB60_110 Depth=2
	v_fmac_f32_e32 v71, v70, v62
	v_mul_f32_e32 v68, v70, v65
	v_mov_b32_e32 v69, v71
	v_mov_b32_e32 v8, v71
	v_mov_b64_e32 v[70:71], v[68:69]
; %bb.190:                              ;   in Loop: Header=BB60_110 Depth=2
	s_or_b64 exec, exec, s[2:3]
	v_readlane_b32 s10, v166, 47
	v_readlane_b32 s11, v166, 48
	s_and_saveexec_b64 s[2:3], s[10:11]
	s_cbranch_execz .LBB60_192
; %bb.191:                              ;   in Loop: Header=BB60_110 Depth=2
	ds_write_b64 v121, v[70:71] offset:8448
.LBB60_192:                             ;   in Loop: Header=BB60_110 Depth=2
	s_or_b64 exec, exec, s[2:3]
	v_readlane_b32 s10, v166, 55
	v_readlane_b32 s11, v166, 56
	s_waitcnt lgkmcnt(0)
	s_barrier
	s_and_saveexec_b64 s[2:3], s[10:11]
	s_cbranch_execz .LBB60_194
; %bb.193:                              ;   in Loop: Header=BB60_110 Depth=2
	ds_read_b64 v[70:71], v122 offset:8448
	v_readlane_b32 s10, v166, 49
	v_readlane_b32 s11, v166, 50
	s_waitcnt lgkmcnt(0)
	v_mov_b32_dpp v62, v70 row_shr:1 row_mask:0xf bank_mask:0xf
	v_mov_b32_dpp v65, v71 row_shr:1 row_mask:0xf bank_mask:0xf
	v_fma_f32 v65, v70, v65, v71
	v_mul_f32_e32 v62, v70, v62
	v_cndmask_b32_e64 v70, v62, v70, s[10:11]
	v_cndmask_b32_e64 v71, v65, v71, s[10:11]
	ds_write_b64 v122, v[70:71] offset:8448
.LBB60_194:                             ;   in Loop: Header=BB60_110 Depth=2
	s_or_b64 exec, exec, s[2:3]
	s_waitcnt lgkmcnt(0)
	s_barrier
	s_waitcnt lgkmcnt(0)
                                        ; implicit-def: $vgpr70
	s_and_saveexec_b64 s[2:3], s[20:21]
	s_cbranch_execz .LBB60_196
; %bb.195:                              ;   in Loop: Header=BB60_110 Depth=2
	ds_read_b64 v[70:71], v121 offset:8440
	s_waitcnt lgkmcnt(0)
	v_mul_f32_e32 v62, v68, v70
	v_fmac_f32_e32 v8, v68, v71
	v_mov_b32_e32 v68, v62
.LBB60_196:                             ;   in Loop: Header=BB60_110 Depth=2
	s_or_b64 exec, exec, s[2:3]
	ds_bpermute_b32 v62, v123, v68
	ds_bpermute_b32 v8, v123, v8
	v_readlane_b32 s10, v166, 57
	s_waitcnt vmcnt(0)
	v_mov_b32_e32 v69, v53
	v_readlane_b32 s11, v166, 58
	s_and_saveexec_b64 s[2:3], s[10:11]
	s_cbranch_execz .LBB60_200
; %bb.197:                              ;   in Loop: Header=BB60_110 Depth=2
	ds_read_b64 v[68:69], v17 offset:8456
	s_and_saveexec_b64 vcc, s[22:23]
	s_cbranch_execz .LBB60_199
; %bb.198:                              ;   in Loop: Header=BB60_110 Depth=2
	ds_write_b64 v17, v[52:53] offset:8456
.LBB60_199:                             ;   in Loop: Header=BB60_110 Depth=2
	s_or_b64 exec, exec, vcc
	s_waitcnt lgkmcnt(0)
	v_fmac_f32_e32 v69, v53, v68
	v_mul_f32_e32 v52, v52, v68
	v_mov_b32_e32 v53, v69
.LBB60_200:                             ;   in Loop: Header=BB60_110 Depth=2
	s_or_b64 exec, exec, s[2:3]
	s_waitcnt lgkmcnt(0)
	s_barrier
	ds_read_b32 v65, v17 offset:8460
	s_and_saveexec_b64 s[2:3], s[22:23]
	s_cbranch_execz .LBB60_109
; %bb.201:                              ;   in Loop: Header=BB60_110 Depth=2
	v_mov_b32_e32 v68, s9
	s_andn2_b64 vcc, exec, s[96:97]
	ds_write_b64 v68, v[52:53]
	s_cbranch_vccnz .LBB60_109
; %bb.202:                              ;   in Loop: Header=BB60_110 Depth=2
	s_mov_b32 s5, s7
	s_lshl_b64 s[10:11], s[4:5], 2
	v_readlane_b32 s5, v166, 21
	s_add_u32 s10, s5, s10
	v_readlane_b32 s5, v166, 22
	s_addc_u32 s11, s5, s11
	global_store_dword v17, v69, s[10:11]
	s_branch .LBB60_109
.LBB60_203:                             ;   in Loop: Header=BB60_13 Depth=1
	s_mov_b32 s6, 0x41a00000
	s_mov_b32 s8, 0x3fb8aa3b
	;; [unrolled: 1-line block ×8, first 2 shown]
.LBB60_204:                             ;   in Loop: Header=BB60_13 Depth=1
	v_bfe_u32 v0, v44, 16, 1
	s_movk_i32 s2, 0x7fff
	v_bfe_u32 v1, v45, 16, 1
	v_add3_u32 v0, v44, v0, s2
	v_bfe_u32 v2, v42, 16, 1
	v_add3_u32 v1, v45, v1, s2
	v_lshrrev_b32_e32 v0, 16, v0
	v_cmp_o_f32_e32 vcc, v44, v44
	v_bfe_u32 v3, v43, 16, 1
	v_add3_u32 v2, v42, v2, s2
	v_lshrrev_b32_e32 v1, 16, v1
	v_cndmask_b32_e32 v0, v143, v0, vcc
	v_cmp_o_f32_e32 vcc, v45, v45
	v_add3_u32 v3, v43, v3, s2
	v_lshrrev_b32_e32 v2, 16, v2
	v_cndmask_b32_e32 v4, v143, v1, vcc
	v_cmp_o_f32_e32 vcc, v42, v42
	v_lshrrev_b32_e32 v3, 16, v3
	v_bfe_u32 v6, v38, 16, 1
	v_cndmask_b32_e32 v1, v143, v2, vcc
	v_cmp_o_f32_e32 vcc, v43, v43
	v_bfe_u32 v2, v40, 16, 1
	v_add3_u32 v2, v40, v2, s2
	v_cndmask_b32_e32 v5, v143, v3, vcc
	v_bfe_u32 v3, v41, 16, 1
	v_add3_u32 v3, v41, v3, s2
	v_lshrrev_b32_e32 v2, 16, v2
	v_cmp_o_f32_e32 vcc, v40, v40
	v_bfe_u32 v7, v39, 16, 1
	v_add3_u32 v6, v38, v6, s2
	v_lshrrev_b32_e32 v3, 16, v3
	v_cndmask_b32_e32 v2, v143, v2, vcc
	v_cmp_o_f32_e32 vcc, v41, v41
	v_add3_u32 v7, v39, v7, s2
	v_lshrrev_b32_e32 v6, 16, v6
	v_cndmask_b32_e32 v8, v143, v3, vcc
	v_cmp_o_f32_e32 vcc, v38, v38
	v_lshrrev_b32_e32 v7, 16, v7
	s_mov_b32 s3, 0x5040100
	v_cndmask_b32_e32 v3, v143, v6, vcc
	v_cmp_o_f32_e32 vcc, v39, v39
	v_perm_b32 v2, v8, v2, s3
	v_perm_b32 v1, v5, v1, s3
	v_cndmask_b32_e32 v6, v143, v7, vcc
	v_perm_b32 v3, v6, v3, s3
	v_perm_b32 v0, v4, v0, s3
	s_barrier
	ds_write_b128 v119, v[0:3]
	v_bfe_u32 v0, v36, 16, 1
	v_bfe_u32 v1, v37, 16, 1
	v_add3_u32 v0, v36, v0, s2
	v_bfe_u32 v2, v34, 16, 1
	v_add3_u32 v1, v37, v1, s2
	v_lshrrev_b32_e32 v0, 16, v0
	v_cmp_o_f32_e32 vcc, v36, v36
	v_bfe_u32 v3, v35, 16, 1
	v_add3_u32 v2, v34, v2, s2
	v_lshrrev_b32_e32 v1, 16, v1
	v_cndmask_b32_e32 v0, v143, v0, vcc
	v_cmp_o_f32_e32 vcc, v37, v37
	v_add3_u32 v3, v35, v3, s2
	v_lshrrev_b32_e32 v2, 16, v2
	v_cndmask_b32_e32 v4, v143, v1, vcc
	v_cmp_o_f32_e32 vcc, v34, v34
	v_lshrrev_b32_e32 v3, 16, v3
	v_bfe_u32 v6, v30, 16, 1
	v_cndmask_b32_e32 v1, v143, v2, vcc
	v_cmp_o_f32_e32 vcc, v35, v35
	v_bfe_u32 v2, v32, 16, 1
	v_add3_u32 v2, v32, v2, s2
	v_cndmask_b32_e32 v5, v143, v3, vcc
	v_bfe_u32 v3, v33, 16, 1
	v_add3_u32 v3, v33, v3, s2
	v_lshrrev_b32_e32 v2, 16, v2
	v_cmp_o_f32_e32 vcc, v32, v32
	v_bfe_u32 v7, v31, 16, 1
	v_add3_u32 v6, v30, v6, s2
	v_lshrrev_b32_e32 v3, 16, v3
	v_cndmask_b32_e32 v2, v143, v2, vcc
	v_cmp_o_f32_e32 vcc, v33, v33
	v_add3_u32 v7, v31, v7, s2
	v_lshrrev_b32_e32 v6, 16, v6
	v_cndmask_b32_e32 v8, v143, v3, vcc
	v_cmp_o_f32_e32 vcc, v30, v30
	v_lshrrev_b32_e32 v7, 16, v7
	v_perm_b32 v2, v8, v2, s3
	v_cndmask_b32_e32 v3, v143, v6, vcc
	v_cmp_o_f32_e32 vcc, v31, v31
	v_perm_b32 v1, v5, v1, s3
	v_perm_b32 v0, v4, v0, s3
	v_cndmask_b32_e32 v6, v143, v7, vcc
	v_perm_b32 v3, v6, v3, s3
	ds_write_b128 v119, v[0:3] offset:16
	; wave barrier
	ds_read_u16 v16, v89 offset:128
	ds_read_u16 v15, v90 offset:256
	ds_read_u16 v14, v91 offset:384
	ds_read_u16 v13, v92 offset:512
	ds_read_u16 v12, v93 offset:640
	ds_read_u16 v11, v94 offset:768
	ds_read_u16 v10, v95 offset:896
	ds_read_u16 v9, v96 offset:1024
	ds_read_u16 v8, v97 offset:1152
	ds_read_u16 v7, v98 offset:1280
	ds_read_u16 v6, v99 offset:1408
	ds_read_u16 v5, v100 offset:1536
	ds_read_u16 v4, v113 offset:1664
	ds_read_u16 v3, v115 offset:1792
	ds_read_u16 v2, v117 offset:1920
	v_readlane_b32 s2, v166, 61
	v_readlane_b32 s3, v166, 62
	s_mov_b32 s3, s7
	s_mov_b64 s[18:19], s[2:3]
	v_lshl_add_u64 v[0:1], s[2:3], 1, v[20:21]
	s_and_saveexec_b64 s[2:3], s[26:27]
	s_cbranch_execnz .LBB60_271
; %bb.205:                              ;   in Loop: Header=BB60_13 Depth=1
	s_or_b64 exec, exec, s[2:3]
	s_and_saveexec_b64 s[2:3], s[28:29]
	s_cbranch_execnz .LBB60_272
.LBB60_206:                             ;   in Loop: Header=BB60_13 Depth=1
	s_or_b64 exec, exec, s[2:3]
	s_and_saveexec_b64 s[2:3], s[30:31]
	s_cbranch_execnz .LBB60_273
.LBB60_207:                             ;   in Loop: Header=BB60_13 Depth=1
	s_or_b64 exec, exec, s[2:3]
	s_and_saveexec_b64 s[2:3], s[34:35]
	s_cbranch_execnz .LBB60_274
.LBB60_208:                             ;   in Loop: Header=BB60_13 Depth=1
	s_or_b64 exec, exec, s[2:3]
	s_and_saveexec_b64 s[2:3], s[36:37]
	s_cbranch_execnz .LBB60_275
.LBB60_209:                             ;   in Loop: Header=BB60_13 Depth=1
	s_or_b64 exec, exec, s[2:3]
	s_and_saveexec_b64 s[2:3], s[38:39]
	s_cbranch_execnz .LBB60_276
.LBB60_210:                             ;   in Loop: Header=BB60_13 Depth=1
	s_or_b64 exec, exec, s[2:3]
	s_and_saveexec_b64 s[2:3], s[40:41]
	s_cbranch_execnz .LBB60_277
.LBB60_211:                             ;   in Loop: Header=BB60_13 Depth=1
	s_or_b64 exec, exec, s[2:3]
	s_and_saveexec_b64 s[2:3], s[42:43]
	s_cbranch_execnz .LBB60_278
.LBB60_212:                             ;   in Loop: Header=BB60_13 Depth=1
	s_or_b64 exec, exec, s[2:3]
	s_and_saveexec_b64 s[2:3], s[44:45]
	s_cbranch_execnz .LBB60_279
.LBB60_213:                             ;   in Loop: Header=BB60_13 Depth=1
	s_or_b64 exec, exec, s[2:3]
	s_and_saveexec_b64 s[2:3], s[46:47]
	s_cbranch_execnz .LBB60_280
.LBB60_214:                             ;   in Loop: Header=BB60_13 Depth=1
	s_or_b64 exec, exec, s[2:3]
	s_and_saveexec_b64 s[2:3], s[48:49]
	s_cbranch_execnz .LBB60_281
.LBB60_215:                             ;   in Loop: Header=BB60_13 Depth=1
	s_or_b64 exec, exec, s[2:3]
	s_and_saveexec_b64 s[2:3], s[50:51]
	s_cbranch_execnz .LBB60_282
.LBB60_216:                             ;   in Loop: Header=BB60_13 Depth=1
	s_or_b64 exec, exec, s[2:3]
	s_and_saveexec_b64 s[2:3], s[52:53]
	s_cbranch_execnz .LBB60_283
.LBB60_217:                             ;   in Loop: Header=BB60_13 Depth=1
	s_or_b64 exec, exec, s[2:3]
	s_and_saveexec_b64 s[2:3], s[54:55]
	s_cbranch_execnz .LBB60_284
.LBB60_218:                             ;   in Loop: Header=BB60_13 Depth=1
	s_or_b64 exec, exec, s[2:3]
	s_and_saveexec_b64 s[2:3], s[56:57]
	s_cbranch_execnz .LBB60_285
.LBB60_219:                             ;   in Loop: Header=BB60_13 Depth=1
	s_or_b64 exec, exec, s[2:3]
	s_and_saveexec_b64 s[2:3], s[58:59]
	s_cbranch_execz .LBB60_221
.LBB60_220:                             ;   in Loop: Header=BB60_13 Depth=1
	s_waitcnt lgkmcnt(0)
	global_store_short v[0:1], v2, off offset:1920
.LBB60_221:                             ;   in Loop: Header=BB60_13 Depth=1
	s_or_b64 exec, exec, s[2:3]
	v_lshl_add_u64 v[0:1], s[18:19], 1, v[22:23]
	s_waitcnt lgkmcnt(0)
	v_mov_b32_e32 v2, 0
	v_mov_b32_e32 v3, 0
	s_barrier
	s_and_saveexec_b64 s[2:3], s[26:27]
	s_cbranch_execz .LBB60_223
; %bb.222:                              ;   in Loop: Header=BB60_13 Depth=1
	global_load_ushort v3, v[0:1], off
.LBB60_223:                             ;   in Loop: Header=BB60_13 Depth=1
	s_or_b64 exec, exec, s[2:3]
	s_and_saveexec_b64 s[2:3], s[28:29]
	s_cbranch_execz .LBB60_225
; %bb.224:                              ;   in Loop: Header=BB60_13 Depth=1
	global_load_ushort v2, v[0:1], off offset:128
.LBB60_225:                             ;   in Loop: Header=BB60_13 Depth=1
	s_or_b64 exec, exec, s[2:3]
	v_mov_b32_e32 v4, 0
	v_mov_b32_e32 v5, 0
	s_and_saveexec_b64 s[2:3], s[30:31]
	s_cbranch_execz .LBB60_227
; %bb.226:                              ;   in Loop: Header=BB60_13 Depth=1
	global_load_ushort v5, v[0:1], off offset:256
.LBB60_227:                             ;   in Loop: Header=BB60_13 Depth=1
	s_or_b64 exec, exec, s[2:3]
	s_and_saveexec_b64 s[2:3], s[34:35]
	s_cbranch_execz .LBB60_229
; %bb.228:                              ;   in Loop: Header=BB60_13 Depth=1
	global_load_ushort v4, v[0:1], off offset:384
.LBB60_229:                             ;   in Loop: Header=BB60_13 Depth=1
	s_or_b64 exec, exec, s[2:3]
	v_mov_b32_e32 v6, 0
	v_mov_b32_e32 v7, 0
	s_and_saveexec_b64 s[2:3], s[36:37]
	s_cbranch_execz .LBB60_231
; %bb.230:                              ;   in Loop: Header=BB60_13 Depth=1
	global_load_ushort v7, v[0:1], off offset:512
.LBB60_231:                             ;   in Loop: Header=BB60_13 Depth=1
	;; [unrolled: 14-line block ×7, first 2 shown]
	s_or_b64 exec, exec, s[2:3]
	s_and_saveexec_b64 s[2:3], s[58:59]
	s_cbranch_execz .LBB60_253
; %bb.252:                              ;   in Loop: Header=BB60_13 Depth=1
	global_load_ushort v16, v[0:1], off offset:1920
.LBB60_253:                             ;   in Loop: Header=BB60_13 Depth=1
	s_or_b64 exec, exec, s[2:3]
	s_waitcnt vmcnt(0)
	ds_write_b16 v88, v3
	ds_write_b16 v89, v2 offset:128
	ds_write_b16 v90, v5 offset:256
	;; [unrolled: 1-line block ×15, first 2 shown]
	; wave barrier
	ds_read_b128 v[4:7], v119
	ds_read_b128 v[0:3], v119 offset:16
	s_mov_b32 s5, 0xbfb8aa3b
	s_mov_b32 s14, 0x42ce8ed0
	;; [unrolled: 1-line block ×3, first 2 shown]
	s_waitcnt lgkmcnt(1)
	v_and_b32_e32 v11, 0xffff0000, v5
	v_and_b32_e32 v10, 0xffff0000, v4
	v_lshlrev_b32_e32 v12, 16, v4
	v_mul_f32_e32 v4, 0xbfb8aa3b, v11
	v_lshlrev_b32_e32 v13, 16, v5
	v_fma_f32 v5, v11, s5, -v4
	v_rndne_f32_e32 v8, v4
	v_fmac_f32_e32 v5, 0xb2a5705f, v11
	v_sub_f32_e32 v4, v4, v8
	v_add_f32_e32 v4, v4, v5
	v_exp_f32_e32 v4, v4
	v_cvt_i32_f32_e32 v5, v8
	v_cmp_nlt_f32_e32 vcc, s14, v11
	s_movk_i32 s4, 0x7fff
	s_waitcnt lgkmcnt(0)
	v_ldexp_f32 v4, v4, v5
	v_cndmask_b32_e32 v4, 0, v4, vcc
	v_cmp_ngt_f32_e32 vcc, s15, v11
	s_barrier
	s_nop 0
	v_cndmask_b32_e32 v5, v140, v4, vcc
	v_mul_f32_e32 v4, 0xbfb8aa3b, v10
	v_fma_f32 v8, v10, s5, -v4
	v_rndne_f32_e32 v9, v4
	v_fmac_f32_e32 v8, 0xb2a5705f, v10
	v_sub_f32_e32 v4, v4, v9
	v_add_f32_e32 v4, v4, v8
	v_exp_f32_e32 v4, v4
	v_cvt_i32_f32_e32 v8, v9
	v_cmp_nlt_f32_e32 vcc, s14, v10
	v_ldexp_f32 v4, v4, v8
	s_nop 0
	v_cndmask_b32_e32 v4, 0, v4, vcc
	v_cmp_ngt_f32_e32 vcc, s15, v10
	s_nop 1
	v_cndmask_b32_e32 v9, v140, v4, vcc
	v_mul_f32_e32 v4, 0xbfb8aa3b, v13
	v_rndne_f32_e32 v8, v4
	v_sub_f32_e32 v14, v4, v8
	v_fma_f32 v4, v13, s5, -v4
	v_fmac_f32_e32 v4, 0xb2a5705f, v13
	v_add_f32_e32 v4, v14, v4
	v_exp_f32_e32 v4, v4
	v_cvt_i32_f32_e32 v8, v8
	v_cmp_nlt_f32_e32 vcc, s14, v13
	v_ldexp_f32 v4, v4, v8
	v_mul_f32_e32 v8, 0xbfb8aa3b, v12
	v_rndne_f32_e32 v14, v8
	v_sub_f32_e32 v15, v8, v14
	v_fma_f32 v8, v12, s5, -v8
	v_fmac_f32_e32 v8, 0xb2a5705f, v12
	v_add_f32_e32 v8, v15, v8
	v_exp_f32_e32 v8, v8
	v_cvt_i32_f32_e32 v14, v14
	v_cndmask_b32_e32 v4, 0, v4, vcc
	v_cmp_ngt_f32_e32 vcc, s15, v13
	v_ldexp_f32 v8, v8, v14
	s_nop 0
	v_cndmask_b32_e32 v4, v140, v4, vcc
	v_pk_add_f32 v[4:5], v[4:5], 1.0 op_sel_hi:[1,0]
	v_cmp_nlt_f32_e32 vcc, s14, v12
	v_div_scale_f32 v14, s[2:3], v5, v5, v11
	v_rcp_f32_e32 v15, v14
	v_cndmask_b32_e32 v8, 0, v8, vcc
	v_cmp_ngt_f32_e32 vcc, s15, v12
	v_fma_f32 v16, -v14, v15, 1.0
	s_nop 0
	v_cndmask_b32_e32 v8, v140, v8, vcc
	v_fmac_f32_e32 v15, v16, v15
	v_div_scale_f32 v16, vcc, v11, v5, v11
	v_mul_f32_e32 v27, v16, v15
	v_fma_f32 v29, -v14, v27, v16
	v_fmac_f32_e32 v27, v29, v15
	v_fma_f32 v14, -v14, v27, v16
	v_div_fmas_f32 v14, v14, v15, v27
	v_div_fixup_f32 v5, v14, v5, v11
	v_div_scale_f32 v11, s[2:3], v4, v4, v13
	v_rcp_f32_e32 v14, v11
	v_pk_add_f32 v[8:9], v[8:9], 1.0 op_sel_hi:[1,0]
	v_fma_f32 v15, -v11, v14, 1.0
	v_fmac_f32_e32 v14, v15, v14
	v_div_scale_f32 v15, vcc, v13, v4, v13
	v_mul_f32_e32 v16, v15, v14
	v_fma_f32 v27, -v11, v16, v15
	v_fmac_f32_e32 v16, v27, v14
	v_fma_f32 v11, -v11, v16, v15
	v_div_fmas_f32 v11, v11, v14, v16
	v_div_fixup_f32 v4, v11, v4, v13
	v_div_scale_f32 v11, s[2:3], v9, v9, v10
	v_rcp_f32_e32 v13, v11
	s_nop 0
	v_fma_f32 v14, -v11, v13, 1.0
	v_fmac_f32_e32 v13, v14, v13
	v_div_scale_f32 v14, vcc, v10, v9, v10
	v_mul_f32_e32 v15, v14, v13
	v_fma_f32 v16, -v11, v15, v14
	v_fmac_f32_e32 v15, v16, v13
	v_fma_f32 v11, -v11, v15, v14
	v_div_fmas_f32 v11, v11, v13, v15
	v_div_fixup_f32 v9, v11, v9, v10
	v_div_scale_f32 v10, s[2:3], v8, v8, v12
	v_rcp_f32_e32 v11, v10
	s_nop 0
	v_fma_f32 v13, -v10, v11, 1.0
	v_fmac_f32_e32 v11, v13, v11
	v_div_scale_f32 v13, vcc, v12, v8, v12
	v_mul_f32_e32 v14, v13, v11
	v_fma_f32 v15, -v10, v14, v13
	v_fmac_f32_e32 v14, v15, v11
	v_fma_f32 v10, -v10, v14, v13
	v_div_fmas_f32 v10, v10, v11, v14
	v_div_fixup_f32 v8, v10, v8, v12
	v_pk_mul_f32 v[8:9], v[44:45], v[8:9]
	v_pk_mul_f32 v[10:11], v[42:43], v[4:5]
	v_bfe_u32 v4, v8, 16, 1
	v_bfe_u32 v5, v9, 16, 1
	v_add3_u32 v4, v8, v4, s4
	v_bfe_u32 v12, v10, 16, 1
	v_add3_u32 v5, v9, v5, s4
	v_lshrrev_b32_e32 v4, 16, v4
	v_cmp_o_f32_e32 vcc, v8, v8
	v_bfe_u32 v13, v11, 16, 1
	v_add3_u32 v12, v10, v12, s4
	v_lshrrev_b32_e32 v5, 16, v5
	v_cndmask_b32_e32 v4, v143, v4, vcc
	v_cmp_o_f32_e32 vcc, v9, v9
	v_add3_u32 v13, v11, v13, s4
	v_lshrrev_b32_e32 v12, 16, v12
	v_cndmask_b32_e32 v5, v143, v5, vcc
	v_cmp_o_f32_e32 vcc, v10, v10
	v_lshrrev_b32_e32 v13, 16, v13
	v_lshlrev_b32_e32 v14, 16, v6
	v_cndmask_b32_e32 v8, v143, v12, vcc
	v_cmp_o_f32_e32 vcc, v11, v11
	v_and_b32_e32 v12, 0xffff0000, v6
	v_lshlrev_b32_e32 v15, 16, v7
	v_cndmask_b32_e32 v9, v143, v13, vcc
	v_and_b32_e32 v13, 0xffff0000, v7
	v_mul_f32_e32 v6, 0xbfb8aa3b, v13
	v_fma_f32 v7, v13, s5, -v6
	v_rndne_f32_e32 v10, v6
	v_fmac_f32_e32 v7, 0xb2a5705f, v13
	v_sub_f32_e32 v6, v6, v10
	v_add_f32_e32 v6, v6, v7
	v_exp_f32_e32 v6, v6
	v_cvt_i32_f32_e32 v7, v10
	v_cmp_nlt_f32_e32 vcc, s14, v13
	v_ldexp_f32 v6, v6, v7
	s_nop 0
	v_cndmask_b32_e32 v6, 0, v6, vcc
	v_cmp_ngt_f32_e32 vcc, s15, v13
	s_nop 1
	v_cndmask_b32_e32 v7, v140, v6, vcc
	v_mul_f32_e32 v6, 0xbfb8aa3b, v12
	v_fma_f32 v10, v12, s5, -v6
	v_rndne_f32_e32 v11, v6
	v_fmac_f32_e32 v10, 0xb2a5705f, v12
	v_sub_f32_e32 v6, v6, v11
	v_add_f32_e32 v6, v6, v10
	v_exp_f32_e32 v6, v6
	v_cvt_i32_f32_e32 v10, v11
	v_cmp_nlt_f32_e32 vcc, s14, v12
	v_ldexp_f32 v6, v6, v10
	s_nop 0
	v_cndmask_b32_e32 v6, 0, v6, vcc
	v_cmp_ngt_f32_e32 vcc, s15, v12
	s_nop 1
	v_cndmask_b32_e32 v11, v140, v6, vcc
	v_mul_f32_e32 v6, 0xbfb8aa3b, v15
	v_rndne_f32_e32 v10, v6
	v_sub_f32_e32 v16, v6, v10
	v_fma_f32 v6, v15, s5, -v6
	v_fmac_f32_e32 v6, 0xb2a5705f, v15
	v_add_f32_e32 v6, v16, v6
	v_exp_f32_e32 v6, v6
	v_cvt_i32_f32_e32 v10, v10
	v_cmp_nlt_f32_e32 vcc, s14, v15
	v_ldexp_f32 v6, v6, v10
	v_mul_f32_e32 v10, 0xbfb8aa3b, v14
	v_rndne_f32_e32 v16, v10
	v_sub_f32_e32 v27, v10, v16
	v_fma_f32 v10, v14, s5, -v10
	v_fmac_f32_e32 v10, 0xb2a5705f, v14
	v_add_f32_e32 v10, v27, v10
	v_exp_f32_e32 v10, v10
	v_cvt_i32_f32_e32 v16, v16
	v_cndmask_b32_e32 v6, 0, v6, vcc
	v_cmp_ngt_f32_e32 vcc, s15, v15
	v_ldexp_f32 v10, v10, v16
	s_nop 0
	v_cndmask_b32_e32 v6, v140, v6, vcc
	v_pk_add_f32 v[6:7], v[6:7], 1.0 op_sel_hi:[1,0]
	v_cmp_nlt_f32_e32 vcc, s14, v14
	v_div_scale_f32 v16, s[2:3], v7, v7, v13
	v_rcp_f32_e32 v27, v16
	v_cndmask_b32_e32 v10, 0, v10, vcc
	v_cmp_ngt_f32_e32 vcc, s15, v14
	v_fma_f32 v29, -v16, v27, 1.0
	s_nop 0
	v_cndmask_b32_e32 v10, v140, v10, vcc
	v_fmac_f32_e32 v27, v29, v27
	v_div_scale_f32 v29, vcc, v13, v7, v13
	v_mul_f32_e32 v42, v29, v27
	v_fma_f32 v43, -v16, v42, v29
	v_fmac_f32_e32 v42, v43, v27
	v_fma_f32 v16, -v16, v42, v29
	v_div_fmas_f32 v16, v16, v27, v42
	v_div_fixup_f32 v7, v16, v7, v13
	v_div_scale_f32 v13, s[2:3], v6, v6, v15
	v_rcp_f32_e32 v16, v13
	v_pk_add_f32 v[10:11], v[10:11], 1.0 op_sel_hi:[1,0]
	v_fma_f32 v27, -v13, v16, 1.0
	v_fmac_f32_e32 v16, v27, v16
	v_div_scale_f32 v27, vcc, v15, v6, v15
	v_mul_f32_e32 v29, v27, v16
	v_fma_f32 v42, -v13, v29, v27
	v_fmac_f32_e32 v29, v42, v16
	v_fma_f32 v13, -v13, v29, v27
	v_div_fmas_f32 v13, v13, v16, v29
	v_div_fixup_f32 v6, v13, v6, v15
	v_div_scale_f32 v13, s[2:3], v11, v11, v12
	v_rcp_f32_e32 v15, v13
	s_nop 0
	v_fma_f32 v16, -v13, v15, 1.0
	v_fmac_f32_e32 v15, v16, v15
	v_div_scale_f32 v16, vcc, v12, v11, v12
	v_mul_f32_e32 v27, v16, v15
	v_fma_f32 v29, -v13, v27, v16
	v_fmac_f32_e32 v27, v29, v15
	v_fma_f32 v13, -v13, v27, v16
	v_div_fmas_f32 v13, v13, v15, v27
	v_div_fixup_f32 v11, v13, v11, v12
	v_div_scale_f32 v12, s[2:3], v10, v10, v14
	v_rcp_f32_e32 v13, v12
	s_nop 0
	v_fma_f32 v15, -v12, v13, 1.0
	v_fmac_f32_e32 v13, v15, v13
	v_div_scale_f32 v15, vcc, v14, v10, v14
	v_mul_f32_e32 v16, v15, v13
	v_fma_f32 v27, -v12, v16, v15
	v_fmac_f32_e32 v16, v27, v13
	v_fma_f32 v12, -v12, v16, v15
	v_div_fmas_f32 v12, v12, v13, v16
	v_div_fixup_f32 v10, v12, v10, v14
	v_pk_mul_f32 v[10:11], v[40:41], v[10:11]
	v_pk_mul_f32 v[12:13], v[38:39], v[6:7]
	v_bfe_u32 v6, v10, 16, 1
	v_bfe_u32 v7, v11, 16, 1
	v_add3_u32 v6, v10, v6, s4
	v_bfe_u32 v14, v12, 16, 1
	v_add3_u32 v7, v11, v7, s4
	v_lshrrev_b32_e32 v6, 16, v6
	v_cmp_o_f32_e32 vcc, v10, v10
	v_bfe_u32 v15, v13, 16, 1
	v_add3_u32 v14, v12, v14, s4
	v_lshrrev_b32_e32 v7, 16, v7
	v_cndmask_b32_e32 v6, v143, v6, vcc
	v_cmp_o_f32_e32 vcc, v11, v11
	v_add3_u32 v15, v13, v15, s4
	v_lshrrev_b32_e32 v14, 16, v14
	v_cndmask_b32_e32 v7, v143, v7, vcc
	v_cmp_o_f32_e32 vcc, v12, v12
	v_lshrrev_b32_e32 v15, 16, v15
	v_lshlrev_b32_e32 v16, 16, v0
	v_cndmask_b32_e32 v10, v143, v14, vcc
	v_cmp_o_f32_e32 vcc, v13, v13
	v_and_b32_e32 v14, 0xffff0000, v0
	v_lshlrev_b32_e32 v27, 16, v1
	v_cndmask_b32_e32 v11, v143, v15, vcc
	v_and_b32_e32 v15, 0xffff0000, v1
	v_mul_f32_e32 v0, 0xbfb8aa3b, v15
	v_fma_f32 v1, v15, s5, -v0
	v_rndne_f32_e32 v12, v0
	v_fmac_f32_e32 v1, 0xb2a5705f, v15
	v_sub_f32_e32 v0, v0, v12
	v_add_f32_e32 v0, v0, v1
	v_exp_f32_e32 v0, v0
	v_cvt_i32_f32_e32 v1, v12
	v_cmp_nlt_f32_e32 vcc, s14, v15
	v_ldexp_f32 v0, v0, v1
	s_nop 0
	v_cndmask_b32_e32 v0, 0, v0, vcc
	v_cmp_ngt_f32_e32 vcc, s15, v15
	s_nop 1
	v_cndmask_b32_e32 v1, v140, v0, vcc
	v_mul_f32_e32 v0, 0xbfb8aa3b, v14
	v_fma_f32 v12, v14, s5, -v0
	v_rndne_f32_e32 v13, v0
	v_fmac_f32_e32 v12, 0xb2a5705f, v14
	v_sub_f32_e32 v0, v0, v13
	v_add_f32_e32 v0, v0, v12
	v_exp_f32_e32 v0, v0
	v_cvt_i32_f32_e32 v12, v13
	v_cmp_nlt_f32_e32 vcc, s14, v14
	v_ldexp_f32 v0, v0, v12
	s_nop 0
	v_cndmask_b32_e32 v0, 0, v0, vcc
	v_cmp_ngt_f32_e32 vcc, s15, v14
	s_nop 1
	v_cndmask_b32_e32 v13, v140, v0, vcc
	v_mul_f32_e32 v0, 0xbfb8aa3b, v27
	v_rndne_f32_e32 v12, v0
	v_sub_f32_e32 v29, v0, v12
	v_fma_f32 v0, v27, s5, -v0
	v_fmac_f32_e32 v0, 0xb2a5705f, v27
	v_add_f32_e32 v0, v29, v0
	v_exp_f32_e32 v0, v0
	v_cvt_i32_f32_e32 v12, v12
	v_cmp_nlt_f32_e32 vcc, s14, v27
	v_ldexp_f32 v0, v0, v12
	v_mul_f32_e32 v12, 0xbfb8aa3b, v16
	v_rndne_f32_e32 v29, v12
	v_sub_f32_e32 v38, v12, v29
	v_fma_f32 v12, v16, s5, -v12
	v_fmac_f32_e32 v12, 0xb2a5705f, v16
	v_add_f32_e32 v12, v38, v12
	v_exp_f32_e32 v12, v12
	v_cvt_i32_f32_e32 v29, v29
	v_cndmask_b32_e32 v0, 0, v0, vcc
	v_cmp_ngt_f32_e32 vcc, s15, v27
	v_ldexp_f32 v12, v12, v29
	s_nop 0
	v_cndmask_b32_e32 v0, v140, v0, vcc
	v_pk_add_f32 v[0:1], v[0:1], 1.0 op_sel_hi:[1,0]
	v_cmp_nlt_f32_e32 vcc, s14, v16
	v_div_scale_f32 v29, s[2:3], v1, v1, v15
	v_rcp_f32_e32 v38, v29
	v_cndmask_b32_e32 v12, 0, v12, vcc
	v_cmp_ngt_f32_e32 vcc, s15, v16
	v_fma_f32 v39, -v29, v38, 1.0
	s_nop 0
	v_cndmask_b32_e32 v12, v140, v12, vcc
	v_fmac_f32_e32 v38, v39, v38
	v_div_scale_f32 v39, vcc, v15, v1, v15
	v_mul_f32_e32 v40, v39, v38
	v_fma_f32 v41, -v29, v40, v39
	v_fmac_f32_e32 v40, v41, v38
	v_fma_f32 v29, -v29, v40, v39
	v_div_fmas_f32 v29, v29, v38, v40
	v_div_fixup_f32 v1, v29, v1, v15
	v_div_scale_f32 v15, s[2:3], v0, v0, v27
	v_rcp_f32_e32 v29, v15
	v_pk_add_f32 v[12:13], v[12:13], 1.0 op_sel_hi:[1,0]
	v_fma_f32 v38, -v15, v29, 1.0
	v_fmac_f32_e32 v29, v38, v29
	v_div_scale_f32 v38, vcc, v27, v0, v27
	v_mul_f32_e32 v39, v38, v29
	v_fma_f32 v40, -v15, v39, v38
	v_fmac_f32_e32 v39, v40, v29
	v_fma_f32 v15, -v15, v39, v38
	v_div_fmas_f32 v15, v15, v29, v39
	v_div_fixup_f32 v0, v15, v0, v27
	v_div_scale_f32 v15, s[2:3], v13, v13, v14
	v_rcp_f32_e32 v27, v15
	s_nop 0
	v_fma_f32 v29, -v15, v27, 1.0
	v_fmac_f32_e32 v27, v29, v27
	v_div_scale_f32 v29, vcc, v14, v13, v14
	v_mul_f32_e32 v38, v29, v27
	v_fma_f32 v39, -v15, v38, v29
	v_fmac_f32_e32 v38, v39, v27
	v_fma_f32 v15, -v15, v38, v29
	v_div_fmas_f32 v15, v15, v27, v38
	v_div_fixup_f32 v13, v15, v13, v14
	v_div_scale_f32 v14, s[2:3], v12, v12, v16
	v_rcp_f32_e32 v15, v14
	s_nop 0
	v_fma_f32 v27, -v14, v15, 1.0
	v_fmac_f32_e32 v15, v27, v15
	v_div_scale_f32 v27, vcc, v16, v12, v16
	v_mul_f32_e32 v29, v27, v15
	v_fma_f32 v38, -v14, v29, v27
	v_fmac_f32_e32 v29, v38, v15
	v_fma_f32 v14, -v14, v29, v27
	v_div_fmas_f32 v14, v14, v15, v29
	v_div_fixup_f32 v12, v14, v12, v16
	v_pk_mul_f32 v[12:13], v[36:37], v[12:13]
	v_pk_mul_f32 v[14:15], v[34:35], v[0:1]
	v_bfe_u32 v0, v12, 16, 1
	v_bfe_u32 v1, v13, 16, 1
	v_add3_u32 v0, v12, v0, s4
	v_bfe_u32 v16, v14, 16, 1
	v_add3_u32 v1, v13, v1, s4
	v_lshrrev_b32_e32 v0, 16, v0
	v_cmp_o_f32_e32 vcc, v12, v12
	v_bfe_u32 v27, v15, 16, 1
	v_add3_u32 v16, v14, v16, s4
	v_lshrrev_b32_e32 v1, 16, v1
	v_cndmask_b32_e32 v0, v143, v0, vcc
	v_cmp_o_f32_e32 vcc, v13, v13
	v_add3_u32 v27, v15, v27, s4
	v_lshrrev_b32_e32 v16, 16, v16
	v_cndmask_b32_e32 v1, v143, v1, vcc
	v_cmp_o_f32_e32 vcc, v14, v14
	v_lshrrev_b32_e32 v27, 16, v27
	v_lshlrev_b32_e32 v29, 16, v2
	v_cndmask_b32_e32 v14, v143, v16, vcc
	v_cmp_o_f32_e32 vcc, v15, v15
	v_and_b32_e32 v16, 0xffff0000, v2
	v_lshlrev_b32_e32 v34, 16, v3
	v_cndmask_b32_e32 v15, v143, v27, vcc
	v_and_b32_e32 v27, 0xffff0000, v3
	v_mul_f32_e32 v2, 0xbfb8aa3b, v27
	v_fma_f32 v3, v27, s5, -v2
	v_rndne_f32_e32 v12, v2
	v_fmac_f32_e32 v3, 0xb2a5705f, v27
	v_sub_f32_e32 v2, v2, v12
	v_add_f32_e32 v2, v2, v3
	v_exp_f32_e32 v2, v2
	v_cvt_i32_f32_e32 v3, v12
	v_cmp_nlt_f32_e32 vcc, s14, v27
	v_ldexp_f32 v2, v2, v3
	s_nop 0
	v_cndmask_b32_e32 v2, 0, v2, vcc
	v_cmp_ngt_f32_e32 vcc, s15, v27
	s_nop 1
	v_cndmask_b32_e32 v3, v140, v2, vcc
	v_mul_f32_e32 v2, 0xbfb8aa3b, v16
	v_fma_f32 v12, v16, s5, -v2
	v_rndne_f32_e32 v13, v2
	v_fmac_f32_e32 v12, 0xb2a5705f, v16
	v_sub_f32_e32 v2, v2, v13
	v_add_f32_e32 v2, v2, v12
	v_exp_f32_e32 v2, v2
	v_cvt_i32_f32_e32 v12, v13
	v_cmp_nlt_f32_e32 vcc, s14, v16
	v_ldexp_f32 v2, v2, v12
	s_nop 0
	v_cndmask_b32_e32 v2, 0, v2, vcc
	v_cmp_ngt_f32_e32 vcc, s15, v16
	s_nop 1
	v_cndmask_b32_e32 v13, v140, v2, vcc
	v_mul_f32_e32 v2, 0xbfb8aa3b, v34
	v_rndne_f32_e32 v12, v2
	v_sub_f32_e32 v35, v2, v12
	v_fma_f32 v2, v34, s5, -v2
	v_fmac_f32_e32 v2, 0xb2a5705f, v34
	v_add_f32_e32 v2, v35, v2
	v_exp_f32_e32 v2, v2
	v_cvt_i32_f32_e32 v12, v12
	v_cmp_nlt_f32_e32 vcc, s14, v34
	v_ldexp_f32 v2, v2, v12
	v_mul_f32_e32 v12, 0xbfb8aa3b, v29
	v_rndne_f32_e32 v35, v12
	v_sub_f32_e32 v36, v12, v35
	v_fma_f32 v12, v29, s5, -v12
	v_fmac_f32_e32 v12, 0xb2a5705f, v29
	v_add_f32_e32 v12, v36, v12
	v_exp_f32_e32 v12, v12
	v_cvt_i32_f32_e32 v35, v35
	v_cndmask_b32_e32 v2, 0, v2, vcc
	v_cmp_ngt_f32_e32 vcc, s15, v34
	v_ldexp_f32 v12, v12, v35
	s_nop 0
	v_cndmask_b32_e32 v2, v140, v2, vcc
	v_pk_add_f32 v[2:3], v[2:3], 1.0 op_sel_hi:[1,0]
	v_cmp_nlt_f32_e32 vcc, s14, v29
	v_div_scale_f32 v35, s[2:3], v3, v3, v27
	v_rcp_f32_e32 v36, v35
	v_cndmask_b32_e32 v12, 0, v12, vcc
	v_cmp_ngt_f32_e32 vcc, s15, v29
	v_fma_f32 v37, -v35, v36, 1.0
	s_nop 0
	v_cndmask_b32_e32 v12, v140, v12, vcc
	v_fmac_f32_e32 v36, v37, v36
	v_div_scale_f32 v37, vcc, v27, v3, v27
	v_mul_f32_e32 v38, v37, v36
	v_fma_f32 v39, -v35, v38, v37
	v_fmac_f32_e32 v38, v39, v36
	v_fma_f32 v35, -v35, v38, v37
	v_div_fmas_f32 v35, v35, v36, v38
	v_div_fixup_f32 v3, v35, v3, v27
	v_div_scale_f32 v27, s[2:3], v2, v2, v34
	v_rcp_f32_e32 v35, v27
	v_pk_add_f32 v[12:13], v[12:13], 1.0 op_sel_hi:[1,0]
	v_fma_f32 v36, -v27, v35, 1.0
	v_fmac_f32_e32 v35, v36, v35
	v_div_scale_f32 v36, vcc, v34, v2, v34
	v_mul_f32_e32 v37, v36, v35
	v_fma_f32 v38, -v27, v37, v36
	v_fmac_f32_e32 v37, v38, v35
	v_fma_f32 v27, -v27, v37, v36
	v_div_fmas_f32 v27, v27, v35, v37
	v_div_fixup_f32 v2, v27, v2, v34
	v_div_scale_f32 v27, s[2:3], v13, v13, v16
	v_rcp_f32_e32 v34, v27
	v_pk_mul_f32 v[2:3], v[30:31], v[2:3]
	v_fma_f32 v35, -v27, v34, 1.0
	v_fmac_f32_e32 v34, v35, v34
	v_div_scale_f32 v35, vcc, v16, v13, v16
	v_mul_f32_e32 v36, v35, v34
	v_fma_f32 v37, -v27, v36, v35
	v_fmac_f32_e32 v36, v37, v34
	v_fma_f32 v27, -v27, v36, v35
	v_div_fmas_f32 v27, v27, v34, v36
	v_div_fixup_f32 v13, v27, v13, v16
	v_div_scale_f32 v16, s[2:3], v12, v12, v29
	v_rcp_f32_e32 v27, v16
	v_bfe_u32 v30, v3, 16, 1
	v_add3_u32 v30, v3, v30, s4
	v_lshrrev_b32_e32 v30, 16, v30
	v_fma_f32 v34, -v16, v27, 1.0
	v_fmac_f32_e32 v27, v34, v27
	v_div_scale_f32 v34, vcc, v29, v12, v29
	v_mul_f32_e32 v35, v34, v27
	v_fma_f32 v36, -v16, v35, v34
	v_fmac_f32_e32 v35, v36, v27
	v_fma_f32 v16, -v16, v35, v34
	v_div_fmas_f32 v16, v16, v27, v35
	v_div_fixup_f32 v12, v16, v12, v29
	v_pk_mul_f32 v[12:13], v[32:33], v[12:13]
	v_bfe_u32 v29, v2, 16, 1
	v_bfe_u32 v16, v12, 16, 1
	;; [unrolled: 1-line block ×3, first 2 shown]
	v_add3_u32 v16, v12, v16, s4
	v_add3_u32 v27, v13, v27, s4
	v_lshrrev_b32_e32 v16, 16, v16
	v_cmp_o_f32_e32 vcc, v12, v12
	v_add3_u32 v29, v2, v29, s4
	v_lshrrev_b32_e32 v27, 16, v27
	v_cndmask_b32_e32 v12, v143, v16, vcc
	v_cmp_o_f32_e32 vcc, v13, v13
	v_lshrrev_b32_e32 v29, 16, v29
	s_mov_b32 s2, 0x5040100
	v_cndmask_b32_e32 v13, v143, v27, vcc
	v_cmp_o_f32_e32 vcc, v2, v2
	v_perm_b32 v11, v11, v10, s2
	v_perm_b32 v10, v7, v6, s2
	v_cndmask_b32_e32 v2, v143, v29, vcc
	v_cmp_o_f32_e32 vcc, v3, v3
	v_perm_b32 v9, v9, v8, s2
	v_perm_b32 v8, v5, v4, s2
	v_cndmask_b32_e32 v3, v143, v30, vcc
	v_perm_b32 v5, v3, v2, s2
	v_perm_b32 v4, v13, v12, s2
	;; [unrolled: 1-line block ×4, first 2 shown]
	ds_write_b128 v119, v[8:11]
	ds_write_b128 v119, v[2:5] offset:16
	; wave barrier
	ds_read_u16 v16, v89 offset:128
	ds_read_u16 v15, v90 offset:256
	;; [unrolled: 1-line block ×15, first 2 shown]
	v_lshl_add_u64 v[0:1], s[18:19], 1, v[24:25]
	s_and_saveexec_b64 s[2:3], s[26:27]
	s_cbranch_execnz .LBB60_286
; %bb.254:                              ;   in Loop: Header=BB60_13 Depth=1
	s_or_b64 exec, exec, s[2:3]
	s_and_saveexec_b64 s[2:3], s[28:29]
	s_cbranch_execnz .LBB60_287
.LBB60_255:                             ;   in Loop: Header=BB60_13 Depth=1
	s_or_b64 exec, exec, s[2:3]
	s_and_saveexec_b64 s[2:3], s[30:31]
	s_cbranch_execnz .LBB60_288
.LBB60_256:                             ;   in Loop: Header=BB60_13 Depth=1
	s_or_b64 exec, exec, s[2:3]
	s_and_saveexec_b64 s[2:3], s[34:35]
	s_cbranch_execnz .LBB60_289
.LBB60_257:                             ;   in Loop: Header=BB60_13 Depth=1
	s_or_b64 exec, exec, s[2:3]
	s_and_saveexec_b64 s[2:3], s[36:37]
	s_cbranch_execnz .LBB60_290
.LBB60_258:                             ;   in Loop: Header=BB60_13 Depth=1
	s_or_b64 exec, exec, s[2:3]
	s_and_saveexec_b64 s[2:3], s[38:39]
	s_cbranch_execnz .LBB60_291
.LBB60_259:                             ;   in Loop: Header=BB60_13 Depth=1
	s_or_b64 exec, exec, s[2:3]
	s_and_saveexec_b64 s[2:3], s[40:41]
	s_cbranch_execnz .LBB60_292
.LBB60_260:                             ;   in Loop: Header=BB60_13 Depth=1
	s_or_b64 exec, exec, s[2:3]
	s_and_saveexec_b64 s[2:3], s[42:43]
	s_cbranch_execnz .LBB60_293
.LBB60_261:                             ;   in Loop: Header=BB60_13 Depth=1
	s_or_b64 exec, exec, s[2:3]
	s_and_saveexec_b64 s[2:3], s[44:45]
	s_cbranch_execnz .LBB60_294
.LBB60_262:                             ;   in Loop: Header=BB60_13 Depth=1
	s_or_b64 exec, exec, s[2:3]
	s_and_saveexec_b64 s[2:3], s[46:47]
	s_cbranch_execnz .LBB60_295
.LBB60_263:                             ;   in Loop: Header=BB60_13 Depth=1
	s_or_b64 exec, exec, s[2:3]
	s_and_saveexec_b64 s[2:3], s[48:49]
	s_cbranch_execnz .LBB60_296
.LBB60_264:                             ;   in Loop: Header=BB60_13 Depth=1
	s_or_b64 exec, exec, s[2:3]
	s_and_saveexec_b64 s[2:3], s[50:51]
	s_cbranch_execnz .LBB60_297
.LBB60_265:                             ;   in Loop: Header=BB60_13 Depth=1
	s_or_b64 exec, exec, s[2:3]
	s_and_saveexec_b64 s[2:3], s[52:53]
	s_cbranch_execnz .LBB60_298
.LBB60_266:                             ;   in Loop: Header=BB60_13 Depth=1
	s_or_b64 exec, exec, s[2:3]
	s_and_saveexec_b64 s[2:3], s[54:55]
	s_cbranch_execnz .LBB60_299
.LBB60_267:                             ;   in Loop: Header=BB60_13 Depth=1
	s_or_b64 exec, exec, s[2:3]
	s_and_saveexec_b64 s[2:3], s[56:57]
	s_cbranch_execnz .LBB60_300
.LBB60_268:                             ;   in Loop: Header=BB60_13 Depth=1
	s_or_b64 exec, exec, s[2:3]
	s_and_saveexec_b64 s[2:3], s[58:59]
	s_cbranch_execz .LBB60_12
	s_branch .LBB60_301
.LBB60_269:                             ;   in Loop: Header=BB60_13 Depth=1
	global_load_ushort v36, v[8:9], off offset:1664
	s_or_b64 exec, exec, s[2:3]
	s_and_saveexec_b64 s[2:3], s[56:57]
	s_cbranch_execz .LBB60_73
.LBB60_270:                             ;   in Loop: Header=BB60_13 Depth=1
	global_load_ushort v35, v[8:9], off offset:1792
	s_or_b64 exec, exec, s[2:3]
	v_mov_b32_e32 v37, 0
	s_and_saveexec_b64 s[2:3], s[58:59]
	s_cbranch_execnz .LBB60_74
	s_branch .LBB60_75
.LBB60_271:                             ;   in Loop: Header=BB60_13 Depth=1
	ds_read_u16 v27, v88
	s_waitcnt lgkmcnt(0)
	global_store_short v[0:1], v27, off
	s_or_b64 exec, exec, s[2:3]
	s_and_saveexec_b64 s[2:3], s[28:29]
	s_cbranch_execz .LBB60_206
.LBB60_272:                             ;   in Loop: Header=BB60_13 Depth=1
	s_waitcnt lgkmcnt(14)
	global_store_short v[0:1], v16, off offset:128
	s_or_b64 exec, exec, s[2:3]
	s_and_saveexec_b64 s[2:3], s[30:31]
	s_cbranch_execz .LBB60_207
.LBB60_273:                             ;   in Loop: Header=BB60_13 Depth=1
	s_waitcnt lgkmcnt(13)
	global_store_short v[0:1], v15, off offset:256
	s_or_b64 exec, exec, s[2:3]
	s_and_saveexec_b64 s[2:3], s[34:35]
	s_cbranch_execz .LBB60_208
.LBB60_274:                             ;   in Loop: Header=BB60_13 Depth=1
	s_waitcnt lgkmcnt(12)
	global_store_short v[0:1], v14, off offset:384
	s_or_b64 exec, exec, s[2:3]
	s_and_saveexec_b64 s[2:3], s[36:37]
	s_cbranch_execz .LBB60_209
.LBB60_275:                             ;   in Loop: Header=BB60_13 Depth=1
	s_waitcnt lgkmcnt(11)
	global_store_short v[0:1], v13, off offset:512
	s_or_b64 exec, exec, s[2:3]
	s_and_saveexec_b64 s[2:3], s[38:39]
	s_cbranch_execz .LBB60_210
.LBB60_276:                             ;   in Loop: Header=BB60_13 Depth=1
	s_waitcnt lgkmcnt(10)
	global_store_short v[0:1], v12, off offset:640
	s_or_b64 exec, exec, s[2:3]
	s_and_saveexec_b64 s[2:3], s[40:41]
	s_cbranch_execz .LBB60_211
.LBB60_277:                             ;   in Loop: Header=BB60_13 Depth=1
	s_waitcnt lgkmcnt(9)
	global_store_short v[0:1], v11, off offset:768
	s_or_b64 exec, exec, s[2:3]
	s_and_saveexec_b64 s[2:3], s[42:43]
	s_cbranch_execz .LBB60_212
.LBB60_278:                             ;   in Loop: Header=BB60_13 Depth=1
	s_waitcnt lgkmcnt(8)
	global_store_short v[0:1], v10, off offset:896
	s_or_b64 exec, exec, s[2:3]
	s_and_saveexec_b64 s[2:3], s[44:45]
	s_cbranch_execz .LBB60_213
.LBB60_279:                             ;   in Loop: Header=BB60_13 Depth=1
	s_waitcnt lgkmcnt(7)
	global_store_short v[0:1], v9, off offset:1024
	s_or_b64 exec, exec, s[2:3]
	s_and_saveexec_b64 s[2:3], s[46:47]
	s_cbranch_execz .LBB60_214
.LBB60_280:                             ;   in Loop: Header=BB60_13 Depth=1
	s_waitcnt lgkmcnt(6)
	global_store_short v[0:1], v8, off offset:1152
	s_or_b64 exec, exec, s[2:3]
	s_and_saveexec_b64 s[2:3], s[48:49]
	s_cbranch_execz .LBB60_215
.LBB60_281:                             ;   in Loop: Header=BB60_13 Depth=1
	s_waitcnt lgkmcnt(5)
	global_store_short v[0:1], v7, off offset:1280
	s_or_b64 exec, exec, s[2:3]
	s_and_saveexec_b64 s[2:3], s[50:51]
	s_cbranch_execz .LBB60_216
.LBB60_282:                             ;   in Loop: Header=BB60_13 Depth=1
	s_waitcnt lgkmcnt(4)
	global_store_short v[0:1], v6, off offset:1408
	s_or_b64 exec, exec, s[2:3]
	s_and_saveexec_b64 s[2:3], s[52:53]
	s_cbranch_execz .LBB60_217
.LBB60_283:                             ;   in Loop: Header=BB60_13 Depth=1
	s_waitcnt lgkmcnt(3)
	global_store_short v[0:1], v5, off offset:1536
	s_or_b64 exec, exec, s[2:3]
	s_and_saveexec_b64 s[2:3], s[54:55]
	s_cbranch_execz .LBB60_218
.LBB60_284:                             ;   in Loop: Header=BB60_13 Depth=1
	s_waitcnt lgkmcnt(2)
	global_store_short v[0:1], v4, off offset:1664
	s_or_b64 exec, exec, s[2:3]
	s_and_saveexec_b64 s[2:3], s[56:57]
	s_cbranch_execz .LBB60_219
.LBB60_285:                             ;   in Loop: Header=BB60_13 Depth=1
	s_waitcnt lgkmcnt(1)
	global_store_short v[0:1], v3, off offset:1792
	s_or_b64 exec, exec, s[2:3]
	s_and_saveexec_b64 s[2:3], s[58:59]
	s_cbranch_execnz .LBB60_220
	s_branch .LBB60_221
.LBB60_286:                             ;   in Loop: Header=BB60_13 Depth=1
	ds_read_u16 v27, v88
	s_waitcnt lgkmcnt(0)
	global_store_short v[0:1], v27, off
	s_or_b64 exec, exec, s[2:3]
	s_and_saveexec_b64 s[2:3], s[28:29]
	s_cbranch_execz .LBB60_255
.LBB60_287:                             ;   in Loop: Header=BB60_13 Depth=1
	s_waitcnt lgkmcnt(14)
	global_store_short v[0:1], v16, off offset:128
	s_or_b64 exec, exec, s[2:3]
	s_and_saveexec_b64 s[2:3], s[30:31]
	s_cbranch_execz .LBB60_256
.LBB60_288:                             ;   in Loop: Header=BB60_13 Depth=1
	s_waitcnt lgkmcnt(13)
	global_store_short v[0:1], v15, off offset:256
	s_or_b64 exec, exec, s[2:3]
	s_and_saveexec_b64 s[2:3], s[34:35]
	s_cbranch_execz .LBB60_257
.LBB60_289:                             ;   in Loop: Header=BB60_13 Depth=1
	s_waitcnt lgkmcnt(12)
	global_store_short v[0:1], v14, off offset:384
	s_or_b64 exec, exec, s[2:3]
	s_and_saveexec_b64 s[2:3], s[36:37]
	s_cbranch_execz .LBB60_258
.LBB60_290:                             ;   in Loop: Header=BB60_13 Depth=1
	s_waitcnt lgkmcnt(11)
	global_store_short v[0:1], v13, off offset:512
	s_or_b64 exec, exec, s[2:3]
	s_and_saveexec_b64 s[2:3], s[38:39]
	s_cbranch_execz .LBB60_259
.LBB60_291:                             ;   in Loop: Header=BB60_13 Depth=1
	s_waitcnt lgkmcnt(10)
	global_store_short v[0:1], v12, off offset:640
	s_or_b64 exec, exec, s[2:3]
	s_and_saveexec_b64 s[2:3], s[40:41]
	s_cbranch_execz .LBB60_260
.LBB60_292:                             ;   in Loop: Header=BB60_13 Depth=1
	s_waitcnt lgkmcnt(9)
	global_store_short v[0:1], v11, off offset:768
	s_or_b64 exec, exec, s[2:3]
	s_and_saveexec_b64 s[2:3], s[42:43]
	s_cbranch_execz .LBB60_261
.LBB60_293:                             ;   in Loop: Header=BB60_13 Depth=1
	s_waitcnt lgkmcnt(8)
	global_store_short v[0:1], v10, off offset:896
	s_or_b64 exec, exec, s[2:3]
	s_and_saveexec_b64 s[2:3], s[44:45]
	s_cbranch_execz .LBB60_262
.LBB60_294:                             ;   in Loop: Header=BB60_13 Depth=1
	s_waitcnt lgkmcnt(7)
	global_store_short v[0:1], v9, off offset:1024
	s_or_b64 exec, exec, s[2:3]
	s_and_saveexec_b64 s[2:3], s[46:47]
	s_cbranch_execz .LBB60_263
.LBB60_295:                             ;   in Loop: Header=BB60_13 Depth=1
	s_waitcnt lgkmcnt(6)
	global_store_short v[0:1], v8, off offset:1152
	s_or_b64 exec, exec, s[2:3]
	s_and_saveexec_b64 s[2:3], s[48:49]
	s_cbranch_execz .LBB60_264
.LBB60_296:                             ;   in Loop: Header=BB60_13 Depth=1
	s_waitcnt lgkmcnt(5)
	global_store_short v[0:1], v7, off offset:1280
	s_or_b64 exec, exec, s[2:3]
	s_and_saveexec_b64 s[2:3], s[50:51]
	s_cbranch_execz .LBB60_265
.LBB60_297:                             ;   in Loop: Header=BB60_13 Depth=1
	s_waitcnt lgkmcnt(4)
	global_store_short v[0:1], v6, off offset:1408
	s_or_b64 exec, exec, s[2:3]
	s_and_saveexec_b64 s[2:3], s[52:53]
	s_cbranch_execz .LBB60_266
.LBB60_298:                             ;   in Loop: Header=BB60_13 Depth=1
	s_waitcnt lgkmcnt(3)
	global_store_short v[0:1], v5, off offset:1536
	s_or_b64 exec, exec, s[2:3]
	s_and_saveexec_b64 s[2:3], s[54:55]
	s_cbranch_execz .LBB60_267
.LBB60_299:                             ;   in Loop: Header=BB60_13 Depth=1
	s_waitcnt lgkmcnt(2)
	global_store_short v[0:1], v4, off offset:1664
	s_or_b64 exec, exec, s[2:3]
	s_and_saveexec_b64 s[2:3], s[56:57]
	s_cbranch_execz .LBB60_268
.LBB60_300:                             ;   in Loop: Header=BB60_13 Depth=1
	s_waitcnt lgkmcnt(1)
	global_store_short v[0:1], v3, off offset:1792
	s_or_b64 exec, exec, s[2:3]
	s_and_saveexec_b64 s[2:3], s[58:59]
	s_cbranch_execz .LBB60_12
.LBB60_301:                             ;   in Loop: Header=BB60_13 Depth=1
	s_waitcnt lgkmcnt(0)
	global_store_short v[0:1], v2, off offset:1920
	s_branch .LBB60_12
.LBB60_302:
	s_endpgm
	.section	.rodata,"a",@progbits
	.p2align	6, 0x0
	.amdhsa_kernel _Z25selective_scan_fwd_kernelI32Selective_Scan_fwd_kernel_traitsILi128ELi16ELi1ELb0ELb1ELb1ELb1ELb1EN3c108BFloat16EffEEv13SSMParamsBase
		.amdhsa_group_segment_fixed_size 0
		.amdhsa_private_segment_fixed_size 0
		.amdhsa_kernarg_size 248
		.amdhsa_user_sgpr_count 2
		.amdhsa_user_sgpr_dispatch_ptr 0
		.amdhsa_user_sgpr_queue_ptr 0
		.amdhsa_user_sgpr_kernarg_segment_ptr 1
		.amdhsa_user_sgpr_dispatch_id 0
		.amdhsa_user_sgpr_kernarg_preload_length 0
		.amdhsa_user_sgpr_kernarg_preload_offset 0
		.amdhsa_user_sgpr_private_segment_size 0
		.amdhsa_uses_dynamic_stack 0
		.amdhsa_enable_private_segment 0
		.amdhsa_system_sgpr_workgroup_id_x 1
		.amdhsa_system_sgpr_workgroup_id_y 1
		.amdhsa_system_sgpr_workgroup_id_z 0
		.amdhsa_system_sgpr_workgroup_info 0
		.amdhsa_system_vgpr_workitem_id 0
		.amdhsa_next_free_vgpr 168
		.amdhsa_next_free_sgpr 100
		.amdhsa_accum_offset 168
		.amdhsa_reserve_vcc 1
		.amdhsa_float_round_mode_32 0
		.amdhsa_float_round_mode_16_64 0
		.amdhsa_float_denorm_mode_32 3
		.amdhsa_float_denorm_mode_16_64 3
		.amdhsa_dx10_clamp 1
		.amdhsa_ieee_mode 1
		.amdhsa_fp16_overflow 0
		.amdhsa_tg_split 0
		.amdhsa_exception_fp_ieee_invalid_op 0
		.amdhsa_exception_fp_denorm_src 0
		.amdhsa_exception_fp_ieee_div_zero 0
		.amdhsa_exception_fp_ieee_overflow 0
		.amdhsa_exception_fp_ieee_underflow 0
		.amdhsa_exception_fp_ieee_inexact 0
		.amdhsa_exception_int_div_zero 0
	.end_amdhsa_kernel
	.section	.text._Z25selective_scan_fwd_kernelI32Selective_Scan_fwd_kernel_traitsILi128ELi16ELi1ELb0ELb1ELb1ELb1ELb1EN3c108BFloat16EffEEv13SSMParamsBase,"axG",@progbits,_Z25selective_scan_fwd_kernelI32Selective_Scan_fwd_kernel_traitsILi128ELi16ELi1ELb0ELb1ELb1ELb1ELb1EN3c108BFloat16EffEEv13SSMParamsBase,comdat
.Lfunc_end60:
	.size	_Z25selective_scan_fwd_kernelI32Selective_Scan_fwd_kernel_traitsILi128ELi16ELi1ELb0ELb1ELb1ELb1ELb1EN3c108BFloat16EffEEv13SSMParamsBase, .Lfunc_end60-_Z25selective_scan_fwd_kernelI32Selective_Scan_fwd_kernel_traitsILi128ELi16ELi1ELb0ELb1ELb1ELb1ELb1EN3c108BFloat16EffEEv13SSMParamsBase
                                        ; -- End function
	.section	.AMDGPU.csdata,"",@progbits
; Kernel info:
; codeLenInByte = 25368
; NumSgprs: 106
; NumVgprs: 168
; NumAgprs: 0
; TotalNumVgprs: 168
; ScratchSize: 0
; MemoryBound: 0
; FloatMode: 240
; IeeeMode: 1
; LDSByteSize: 0 bytes/workgroup (compile time only)
; SGPRBlocks: 13
; VGPRBlocks: 20
; NumSGPRsForWavesPerEU: 106
; NumVGPRsForWavesPerEU: 168
; AccumOffset: 168
; Occupancy: 3
; WaveLimiterHint : 1
; COMPUTE_PGM_RSRC2:SCRATCH_EN: 0
; COMPUTE_PGM_RSRC2:USER_SGPR: 2
; COMPUTE_PGM_RSRC2:TRAP_HANDLER: 0
; COMPUTE_PGM_RSRC2:TGID_X_EN: 1
; COMPUTE_PGM_RSRC2:TGID_Y_EN: 1
; COMPUTE_PGM_RSRC2:TGID_Z_EN: 0
; COMPUTE_PGM_RSRC2:TIDIG_COMP_CNT: 0
; COMPUTE_PGM_RSRC3_GFX90A:ACCUM_OFFSET: 41
; COMPUTE_PGM_RSRC3_GFX90A:TG_SPLIT: 0
	.section	.text._Z25selective_scan_fwd_kernelI32Selective_Scan_fwd_kernel_traitsILi128ELi16ELi1ELb0ELb1ELb1ELb1ELb0EN3c108BFloat16EffEEv13SSMParamsBase,"axG",@progbits,_Z25selective_scan_fwd_kernelI32Selective_Scan_fwd_kernel_traitsILi128ELi16ELi1ELb0ELb1ELb1ELb1ELb0EN3c108BFloat16EffEEv13SSMParamsBase,comdat
	.protected	_Z25selective_scan_fwd_kernelI32Selective_Scan_fwd_kernel_traitsILi128ELi16ELi1ELb0ELb1ELb1ELb1ELb0EN3c108BFloat16EffEEv13SSMParamsBase ; -- Begin function _Z25selective_scan_fwd_kernelI32Selective_Scan_fwd_kernel_traitsILi128ELi16ELi1ELb0ELb1ELb1ELb1ELb0EN3c108BFloat16EffEEv13SSMParamsBase
	.globl	_Z25selective_scan_fwd_kernelI32Selective_Scan_fwd_kernel_traitsILi128ELi16ELi1ELb0ELb1ELb1ELb1ELb0EN3c108BFloat16EffEEv13SSMParamsBase
	.p2align	8
	.type	_Z25selective_scan_fwd_kernelI32Selective_Scan_fwd_kernel_traitsILi128ELi16ELi1ELb0ELb1ELb1ELb1ELb0EN3c108BFloat16EffEEv13SSMParamsBase,@function
_Z25selective_scan_fwd_kernelI32Selective_Scan_fwd_kernel_traitsILi128ELi16ELi1ELb0ELb1ELb1ELb1ELb0EN3c108BFloat16EffEEv13SSMParamsBase: ; @_Z25selective_scan_fwd_kernelI32Selective_Scan_fwd_kernel_traitsILi128ELi16ELi1ELb0ELb1ELb1ELb1ELb0EN3c108BFloat16EffEEv13SSMParamsBase
; %bb.0:
	s_load_dword s13, s[0:1], 0x18
	s_load_dwordx4 s[4:7], s[0:1], 0xe8
	s_mov_b32 s8, s3
                                        ; implicit-def: $vgpr166 : SGPR spill to VGPR lane
	s_waitcnt lgkmcnt(0)
	s_abs_i32 s12, s13
	v_cvt_f32_u32_e32 v1, s12
	s_cmp_eq_u64 s[6:7], 0
	v_rcp_iflag_f32_e32 v1, v1
	s_nop 0
	v_mul_f32_e32 v1, 0x4f7ffffe, v1
	v_cvt_u32_f32_e32 v1, v1
	s_nop 0
	v_readfirstlane_b32 s14, v1
	s_cbranch_scc1 .LBB61_2
; %bb.1:
	s_ashr_i32 s3, s2, 31
	s_add_u32 s6, s6, s2
	s_addc_u32 s7, s7, s3
	v_mov_b32_e32 v1, 0
	global_load_ubyte v1, v1, s[6:7]
	s_waitcnt vmcnt(0)
	v_and_b32_e32 v1, 1, v1
	v_cmp_eq_u32_e64 s[6:7], 1, v1
	s_branch .LBB61_3
.LBB61_2:
	s_mov_b64 s[6:7], 0
.LBB61_3:
	s_nop 0
	v_writelane_b32 v166, s6, 0
	s_cmp_eq_u64 s[4:5], 0
	s_nop 0
	v_writelane_b32 v166, s7, 1
	s_load_dwordx2 s[6:7], s[0:1], 0x20
	s_cbranch_scc1 .LBB61_5
; %bb.4:
	s_ashr_i32 s3, s2, 31
	s_lshl_b64 s[10:11], s[2:3], 2
	s_add_u32 s4, s4, s10
	s_addc_u32 s5, s5, s11
	s_load_dword s10, s[4:5], 0x0
	s_waitcnt lgkmcnt(0)
	s_ashr_i32 s11, s10, 31
	s_cmp_eq_u64 s[6:7], s[10:11]
	s_cbranch_scc0 .LBB61_6
	s_branch .LBB61_302
.LBB61_5:
	s_mov_b32 s10, s2
	s_ashr_i32 s11, s10, 31
	s_waitcnt lgkmcnt(0)
	s_cmp_eq_u64 s[6:7], s[10:11]
	s_cbranch_scc1 .LBB61_302
.LBB61_6:
	s_load_dwordx16 s[36:51], s[0:1], 0x88
	s_load_dwordx2 s[18:19], s[0:1], 0x8
	s_mov_b32 s3, 0
	v_writelane_b32 v166, s3, 2
	v_writelane_b32 v166, s3, 3
	s_waitcnt lgkmcnt(0)
	s_cmp_eq_u64 s[42:43], 0
	s_cbranch_scc1 .LBB61_8
; %bb.7:
	s_ashr_i32 s9, s8, 31
	s_lshl_b64 s[4:5], s[8:9], 2
	s_add_u32 s4, s42, s4
	s_addc_u32 s5, s43, s5
	s_load_dword s3, s[4:5], 0x0
	s_waitcnt lgkmcnt(0)
	v_writelane_b32 v166, s3, 3
.LBB61_8:
	s_cmp_eq_u64 s[48:49], 0
	s_cbranch_scc1 .LBB61_10
; %bb.9:
	s_ashr_i32 s9, s8, 31
	s_lshl_b64 s[4:5], s[8:9], 2
	s_add_u32 s4, s48, s4
	s_addc_u32 s5, s49, s5
	s_load_dword s3, s[4:5], 0x0
	s_waitcnt lgkmcnt(0)
	v_writelane_b32 v166, s3, 2
.LBB61_10:
	s_cmp_lt_i32 s18, 1
	s_cbranch_scc1 .LBB61_302
; %bb.11:
	s_sub_i32 s3, 0, s12
	s_mul_i32 s3, s3, s14
	s_mul_hi_u32 s3, s14, s3
	s_load_dwordx8 s[52:59], s[0:1], 0x2c
	s_load_dwordx2 s[16:17], s[0:1], 0x7c
	s_load_dwordx4 s[20:23], s[0:1], 0x6c
	s_load_dwordx8 s[60:67], s[0:1], 0x4c
	s_load_dwordx2 s[4:5], s[0:1], 0xd8
	s_add_i32 s14, s14, s3
	s_load_dwordx4 s[24:27], s[0:1], 0xc8
	s_load_dword s3, s[0:1], 0x84
	s_abs_i32 s6, s8
	s_load_dword s9, s[0:1], 0x28
	s_ashr_i32 s0, s8, 31
	s_ashr_i32 s1, s13, 31
	s_waitcnt lgkmcnt(0)
	v_writelane_b32 v166, s3, 4
	s_mul_hi_u32 s3, s6, s14
	s_xor_b32 s0, s0, s1
	s_mul_i32 s1, s3, s12
	s_sub_i32 s1, s6, s1
	s_add_i32 s6, s3, 1
	s_sub_i32 s7, s1, s12
	s_cmp_ge_u32 s1, s12
	s_cselect_b32 s3, s6, s3
	s_cselect_b32 s1, s7, s1
	s_add_i32 s6, s3, 1
	s_cmp_ge_u32 s1, s12
	s_cselect_b32 s1, s6, s3
	s_xor_b32 s1, s1, s0
	s_mul_i32 s6, s62, s2
	s_mov_b32 s7, 0
	s_sub_i32 s3, s1, s0
	s_lshl_b64 s[0:1], s[6:7], 1
	s_add_u32 s11, s44, s0
	s_mul_i32 s6, s63, s8
	s_addc_u32 s12, s45, s1
	s_lshl_b64 s[0:1], s[6:7], 1
	s_add_u32 s28, s11, s0
	s_mul_i32 s6, s64, s2
	s_addc_u32 s29, s12, s1
	s_lshl_b64 s[0:1], s[6:7], 1
	s_add_u32 s11, s46, s0
	s_mul_i32 s6, s65, s8
	s_addc_u32 s12, s47, s1
	s_lshl_b64 s[0:1], s[6:7], 1
	s_add_u32 s0, s11, s0
	s_addc_u32 s1, s12, s1
	v_writelane_b32 v166, s0, 5
	s_mul_i32 s6, s52, s8
	v_mbcnt_lo_u32_b32 v1, -1, 0
	v_writelane_b32 v166, s1, 6
	s_lshl_b64 s[0:1], s[6:7], 2
	s_add_u32 s0, s36, s0
	v_writelane_b32 v166, s0, 7
	s_addc_u32 s0, s37, s1
	s_mul_i32 s6, s54, s2
	v_writelane_b32 v166, s0, 8
	s_lshl_b64 s[0:1], s[6:7], 1
	s_add_u32 s11, s38, s0
	s_mul_i32 s6, s3, s57
	s_addc_u32 s12, s39, s1
	s_lshl_b64 s[0:1], s[6:7], 1
	s_add_u32 s0, s11, s0
	s_addc_u32 s1, s12, s1
	v_writelane_b32 v166, s0, 9
	v_lshlrev_b32_e32 v19, 4, v0
	v_mbcnt_hi_u32_b32 v18, -1, v1
	v_writelane_b32 v166, s1, 10
	v_writelane_b32 v166, s52, 11
	v_and_b32_e32 v2, 0x400, v19
	s_mul_i32 s6, s58, s2
	v_writelane_b32 v166, s53, 12
	v_writelane_b32 v166, s54, 13
	v_or_b32_e32 v72, v18, v2
	v_writelane_b32 v166, s55, 14
	s_lshl_b64 s[0:1], s[6:7], 1
	v_lshrrev_b32_e32 v1, 5, v72
	v_writelane_b32 v166, s56, 15
	s_add_u32 s11, s40, s0
	s_mul_i32 s6, s3, s61
	v_and_b32_e32 v1, 34, v1
	v_writelane_b32 v166, s57, 16
	s_addc_u32 s12, s41, s1
	s_lshl_b64 s[0:1], s[6:7], 1
	v_add_u32_e32 v3, 64, v72
	v_or_b32_e32 v4, 0x80, v72
	v_add_u32_e32 v5, 0xc0, v72
	v_add_u32_e32 v1, v1, v72
	v_writelane_b32 v166, s58, 17
	s_add_u32 s0, s11, s0
	v_lshl_add_u32 v88, v1, 1, 0
	v_lshrrev_b32_e32 v1, 5, v3
	v_lshrrev_b32_e32 v3, 5, v4
	;; [unrolled: 1-line block ×3, first 2 shown]
	v_writelane_b32 v166, s59, 18
	s_addc_u32 s1, s12, s1
	v_or_b32_e32 v6, 0x100, v72
	v_and_b32_e32 v4, 46, v4
	v_writelane_b32 v166, s0, 19
	s_mul_i32 s6, s10, s16
	v_add_lshl_u32 v8, v4, v72, 1
	v_lshrrev_b32_e32 v4, 5, v6
	v_writelane_b32 v166, s1, 20
	s_lshl_b64 s[0:1], s[6:7], 2
	v_add_u32_e32 v7, 0x140, v72
	v_and_b32_e32 v4, 42, v4
	s_add_u32 s3, s24, s0
	s_mul_i32 s6, s17, s8
	v_add_lshl_u32 v9, v4, v72, 1
	v_lshrrev_b32_e32 v4, 5, v7
	s_addc_u32 s10, s25, s1
	s_lshl_b64 s[0:1], s[6:7], 2
	v_or_b32_e32 v78, 0x180, v72
	v_and_b32_e32 v4, 46, v4
	s_add_u32 s0, s3, s0
	v_add_lshl_u32 v10, v4, v72, 1
	v_lshrrev_b32_e32 v4, 5, v78
	v_writelane_b32 v166, s0, 21
	s_addc_u32 s0, s10, s1
	v_add_u32_e32 v79, 0x1c0, v72
	v_and_b32_e32 v4, 46, v4
	v_writelane_b32 v166, s0, 22
	s_add_i32 s0, s18, 0x7ff
	v_add_lshl_u32 v11, v4, v72, 1
	v_lshrrev_b32_e32 v4, 5, v79
	s_lshr_b32 s0, s0, 11
	v_or_b32_e32 v80, 0x200, v72
	v_and_b32_e32 v4, 62, v4
	v_add_lshl_u32 v12, v4, v72, 1
	v_lshrrev_b32_e32 v4, 5, v80
	s_bitcmp1_b32 s9, 0
	v_add_u32_e32 v81, 0x240, v72
	v_and_b32_e32 v4, 50, v4
	s_cselect_b64 s[10:11], -1, 0
	v_add_lshl_u32 v13, v4, v72, 1
	v_lshrrev_b32_e32 v4, 5, v81
	v_writelane_b32 v166, s10, 23
	s_cmp_gt_i32 s19, 0
	v_or_b32_e32 v82, 0x280, v72
	v_and_b32_e32 v4, 54, v4
	v_writelane_b32 v166, s11, 24
	s_cselect_b64 s[10:11], -1, 0
	v_add_lshl_u32 v14, v4, v72, 1
	v_lshrrev_b32_e32 v4, 5, v82
	v_writelane_b32 v166, s10, 25
	v_add_u32_e32 v83, 0x2c0, v72
	v_and_b32_e32 v4, 54, v4
	v_writelane_b32 v166, s11, 26
	v_add_lshl_u32 v15, v4, v72, 1
	v_lshrrev_b32_e32 v4, 5, v83
	v_writelane_b32 v166, s18, 27
	v_or_b32_e32 v84, 0x300, v72
	v_and_b32_e32 v4, 62, v4
	v_writelane_b32 v166, s19, 28
	v_add_lshl_u32 v26, v4, v72, 1
	v_lshrrev_b32_e32 v4, 5, v84
	v_writelane_b32 v166, s0, 29
	s_add_i32 s0, s0, -1
	s_mul_i32 s6, s20, s2
	v_add_u32_e32 v85, 0x340, v72
	v_and_b32_e32 v4, 58, v4
	s_add_i32 s9, 0, 0x1080
	s_and_b32 s10, s18, 0x7ff
	v_writelane_b32 v166, s0, 30
	s_lshl_b64 s[0:1], s[6:7], 1
	v_add_lshl_u32 v27, v4, v72, 1
	v_lshrrev_b32_e32 v4, 5, v85
	s_add_u32 s3, s50, s0
	s_mul_i32 s6, s21, s8
	v_or_b32_e32 v86, 0x380, v72
	v_and_b32_e32 v4, 62, v4
	s_addc_u32 s11, s51, s1
	s_lshl_b64 s[0:1], s[6:7], 1
	v_add_lshl_u32 v28, v4, v72, 1
	v_lshrrev_b32_e32 v4, 5, v86
	s_add_u32 s12, s3, s0
	s_mul_i32 s6, s66, s2
	v_writelane_b32 v166, s60, 31
	v_and_b32_e32 v4, 62, v4
	s_addc_u32 s13, s11, s1
	s_lshl_b64 s[0:1], s[6:7], 1
	v_writelane_b32 v166, s61, 32
	v_add_lshl_u32 v29, v4, v72, 1
	v_and_b32_e32 v4, 64, v0
	s_add_u32 s3, s26, s0
	v_writelane_b32 v166, s62, 33
	s_mul_i32 s6, s67, s8
	v_add_u16_e32 v6, v18, v4
	s_addc_u32 s11, s27, s1
	v_writelane_b32 v166, s63, 34
	s_lshl_b64 s[0:1], s[6:7], 1
	v_lshrrev_b16_e32 v6, 1, v6
	v_writelane_b32 v166, s64, 35
	s_add_u32 s14, s3, s0
	s_mul_i32 s6, s22, s2
	v_add_lshl_u32 v5, v18, v4, 4
	v_and_b32_e32 v6, 0x7e, v6
	v_writelane_b32 v166, s65, 36
	s_addc_u32 s15, s11, s1
	s_lshl_b64 s[0:1], s[6:7], 1
	v_add_lshl_u32 v30, v6, v5, 1
	v_writelane_b32 v166, s66, 37
	s_add_u32 s2, s4, s0
	v_and_b32_e32 v5, 15, v18
	v_writelane_b32 v166, s67, 38
	s_addc_u32 s3, s5, s1
	v_cmp_lt_u32_e64 s[4:5], 1, v5
	s_mul_i32 s6, s23, s8
	s_lshl_b64 s[0:1], s[6:7], 1
	v_writelane_b32 v166, s4, 39
	s_add_u32 s2, s2, s0
	s_addc_u32 s3, s3, s1
	v_writelane_b32 v166, s5, 40
	v_cmp_lt_u32_e64 s[4:5], 3, v5
	v_cmp_eq_u32_e64 s[0:1], 0, v5
	v_or_b32_e32 v4, 63, v4
	v_writelane_b32 v166, s4, 41
	v_mov_b32_e32 v17, 0
	v_lshlrev_b32_e32 v16, 1, v18
	v_writelane_b32 v166, s5, 42
	v_cmp_lt_u32_e64 s[4:5], 7, v5
	v_and_b32_e32 v5, 16, v18
	v_lshlrev_b32_e32 v6, 1, v2
	v_writelane_b32 v166, s4, 43
	v_mov_b32_e32 v7, v17
	s_cmp_eq_u32 s10, 0
	v_writelane_b32 v166, s5, 44
	v_cmp_ne_u32_e64 s[4:5], 0, v5
	v_add_u32_e32 v87, 0x3c0, v72
	v_and_b32_e32 v1, 38, v1
	v_writelane_b32 v166, s4, 45
	v_add_lshl_u32 v1, v1, v72, 1
	v_add_u32_e32 v89, 0, v1
	v_writelane_b32 v166, s5, 46
	v_cmp_eq_u32_e64 s[4:5], v4, v0
	v_and_b32_e32 v4, 1, v18
	v_and_b32_e32 v3, 38, v3
	v_writelane_b32 v166, s4, 47
	v_add_u32_e32 v101, s9, v1
	v_lshrrev_b32_e32 v1, 3, v0
	v_writelane_b32 v166, s5, 48
	v_cmp_eq_u32_e64 s[4:5], 0, v4
	v_lshl_add_u64 v[4:5], s[12:13], 0, v[16:17]
	v_lshl_add_u64 v[20:21], v[4:5], 0, v[6:7]
	v_writelane_b32 v166, s4, 49
	v_lshl_add_u64 v[4:5], s[14:15], 0, v[16:17]
	v_lshl_add_u64 v[22:23], v[4:5], 0, v[6:7]
	v_writelane_b32 v166, s5, 50
	v_lshl_add_u64 v[4:5], s[2:3], 0, v[16:17]
	s_cselect_b64 s[2:3], -1, 0
	v_writelane_b32 v166, s2, 51
	v_lshl_add_u64 v[24:25], v[4:5], 0, v[6:7]
	v_add_u32_e32 v4, -1, v18
	v_writelane_b32 v166, s3, 52
	v_cmp_lt_u32_e64 s[2:3], 31, v18
	v_and_b32_e32 v5, 64, v18
	v_lshrrev_b32_e32 v6, 5, v87
	v_writelane_b32 v166, s2, 53
	v_and_b32_e32 v6, 0x7e, v6
	v_cmp_lt_i32_e32 vcc, v4, v5
	v_writelane_b32 v166, s3, 54
	v_cmp_gt_u32_e64 s[2:3], 2, v0
	v_add_lshl_u32 v3, v3, v72, 1
	v_add_lshl_u32 v6, v6, v72, 1
	v_writelane_b32 v166, s2, 55
	v_and_b32_e32 v1, 8, v1
	v_cmp_lt_u32_e64 s[20:21], 63, v0
	v_writelane_b32 v166, s3, 56
	v_cmp_gt_u32_e64 s[2:3], 64, v0
	v_cmp_eq_u32_e64 s[22:23], 0, v0
	v_lshl_add_u32 v122, v0, 3, 0
	v_writelane_b32 v166, s2, 57
	v_cndmask_b32_e32 v0, v4, v18, vcc
	v_add_u32_e32 v90, 0, v3
	v_writelane_b32 v166, s3, 58
	s_add_i32 s2, 0, 0x2110
	v_add_u32_e32 v91, 0, v8
	v_add_u32_e32 v92, 0, v9
	;; [unrolled: 1-line block ×30, first 2 shown]
	v_lshlrev_b32_e32 v123, 2, v0
	v_cmp_eq_u32_e64 s[24:25], 0, v18
	v_lshlrev_b32_e32 v26, 1, v2
	s_mov_b32 s6, 0x41a00000
	s_mov_b32 s8, 0x3fb8aa3b
	;; [unrolled: 1-line block ×8, first 2 shown]
	v_writelane_b32 v166, s2, 59
	s_mov_b32 s33, 0xc2fc0000
	s_mov_b32 s3, 0
	v_mov_b32_e32 v139, 0x3ecc95a3
	v_mov_b32_e32 v140, 0x7f800000
	;; [unrolled: 1-line block ×6, first 2 shown]
                                        ; implicit-def: $vgpr0
	s_branch .LBB61_13
.LBB61_12:                              ;   in Loop: Header=BB61_13 Depth=1
	s_or_b64 exec, exec, s[2:3]
	v_readlane_b32 s2, v166, 5
	v_readlane_b32 s3, v166, 6
	s_add_u32 s2, s2, 0x1000
	s_addc_u32 s3, s3, 0
	v_writelane_b32 v166, s2, 5
	s_nop 1
	v_writelane_b32 v166, s3, 6
	s_nop 0
	v_readlane_b32 s28, v166, 63
	v_readlane_b32 s29, v167, 0
	s_add_u32 s28, s28, 0x1000
	s_addc_u32 s29, s29, 0
	v_readlane_b32 s2, v166, 9
	v_readlane_b32 s3, v166, 10
	s_add_u32 s2, s2, 0x1000
	s_addc_u32 s3, s3, 0
	v_writelane_b32 v166, s2, 9
	s_nop 1
	v_writelane_b32 v166, s3, 10
	s_nop 0
	v_readlane_b32 s2, v166, 19
	v_readlane_b32 s3, v166, 20
	s_add_u32 s2, s2, 0x1000
	s_addc_u32 s3, s3, 0
	v_writelane_b32 v166, s2, 19
	s_nop 1
	v_writelane_b32 v166, s3, 20
	s_nop 0
	v_readlane_b32 s3, v166, 60
	s_add_i32 s3, s3, 1
	v_readlane_b32 s2, v166, 29
	s_cmp_lg_u32 s3, s2
	s_cbranch_scc0 .LBB61_302
.LBB61_13:                              ; =>This Loop Header: Depth=1
                                        ;     Child Loop BB61_110 Depth 2
	v_writelane_b32 v166, s3, 60
	s_lshl_b32 s16, s3, 11
	v_readlane_b32 s2, v166, 27
	s_mov_b32 s4, s16
	v_readlane_b32 s3, v166, 28
	v_writelane_b32 v166, s4, 61
	s_waitcnt lgkmcnt(14)
	v_lshlrev_b32_e32 v16, 1, v18
	s_sub_i32 s88, s2, s16
	v_writelane_b32 v166, s5, 62
                                        ; implicit-def: $vgpr167 : SGPR spill to VGPR lane
	v_writelane_b32 v166, s28, 63
	v_mov_b32_e32 v27, v17
	v_cmp_gt_u32_e64 s[26:27], s88, v72
	v_lshl_add_u64 v[0:1], s[28:29], 0, v[16:17]
	v_writelane_b32 v167, s29, 0
	v_lshl_add_u64 v[0:1], v[0:1], 0, v[26:27]
	s_waitcnt lgkmcnt(0)
	v_mov_b32_e32 v2, 0
	s_barrier
	s_and_saveexec_b64 s[2:3], s[26:27]
	s_cbranch_execz .LBB61_15
; %bb.14:                               ;   in Loop: Header=BB61_13 Depth=1
	global_load_ushort v2, v[0:1], off
.LBB61_15:                              ;   in Loop: Header=BB61_13 Depth=1
	s_or_b64 exec, exec, s[2:3]
	v_add_u32_e32 v3, 64, v72
	v_cmp_gt_u32_e64 s[28:29], s88, v3
	v_mov_b32_e32 v3, 0
	v_mov_b32_e32 v4, 0
	s_and_saveexec_b64 s[2:3], s[28:29]
	s_cbranch_execz .LBB61_17
; %bb.16:                               ;   in Loop: Header=BB61_13 Depth=1
	global_load_ushort v4, v[0:1], off offset:128
.LBB61_17:                              ;   in Loop: Header=BB61_13 Depth=1
	s_or_b64 exec, exec, s[2:3]
	v_or_b32_e32 v5, 0x80, v72
	v_cmp_gt_u32_e64 s[30:31], s88, v5
	s_and_saveexec_b64 s[2:3], s[30:31]
	s_cbranch_execz .LBB61_19
; %bb.18:                               ;   in Loop: Header=BB61_13 Depth=1
	global_load_ushort v3, v[0:1], off offset:256
.LBB61_19:                              ;   in Loop: Header=BB61_13 Depth=1
	s_or_b64 exec, exec, s[2:3]
	v_add_u32_e32 v5, 0xc0, v72
	v_cmp_gt_u32_e64 s[34:35], s88, v5
	v_mov_b32_e32 v5, 0
	v_mov_b32_e32 v6, 0
	s_and_saveexec_b64 s[2:3], s[34:35]
	s_cbranch_execz .LBB61_21
; %bb.20:                               ;   in Loop: Header=BB61_13 Depth=1
	global_load_ushort v6, v[0:1], off offset:384
.LBB61_21:                              ;   in Loop: Header=BB61_13 Depth=1
	s_or_b64 exec, exec, s[2:3]
	v_or_b32_e32 v7, 0x100, v72
	v_cmp_gt_u32_e64 s[36:37], s88, v7
	s_and_saveexec_b64 s[2:3], s[36:37]
	s_cbranch_execz .LBB61_23
; %bb.22:                               ;   in Loop: Header=BB61_13 Depth=1
	global_load_ushort v5, v[0:1], off offset:512
.LBB61_23:                              ;   in Loop: Header=BB61_13 Depth=1
	s_or_b64 exec, exec, s[2:3]
	v_add_u32_e32 v7, 0x140, v72
	v_cmp_gt_u32_e64 s[38:39], s88, v7
	v_mov_b32_e32 v7, 0
	v_mov_b32_e32 v8, 0
	s_and_saveexec_b64 s[2:3], s[38:39]
	s_cbranch_execz .LBB61_25
; %bb.24:                               ;   in Loop: Header=BB61_13 Depth=1
	global_load_ushort v8, v[0:1], off offset:640
.LBB61_25:                              ;   in Loop: Header=BB61_13 Depth=1
	s_or_b64 exec, exec, s[2:3]
	v_cmp_gt_u32_e64 s[40:41], s88, v78
	s_and_saveexec_b64 s[2:3], s[40:41]
	s_cbranch_execz .LBB61_27
; %bb.26:                               ;   in Loop: Header=BB61_13 Depth=1
	global_load_ushort v7, v[0:1], off offset:768
.LBB61_27:                              ;   in Loop: Header=BB61_13 Depth=1
	s_or_b64 exec, exec, s[2:3]
	v_cmp_gt_u32_e64 s[42:43], s88, v79
	v_mov_b32_e32 v9, 0
	v_mov_b32_e32 v11, 0
	s_and_saveexec_b64 s[2:3], s[42:43]
	s_cbranch_execz .LBB61_29
; %bb.28:                               ;   in Loop: Header=BB61_13 Depth=1
	global_load_ushort v11, v[0:1], off offset:896
.LBB61_29:                              ;   in Loop: Header=BB61_13 Depth=1
	s_or_b64 exec, exec, s[2:3]
	v_cmp_gt_u32_e64 s[44:45], s88, v80
	s_and_saveexec_b64 s[2:3], s[44:45]
	s_cbranch_execz .LBB61_31
; %bb.30:                               ;   in Loop: Header=BB61_13 Depth=1
	global_load_ushort v9, v[0:1], off offset:1024
.LBB61_31:                              ;   in Loop: Header=BB61_13 Depth=1
	s_or_b64 exec, exec, s[2:3]
	;; [unrolled: 16-line block ×5, first 2 shown]
	v_cmp_gt_u32_e64 s[58:59], s88, v87
	v_mov_b32_e32 v10, 0
	v_mov_b32_e32 v30, 0
	s_and_saveexec_b64 s[2:3], s[58:59]
	s_cbranch_execz .LBB61_45
; %bb.44:                               ;   in Loop: Header=BB61_13 Depth=1
	global_load_ushort v30, v[0:1], off offset:1920
.LBB61_45:                              ;   in Loop: Header=BB61_13 Depth=1
	s_or_b64 exec, exec, s[2:3]
	s_waitcnt vmcnt(0)
	ds_write_b16 v88, v2
	ds_write_b16 v89, v4 offset:128
	ds_write_b16 v90, v3 offset:256
	;; [unrolled: 1-line block ×15, first 2 shown]
	; wave barrier
	ds_read_b128 v[0:3], v119
	ds_read_b128 v[4:7], v119 offset:16
	v_readlane_b32 s2, v166, 5
	v_readlane_b32 s3, v166, 6
	v_mov_b32_e32 v27, v17
	s_waitcnt lgkmcnt(0)
	v_lshl_add_u64 v[8:9], s[2:3], 0, v[16:17]
	v_lshl_add_u64 v[8:9], v[8:9], 0, v[26:27]
	s_barrier
	s_and_saveexec_b64 s[2:3], s[26:27]
	s_cbranch_execz .LBB61_47
; %bb.46:                               ;   in Loop: Header=BB61_13 Depth=1
	global_load_ushort v10, v[8:9], off
.LBB61_47:                              ;   in Loop: Header=BB61_13 Depth=1
	s_or_b64 exec, exec, s[2:3]
	v_mov_b32_e32 v11, 0
	v_mov_b32_e32 v12, 0
	s_and_saveexec_b64 s[2:3], s[28:29]
	s_cbranch_execz .LBB61_49
; %bb.48:                               ;   in Loop: Header=BB61_13 Depth=1
	global_load_ushort v12, v[8:9], off offset:128
.LBB61_49:                              ;   in Loop: Header=BB61_13 Depth=1
	s_or_b64 exec, exec, s[2:3]
	s_and_saveexec_b64 s[2:3], s[30:31]
	s_cbranch_execz .LBB61_51
; %bb.50:                               ;   in Loop: Header=BB61_13 Depth=1
	global_load_ushort v11, v[8:9], off offset:256
.LBB61_51:                              ;   in Loop: Header=BB61_13 Depth=1
	s_or_b64 exec, exec, s[2:3]
	v_mov_b32_e32 v13, 0
	v_mov_b32_e32 v14, 0
	s_and_saveexec_b64 s[2:3], s[34:35]
	s_cbranch_execz .LBB61_53
; %bb.52:                               ;   in Loop: Header=BB61_13 Depth=1
	global_load_ushort v14, v[8:9], off offset:384
.LBB61_53:                              ;   in Loop: Header=BB61_13 Depth=1
	s_or_b64 exec, exec, s[2:3]
	s_and_saveexec_b64 s[2:3], s[36:37]
	s_cbranch_execz .LBB61_55
; %bb.54:                               ;   in Loop: Header=BB61_13 Depth=1
	global_load_ushort v13, v[8:9], off offset:512
.LBB61_55:                              ;   in Loop: Header=BB61_13 Depth=1
	;; [unrolled: 14-line block ×6, first 2 shown]
	s_or_b64 exec, exec, s[2:3]
	v_mov_b32_e32 v35, 0
	v_mov_b32_e32 v36, 0
	s_and_saveexec_b64 s[2:3], s[54:55]
	s_cbranch_execnz .LBB61_269
; %bb.72:                               ;   in Loop: Header=BB61_13 Depth=1
	s_or_b64 exec, exec, s[2:3]
	s_and_saveexec_b64 s[2:3], s[56:57]
	s_cbranch_execnz .LBB61_270
.LBB61_73:                              ;   in Loop: Header=BB61_13 Depth=1
	s_or_b64 exec, exec, s[2:3]
	v_mov_b32_e32 v37, 0
	s_and_saveexec_b64 s[2:3], s[58:59]
	s_cbranch_execz .LBB61_75
.LBB61_74:                              ;   in Loop: Header=BB61_13 Depth=1
	global_load_ushort v37, v[8:9], off offset:1920
.LBB61_75:                              ;   in Loop: Header=BB61_13 Depth=1
	s_or_b64 exec, exec, s[2:3]
	s_waitcnt vmcnt(0)
	ds_write_b16 v88, v10
	ds_write_b16 v89, v12 offset:128
	ds_write_b16 v90, v11 offset:256
	;; [unrolled: 1-line block ×15, first 2 shown]
	; wave barrier
	ds_read_b128 v[12:15], v119
	ds_read_b128 v[8:11], v119 offset:16
	v_readlane_b32 s2, v166, 2
	s_waitcnt lgkmcnt(1)
	v_lshlrev_b32_e32 v27, 16, v12
	v_add_f32_e32 v144, s2, v27
	v_readlane_b32 s2, v166, 23
	v_cmp_ge_f32_e32 vcc, s6, v144
	v_readlane_b32 s3, v166, 24
	s_and_b64 s[2:3], s[2:3], vcc
	s_and_saveexec_b64 s[4:5], s[2:3]
	s_cbranch_execz .LBB61_77
; %bb.76:                               ;   in Loop: Header=BB61_13 Depth=1
	v_mul_f32_e32 v27, 0x3fb8aa3b, v144
	v_rndne_f32_e32 v29, v27
	v_sub_f32_e32 v30, v27, v29
	v_fma_f32 v27, v144, s8, -v27
	v_fmac_f32_e32 v27, 0x32a5705f, v144
	v_add_f32_e32 v27, v30, v27
	v_cvt_i32_f32_e32 v29, v29
	v_exp_f32_e32 v27, v27
	v_cmp_ngt_f32_e32 vcc, s9, v144
	v_ldexp_f32 v27, v27, v29
	s_nop 0
	v_cndmask_b32_e32 v27, 0, v27, vcc
	v_cmp_nlt_f32_e32 vcc, s10, v144
	s_nop 1
	v_cndmask_b32_e32 v46, v140, v27, vcc
	v_add_f32_e32 v27, 1.0, v46
	v_add_f32_e32 v29, -1.0, v27
	v_sub_f32_e32 v30, v29, v27
	v_add_f32_e32 v30, 1.0, v30
	v_sub_f32_e32 v29, v46, v29
	v_add_f32_e32 v29, v29, v30
	v_frexp_mant_f32_e32 v32, v27
	v_cvt_f64_f32_e32 v[30:31], v27
	v_frexp_exp_i32_f64_e32 v30, v[30:31]
	v_cmp_gt_f32_e32 vcc, s12, v32
	v_cmp_gt_f32_e64 s[60:61], s14, v46
	s_nop 0
	v_subbrev_co_u32_e32 v38, vcc, 0, v30, vcc
	v_sub_u32_e32 v30, 0, v38
	v_ldexp_f32 v27, v27, v30
	v_ldexp_f32 v29, v29, v30
	v_add_f32_e32 v30, -1.0, v27
	v_add_f32_e32 v31, 1.0, v30
	v_sub_f32_e32 v31, v27, v31
	v_add_f32_e32 v32, v29, v31
	v_add_f32_e32 v31, 1.0, v27
	v_add_f32_e32 v33, -1.0, v31
	v_sub_f32_e32 v27, v27, v33
	v_add_f32_e32 v27, v29, v27
	v_add_f32_e32 v29, v31, v27
	v_rcp_f32_e32 v39, v29
	v_sub_f32_e32 v31, v31, v29
	v_add_f32_e32 v27, v27, v31
	v_add_f32_e32 v31, v30, v32
	v_sub_f32_e32 v30, v30, v31
	v_mul_f32_e32 v41, v31, v39
	v_add_f32_e32 v40, v32, v30
	v_mul_f32_e32 v32, v29, v41
	v_fma_f32 v34, v41, v29, -v32
	v_fmac_f32_e32 v34, v41, v27
	v_add_f32_e32 v30, v32, v34
	v_sub_f32_e32 v33, v31, v30
	v_pk_add_f32 v[36:37], v[30:31], v[32:33] neg_lo:[0,1] neg_hi:[0,1]
	v_mov_b32_e32 v35, v30
	v_pk_add_f32 v[30:31], v[36:37], v[34:35] neg_lo:[0,1] neg_hi:[0,1]
	v_cmp_eq_f32_e32 vcc, s11, v46
	v_add_f32_e32 v31, v40, v31
	v_add_f32_e32 v30, v30, v31
	;; [unrolled: 1-line block ×3, first 2 shown]
	v_mul_f32_e32 v40, v39, v31
	v_mul_f32_e32 v32, v29, v40
	v_fma_f32 v34, v40, v29, -v32
	v_fmac_f32_e32 v34, v40, v27
	v_sub_f32_e32 v27, v33, v31
	v_add_f32_e32 v27, v30, v27
	v_add_f32_e32 v30, v32, v34
	v_sub_f32_e32 v33, v31, v30
	v_pk_add_f32 v[36:37], v[30:31], v[32:33] neg_lo:[0,1] neg_hi:[0,1]
	v_mov_b32_e32 v35, v30
	v_pk_add_f32 v[30:31], v[36:37], v[34:35] neg_lo:[0,1] neg_hi:[0,1]
	s_or_b64 vcc, s[60:61], vcc
	v_add_f32_e32 v27, v27, v31
	v_add_f32_e32 v27, v30, v27
	;; [unrolled: 1-line block ×4, first 2 shown]
	v_sub_f32_e32 v29, v31, v41
	v_mul_f32_e32 v27, v39, v27
	v_sub_f32_e32 v29, v40, v29
	v_add_f32_e32 v27, v29, v27
	v_add_f32_e32 v32, v31, v27
	v_cvt_f32_i32_e32 v30, v38
	v_mul_f32_e32 v34, v32, v32
	v_fmamk_f32 v29, v34, 0x3e9b6dac, v139
	v_sub_f32_e32 v31, v32, v31
	v_fmaak_f32 v29, v34, v29, 0x3f2aaada
	v_sub_f32_e32 v27, v27, v31
	v_mul_f32_e32 v31, v32, v34
	v_pk_mul_f32 v[34:35], v[30:31], v[28:29]
	v_ldexp_f32 v33, v32, 1
	v_fma_f32 v32, v30, s13, -v34
	v_fmac_f32_e32 v32, 0xb102e308, v30
	v_pk_add_f32 v[30:31], v[34:35], v[32:33]
	v_ldexp_f32 v27, v27, 1
	v_sub_f32_e32 v29, v31, v33
	v_sub_f32_e32 v29, v35, v29
	v_add_f32_e32 v37, v27, v29
	v_mov_b32_e32 v36, v34
	v_pk_add_f32 v[34:35], v[30:31], v[34:35] neg_lo:[0,1] neg_hi:[0,1]
	v_pk_add_f32 v[38:39], v[30:31], v[36:37]
	v_mov_b32_e32 v33, v30
	v_mov_b32_e32 v35, v39
	v_pk_add_f32 v[40:41], v[32:33], v[34:35] neg_lo:[0,1] neg_hi:[0,1]
	v_pk_add_f32 v[32:33], v[32:33], v[34:35]
	v_mov_b32_e32 v36, v37
	v_mov_b32_e32 v34, v33
	v_pk_add_f32 v[42:43], v[34:35], v[30:31] neg_lo:[0,1] neg_hi:[0,1]
	v_mov_b32_e32 v32, v39
	v_mov_b32_e32 v27, v42
	v_pk_add_f32 v[44:45], v[38:39], v[26:27] neg_lo:[0,1] neg_hi:[0,1]
	v_mov_b32_e32 v38, v31
	v_mov_b32_e32 v39, v42
	;; [unrolled: 1-line block ×3, first 2 shown]
	v_pk_add_f32 v[32:33], v[32:33], v[38:39] neg_lo:[0,1] neg_hi:[0,1]
	v_mov_b32_e32 v37, v30
	v_pk_add_f32 v[30:31], v[36:37], v[32:33] neg_lo:[0,1] neg_hi:[0,1]
	v_mov_b32_e32 v44, v40
	v_pk_add_f32 v[32:33], v[44:45], v[30:31]
	s_nop 0
	v_mov_b32_e32 v36, v33
	v_pk_add_f32 v[36:37], v[32:33], v[36:37]
	s_nop 0
	v_pk_add_f32 v[34:35], v[34:35], v[36:37]
	v_mov_b32_e32 v31, v36
	v_mov_b32_e32 v33, v34
	v_pk_add_f32 v[38:39], v[32:33], v[40:41] neg_lo:[0,1] neg_hi:[0,1]
	s_nop 0
	v_sub_f32_e32 v27, v32, v38
	v_pk_add_f32 v[30:31], v[30:31], v[38:39] neg_lo:[0,1] neg_hi:[0,1]
	v_sub_f32_e32 v27, v40, v27
	v_add_f32_e32 v27, v30, v27
	v_add_f32_e32 v27, v27, v31
	;; [unrolled: 1-line block ×3, first 2 shown]
	v_cndmask_b32_e32 v144, v27, v46, vcc
.LBB61_77:                              ;   in Loop: Header=BB61_13 Depth=1
	s_or_b64 exec, exec, s[4:5]
	v_and_b32_e32 v12, 0xffff0000, v12
	v_readlane_b32 s2, v166, 2
	s_nop 1
	v_add_f32_e32 v145, s2, v12
	v_readlane_b32 s2, v166, 23
	v_cmp_ge_f32_e32 vcc, s6, v145
	v_readlane_b32 s3, v166, 24
	s_and_b64 s[2:3], s[2:3], vcc
	s_and_saveexec_b64 s[4:5], s[2:3]
	s_cbranch_execz .LBB61_79
; %bb.78:                               ;   in Loop: Header=BB61_13 Depth=1
	v_mul_f32_e32 v12, 0x3fb8aa3b, v145
	v_rndne_f32_e32 v27, v12
	v_sub_f32_e32 v29, v12, v27
	v_fma_f32 v12, v145, s8, -v12
	v_fmac_f32_e32 v12, 0x32a5705f, v145
	v_add_f32_e32 v12, v29, v12
	v_cvt_i32_f32_e32 v27, v27
	v_exp_f32_e32 v12, v12
	v_cmp_ngt_f32_e32 vcc, s9, v145
	v_ldexp_f32 v12, v12, v27
	s_nop 0
	v_cndmask_b32_e32 v12, 0, v12, vcc
	v_cmp_nlt_f32_e32 vcc, s10, v145
	s_nop 1
	v_cndmask_b32_e32 v44, v140, v12, vcc
	v_add_f32_e32 v12, 1.0, v44
	v_add_f32_e32 v27, -1.0, v12
	v_sub_f32_e32 v29, v27, v12
	v_add_f32_e32 v29, 1.0, v29
	v_sub_f32_e32 v27, v44, v27
	v_add_f32_e32 v27, v27, v29
	v_frexp_mant_f32_e32 v29, v12
	v_cvt_f64_f32_e32 v[30:31], v12
	v_frexp_exp_i32_f64_e32 v30, v[30:31]
	v_cmp_gt_f32_e32 vcc, s12, v29
	v_cmp_gt_f32_e64 s[60:61], s14, v44
	s_nop 0
	v_subbrev_co_u32_e32 v38, vcc, 0, v30, vcc
	v_sub_u32_e32 v29, 0, v38
	v_ldexp_f32 v12, v12, v29
	v_ldexp_f32 v27, v27, v29
	v_add_f32_e32 v29, -1.0, v12
	v_add_f32_e32 v31, 1.0, v12
	v_add_f32_e32 v30, 1.0, v29
	v_add_f32_e32 v32, -1.0, v31
	v_sub_f32_e32 v30, v12, v30
	v_sub_f32_e32 v12, v12, v32
	v_add_f32_e32 v12, v27, v12
	v_add_f32_e32 v30, v27, v30
	v_add_f32_e32 v27, v31, v12
	v_rcp_f32_e32 v39, v27
	v_sub_f32_e32 v31, v31, v27
	v_add_f32_e32 v12, v12, v31
	v_add_f32_e32 v31, v29, v30
	v_mul_f32_e32 v40, v31, v39
	v_mul_f32_e32 v32, v27, v40
	v_fma_f32 v34, v40, v27, -v32
	v_sub_f32_e32 v29, v29, v31
	v_fmac_f32_e32 v34, v40, v12
	v_add_f32_e32 v29, v30, v29
	v_add_f32_e32 v30, v32, v34
	v_sub_f32_e32 v33, v31, v30
	v_pk_add_f32 v[36:37], v[30:31], v[32:33] neg_lo:[0,1] neg_hi:[0,1]
	v_mov_b32_e32 v35, v30
	v_pk_add_f32 v[30:31], v[36:37], v[34:35] neg_lo:[0,1] neg_hi:[0,1]
	v_cmp_eq_f32_e32 vcc, s11, v44
	v_add_f32_e32 v29, v29, v31
	v_add_f32_e32 v29, v30, v29
	;; [unrolled: 1-line block ×3, first 2 shown]
	v_mul_f32_e32 v41, v39, v31
	v_mul_f32_e32 v32, v27, v41
	v_fma_f32 v34, v41, v27, -v32
	v_fmac_f32_e32 v34, v41, v12
	v_add_f32_e32 v30, v32, v34
	v_sub_f32_e32 v12, v33, v31
	v_sub_f32_e32 v33, v31, v30
	v_pk_add_f32 v[36:37], v[30:31], v[32:33] neg_lo:[0,1] neg_hi:[0,1]
	v_mov_b32_e32 v35, v30
	v_add_f32_e32 v12, v29, v12
	v_pk_add_f32 v[30:31], v[36:37], v[34:35] neg_lo:[0,1] neg_hi:[0,1]
	v_add_f32_e32 v27, v40, v41
	v_add_f32_e32 v12, v12, v31
	;; [unrolled: 1-line block ×4, first 2 shown]
	v_sub_f32_e32 v29, v27, v40
	v_mul_f32_e32 v12, v39, v12
	v_sub_f32_e32 v29, v41, v29
	v_add_f32_e32 v12, v29, v12
	v_add_f32_e32 v31, v27, v12
	v_cvt_f32_i32_e32 v30, v38
	v_mul_f32_e32 v32, v31, v31
	v_fmamk_f32 v29, v32, 0x3e9b6dac, v139
	v_fmaak_f32 v29, v32, v29, 0x3f2aaada
	v_sub_f32_e32 v27, v31, v27
	v_ldexp_f32 v33, v31, 1
	v_mul_f32_e32 v31, v31, v32
	v_pk_mul_f32 v[34:35], v[30:31], v[28:29]
	v_sub_f32_e32 v12, v12, v27
	v_fma_f32 v32, v30, s13, -v34
	v_fmac_f32_e32 v32, 0xb102e308, v30
	v_pk_add_f32 v[30:31], v[34:35], v[32:33]
	v_ldexp_f32 v12, v12, 1
	v_sub_f32_e32 v27, v31, v33
	v_sub_f32_e32 v27, v35, v27
	v_add_f32_e32 v37, v12, v27
	v_mov_b32_e32 v36, v34
	v_pk_add_f32 v[34:35], v[30:31], v[34:35] neg_lo:[0,1] neg_hi:[0,1]
	v_pk_add_f32 v[38:39], v[30:31], v[36:37]
	v_mov_b32_e32 v33, v30
	v_mov_b32_e32 v35, v39
	v_pk_add_f32 v[40:41], v[32:33], v[34:35] neg_lo:[0,1] neg_hi:[0,1]
	v_pk_add_f32 v[32:33], v[32:33], v[34:35]
	s_or_b64 vcc, s[60:61], vcc
	v_mov_b32_e32 v12, v33
	v_pk_add_f32 v[34:35], v[12:13], v[30:31] neg_lo:[0,1] neg_hi:[0,1]
	v_mov_b32_e32 v32, v39
	v_mov_b32_e32 v27, v34
	v_pk_add_f32 v[42:43], v[38:39], v[26:27] neg_lo:[0,1] neg_hi:[0,1]
	v_mov_b32_e32 v38, v31
	v_mov_b32_e32 v39, v34
	;; [unrolled: 1-line block ×3, first 2 shown]
	v_pk_add_f32 v[32:33], v[32:33], v[38:39] neg_lo:[0,1] neg_hi:[0,1]
	v_mov_b32_e32 v34, v37
	v_mov_b32_e32 v35, v30
	v_pk_add_f32 v[30:31], v[34:35], v[32:33] neg_lo:[0,1] neg_hi:[0,1]
	v_mov_b32_e32 v42, v40
	v_pk_add_f32 v[32:33], v[42:43], v[30:31]
	s_nop 0
	v_mov_b32_e32 v34, v33
	v_pk_add_f32 v[34:35], v[32:33], v[34:35]
	s_nop 0
	v_pk_add_f32 v[36:37], v[12:13], v[34:35]
	v_mov_b32_e32 v31, v34
	v_mov_b32_e32 v33, v36
	v_pk_add_f32 v[38:39], v[32:33], v[40:41] neg_lo:[0,1] neg_hi:[0,1]
	s_nop 0
	v_sub_f32_e32 v12, v32, v38
	v_pk_add_f32 v[30:31], v[30:31], v[38:39] neg_lo:[0,1] neg_hi:[0,1]
	v_sub_f32_e32 v12, v40, v12
	v_add_f32_e32 v12, v30, v12
	v_add_f32_e32 v12, v12, v31
	;; [unrolled: 1-line block ×3, first 2 shown]
	v_cndmask_b32_e32 v145, v12, v44, vcc
.LBB61_79:                              ;   in Loop: Header=BB61_13 Depth=1
	s_or_b64 exec, exec, s[4:5]
	v_lshlrev_b32_e32 v12, 16, v13
	v_readlane_b32 s2, v166, 2
	s_nop 1
	v_add_f32_e32 v146, s2, v12
	v_readlane_b32 s2, v166, 23
	v_cmp_ge_f32_e32 vcc, s6, v146
	v_readlane_b32 s3, v166, 24
	s_and_b64 s[2:3], s[2:3], vcc
	s_and_saveexec_b64 s[4:5], s[2:3]
	s_cbranch_execz .LBB61_81
; %bb.80:                               ;   in Loop: Header=BB61_13 Depth=1
	v_mul_f32_e32 v12, 0x3fb8aa3b, v146
	v_rndne_f32_e32 v27, v12
	v_sub_f32_e32 v29, v12, v27
	v_fma_f32 v12, v146, s8, -v12
	v_fmac_f32_e32 v12, 0x32a5705f, v146
	v_add_f32_e32 v12, v29, v12
	v_cvt_i32_f32_e32 v27, v27
	v_exp_f32_e32 v12, v12
	v_cmp_ngt_f32_e32 vcc, s9, v146
	v_ldexp_f32 v12, v12, v27
	s_nop 0
	v_cndmask_b32_e32 v12, 0, v12, vcc
	v_cmp_nlt_f32_e32 vcc, s10, v146
	s_nop 1
	v_cndmask_b32_e32 v44, v140, v12, vcc
	v_add_f32_e32 v12, 1.0, v44
	v_add_f32_e32 v27, -1.0, v12
	v_sub_f32_e32 v29, v27, v12
	v_add_f32_e32 v29, 1.0, v29
	v_sub_f32_e32 v27, v44, v27
	v_add_f32_e32 v27, v27, v29
	v_frexp_mant_f32_e32 v29, v12
	v_cvt_f64_f32_e32 v[30:31], v12
	v_frexp_exp_i32_f64_e32 v30, v[30:31]
	v_cmp_gt_f32_e32 vcc, s12, v29
	v_cmp_gt_f32_e64 s[60:61], s14, v44
	s_nop 0
	v_subbrev_co_u32_e32 v38, vcc, 0, v30, vcc
	v_sub_u32_e32 v29, 0, v38
	v_ldexp_f32 v12, v12, v29
	v_ldexp_f32 v27, v27, v29
	v_add_f32_e32 v29, -1.0, v12
	v_add_f32_e32 v31, 1.0, v12
	v_add_f32_e32 v30, 1.0, v29
	v_add_f32_e32 v32, -1.0, v31
	v_sub_f32_e32 v30, v12, v30
	v_sub_f32_e32 v12, v12, v32
	v_add_f32_e32 v12, v27, v12
	v_add_f32_e32 v30, v27, v30
	;; [unrolled: 1-line block ×3, first 2 shown]
	v_rcp_f32_e32 v39, v27
	v_sub_f32_e32 v31, v31, v27
	v_add_f32_e32 v12, v12, v31
	v_add_f32_e32 v31, v29, v30
	v_mul_f32_e32 v40, v31, v39
	v_mul_f32_e32 v32, v27, v40
	v_fma_f32 v34, v40, v27, -v32
	v_sub_f32_e32 v29, v29, v31
	v_fmac_f32_e32 v34, v40, v12
	v_add_f32_e32 v29, v30, v29
	v_add_f32_e32 v30, v32, v34
	v_sub_f32_e32 v33, v31, v30
	v_pk_add_f32 v[36:37], v[30:31], v[32:33] neg_lo:[0,1] neg_hi:[0,1]
	v_mov_b32_e32 v35, v30
	v_pk_add_f32 v[30:31], v[36:37], v[34:35] neg_lo:[0,1] neg_hi:[0,1]
	v_cmp_eq_f32_e32 vcc, s11, v44
	v_add_f32_e32 v29, v29, v31
	v_add_f32_e32 v29, v30, v29
	;; [unrolled: 1-line block ×3, first 2 shown]
	v_mul_f32_e32 v41, v39, v31
	v_mul_f32_e32 v32, v27, v41
	v_fma_f32 v34, v41, v27, -v32
	v_fmac_f32_e32 v34, v41, v12
	v_add_f32_e32 v30, v32, v34
	v_sub_f32_e32 v12, v33, v31
	v_sub_f32_e32 v33, v31, v30
	v_pk_add_f32 v[36:37], v[30:31], v[32:33] neg_lo:[0,1] neg_hi:[0,1]
	v_mov_b32_e32 v35, v30
	v_add_f32_e32 v12, v29, v12
	v_pk_add_f32 v[30:31], v[36:37], v[34:35] neg_lo:[0,1] neg_hi:[0,1]
	v_add_f32_e32 v27, v40, v41
	v_add_f32_e32 v12, v12, v31
	;; [unrolled: 1-line block ×4, first 2 shown]
	v_sub_f32_e32 v29, v27, v40
	v_mul_f32_e32 v12, v39, v12
	v_sub_f32_e32 v29, v41, v29
	v_add_f32_e32 v12, v29, v12
	v_add_f32_e32 v31, v27, v12
	v_cvt_f32_i32_e32 v30, v38
	v_mul_f32_e32 v32, v31, v31
	v_fmamk_f32 v29, v32, 0x3e9b6dac, v139
	v_fmaak_f32 v29, v32, v29, 0x3f2aaada
	v_sub_f32_e32 v27, v31, v27
	v_ldexp_f32 v33, v31, 1
	v_mul_f32_e32 v31, v31, v32
	v_pk_mul_f32 v[34:35], v[30:31], v[28:29]
	v_sub_f32_e32 v12, v12, v27
	v_fma_f32 v32, v30, s13, -v34
	v_fmac_f32_e32 v32, 0xb102e308, v30
	v_pk_add_f32 v[30:31], v[34:35], v[32:33]
	v_ldexp_f32 v12, v12, 1
	v_sub_f32_e32 v27, v31, v33
	v_sub_f32_e32 v27, v35, v27
	v_add_f32_e32 v37, v12, v27
	v_mov_b32_e32 v36, v34
	v_pk_add_f32 v[34:35], v[30:31], v[34:35] neg_lo:[0,1] neg_hi:[0,1]
	v_pk_add_f32 v[38:39], v[30:31], v[36:37]
	v_mov_b32_e32 v33, v30
	v_mov_b32_e32 v35, v39
	v_pk_add_f32 v[40:41], v[32:33], v[34:35] neg_lo:[0,1] neg_hi:[0,1]
	v_pk_add_f32 v[32:33], v[32:33], v[34:35]
	s_or_b64 vcc, s[60:61], vcc
	v_mov_b32_e32 v12, v33
	v_pk_add_f32 v[34:35], v[12:13], v[30:31] neg_lo:[0,1] neg_hi:[0,1]
	v_mov_b32_e32 v32, v39
	v_mov_b32_e32 v27, v34
	v_pk_add_f32 v[42:43], v[38:39], v[26:27] neg_lo:[0,1] neg_hi:[0,1]
	v_mov_b32_e32 v38, v31
	v_mov_b32_e32 v39, v34
	;; [unrolled: 1-line block ×3, first 2 shown]
	v_pk_add_f32 v[32:33], v[32:33], v[38:39] neg_lo:[0,1] neg_hi:[0,1]
	v_mov_b32_e32 v34, v37
	v_mov_b32_e32 v35, v30
	v_pk_add_f32 v[30:31], v[34:35], v[32:33] neg_lo:[0,1] neg_hi:[0,1]
	v_mov_b32_e32 v42, v40
	v_pk_add_f32 v[32:33], v[42:43], v[30:31]
	s_nop 0
	v_mov_b32_e32 v34, v33
	v_pk_add_f32 v[34:35], v[32:33], v[34:35]
	s_nop 0
	v_pk_add_f32 v[36:37], v[12:13], v[34:35]
	v_mov_b32_e32 v31, v34
	v_mov_b32_e32 v33, v36
	v_pk_add_f32 v[38:39], v[32:33], v[40:41] neg_lo:[0,1] neg_hi:[0,1]
	s_nop 0
	v_sub_f32_e32 v12, v32, v38
	v_pk_add_f32 v[30:31], v[30:31], v[38:39] neg_lo:[0,1] neg_hi:[0,1]
	v_sub_f32_e32 v12, v40, v12
	v_add_f32_e32 v12, v30, v12
	v_add_f32_e32 v12, v12, v31
	;; [unrolled: 1-line block ×3, first 2 shown]
	v_cndmask_b32_e32 v146, v12, v44, vcc
.LBB61_81:                              ;   in Loop: Header=BB61_13 Depth=1
	s_or_b64 exec, exec, s[4:5]
	v_and_b32_e32 v12, 0xffff0000, v13
	v_readlane_b32 s2, v166, 2
	s_nop 1
	v_add_f32_e32 v147, s2, v12
	v_readlane_b32 s2, v166, 23
	v_cmp_ge_f32_e32 vcc, s6, v147
	v_readlane_b32 s3, v166, 24
	s_and_b64 s[2:3], s[2:3], vcc
	s_and_saveexec_b64 s[4:5], s[2:3]
	s_cbranch_execz .LBB61_83
; %bb.82:                               ;   in Loop: Header=BB61_13 Depth=1
	v_mul_f32_e32 v12, 0x3fb8aa3b, v147
	v_rndne_f32_e32 v13, v12
	v_sub_f32_e32 v27, v12, v13
	v_fma_f32 v12, v147, s8, -v12
	v_fmac_f32_e32 v12, 0x32a5705f, v147
	v_add_f32_e32 v12, v27, v12
	v_cvt_i32_f32_e32 v13, v13
	v_exp_f32_e32 v12, v12
	v_cmp_ngt_f32_e32 vcc, s9, v147
	v_ldexp_f32 v12, v12, v13
	s_nop 0
	v_cndmask_b32_e32 v12, 0, v12, vcc
	v_cmp_nlt_f32_e32 vcc, s10, v147
	s_nop 1
	v_cndmask_b32_e32 v44, v140, v12, vcc
	v_add_f32_e32 v27, 1.0, v44
	v_add_f32_e32 v12, -1.0, v27
	v_sub_f32_e32 v13, v12, v27
	v_add_f32_e32 v13, 1.0, v13
	v_sub_f32_e32 v12, v44, v12
	v_add_f32_e32 v29, v12, v13
	v_frexp_mant_f32_e32 v30, v27
	v_cvt_f64_f32_e32 v[12:13], v27
	v_frexp_exp_i32_f64_e32 v12, v[12:13]
	v_cmp_gt_f32_e32 vcc, s12, v30
	v_cmp_gt_f32_e64 s[60:61], s14, v44
	s_nop 0
	v_subbrev_co_u32_e32 v36, vcc, 0, v12, vcc
	v_sub_u32_e32 v12, 0, v36
	v_ldexp_f32 v13, v27, v12
	v_add_f32_e32 v27, -1.0, v13
	v_add_f32_e32 v30, 1.0, v13
	v_ldexp_f32 v12, v29, v12
	v_add_f32_e32 v29, 1.0, v27
	v_add_f32_e32 v31, -1.0, v30
	v_sub_f32_e32 v29, v13, v29
	v_sub_f32_e32 v13, v13, v31
	v_add_f32_e32 v29, v12, v29
	v_add_f32_e32 v12, v12, v13
	;; [unrolled: 1-line block ×3, first 2 shown]
	v_rcp_f32_e32 v39, v37
	v_sub_f32_e32 v13, v30, v37
	v_add_f32_e32 v38, v12, v13
	v_add_f32_e32 v13, v27, v29
	v_sub_f32_e32 v12, v27, v13
	v_add_f32_e32 v27, v29, v12
	v_mul_f32_e32 v29, v13, v39
	v_mul_f32_e32 v30, v37, v29
	v_fma_f32 v32, v29, v37, -v30
	v_fmac_f32_e32 v32, v29, v38
	v_add_f32_e32 v12, v30, v32
	v_sub_f32_e32 v31, v13, v12
	v_pk_add_f32 v[34:35], v[12:13], v[30:31] neg_lo:[0,1] neg_hi:[0,1]
	v_mov_b32_e32 v33, v12
	v_pk_add_f32 v[12:13], v[34:35], v[32:33] neg_lo:[0,1] neg_hi:[0,1]
	v_cmp_eq_f32_e32 vcc, s11, v44
	v_add_f32_e32 v13, v27, v13
	v_add_f32_e32 v12, v12, v13
	v_add_f32_e32 v13, v31, v12
	v_mul_f32_e32 v27, v39, v13
	v_mul_f32_e32 v30, v37, v27
	v_fma_f32 v32, v27, v37, -v30
	v_fmac_f32_e32 v32, v27, v38
	v_sub_f32_e32 v31, v31, v13
	v_add_f32_e32 v37, v12, v31
	v_add_f32_e32 v12, v30, v32
	v_sub_f32_e32 v31, v13, v12
	v_pk_add_f32 v[34:35], v[12:13], v[30:31] neg_lo:[0,1] neg_hi:[0,1]
	v_mov_b32_e32 v33, v12
	v_pk_add_f32 v[12:13], v[34:35], v[32:33] neg_lo:[0,1] neg_hi:[0,1]
	s_or_b64 vcc, s[60:61], vcc
	v_add_f32_e32 v13, v37, v13
	v_add_f32_e32 v12, v12, v13
	;; [unrolled: 1-line block ×4, first 2 shown]
	v_sub_f32_e32 v29, v13, v29
	v_mul_f32_e32 v12, v39, v12
	v_sub_f32_e32 v27, v27, v29
	v_add_f32_e32 v27, v27, v12
	v_add_f32_e32 v30, v13, v27
	v_mul_f32_e32 v32, v30, v30
	v_fmamk_f32 v12, v32, 0x3e9b6dac, v139
	v_fmaak_f32 v29, v32, v12, 0x3f2aaada
	v_cvt_f32_i32_e32 v12, v36
	v_sub_f32_e32 v13, v30, v13
	v_sub_f32_e32 v13, v27, v13
	v_ldexp_f32 v27, v13, 1
	v_mul_f32_e32 v13, v30, v32
	v_pk_mul_f32 v[32:33], v[12:13], v[28:29]
	v_ldexp_f32 v31, v30, 1
	v_fma_f32 v30, v12, s13, -v32
	v_fmac_f32_e32 v30, 0xb102e308, v12
	v_pk_add_f32 v[12:13], v[32:33], v[30:31]
	v_mov_b32_e32 v34, v32
	v_sub_f32_e32 v29, v13, v31
	v_sub_f32_e32 v29, v33, v29
	v_add_f32_e32 v35, v27, v29
	v_pk_add_f32 v[32:33], v[12:13], v[32:33] neg_lo:[0,1] neg_hi:[0,1]
	v_pk_add_f32 v[36:37], v[12:13], v[34:35]
	v_mov_b32_e32 v31, v12
	v_mov_b32_e32 v33, v37
	v_pk_add_f32 v[38:39], v[30:31], v[32:33] neg_lo:[0,1] neg_hi:[0,1]
	v_pk_add_f32 v[30:31], v[30:31], v[32:33]
	v_mov_b32_e32 v34, v35
	v_mov_b32_e32 v32, v31
	v_pk_add_f32 v[40:41], v[32:33], v[12:13] neg_lo:[0,1] neg_hi:[0,1]
	v_mov_b32_e32 v30, v37
	v_mov_b32_e32 v27, v40
	v_pk_add_f32 v[42:43], v[36:37], v[26:27] neg_lo:[0,1] neg_hi:[0,1]
	v_mov_b32_e32 v36, v13
	v_mov_b32_e32 v37, v40
	;; [unrolled: 1-line block ×3, first 2 shown]
	v_pk_add_f32 v[30:31], v[30:31], v[36:37] neg_lo:[0,1] neg_hi:[0,1]
	v_mov_b32_e32 v35, v12
	v_pk_add_f32 v[12:13], v[34:35], v[30:31] neg_lo:[0,1] neg_hi:[0,1]
	v_mov_b32_e32 v42, v38
	v_pk_add_f32 v[30:31], v[42:43], v[12:13]
	s_nop 0
	v_mov_b32_e32 v34, v31
	v_pk_add_f32 v[34:35], v[30:31], v[34:35]
	s_nop 0
	v_pk_add_f32 v[32:33], v[32:33], v[34:35]
	v_mov_b32_e32 v13, v34
	v_mov_b32_e32 v31, v32
	v_pk_add_f32 v[36:37], v[30:31], v[38:39] neg_lo:[0,1] neg_hi:[0,1]
	s_nop 0
	v_sub_f32_e32 v27, v30, v36
	v_pk_add_f32 v[12:13], v[12:13], v[36:37] neg_lo:[0,1] neg_hi:[0,1]
	v_sub_f32_e32 v27, v38, v27
	v_add_f32_e32 v12, v12, v27
	v_add_f32_e32 v12, v12, v13
	;; [unrolled: 1-line block ×3, first 2 shown]
	v_cndmask_b32_e32 v147, v12, v44, vcc
.LBB61_83:                              ;   in Loop: Header=BB61_13 Depth=1
	s_or_b64 exec, exec, s[4:5]
	v_lshlrev_b32_e32 v12, 16, v14
	v_readlane_b32 s2, v166, 2
	s_nop 1
	v_add_f32_e32 v148, s2, v12
	v_readlane_b32 s2, v166, 23
	v_cmp_ge_f32_e32 vcc, s6, v148
	v_readlane_b32 s3, v166, 24
	s_and_b64 s[2:3], s[2:3], vcc
	s_and_saveexec_b64 s[4:5], s[2:3]
	s_cbranch_execz .LBB61_85
; %bb.84:                               ;   in Loop: Header=BB61_13 Depth=1
	v_mul_f32_e32 v12, 0x3fb8aa3b, v148
	v_rndne_f32_e32 v13, v12
	v_sub_f32_e32 v27, v12, v13
	v_fma_f32 v12, v148, s8, -v12
	v_fmac_f32_e32 v12, 0x32a5705f, v148
	v_add_f32_e32 v12, v27, v12
	v_cvt_i32_f32_e32 v13, v13
	v_exp_f32_e32 v12, v12
	v_cmp_ngt_f32_e32 vcc, s9, v148
	v_ldexp_f32 v12, v12, v13
	s_nop 0
	v_cndmask_b32_e32 v12, 0, v12, vcc
	v_cmp_nlt_f32_e32 vcc, s10, v148
	s_nop 1
	v_cndmask_b32_e32 v44, v140, v12, vcc
	v_add_f32_e32 v27, 1.0, v44
	v_add_f32_e32 v12, -1.0, v27
	v_sub_f32_e32 v13, v12, v27
	v_add_f32_e32 v13, 1.0, v13
	v_sub_f32_e32 v12, v44, v12
	v_add_f32_e32 v29, v12, v13
	v_frexp_mant_f32_e32 v30, v27
	v_cvt_f64_f32_e32 v[12:13], v27
	v_frexp_exp_i32_f64_e32 v12, v[12:13]
	v_cmp_gt_f32_e32 vcc, s12, v30
	v_cmp_gt_f32_e64 s[60:61], s14, v44
	s_nop 0
	v_subbrev_co_u32_e32 v36, vcc, 0, v12, vcc
	v_sub_u32_e32 v12, 0, v36
	v_ldexp_f32 v13, v27, v12
	v_add_f32_e32 v27, -1.0, v13
	v_add_f32_e32 v30, 1.0, v13
	v_ldexp_f32 v12, v29, v12
	v_add_f32_e32 v29, 1.0, v27
	v_add_f32_e32 v31, -1.0, v30
	v_sub_f32_e32 v29, v13, v29
	v_sub_f32_e32 v13, v13, v31
	v_add_f32_e32 v29, v12, v29
	v_add_f32_e32 v12, v12, v13
	;; [unrolled: 1-line block ×3, first 2 shown]
	v_rcp_f32_e32 v39, v37
	v_sub_f32_e32 v13, v30, v37
	v_add_f32_e32 v38, v12, v13
	v_add_f32_e32 v13, v27, v29
	v_sub_f32_e32 v12, v27, v13
	v_add_f32_e32 v27, v29, v12
	v_mul_f32_e32 v29, v13, v39
	v_mul_f32_e32 v30, v37, v29
	v_fma_f32 v32, v29, v37, -v30
	v_fmac_f32_e32 v32, v29, v38
	v_add_f32_e32 v12, v30, v32
	v_sub_f32_e32 v31, v13, v12
	v_pk_add_f32 v[34:35], v[12:13], v[30:31] neg_lo:[0,1] neg_hi:[0,1]
	v_mov_b32_e32 v33, v12
	v_pk_add_f32 v[12:13], v[34:35], v[32:33] neg_lo:[0,1] neg_hi:[0,1]
	v_cmp_eq_f32_e32 vcc, s11, v44
	v_add_f32_e32 v13, v27, v13
	v_add_f32_e32 v12, v12, v13
	;; [unrolled: 1-line block ×3, first 2 shown]
	v_mul_f32_e32 v27, v39, v13
	v_mul_f32_e32 v30, v37, v27
	v_fma_f32 v32, v27, v37, -v30
	v_fmac_f32_e32 v32, v27, v38
	v_sub_f32_e32 v31, v31, v13
	v_add_f32_e32 v37, v12, v31
	v_add_f32_e32 v12, v30, v32
	v_sub_f32_e32 v31, v13, v12
	v_pk_add_f32 v[34:35], v[12:13], v[30:31] neg_lo:[0,1] neg_hi:[0,1]
	v_mov_b32_e32 v33, v12
	v_pk_add_f32 v[12:13], v[34:35], v[32:33] neg_lo:[0,1] neg_hi:[0,1]
	s_or_b64 vcc, s[60:61], vcc
	v_add_f32_e32 v13, v37, v13
	v_add_f32_e32 v12, v12, v13
	;; [unrolled: 1-line block ×4, first 2 shown]
	v_sub_f32_e32 v29, v13, v29
	v_mul_f32_e32 v12, v39, v12
	v_sub_f32_e32 v27, v27, v29
	v_add_f32_e32 v27, v27, v12
	v_add_f32_e32 v30, v13, v27
	v_mul_f32_e32 v32, v30, v30
	v_fmamk_f32 v12, v32, 0x3e9b6dac, v139
	v_fmaak_f32 v29, v32, v12, 0x3f2aaada
	v_cvt_f32_i32_e32 v12, v36
	v_sub_f32_e32 v13, v30, v13
	v_sub_f32_e32 v13, v27, v13
	v_ldexp_f32 v27, v13, 1
	v_mul_f32_e32 v13, v30, v32
	v_pk_mul_f32 v[32:33], v[12:13], v[28:29]
	v_ldexp_f32 v31, v30, 1
	v_fma_f32 v30, v12, s13, -v32
	v_fmac_f32_e32 v30, 0xb102e308, v12
	v_pk_add_f32 v[12:13], v[32:33], v[30:31]
	v_mov_b32_e32 v34, v32
	v_sub_f32_e32 v29, v13, v31
	v_sub_f32_e32 v29, v33, v29
	v_add_f32_e32 v35, v27, v29
	v_pk_add_f32 v[32:33], v[12:13], v[32:33] neg_lo:[0,1] neg_hi:[0,1]
	v_pk_add_f32 v[36:37], v[12:13], v[34:35]
	v_mov_b32_e32 v31, v12
	v_mov_b32_e32 v33, v37
	v_pk_add_f32 v[38:39], v[30:31], v[32:33] neg_lo:[0,1] neg_hi:[0,1]
	v_pk_add_f32 v[30:31], v[30:31], v[32:33]
	v_mov_b32_e32 v34, v35
	v_mov_b32_e32 v32, v31
	v_pk_add_f32 v[40:41], v[32:33], v[12:13] neg_lo:[0,1] neg_hi:[0,1]
	v_mov_b32_e32 v30, v37
	v_mov_b32_e32 v27, v40
	v_pk_add_f32 v[42:43], v[36:37], v[26:27] neg_lo:[0,1] neg_hi:[0,1]
	v_mov_b32_e32 v36, v13
	v_mov_b32_e32 v37, v40
	;; [unrolled: 1-line block ×3, first 2 shown]
	v_pk_add_f32 v[30:31], v[30:31], v[36:37] neg_lo:[0,1] neg_hi:[0,1]
	v_mov_b32_e32 v35, v12
	v_pk_add_f32 v[12:13], v[34:35], v[30:31] neg_lo:[0,1] neg_hi:[0,1]
	v_mov_b32_e32 v42, v38
	v_pk_add_f32 v[30:31], v[42:43], v[12:13]
	s_nop 0
	v_mov_b32_e32 v34, v31
	v_pk_add_f32 v[34:35], v[30:31], v[34:35]
	s_nop 0
	v_pk_add_f32 v[32:33], v[32:33], v[34:35]
	v_mov_b32_e32 v13, v34
	v_mov_b32_e32 v31, v32
	v_pk_add_f32 v[36:37], v[30:31], v[38:39] neg_lo:[0,1] neg_hi:[0,1]
	s_nop 0
	v_sub_f32_e32 v27, v30, v36
	v_pk_add_f32 v[12:13], v[12:13], v[36:37] neg_lo:[0,1] neg_hi:[0,1]
	v_sub_f32_e32 v27, v38, v27
	v_add_f32_e32 v12, v12, v27
	v_add_f32_e32 v12, v12, v13
	;; [unrolled: 1-line block ×3, first 2 shown]
	v_cndmask_b32_e32 v148, v12, v44, vcc
.LBB61_85:                              ;   in Loop: Header=BB61_13 Depth=1
	s_or_b64 exec, exec, s[4:5]
	v_and_b32_e32 v12, 0xffff0000, v14
	v_readlane_b32 s2, v166, 2
	s_nop 1
	v_add_f32_e32 v149, s2, v12
	v_readlane_b32 s2, v166, 23
	v_cmp_ge_f32_e32 vcc, s6, v149
	v_readlane_b32 s3, v166, 24
	s_and_b64 s[2:3], s[2:3], vcc
	s_and_saveexec_b64 s[4:5], s[2:3]
	s_cbranch_execz .LBB61_87
; %bb.86:                               ;   in Loop: Header=BB61_13 Depth=1
	v_mul_f32_e32 v12, 0x3fb8aa3b, v149
	v_rndne_f32_e32 v13, v12
	v_sub_f32_e32 v14, v12, v13
	v_fma_f32 v12, v149, s8, -v12
	v_fmac_f32_e32 v12, 0x32a5705f, v149
	v_add_f32_e32 v12, v14, v12
	v_cvt_i32_f32_e32 v13, v13
	v_exp_f32_e32 v12, v12
	v_cmp_ngt_f32_e32 vcc, s9, v149
	v_ldexp_f32 v12, v12, v13
	s_nop 0
	v_cndmask_b32_e32 v12, 0, v12, vcc
	v_cmp_nlt_f32_e32 vcc, s10, v149
	s_nop 1
	v_cndmask_b32_e32 v42, v140, v12, vcc
	v_add_f32_e32 v14, 1.0, v42
	v_add_f32_e32 v12, -1.0, v14
	v_sub_f32_e32 v13, v12, v14
	v_add_f32_e32 v13, 1.0, v13
	v_sub_f32_e32 v12, v42, v12
	v_add_f32_e32 v27, v12, v13
	v_frexp_mant_f32_e32 v29, v14
	v_cvt_f64_f32_e32 v[12:13], v14
	v_frexp_exp_i32_f64_e32 v12, v[12:13]
	v_cmp_gt_f32_e32 vcc, s12, v29
	v_cmp_gt_f32_e64 s[60:61], s14, v42
	s_nop 0
	v_subbrev_co_u32_e32 v36, vcc, 0, v12, vcc
	v_sub_u32_e32 v12, 0, v36
	v_ldexp_f32 v13, v14, v12
	v_add_f32_e32 v14, -1.0, v13
	v_add_f32_e32 v29, 1.0, v13
	v_ldexp_f32 v12, v27, v12
	v_add_f32_e32 v27, 1.0, v14
	v_add_f32_e32 v30, -1.0, v29
	v_sub_f32_e32 v27, v13, v27
	v_sub_f32_e32 v13, v13, v30
	v_add_f32_e32 v27, v12, v27
	v_add_f32_e32 v12, v12, v13
	;; [unrolled: 1-line block ×3, first 2 shown]
	v_rcp_f32_e32 v38, v37
	v_sub_f32_e32 v13, v29, v37
	v_add_f32_e32 v29, v12, v13
	v_add_f32_e32 v13, v14, v27
	v_sub_f32_e32 v12, v14, v13
	v_add_f32_e32 v14, v27, v12
	v_mul_f32_e32 v27, v13, v38
	v_mul_f32_e32 v30, v37, v27
	v_fma_f32 v32, v27, v37, -v30
	v_fmac_f32_e32 v32, v27, v29
	v_add_f32_e32 v12, v30, v32
	v_sub_f32_e32 v31, v13, v12
	v_pk_add_f32 v[34:35], v[12:13], v[30:31] neg_lo:[0,1] neg_hi:[0,1]
	v_mov_b32_e32 v33, v12
	v_pk_add_f32 v[12:13], v[34:35], v[32:33] neg_lo:[0,1] neg_hi:[0,1]
	v_cmp_eq_f32_e32 vcc, s11, v42
	v_add_f32_e32 v13, v14, v13
	v_add_f32_e32 v12, v12, v13
	;; [unrolled: 1-line block ×3, first 2 shown]
	v_mul_f32_e32 v14, v38, v13
	v_mul_f32_e32 v30, v37, v14
	v_fma_f32 v32, v14, v37, -v30
	v_fmac_f32_e32 v32, v14, v29
	v_sub_f32_e32 v29, v31, v13
	v_add_f32_e32 v29, v12, v29
	v_add_f32_e32 v12, v30, v32
	v_sub_f32_e32 v31, v13, v12
	v_pk_add_f32 v[34:35], v[12:13], v[30:31] neg_lo:[0,1] neg_hi:[0,1]
	v_mov_b32_e32 v33, v12
	v_pk_add_f32 v[12:13], v[34:35], v[32:33] neg_lo:[0,1] neg_hi:[0,1]
	s_or_b64 vcc, s[60:61], vcc
	v_add_f32_e32 v13, v29, v13
	v_add_f32_e32 v12, v12, v13
	;; [unrolled: 1-line block ×4, first 2 shown]
	v_sub_f32_e32 v27, v13, v27
	v_mul_f32_e32 v12, v38, v12
	v_sub_f32_e32 v14, v14, v27
	v_add_f32_e32 v14, v14, v12
	v_add_f32_e32 v27, v13, v14
	v_mul_f32_e32 v30, v27, v27
	v_fmamk_f32 v12, v30, 0x3e9b6dac, v139
	v_fmaak_f32 v29, v30, v12, 0x3f2aaada
	v_cvt_f32_i32_e32 v12, v36
	v_sub_f32_e32 v13, v27, v13
	v_sub_f32_e32 v13, v14, v13
	v_ldexp_f32 v14, v13, 1
	v_mul_f32_e32 v13, v27, v30
	v_pk_mul_f32 v[32:33], v[12:13], v[28:29]
	v_ldexp_f32 v31, v27, 1
	v_fma_f32 v30, v12, s13, -v32
	v_fmac_f32_e32 v30, 0xb102e308, v12
	v_pk_add_f32 v[12:13], v[32:33], v[30:31]
	v_mov_b32_e32 v34, v32
	v_sub_f32_e32 v27, v13, v31
	v_sub_f32_e32 v27, v33, v27
	v_add_f32_e32 v35, v14, v27
	v_pk_add_f32 v[32:33], v[12:13], v[32:33] neg_lo:[0,1] neg_hi:[0,1]
	v_pk_add_f32 v[36:37], v[12:13], v[34:35]
	v_mov_b32_e32 v31, v12
	v_mov_b32_e32 v33, v37
	v_pk_add_f32 v[38:39], v[30:31], v[32:33] neg_lo:[0,1] neg_hi:[0,1]
	v_pk_add_f32 v[30:31], v[30:31], v[32:33]
	s_nop 0
	v_mov_b32_e32 v14, v31
	v_pk_add_f32 v[32:33], v[14:15], v[12:13] neg_lo:[0,1] neg_hi:[0,1]
	v_mov_b32_e32 v30, v37
	v_mov_b32_e32 v27, v32
	v_pk_add_f32 v[40:41], v[36:37], v[26:27] neg_lo:[0,1] neg_hi:[0,1]
	v_mov_b32_e32 v36, v13
	v_mov_b32_e32 v37, v32
	;; [unrolled: 1-line block ×3, first 2 shown]
	v_pk_add_f32 v[30:31], v[30:31], v[36:37] neg_lo:[0,1] neg_hi:[0,1]
	v_mov_b32_e32 v32, v35
	v_mov_b32_e32 v33, v12
	v_pk_add_f32 v[12:13], v[32:33], v[30:31] neg_lo:[0,1] neg_hi:[0,1]
	v_mov_b32_e32 v40, v38
	v_pk_add_f32 v[30:31], v[40:41], v[12:13]
	s_nop 0
	v_mov_b32_e32 v32, v31
	v_pk_add_f32 v[32:33], v[30:31], v[32:33]
	s_nop 0
	v_pk_add_f32 v[34:35], v[14:15], v[32:33]
	v_mov_b32_e32 v13, v32
	v_mov_b32_e32 v31, v34
	v_pk_add_f32 v[36:37], v[30:31], v[38:39] neg_lo:[0,1] neg_hi:[0,1]
	s_nop 0
	v_sub_f32_e32 v14, v30, v36
	v_pk_add_f32 v[12:13], v[12:13], v[36:37] neg_lo:[0,1] neg_hi:[0,1]
	v_sub_f32_e32 v14, v38, v14
	v_add_f32_e32 v12, v12, v14
	v_add_f32_e32 v12, v12, v13
	;; [unrolled: 1-line block ×3, first 2 shown]
	v_cndmask_b32_e32 v149, v12, v42, vcc
.LBB61_87:                              ;   in Loop: Header=BB61_13 Depth=1
	s_or_b64 exec, exec, s[4:5]
	v_lshlrev_b32_e32 v12, 16, v15
	v_readlane_b32 s2, v166, 2
	s_nop 1
	v_add_f32_e32 v150, s2, v12
	v_readlane_b32 s2, v166, 23
	v_cmp_ge_f32_e32 vcc, s6, v150
	v_readlane_b32 s3, v166, 24
	s_and_b64 s[2:3], s[2:3], vcc
	s_and_saveexec_b64 s[4:5], s[2:3]
	s_cbranch_execz .LBB61_89
; %bb.88:                               ;   in Loop: Header=BB61_13 Depth=1
	v_mul_f32_e32 v12, 0x3fb8aa3b, v150
	v_rndne_f32_e32 v13, v12
	v_sub_f32_e32 v14, v12, v13
	v_fma_f32 v12, v150, s8, -v12
	v_fmac_f32_e32 v12, 0x32a5705f, v150
	v_add_f32_e32 v12, v14, v12
	v_cvt_i32_f32_e32 v13, v13
	v_exp_f32_e32 v12, v12
	v_cmp_ngt_f32_e32 vcc, s9, v150
	v_ldexp_f32 v12, v12, v13
	s_nop 0
	v_cndmask_b32_e32 v12, 0, v12, vcc
	v_cmp_nlt_f32_e32 vcc, s10, v150
	s_nop 1
	v_cndmask_b32_e32 v42, v140, v12, vcc
	v_add_f32_e32 v14, 1.0, v42
	v_add_f32_e32 v12, -1.0, v14
	v_sub_f32_e32 v13, v12, v14
	v_add_f32_e32 v13, 1.0, v13
	v_sub_f32_e32 v12, v42, v12
	v_add_f32_e32 v27, v12, v13
	v_frexp_mant_f32_e32 v29, v14
	v_cvt_f64_f32_e32 v[12:13], v14
	v_frexp_exp_i32_f64_e32 v12, v[12:13]
	v_cmp_gt_f32_e32 vcc, s12, v29
	v_cmp_gt_f32_e64 s[60:61], s14, v42
	s_nop 0
	v_subbrev_co_u32_e32 v36, vcc, 0, v12, vcc
	v_sub_u32_e32 v12, 0, v36
	v_ldexp_f32 v13, v14, v12
	v_add_f32_e32 v14, -1.0, v13
	v_add_f32_e32 v29, 1.0, v13
	v_ldexp_f32 v12, v27, v12
	v_add_f32_e32 v27, 1.0, v14
	v_add_f32_e32 v30, -1.0, v29
	v_sub_f32_e32 v27, v13, v27
	v_sub_f32_e32 v13, v13, v30
	v_add_f32_e32 v27, v12, v27
	v_add_f32_e32 v12, v12, v13
	;; [unrolled: 1-line block ×3, first 2 shown]
	v_rcp_f32_e32 v38, v37
	v_sub_f32_e32 v13, v29, v37
	v_add_f32_e32 v29, v12, v13
	v_add_f32_e32 v13, v14, v27
	v_sub_f32_e32 v12, v14, v13
	v_add_f32_e32 v14, v27, v12
	v_mul_f32_e32 v27, v13, v38
	v_mul_f32_e32 v30, v37, v27
	v_fma_f32 v32, v27, v37, -v30
	v_fmac_f32_e32 v32, v27, v29
	v_add_f32_e32 v12, v30, v32
	v_sub_f32_e32 v31, v13, v12
	v_pk_add_f32 v[34:35], v[12:13], v[30:31] neg_lo:[0,1] neg_hi:[0,1]
	v_mov_b32_e32 v33, v12
	v_pk_add_f32 v[12:13], v[34:35], v[32:33] neg_lo:[0,1] neg_hi:[0,1]
	v_cmp_eq_f32_e32 vcc, s11, v42
	v_add_f32_e32 v13, v14, v13
	v_add_f32_e32 v12, v12, v13
	;; [unrolled: 1-line block ×3, first 2 shown]
	v_mul_f32_e32 v14, v38, v13
	v_mul_f32_e32 v30, v37, v14
	v_fma_f32 v32, v14, v37, -v30
	v_fmac_f32_e32 v32, v14, v29
	v_sub_f32_e32 v29, v31, v13
	v_add_f32_e32 v29, v12, v29
	v_add_f32_e32 v12, v30, v32
	v_sub_f32_e32 v31, v13, v12
	v_pk_add_f32 v[34:35], v[12:13], v[30:31] neg_lo:[0,1] neg_hi:[0,1]
	v_mov_b32_e32 v33, v12
	v_pk_add_f32 v[12:13], v[34:35], v[32:33] neg_lo:[0,1] neg_hi:[0,1]
	s_or_b64 vcc, s[60:61], vcc
	v_add_f32_e32 v13, v29, v13
	v_add_f32_e32 v12, v12, v13
	v_add_f32_e32 v13, v27, v14
	v_add_f32_e32 v12, v31, v12
	v_sub_f32_e32 v27, v13, v27
	v_mul_f32_e32 v12, v38, v12
	v_sub_f32_e32 v14, v14, v27
	v_add_f32_e32 v14, v14, v12
	v_add_f32_e32 v27, v13, v14
	v_mul_f32_e32 v30, v27, v27
	v_fmamk_f32 v12, v30, 0x3e9b6dac, v139
	v_fmaak_f32 v29, v30, v12, 0x3f2aaada
	v_cvt_f32_i32_e32 v12, v36
	v_sub_f32_e32 v13, v27, v13
	v_sub_f32_e32 v13, v14, v13
	v_ldexp_f32 v14, v13, 1
	v_mul_f32_e32 v13, v27, v30
	v_pk_mul_f32 v[32:33], v[12:13], v[28:29]
	v_ldexp_f32 v31, v27, 1
	v_fma_f32 v30, v12, s13, -v32
	v_fmac_f32_e32 v30, 0xb102e308, v12
	v_pk_add_f32 v[12:13], v[32:33], v[30:31]
	v_mov_b32_e32 v34, v32
	v_sub_f32_e32 v27, v13, v31
	v_sub_f32_e32 v27, v33, v27
	v_add_f32_e32 v35, v14, v27
	v_pk_add_f32 v[32:33], v[12:13], v[32:33] neg_lo:[0,1] neg_hi:[0,1]
	v_pk_add_f32 v[36:37], v[12:13], v[34:35]
	v_mov_b32_e32 v31, v12
	v_mov_b32_e32 v33, v37
	v_pk_add_f32 v[38:39], v[30:31], v[32:33] neg_lo:[0,1] neg_hi:[0,1]
	v_pk_add_f32 v[30:31], v[30:31], v[32:33]
	s_nop 0
	v_mov_b32_e32 v14, v31
	v_pk_add_f32 v[32:33], v[14:15], v[12:13] neg_lo:[0,1] neg_hi:[0,1]
	v_mov_b32_e32 v30, v37
	v_mov_b32_e32 v27, v32
	v_pk_add_f32 v[40:41], v[36:37], v[26:27] neg_lo:[0,1] neg_hi:[0,1]
	v_mov_b32_e32 v36, v13
	v_mov_b32_e32 v37, v32
	;; [unrolled: 1-line block ×3, first 2 shown]
	v_pk_add_f32 v[30:31], v[30:31], v[36:37] neg_lo:[0,1] neg_hi:[0,1]
	v_mov_b32_e32 v32, v35
	v_mov_b32_e32 v33, v12
	v_pk_add_f32 v[12:13], v[32:33], v[30:31] neg_lo:[0,1] neg_hi:[0,1]
	v_mov_b32_e32 v40, v38
	v_pk_add_f32 v[30:31], v[40:41], v[12:13]
	s_nop 0
	v_mov_b32_e32 v32, v31
	v_pk_add_f32 v[32:33], v[30:31], v[32:33]
	s_nop 0
	v_pk_add_f32 v[34:35], v[14:15], v[32:33]
	v_mov_b32_e32 v13, v32
	v_mov_b32_e32 v31, v34
	v_pk_add_f32 v[36:37], v[30:31], v[38:39] neg_lo:[0,1] neg_hi:[0,1]
	s_nop 0
	v_sub_f32_e32 v14, v30, v36
	v_pk_add_f32 v[12:13], v[12:13], v[36:37] neg_lo:[0,1] neg_hi:[0,1]
	v_sub_f32_e32 v14, v38, v14
	v_add_f32_e32 v12, v12, v14
	v_add_f32_e32 v12, v12, v13
	;; [unrolled: 1-line block ×3, first 2 shown]
	v_cndmask_b32_e32 v150, v12, v42, vcc
.LBB61_89:                              ;   in Loop: Header=BB61_13 Depth=1
	s_or_b64 exec, exec, s[4:5]
	v_and_b32_e32 v12, 0xffff0000, v15
	v_readlane_b32 s2, v166, 2
	s_nop 1
	v_add_f32_e32 v151, s2, v12
	v_readlane_b32 s2, v166, 23
	v_cmp_ge_f32_e32 vcc, s6, v151
	v_readlane_b32 s3, v166, 24
	s_and_b64 s[2:3], s[2:3], vcc
	s_and_saveexec_b64 s[4:5], s[2:3]
	s_cbranch_execz .LBB61_91
; %bb.90:                               ;   in Loop: Header=BB61_13 Depth=1
	v_mul_f32_e32 v12, 0x3fb8aa3b, v151
	v_rndne_f32_e32 v13, v12
	v_sub_f32_e32 v14, v12, v13
	v_fma_f32 v12, v151, s8, -v12
	v_fmac_f32_e32 v12, 0x32a5705f, v151
	v_add_f32_e32 v12, v14, v12
	v_cvt_i32_f32_e32 v13, v13
	v_exp_f32_e32 v12, v12
	v_cmp_ngt_f32_e32 vcc, s9, v151
	v_ldexp_f32 v12, v12, v13
	s_nop 0
	v_cndmask_b32_e32 v12, 0, v12, vcc
	v_cmp_nlt_f32_e32 vcc, s10, v151
	s_nop 1
	v_cndmask_b32_e32 v42, v140, v12, vcc
	v_add_f32_e32 v14, 1.0, v42
	v_add_f32_e32 v12, -1.0, v14
	v_sub_f32_e32 v13, v12, v14
	v_add_f32_e32 v13, 1.0, v13
	v_sub_f32_e32 v12, v42, v12
	v_add_f32_e32 v15, v12, v13
	v_frexp_mant_f32_e32 v27, v14
	v_cvt_f64_f32_e32 v[12:13], v14
	v_frexp_exp_i32_f64_e32 v12, v[12:13]
	v_cmp_gt_f32_e32 vcc, s12, v27
	v_cmp_gt_f32_e64 s[60:61], s14, v42
	s_nop 0
	v_subbrev_co_u32_e32 v27, vcc, 0, v12, vcc
	v_sub_u32_e32 v12, 0, v27
	v_ldexp_f32 v13, v14, v12
	v_add_f32_e32 v14, -1.0, v13
	v_add_f32_e32 v29, 1.0, v13
	v_ldexp_f32 v12, v15, v12
	v_add_f32_e32 v15, 1.0, v14
	v_add_f32_e32 v30, -1.0, v29
	v_sub_f32_e32 v15, v13, v15
	v_sub_f32_e32 v13, v13, v30
	v_add_f32_e32 v15, v12, v15
	v_add_f32_e32 v12, v12, v13
	;; [unrolled: 1-line block ×3, first 2 shown]
	v_rcp_f32_e32 v35, v34
	v_sub_f32_e32 v13, v29, v34
	v_add_f32_e32 v29, v12, v13
	v_add_f32_e32 v13, v14, v15
	v_mul_f32_e32 v37, v13, v35
	v_sub_f32_e32 v12, v14, v13
	v_mul_f32_e32 v14, v34, v37
	v_fma_f32 v30, v37, v34, -v14
	v_fmac_f32_e32 v30, v37, v29
	v_add_f32_e32 v36, v15, v12
	v_add_f32_e32 v12, v14, v30
	v_sub_f32_e32 v15, v13, v12
	v_pk_add_f32 v[32:33], v[12:13], v[14:15] neg_lo:[0,1] neg_hi:[0,1]
	v_mov_b32_e32 v31, v12
	v_pk_add_f32 v[12:13], v[32:33], v[30:31] neg_lo:[0,1] neg_hi:[0,1]
	v_cmp_eq_f32_e32 vcc, s11, v42
	v_add_f32_e32 v13, v36, v13
	v_add_f32_e32 v12, v12, v13
	;; [unrolled: 1-line block ×3, first 2 shown]
	v_mul_f32_e32 v36, v35, v13
	v_mul_f32_e32 v14, v34, v36
	v_fma_f32 v30, v36, v34, -v14
	v_fmac_f32_e32 v30, v36, v29
	v_sub_f32_e32 v15, v15, v13
	v_add_f32_e32 v29, v12, v15
	v_add_f32_e32 v12, v14, v30
	v_sub_f32_e32 v15, v13, v12
	v_pk_add_f32 v[32:33], v[12:13], v[14:15] neg_lo:[0,1] neg_hi:[0,1]
	v_mov_b32_e32 v31, v12
	v_pk_add_f32 v[12:13], v[32:33], v[30:31] neg_lo:[0,1] neg_hi:[0,1]
	s_or_b64 vcc, s[60:61], vcc
	v_add_f32_e32 v13, v29, v13
	v_add_f32_e32 v12, v12, v13
	;; [unrolled: 1-line block ×4, first 2 shown]
	v_sub_f32_e32 v14, v13, v37
	v_mul_f32_e32 v12, v35, v12
	v_sub_f32_e32 v14, v36, v14
	v_add_f32_e32 v14, v14, v12
	v_add_f32_e32 v30, v13, v14
	v_mul_f32_e32 v31, v30, v30
	v_fmamk_f32 v12, v31, 0x3e9b6dac, v139
	v_fmaak_f32 v29, v31, v12, 0x3f2aaada
	v_cvt_f32_i32_e32 v12, v27
	v_sub_f32_e32 v13, v30, v13
	v_sub_f32_e32 v13, v14, v13
	v_ldexp_f32 v27, v13, 1
	v_mul_f32_e32 v13, v30, v31
	v_ldexp_f32 v15, v30, 1
	v_pk_mul_f32 v[30:31], v[12:13], v[28:29]
	s_nop 0
	v_fma_f32 v14, v12, s13, -v30
	v_fmac_f32_e32 v14, 0xb102e308, v12
	v_pk_add_f32 v[12:13], v[30:31], v[14:15]
	v_mov_b32_e32 v32, v30
	v_sub_f32_e32 v15, v13, v15
	v_sub_f32_e32 v15, v31, v15
	v_add_f32_e32 v33, v27, v15
	v_pk_add_f32 v[30:31], v[12:13], v[30:31] neg_lo:[0,1] neg_hi:[0,1]
	v_pk_add_f32 v[34:35], v[12:13], v[32:33]
	v_mov_b32_e32 v15, v12
	v_mov_b32_e32 v31, v35
	v_pk_add_f32 v[36:37], v[14:15], v[30:31] neg_lo:[0,1] neg_hi:[0,1]
	v_pk_add_f32 v[14:15], v[14:15], v[30:31]
	v_mov_b32_e32 v32, v33
	v_mov_b32_e32 v30, v15
	v_pk_add_f32 v[38:39], v[30:31], v[12:13] neg_lo:[0,1] neg_hi:[0,1]
	v_mov_b32_e32 v14, v35
	v_mov_b32_e32 v27, v38
	v_pk_add_f32 v[40:41], v[34:35], v[26:27] neg_lo:[0,1] neg_hi:[0,1]
	v_mov_b32_e32 v34, v13
	v_mov_b32_e32 v35, v38
	;; [unrolled: 1-line block ×3, first 2 shown]
	v_pk_add_f32 v[14:15], v[14:15], v[34:35] neg_lo:[0,1] neg_hi:[0,1]
	v_mov_b32_e32 v33, v12
	v_pk_add_f32 v[12:13], v[32:33], v[14:15] neg_lo:[0,1] neg_hi:[0,1]
	v_mov_b32_e32 v40, v36
	v_pk_add_f32 v[14:15], v[40:41], v[12:13]
	s_nop 0
	v_mov_b32_e32 v32, v15
	v_pk_add_f32 v[32:33], v[14:15], v[32:33]
	s_nop 0
	v_pk_add_f32 v[30:31], v[30:31], v[32:33]
	v_mov_b32_e32 v13, v32
	v_mov_b32_e32 v15, v30
	v_pk_add_f32 v[34:35], v[14:15], v[36:37] neg_lo:[0,1] neg_hi:[0,1]
	s_nop 0
	v_sub_f32_e32 v14, v14, v34
	v_pk_add_f32 v[12:13], v[12:13], v[34:35] neg_lo:[0,1] neg_hi:[0,1]
	v_sub_f32_e32 v14, v36, v14
	v_add_f32_e32 v12, v12, v14
	v_add_f32_e32 v12, v12, v13
	v_add_f32_e32 v12, v30, v12
	v_cndmask_b32_e32 v151, v12, v42, vcc
.LBB61_91:                              ;   in Loop: Header=BB61_13 Depth=1
	s_or_b64 exec, exec, s[4:5]
	s_waitcnt lgkmcnt(0)
	v_lshlrev_b32_e32 v12, 16, v8
	v_readlane_b32 s2, v166, 2
	s_nop 1
	v_add_f32_e32 v152, s2, v12
	v_readlane_b32 s2, v166, 23
	v_cmp_ge_f32_e32 vcc, s6, v152
	v_readlane_b32 s3, v166, 24
	s_and_b64 s[2:3], s[2:3], vcc
	s_and_saveexec_b64 s[4:5], s[2:3]
	s_cbranch_execz .LBB61_93
; %bb.92:                               ;   in Loop: Header=BB61_13 Depth=1
	v_mul_f32_e32 v12, 0x3fb8aa3b, v152
	v_rndne_f32_e32 v13, v12
	v_sub_f32_e32 v14, v12, v13
	v_fma_f32 v12, v152, s8, -v12
	v_fmac_f32_e32 v12, 0x32a5705f, v152
	v_add_f32_e32 v12, v14, v12
	v_cvt_i32_f32_e32 v13, v13
	v_exp_f32_e32 v12, v12
	v_cmp_ngt_f32_e32 vcc, s9, v152
	v_ldexp_f32 v12, v12, v13
	s_nop 0
	v_cndmask_b32_e32 v12, 0, v12, vcc
	v_cmp_nlt_f32_e32 vcc, s10, v152
	s_nop 1
	v_cndmask_b32_e32 v42, v140, v12, vcc
	v_add_f32_e32 v14, 1.0, v42
	v_add_f32_e32 v12, -1.0, v14
	v_sub_f32_e32 v13, v12, v14
	v_add_f32_e32 v13, 1.0, v13
	v_sub_f32_e32 v12, v42, v12
	v_add_f32_e32 v15, v12, v13
	v_frexp_mant_f32_e32 v27, v14
	v_cvt_f64_f32_e32 v[12:13], v14
	v_frexp_exp_i32_f64_e32 v12, v[12:13]
	v_cmp_gt_f32_e32 vcc, s12, v27
	v_cmp_gt_f32_e64 s[60:61], s14, v42
	s_nop 0
	v_subbrev_co_u32_e32 v27, vcc, 0, v12, vcc
	v_sub_u32_e32 v12, 0, v27
	v_ldexp_f32 v13, v14, v12
	v_add_f32_e32 v14, -1.0, v13
	v_add_f32_e32 v29, 1.0, v13
	v_ldexp_f32 v12, v15, v12
	v_add_f32_e32 v15, 1.0, v14
	v_add_f32_e32 v30, -1.0, v29
	v_sub_f32_e32 v15, v13, v15
	v_sub_f32_e32 v13, v13, v30
	v_add_f32_e32 v15, v12, v15
	v_add_f32_e32 v12, v12, v13
	;; [unrolled: 1-line block ×3, first 2 shown]
	v_rcp_f32_e32 v35, v34
	v_sub_f32_e32 v13, v29, v34
	v_add_f32_e32 v29, v12, v13
	v_add_f32_e32 v13, v14, v15
	v_mul_f32_e32 v37, v13, v35
	v_sub_f32_e32 v12, v14, v13
	v_mul_f32_e32 v14, v34, v37
	v_fma_f32 v30, v37, v34, -v14
	v_fmac_f32_e32 v30, v37, v29
	v_add_f32_e32 v36, v15, v12
	v_add_f32_e32 v12, v14, v30
	v_sub_f32_e32 v15, v13, v12
	v_pk_add_f32 v[32:33], v[12:13], v[14:15] neg_lo:[0,1] neg_hi:[0,1]
	v_mov_b32_e32 v31, v12
	v_pk_add_f32 v[12:13], v[32:33], v[30:31] neg_lo:[0,1] neg_hi:[0,1]
	v_cmp_eq_f32_e32 vcc, s11, v42
	v_add_f32_e32 v13, v36, v13
	v_add_f32_e32 v12, v12, v13
	;; [unrolled: 1-line block ×3, first 2 shown]
	v_mul_f32_e32 v36, v35, v13
	v_mul_f32_e32 v14, v34, v36
	v_fma_f32 v30, v36, v34, -v14
	v_fmac_f32_e32 v30, v36, v29
	v_sub_f32_e32 v15, v15, v13
	v_add_f32_e32 v29, v12, v15
	v_add_f32_e32 v12, v14, v30
	v_sub_f32_e32 v15, v13, v12
	v_pk_add_f32 v[32:33], v[12:13], v[14:15] neg_lo:[0,1] neg_hi:[0,1]
	v_mov_b32_e32 v31, v12
	v_pk_add_f32 v[12:13], v[32:33], v[30:31] neg_lo:[0,1] neg_hi:[0,1]
	s_or_b64 vcc, s[60:61], vcc
	v_add_f32_e32 v13, v29, v13
	v_add_f32_e32 v12, v12, v13
	v_add_f32_e32 v13, v37, v36
	v_add_f32_e32 v12, v15, v12
	v_sub_f32_e32 v14, v13, v37
	v_mul_f32_e32 v12, v35, v12
	v_sub_f32_e32 v14, v36, v14
	v_add_f32_e32 v14, v14, v12
	v_add_f32_e32 v30, v13, v14
	v_mul_f32_e32 v31, v30, v30
	v_fmamk_f32 v12, v31, 0x3e9b6dac, v139
	v_fmaak_f32 v29, v31, v12, 0x3f2aaada
	v_cvt_f32_i32_e32 v12, v27
	v_sub_f32_e32 v13, v30, v13
	v_sub_f32_e32 v13, v14, v13
	v_ldexp_f32 v27, v13, 1
	v_mul_f32_e32 v13, v30, v31
	v_ldexp_f32 v15, v30, 1
	v_pk_mul_f32 v[30:31], v[12:13], v[28:29]
	s_nop 0
	v_fma_f32 v14, v12, s13, -v30
	v_fmac_f32_e32 v14, 0xb102e308, v12
	v_pk_add_f32 v[12:13], v[30:31], v[14:15]
	v_mov_b32_e32 v32, v30
	v_sub_f32_e32 v15, v13, v15
	v_sub_f32_e32 v15, v31, v15
	v_add_f32_e32 v33, v27, v15
	v_pk_add_f32 v[30:31], v[12:13], v[30:31] neg_lo:[0,1] neg_hi:[0,1]
	v_pk_add_f32 v[34:35], v[12:13], v[32:33]
	v_mov_b32_e32 v15, v12
	v_mov_b32_e32 v31, v35
	v_pk_add_f32 v[36:37], v[14:15], v[30:31] neg_lo:[0,1] neg_hi:[0,1]
	v_pk_add_f32 v[14:15], v[14:15], v[30:31]
	v_mov_b32_e32 v32, v33
	v_mov_b32_e32 v30, v15
	v_pk_add_f32 v[38:39], v[30:31], v[12:13] neg_lo:[0,1] neg_hi:[0,1]
	v_mov_b32_e32 v14, v35
	v_mov_b32_e32 v27, v38
	v_pk_add_f32 v[40:41], v[34:35], v[26:27] neg_lo:[0,1] neg_hi:[0,1]
	v_mov_b32_e32 v34, v13
	v_mov_b32_e32 v35, v38
	;; [unrolled: 1-line block ×3, first 2 shown]
	v_pk_add_f32 v[14:15], v[14:15], v[34:35] neg_lo:[0,1] neg_hi:[0,1]
	v_mov_b32_e32 v33, v12
	v_pk_add_f32 v[12:13], v[32:33], v[14:15] neg_lo:[0,1] neg_hi:[0,1]
	v_mov_b32_e32 v40, v36
	v_pk_add_f32 v[14:15], v[40:41], v[12:13]
	s_nop 0
	v_mov_b32_e32 v32, v15
	v_pk_add_f32 v[32:33], v[14:15], v[32:33]
	s_nop 0
	v_pk_add_f32 v[30:31], v[30:31], v[32:33]
	v_mov_b32_e32 v13, v32
	v_mov_b32_e32 v15, v30
	v_pk_add_f32 v[34:35], v[14:15], v[36:37] neg_lo:[0,1] neg_hi:[0,1]
	s_nop 0
	v_sub_f32_e32 v14, v14, v34
	v_pk_add_f32 v[12:13], v[12:13], v[34:35] neg_lo:[0,1] neg_hi:[0,1]
	v_sub_f32_e32 v14, v36, v14
	v_add_f32_e32 v12, v12, v14
	v_add_f32_e32 v12, v12, v13
	;; [unrolled: 1-line block ×3, first 2 shown]
	v_cndmask_b32_e32 v152, v12, v42, vcc
.LBB61_93:                              ;   in Loop: Header=BB61_13 Depth=1
	s_or_b64 exec, exec, s[4:5]
	v_and_b32_e32 v8, 0xffff0000, v8
	v_readlane_b32 s2, v166, 2
	s_nop 1
	v_add_f32_e32 v153, s2, v8
	v_readlane_b32 s2, v166, 23
	v_cmp_ge_f32_e32 vcc, s6, v153
	v_readlane_b32 s3, v166, 24
	s_and_b64 s[2:3], s[2:3], vcc
	s_and_saveexec_b64 s[4:5], s[2:3]
	s_cbranch_execz .LBB61_95
; %bb.94:                               ;   in Loop: Header=BB61_13 Depth=1
	v_mul_f32_e32 v8, 0x3fb8aa3b, v153
	v_rndne_f32_e32 v12, v8
	v_sub_f32_e32 v13, v8, v12
	v_fma_f32 v8, v153, s8, -v8
	v_fmac_f32_e32 v8, 0x32a5705f, v153
	v_add_f32_e32 v8, v13, v8
	v_cvt_i32_f32_e32 v12, v12
	v_exp_f32_e32 v8, v8
	v_cmp_ngt_f32_e32 vcc, s9, v153
	v_ldexp_f32 v8, v8, v12
	s_nop 0
	v_cndmask_b32_e32 v8, 0, v8, vcc
	v_cmp_nlt_f32_e32 vcc, s10, v153
	s_nop 1
	v_cndmask_b32_e32 v40, v140, v8, vcc
	v_add_f32_e32 v8, 1.0, v40
	v_add_f32_e32 v12, -1.0, v8
	v_sub_f32_e32 v13, v12, v8
	v_add_f32_e32 v13, 1.0, v13
	v_sub_f32_e32 v12, v40, v12
	v_add_f32_e32 v14, v12, v13
	v_frexp_mant_f32_e32 v15, v8
	v_cvt_f64_f32_e32 v[12:13], v8
	v_frexp_exp_i32_f64_e32 v12, v[12:13]
	v_cmp_gt_f32_e32 vcc, s12, v15
	v_cmp_gt_f32_e64 s[60:61], s14, v40
	s_nop 0
	v_subbrev_co_u32_e32 v27, vcc, 0, v12, vcc
	v_sub_u32_e32 v12, 0, v27
	v_ldexp_f32 v8, v8, v12
	v_ldexp_f32 v12, v14, v12
	v_add_f32_e32 v14, -1.0, v8
	v_add_f32_e32 v13, 1.0, v14
	v_sub_f32_e32 v13, v8, v13
	v_add_f32_e32 v15, v12, v13
	v_add_f32_e32 v13, 1.0, v8
	v_add_f32_e32 v29, -1.0, v13
	v_sub_f32_e32 v8, v8, v29
	v_add_f32_e32 v8, v12, v8
	v_add_f32_e32 v29, v13, v8
	v_rcp_f32_e32 v34, v29
	v_sub_f32_e32 v12, v13, v29
	v_add_f32_e32 v13, v14, v15
	v_add_f32_e32 v8, v8, v12
	v_mul_f32_e32 v36, v13, v34
	v_sub_f32_e32 v12, v14, v13
	v_mul_f32_e32 v14, v29, v36
	v_fma_f32 v30, v36, v29, -v14
	v_fmac_f32_e32 v30, v36, v8
	v_add_f32_e32 v35, v15, v12
	v_add_f32_e32 v12, v14, v30
	v_sub_f32_e32 v15, v13, v12
	v_pk_add_f32 v[32:33], v[12:13], v[14:15] neg_lo:[0,1] neg_hi:[0,1]
	v_mov_b32_e32 v31, v12
	v_pk_add_f32 v[12:13], v[32:33], v[30:31] neg_lo:[0,1] neg_hi:[0,1]
	v_cmp_eq_f32_e32 vcc, s11, v40
	v_add_f32_e32 v13, v35, v13
	v_add_f32_e32 v12, v12, v13
	;; [unrolled: 1-line block ×3, first 2 shown]
	v_mul_f32_e32 v35, v34, v13
	v_mul_f32_e32 v14, v29, v35
	v_fma_f32 v30, v35, v29, -v14
	v_fmac_f32_e32 v30, v35, v8
	v_sub_f32_e32 v8, v15, v13
	v_add_f32_e32 v8, v12, v8
	v_add_f32_e32 v12, v14, v30
	v_sub_f32_e32 v15, v13, v12
	v_pk_add_f32 v[32:33], v[12:13], v[14:15] neg_lo:[0,1] neg_hi:[0,1]
	v_mov_b32_e32 v31, v12
	v_pk_add_f32 v[12:13], v[32:33], v[30:31] neg_lo:[0,1] neg_hi:[0,1]
	s_or_b64 vcc, s[60:61], vcc
	v_add_f32_e32 v8, v8, v13
	v_add_f32_e32 v8, v12, v8
	;; [unrolled: 1-line block ×4, first 2 shown]
	v_sub_f32_e32 v12, v13, v36
	v_mul_f32_e32 v8, v34, v8
	v_sub_f32_e32 v12, v35, v12
	v_add_f32_e32 v8, v12, v8
	v_add_f32_e32 v14, v13, v8
	v_mul_f32_e32 v30, v14, v14
	v_fmamk_f32 v12, v30, 0x3e9b6dac, v139
	v_fmaak_f32 v29, v30, v12, 0x3f2aaada
	v_cvt_f32_i32_e32 v12, v27
	v_sub_f32_e32 v13, v14, v13
	v_sub_f32_e32 v8, v8, v13
	v_mul_f32_e32 v13, v14, v30
	v_pk_mul_f32 v[30:31], v[12:13], v[28:29]
	v_ldexp_f32 v15, v14, 1
	v_fma_f32 v14, v12, s13, -v30
	v_fmac_f32_e32 v14, 0xb102e308, v12
	v_pk_add_f32 v[12:13], v[30:31], v[14:15]
	v_ldexp_f32 v8, v8, 1
	v_sub_f32_e32 v15, v13, v15
	v_sub_f32_e32 v15, v31, v15
	v_add_f32_e32 v33, v8, v15
	v_mov_b32_e32 v32, v30
	v_pk_add_f32 v[30:31], v[12:13], v[30:31] neg_lo:[0,1] neg_hi:[0,1]
	v_pk_add_f32 v[34:35], v[12:13], v[32:33]
	v_mov_b32_e32 v15, v12
	v_mov_b32_e32 v31, v35
	v_pk_add_f32 v[36:37], v[14:15], v[30:31] neg_lo:[0,1] neg_hi:[0,1]
	v_pk_add_f32 v[14:15], v[14:15], v[30:31]
	s_nop 0
	v_mov_b32_e32 v8, v15
	v_pk_add_f32 v[30:31], v[8:9], v[12:13] neg_lo:[0,1] neg_hi:[0,1]
	v_mov_b32_e32 v14, v35
	v_mov_b32_e32 v27, v30
	v_pk_add_f32 v[38:39], v[34:35], v[26:27] neg_lo:[0,1] neg_hi:[0,1]
	v_mov_b32_e32 v34, v13
	v_mov_b32_e32 v35, v30
	;; [unrolled: 1-line block ×3, first 2 shown]
	v_pk_add_f32 v[14:15], v[14:15], v[34:35] neg_lo:[0,1] neg_hi:[0,1]
	v_mov_b32_e32 v30, v33
	v_mov_b32_e32 v31, v12
	v_pk_add_f32 v[12:13], v[30:31], v[14:15] neg_lo:[0,1] neg_hi:[0,1]
	v_mov_b32_e32 v38, v36
	v_pk_add_f32 v[14:15], v[38:39], v[12:13]
	s_nop 0
	v_mov_b32_e32 v30, v15
	v_pk_add_f32 v[30:31], v[14:15], v[30:31]
	s_nop 0
	v_pk_add_f32 v[32:33], v[8:9], v[30:31]
	v_mov_b32_e32 v13, v30
	v_mov_b32_e32 v15, v32
	v_pk_add_f32 v[34:35], v[14:15], v[36:37] neg_lo:[0,1] neg_hi:[0,1]
	s_nop 0
	v_sub_f32_e32 v8, v14, v34
	v_pk_add_f32 v[12:13], v[12:13], v[34:35] neg_lo:[0,1] neg_hi:[0,1]
	v_sub_f32_e32 v8, v36, v8
	v_add_f32_e32 v8, v12, v8
	v_add_f32_e32 v8, v8, v13
	;; [unrolled: 1-line block ×3, first 2 shown]
	v_cndmask_b32_e32 v153, v8, v40, vcc
.LBB61_95:                              ;   in Loop: Header=BB61_13 Depth=1
	s_or_b64 exec, exec, s[4:5]
	v_lshlrev_b32_e32 v8, 16, v9
	v_readlane_b32 s2, v166, 2
	s_nop 1
	v_add_f32_e32 v154, s2, v8
	v_readlane_b32 s2, v166, 23
	v_cmp_ge_f32_e32 vcc, s6, v154
	v_readlane_b32 s3, v166, 24
	s_and_b64 s[2:3], s[2:3], vcc
	s_and_saveexec_b64 s[4:5], s[2:3]
	s_cbranch_execz .LBB61_97
; %bb.96:                               ;   in Loop: Header=BB61_13 Depth=1
	v_mul_f32_e32 v8, 0x3fb8aa3b, v154
	v_rndne_f32_e32 v12, v8
	v_sub_f32_e32 v13, v8, v12
	v_fma_f32 v8, v154, s8, -v8
	v_fmac_f32_e32 v8, 0x32a5705f, v154
	v_add_f32_e32 v8, v13, v8
	v_cvt_i32_f32_e32 v12, v12
	v_exp_f32_e32 v8, v8
	v_cmp_ngt_f32_e32 vcc, s9, v154
	v_ldexp_f32 v8, v8, v12
	s_nop 0
	v_cndmask_b32_e32 v8, 0, v8, vcc
	v_cmp_nlt_f32_e32 vcc, s10, v154
	s_nop 1
	v_cndmask_b32_e32 v40, v140, v8, vcc
	v_add_f32_e32 v8, 1.0, v40
	v_add_f32_e32 v12, -1.0, v8
	v_sub_f32_e32 v13, v12, v8
	v_add_f32_e32 v13, 1.0, v13
	v_sub_f32_e32 v12, v40, v12
	v_add_f32_e32 v14, v12, v13
	v_frexp_mant_f32_e32 v15, v8
	v_cvt_f64_f32_e32 v[12:13], v8
	v_frexp_exp_i32_f64_e32 v12, v[12:13]
	v_cmp_gt_f32_e32 vcc, s12, v15
	v_cmp_gt_f32_e64 s[60:61], s14, v40
	s_nop 0
	v_subbrev_co_u32_e32 v27, vcc, 0, v12, vcc
	v_sub_u32_e32 v12, 0, v27
	v_ldexp_f32 v8, v8, v12
	v_ldexp_f32 v12, v14, v12
	v_add_f32_e32 v14, -1.0, v8
	v_add_f32_e32 v13, 1.0, v14
	v_sub_f32_e32 v13, v8, v13
	v_add_f32_e32 v15, v12, v13
	v_add_f32_e32 v13, 1.0, v8
	v_add_f32_e32 v29, -1.0, v13
	v_sub_f32_e32 v8, v8, v29
	v_add_f32_e32 v8, v12, v8
	v_add_f32_e32 v29, v13, v8
	v_rcp_f32_e32 v34, v29
	v_sub_f32_e32 v12, v13, v29
	v_add_f32_e32 v13, v14, v15
	v_add_f32_e32 v8, v8, v12
	v_mul_f32_e32 v36, v13, v34
	v_sub_f32_e32 v12, v14, v13
	v_mul_f32_e32 v14, v29, v36
	v_fma_f32 v30, v36, v29, -v14
	v_fmac_f32_e32 v30, v36, v8
	v_add_f32_e32 v35, v15, v12
	v_add_f32_e32 v12, v14, v30
	v_sub_f32_e32 v15, v13, v12
	v_pk_add_f32 v[32:33], v[12:13], v[14:15] neg_lo:[0,1] neg_hi:[0,1]
	v_mov_b32_e32 v31, v12
	v_pk_add_f32 v[12:13], v[32:33], v[30:31] neg_lo:[0,1] neg_hi:[0,1]
	v_cmp_eq_f32_e32 vcc, s11, v40
	v_add_f32_e32 v13, v35, v13
	v_add_f32_e32 v12, v12, v13
	;; [unrolled: 1-line block ×3, first 2 shown]
	v_mul_f32_e32 v35, v34, v13
	v_mul_f32_e32 v14, v29, v35
	v_fma_f32 v30, v35, v29, -v14
	v_fmac_f32_e32 v30, v35, v8
	v_sub_f32_e32 v8, v15, v13
	v_add_f32_e32 v8, v12, v8
	v_add_f32_e32 v12, v14, v30
	v_sub_f32_e32 v15, v13, v12
	v_pk_add_f32 v[32:33], v[12:13], v[14:15] neg_lo:[0,1] neg_hi:[0,1]
	v_mov_b32_e32 v31, v12
	v_pk_add_f32 v[12:13], v[32:33], v[30:31] neg_lo:[0,1] neg_hi:[0,1]
	s_or_b64 vcc, s[60:61], vcc
	v_add_f32_e32 v8, v8, v13
	v_add_f32_e32 v8, v12, v8
	;; [unrolled: 1-line block ×4, first 2 shown]
	v_sub_f32_e32 v12, v13, v36
	v_mul_f32_e32 v8, v34, v8
	v_sub_f32_e32 v12, v35, v12
	v_add_f32_e32 v8, v12, v8
	v_add_f32_e32 v14, v13, v8
	v_mul_f32_e32 v30, v14, v14
	v_fmamk_f32 v12, v30, 0x3e9b6dac, v139
	v_fmaak_f32 v29, v30, v12, 0x3f2aaada
	v_cvt_f32_i32_e32 v12, v27
	v_sub_f32_e32 v13, v14, v13
	v_sub_f32_e32 v8, v8, v13
	v_mul_f32_e32 v13, v14, v30
	v_pk_mul_f32 v[30:31], v[12:13], v[28:29]
	v_ldexp_f32 v15, v14, 1
	v_fma_f32 v14, v12, s13, -v30
	v_fmac_f32_e32 v14, 0xb102e308, v12
	v_pk_add_f32 v[12:13], v[30:31], v[14:15]
	v_ldexp_f32 v8, v8, 1
	v_sub_f32_e32 v15, v13, v15
	v_sub_f32_e32 v15, v31, v15
	v_add_f32_e32 v33, v8, v15
	v_mov_b32_e32 v32, v30
	v_pk_add_f32 v[30:31], v[12:13], v[30:31] neg_lo:[0,1] neg_hi:[0,1]
	v_pk_add_f32 v[34:35], v[12:13], v[32:33]
	v_mov_b32_e32 v15, v12
	v_mov_b32_e32 v31, v35
	v_pk_add_f32 v[36:37], v[14:15], v[30:31] neg_lo:[0,1] neg_hi:[0,1]
	v_pk_add_f32 v[14:15], v[14:15], v[30:31]
	s_nop 0
	v_mov_b32_e32 v8, v15
	v_pk_add_f32 v[30:31], v[8:9], v[12:13] neg_lo:[0,1] neg_hi:[0,1]
	v_mov_b32_e32 v14, v35
	v_mov_b32_e32 v27, v30
	v_pk_add_f32 v[38:39], v[34:35], v[26:27] neg_lo:[0,1] neg_hi:[0,1]
	v_mov_b32_e32 v34, v13
	v_mov_b32_e32 v35, v30
	;; [unrolled: 1-line block ×3, first 2 shown]
	v_pk_add_f32 v[14:15], v[14:15], v[34:35] neg_lo:[0,1] neg_hi:[0,1]
	v_mov_b32_e32 v30, v33
	v_mov_b32_e32 v31, v12
	v_pk_add_f32 v[12:13], v[30:31], v[14:15] neg_lo:[0,1] neg_hi:[0,1]
	v_mov_b32_e32 v38, v36
	v_pk_add_f32 v[14:15], v[38:39], v[12:13]
	s_nop 0
	v_mov_b32_e32 v30, v15
	v_pk_add_f32 v[30:31], v[14:15], v[30:31]
	s_nop 0
	v_pk_add_f32 v[32:33], v[8:9], v[30:31]
	v_mov_b32_e32 v13, v30
	v_mov_b32_e32 v15, v32
	v_pk_add_f32 v[34:35], v[14:15], v[36:37] neg_lo:[0,1] neg_hi:[0,1]
	s_nop 0
	v_sub_f32_e32 v8, v14, v34
	v_pk_add_f32 v[12:13], v[12:13], v[34:35] neg_lo:[0,1] neg_hi:[0,1]
	v_sub_f32_e32 v8, v36, v8
	v_add_f32_e32 v8, v12, v8
	v_add_f32_e32 v8, v8, v13
	;; [unrolled: 1-line block ×3, first 2 shown]
	v_cndmask_b32_e32 v154, v8, v40, vcc
.LBB61_97:                              ;   in Loop: Header=BB61_13 Depth=1
	s_or_b64 exec, exec, s[4:5]
	v_and_b32_e32 v8, 0xffff0000, v9
	v_readlane_b32 s2, v166, 2
	s_nop 1
	v_add_f32_e32 v155, s2, v8
	v_readlane_b32 s2, v166, 23
	v_cmp_ge_f32_e32 vcc, s6, v155
	v_readlane_b32 s3, v166, 24
	s_and_b64 s[2:3], s[2:3], vcc
	s_and_saveexec_b64 s[4:5], s[2:3]
	s_cbranch_execz .LBB61_99
; %bb.98:                               ;   in Loop: Header=BB61_13 Depth=1
	v_mul_f32_e32 v8, 0x3fb8aa3b, v155
	v_rndne_f32_e32 v9, v8
	v_sub_f32_e32 v12, v8, v9
	v_fma_f32 v8, v155, s8, -v8
	v_fmac_f32_e32 v8, 0x32a5705f, v155
	v_add_f32_e32 v8, v12, v8
	v_cvt_i32_f32_e32 v9, v9
	v_exp_f32_e32 v8, v8
	v_cmp_ngt_f32_e32 vcc, s9, v155
	v_ldexp_f32 v8, v8, v9
	s_nop 0
	v_cndmask_b32_e32 v8, 0, v8, vcc
	v_cmp_nlt_f32_e32 vcc, s10, v155
	s_nop 1
	v_cndmask_b32_e32 v27, v140, v8, vcc
	v_add_f32_e32 v12, 1.0, v27
	v_add_f32_e32 v8, -1.0, v12
	v_sub_f32_e32 v9, v8, v12
	v_add_f32_e32 v9, 1.0, v9
	v_sub_f32_e32 v8, v27, v8
	v_add_f32_e32 v13, v8, v9
	v_frexp_mant_f32_e32 v14, v12
	v_cvt_f64_f32_e32 v[8:9], v12
	v_frexp_exp_i32_f64_e32 v8, v[8:9]
	v_cmp_gt_f32_e32 vcc, s12, v14
	v_cmp_gt_f32_e64 s[60:61], s14, v27
	s_nop 0
	v_subbrev_co_u32_e32 v32, vcc, 0, v8, vcc
	v_sub_u32_e32 v8, 0, v32
	v_ldexp_f32 v9, v12, v8
	v_add_f32_e32 v12, -1.0, v9
	v_add_f32_e32 v14, 1.0, v9
	v_ldexp_f32 v8, v13, v8
	v_add_f32_e32 v13, 1.0, v12
	v_add_f32_e32 v15, -1.0, v14
	v_sub_f32_e32 v13, v9, v13
	v_sub_f32_e32 v9, v9, v15
	v_add_f32_e32 v13, v8, v13
	v_add_f32_e32 v8, v8, v9
	;; [unrolled: 1-line block ×3, first 2 shown]
	v_rcp_f32_e32 v34, v29
	v_sub_f32_e32 v9, v14, v29
	v_add_f32_e32 v33, v8, v9
	v_add_f32_e32 v9, v12, v13
	v_mul_f32_e32 v36, v9, v34
	v_sub_f32_e32 v8, v12, v9
	v_mul_f32_e32 v12, v29, v36
	v_fma_f32 v14, v36, v29, -v12
	v_fmac_f32_e32 v14, v36, v33
	v_add_f32_e32 v35, v13, v8
	v_add_f32_e32 v8, v12, v14
	v_sub_f32_e32 v13, v9, v8
	v_pk_add_f32 v[30:31], v[8:9], v[12:13] neg_lo:[0,1] neg_hi:[0,1]
	v_mov_b32_e32 v15, v8
	v_pk_add_f32 v[8:9], v[30:31], v[14:15] neg_lo:[0,1] neg_hi:[0,1]
	v_cmp_eq_f32_e32 vcc, s11, v27
	v_add_f32_e32 v9, v35, v9
	v_add_f32_e32 v8, v8, v9
	;; [unrolled: 1-line block ×3, first 2 shown]
	v_mul_f32_e32 v35, v34, v9
	v_mul_f32_e32 v12, v29, v35
	v_fma_f32 v14, v35, v29, -v12
	v_fmac_f32_e32 v14, v35, v33
	v_sub_f32_e32 v13, v13, v9
	v_add_f32_e32 v29, v8, v13
	v_add_f32_e32 v8, v12, v14
	v_sub_f32_e32 v13, v9, v8
	v_pk_add_f32 v[30:31], v[8:9], v[12:13] neg_lo:[0,1] neg_hi:[0,1]
	v_mov_b32_e32 v15, v8
	v_pk_add_f32 v[8:9], v[30:31], v[14:15] neg_lo:[0,1] neg_hi:[0,1]
	s_or_b64 vcc, s[60:61], vcc
	v_add_f32_e32 v9, v29, v9
	v_add_f32_e32 v8, v8, v9
	;; [unrolled: 1-line block ×4, first 2 shown]
	v_sub_f32_e32 v12, v9, v36
	v_mul_f32_e32 v8, v34, v8
	v_sub_f32_e32 v12, v35, v12
	v_add_f32_e32 v12, v12, v8
	v_add_f32_e32 v14, v9, v12
	v_mul_f32_e32 v15, v14, v14
	v_fmamk_f32 v8, v15, 0x3e9b6dac, v139
	v_fmaak_f32 v29, v15, v8, 0x3f2aaada
	v_cvt_f32_i32_e32 v8, v32
	v_sub_f32_e32 v9, v14, v9
	v_sub_f32_e32 v9, v12, v9
	v_ldexp_f32 v30, v9, 1
	v_mul_f32_e32 v9, v14, v15
	v_ldexp_f32 v13, v14, 1
	v_pk_mul_f32 v[14:15], v[8:9], v[28:29]
	s_nop 0
	v_fma_f32 v12, v8, s13, -v14
	v_fmac_f32_e32 v12, 0xb102e308, v8
	v_pk_add_f32 v[8:9], v[14:15], v[12:13]
	s_nop 0
	v_sub_f32_e32 v13, v9, v13
	v_sub_f32_e32 v13, v15, v13
	v_add_f32_e32 v31, v30, v13
	v_mov_b32_e32 v30, v14
	v_pk_add_f32 v[14:15], v[8:9], v[14:15] neg_lo:[0,1] neg_hi:[0,1]
	v_pk_add_f32 v[32:33], v[8:9], v[30:31]
	v_mov_b32_e32 v13, v8
	v_mov_b32_e32 v15, v33
	v_pk_add_f32 v[34:35], v[12:13], v[14:15] neg_lo:[0,1] neg_hi:[0,1]
	v_pk_add_f32 v[12:13], v[12:13], v[14:15]
	v_mov_b32_e32 v30, v31
	v_mov_b32_e32 v14, v13
	v_pk_add_f32 v[36:37], v[14:15], v[8:9] neg_lo:[0,1] neg_hi:[0,1]
	v_mov_b32_e32 v12, v33
	v_mov_b32_e32 v15, v36
	v_pk_add_f32 v[38:39], v[32:33], v[14:15] neg_lo:[0,1] neg_hi:[0,1]
	v_mov_b32_e32 v32, v9
	v_mov_b32_e32 v33, v36
	;; [unrolled: 1-line block ×3, first 2 shown]
	v_pk_add_f32 v[12:13], v[12:13], v[32:33] neg_lo:[0,1] neg_hi:[0,1]
	v_mov_b32_e32 v31, v8
	v_pk_add_f32 v[8:9], v[30:31], v[12:13] neg_lo:[0,1] neg_hi:[0,1]
	v_mov_b32_e32 v38, v34
	v_pk_add_f32 v[12:13], v[38:39], v[8:9]
	s_nop 0
	v_mov_b32_e32 v30, v13
	v_pk_add_f32 v[30:31], v[12:13], v[30:31]
	s_nop 0
	v_pk_add_f32 v[14:15], v[14:15], v[30:31]
	v_mov_b32_e32 v9, v30
	v_mov_b32_e32 v13, v14
	v_pk_add_f32 v[32:33], v[12:13], v[34:35] neg_lo:[0,1] neg_hi:[0,1]
	s_nop 0
	v_sub_f32_e32 v12, v12, v32
	v_pk_add_f32 v[8:9], v[8:9], v[32:33] neg_lo:[0,1] neg_hi:[0,1]
	v_sub_f32_e32 v12, v34, v12
	v_add_f32_e32 v8, v8, v12
	v_add_f32_e32 v8, v8, v9
	;; [unrolled: 1-line block ×3, first 2 shown]
	v_cndmask_b32_e32 v155, v8, v27, vcc
.LBB61_99:                              ;   in Loop: Header=BB61_13 Depth=1
	s_or_b64 exec, exec, s[4:5]
	v_lshlrev_b32_e32 v8, 16, v10
	v_readlane_b32 s2, v166, 2
	s_nop 1
	v_add_f32_e32 v156, s2, v8
	v_readlane_b32 s2, v166, 23
	v_cmp_ge_f32_e32 vcc, s6, v156
	v_readlane_b32 s3, v166, 24
	s_and_b64 s[2:3], s[2:3], vcc
	s_and_saveexec_b64 s[4:5], s[2:3]
	s_cbranch_execz .LBB61_101
; %bb.100:                              ;   in Loop: Header=BB61_13 Depth=1
	v_mul_f32_e32 v8, 0x3fb8aa3b, v156
	v_rndne_f32_e32 v9, v8
	v_sub_f32_e32 v12, v8, v9
	v_fma_f32 v8, v156, s8, -v8
	v_fmac_f32_e32 v8, 0x32a5705f, v156
	v_add_f32_e32 v8, v12, v8
	v_cvt_i32_f32_e32 v9, v9
	v_exp_f32_e32 v8, v8
	v_cmp_ngt_f32_e32 vcc, s9, v156
	v_ldexp_f32 v8, v8, v9
	s_nop 0
	v_cndmask_b32_e32 v8, 0, v8, vcc
	v_cmp_nlt_f32_e32 vcc, s10, v156
	s_nop 1
	v_cndmask_b32_e32 v27, v140, v8, vcc
	v_add_f32_e32 v12, 1.0, v27
	v_add_f32_e32 v8, -1.0, v12
	v_sub_f32_e32 v9, v8, v12
	v_add_f32_e32 v9, 1.0, v9
	v_sub_f32_e32 v8, v27, v8
	v_add_f32_e32 v13, v8, v9
	v_frexp_mant_f32_e32 v14, v12
	v_cvt_f64_f32_e32 v[8:9], v12
	v_frexp_exp_i32_f64_e32 v8, v[8:9]
	v_cmp_gt_f32_e32 vcc, s12, v14
	v_cmp_gt_f32_e64 s[60:61], s14, v27
	s_nop 0
	v_subbrev_co_u32_e32 v32, vcc, 0, v8, vcc
	v_sub_u32_e32 v8, 0, v32
	v_ldexp_f32 v9, v12, v8
	v_add_f32_e32 v12, -1.0, v9
	v_add_f32_e32 v14, 1.0, v9
	v_ldexp_f32 v8, v13, v8
	v_add_f32_e32 v13, 1.0, v12
	v_add_f32_e32 v15, -1.0, v14
	v_sub_f32_e32 v13, v9, v13
	v_sub_f32_e32 v9, v9, v15
	v_add_f32_e32 v13, v8, v13
	v_add_f32_e32 v8, v8, v9
	;; [unrolled: 1-line block ×3, first 2 shown]
	v_rcp_f32_e32 v34, v29
	v_sub_f32_e32 v9, v14, v29
	v_add_f32_e32 v33, v8, v9
	v_add_f32_e32 v9, v12, v13
	v_mul_f32_e32 v36, v9, v34
	v_sub_f32_e32 v8, v12, v9
	v_mul_f32_e32 v12, v29, v36
	v_fma_f32 v14, v36, v29, -v12
	v_fmac_f32_e32 v14, v36, v33
	v_add_f32_e32 v35, v13, v8
	v_add_f32_e32 v8, v12, v14
	v_sub_f32_e32 v13, v9, v8
	v_pk_add_f32 v[30:31], v[8:9], v[12:13] neg_lo:[0,1] neg_hi:[0,1]
	v_mov_b32_e32 v15, v8
	v_pk_add_f32 v[8:9], v[30:31], v[14:15] neg_lo:[0,1] neg_hi:[0,1]
	v_cmp_eq_f32_e32 vcc, s11, v27
	v_add_f32_e32 v9, v35, v9
	v_add_f32_e32 v8, v8, v9
	;; [unrolled: 1-line block ×3, first 2 shown]
	v_mul_f32_e32 v35, v34, v9
	v_mul_f32_e32 v12, v29, v35
	v_fma_f32 v14, v35, v29, -v12
	v_fmac_f32_e32 v14, v35, v33
	v_sub_f32_e32 v13, v13, v9
	v_add_f32_e32 v29, v8, v13
	v_add_f32_e32 v8, v12, v14
	v_sub_f32_e32 v13, v9, v8
	v_pk_add_f32 v[30:31], v[8:9], v[12:13] neg_lo:[0,1] neg_hi:[0,1]
	v_mov_b32_e32 v15, v8
	v_pk_add_f32 v[8:9], v[30:31], v[14:15] neg_lo:[0,1] neg_hi:[0,1]
	s_or_b64 vcc, s[60:61], vcc
	v_add_f32_e32 v9, v29, v9
	v_add_f32_e32 v8, v8, v9
	;; [unrolled: 1-line block ×4, first 2 shown]
	v_sub_f32_e32 v12, v9, v36
	v_mul_f32_e32 v8, v34, v8
	v_sub_f32_e32 v12, v35, v12
	v_add_f32_e32 v12, v12, v8
	v_add_f32_e32 v14, v9, v12
	v_mul_f32_e32 v15, v14, v14
	v_fmamk_f32 v8, v15, 0x3e9b6dac, v139
	v_fmaak_f32 v29, v15, v8, 0x3f2aaada
	v_cvt_f32_i32_e32 v8, v32
	v_sub_f32_e32 v9, v14, v9
	v_sub_f32_e32 v9, v12, v9
	v_ldexp_f32 v30, v9, 1
	v_mul_f32_e32 v9, v14, v15
	v_ldexp_f32 v13, v14, 1
	v_pk_mul_f32 v[14:15], v[8:9], v[28:29]
	s_nop 0
	v_fma_f32 v12, v8, s13, -v14
	v_fmac_f32_e32 v12, 0xb102e308, v8
	v_pk_add_f32 v[8:9], v[14:15], v[12:13]
	s_nop 0
	v_sub_f32_e32 v13, v9, v13
	v_sub_f32_e32 v13, v15, v13
	v_add_f32_e32 v31, v30, v13
	v_mov_b32_e32 v30, v14
	v_pk_add_f32 v[14:15], v[8:9], v[14:15] neg_lo:[0,1] neg_hi:[0,1]
	v_pk_add_f32 v[32:33], v[8:9], v[30:31]
	v_mov_b32_e32 v13, v8
	v_mov_b32_e32 v15, v33
	v_pk_add_f32 v[34:35], v[12:13], v[14:15] neg_lo:[0,1] neg_hi:[0,1]
	v_pk_add_f32 v[12:13], v[12:13], v[14:15]
	v_mov_b32_e32 v30, v31
	v_mov_b32_e32 v14, v13
	v_pk_add_f32 v[36:37], v[14:15], v[8:9] neg_lo:[0,1] neg_hi:[0,1]
	v_mov_b32_e32 v12, v33
	v_mov_b32_e32 v15, v36
	v_pk_add_f32 v[38:39], v[32:33], v[14:15] neg_lo:[0,1] neg_hi:[0,1]
	v_mov_b32_e32 v32, v9
	v_mov_b32_e32 v33, v36
	;; [unrolled: 1-line block ×3, first 2 shown]
	v_pk_add_f32 v[12:13], v[12:13], v[32:33] neg_lo:[0,1] neg_hi:[0,1]
	v_mov_b32_e32 v31, v8
	v_pk_add_f32 v[8:9], v[30:31], v[12:13] neg_lo:[0,1] neg_hi:[0,1]
	v_mov_b32_e32 v38, v34
	v_pk_add_f32 v[12:13], v[38:39], v[8:9]
	s_nop 0
	v_mov_b32_e32 v30, v13
	v_pk_add_f32 v[30:31], v[12:13], v[30:31]
	s_nop 0
	v_pk_add_f32 v[14:15], v[14:15], v[30:31]
	v_mov_b32_e32 v9, v30
	v_mov_b32_e32 v13, v14
	v_pk_add_f32 v[32:33], v[12:13], v[34:35] neg_lo:[0,1] neg_hi:[0,1]
	s_nop 0
	v_sub_f32_e32 v12, v12, v32
	v_pk_add_f32 v[8:9], v[8:9], v[32:33] neg_lo:[0,1] neg_hi:[0,1]
	v_sub_f32_e32 v12, v34, v12
	v_add_f32_e32 v8, v8, v12
	v_add_f32_e32 v8, v8, v9
	;; [unrolled: 1-line block ×3, first 2 shown]
	v_cndmask_b32_e32 v156, v8, v27, vcc
.LBB61_101:                             ;   in Loop: Header=BB61_13 Depth=1
	s_or_b64 exec, exec, s[4:5]
	v_and_b32_e32 v8, 0xffff0000, v10
	v_readlane_b32 s2, v166, 2
	s_nop 1
	v_add_f32_e32 v157, s2, v8
	v_readlane_b32 s2, v166, 23
	v_cmp_ge_f32_e32 vcc, s6, v157
	v_readlane_b32 s3, v166, 24
	s_and_b64 s[2:3], s[2:3], vcc
	s_and_saveexec_b64 s[4:5], s[2:3]
	s_cbranch_execz .LBB61_103
; %bb.102:                              ;   in Loop: Header=BB61_13 Depth=1
	v_mul_f32_e32 v8, 0x3fb8aa3b, v157
	v_rndne_f32_e32 v9, v8
	v_sub_f32_e32 v10, v8, v9
	v_fma_f32 v8, v157, s8, -v8
	v_fmac_f32_e32 v8, 0x32a5705f, v157
	v_add_f32_e32 v8, v10, v8
	v_cvt_i32_f32_e32 v9, v9
	v_exp_f32_e32 v8, v8
	v_cmp_ngt_f32_e32 vcc, s9, v157
	v_ldexp_f32 v8, v8, v9
	s_nop 0
	v_cndmask_b32_e32 v8, 0, v8, vcc
	v_cmp_nlt_f32_e32 vcc, s10, v157
	s_nop 1
	v_cndmask_b32_e32 v27, v140, v8, vcc
	v_add_f32_e32 v10, 1.0, v27
	v_add_f32_e32 v8, -1.0, v10
	v_sub_f32_e32 v9, v8, v10
	v_add_f32_e32 v9, 1.0, v9
	v_sub_f32_e32 v8, v27, v8
	v_add_f32_e32 v12, v8, v9
	v_frexp_mant_f32_e32 v13, v10
	v_cvt_f64_f32_e32 v[8:9], v10
	v_frexp_exp_i32_f64_e32 v8, v[8:9]
	v_cmp_gt_f32_e32 vcc, s12, v13
	v_cmp_gt_f32_e64 s[60:61], s14, v27
	s_nop 0
	v_subbrev_co_u32_e32 v32, vcc, 0, v8, vcc
	v_sub_u32_e32 v8, 0, v32
	v_ldexp_f32 v9, v10, v8
	v_add_f32_e32 v10, -1.0, v9
	v_add_f32_e32 v13, 1.0, v9
	v_ldexp_f32 v8, v12, v8
	v_add_f32_e32 v12, 1.0, v10
	v_add_f32_e32 v14, -1.0, v13
	v_sub_f32_e32 v12, v9, v12
	v_sub_f32_e32 v9, v9, v14
	v_add_f32_e32 v12, v8, v12
	v_add_f32_e32 v8, v8, v9
	;; [unrolled: 1-line block ×3, first 2 shown]
	v_rcp_f32_e32 v34, v29
	v_sub_f32_e32 v9, v13, v29
	v_add_f32_e32 v33, v8, v9
	v_add_f32_e32 v9, v10, v12
	v_sub_f32_e32 v8, v10, v9
	v_mul_f32_e32 v35, v9, v34
	v_add_f32_e32 v10, v12, v8
	v_mul_f32_e32 v12, v29, v35
	v_fma_f32 v14, v35, v29, -v12
	v_fmac_f32_e32 v14, v35, v33
	v_add_f32_e32 v8, v12, v14
	v_sub_f32_e32 v13, v9, v8
	v_pk_add_f32 v[30:31], v[8:9], v[12:13] neg_lo:[0,1] neg_hi:[0,1]
	v_mov_b32_e32 v15, v8
	v_pk_add_f32 v[8:9], v[30:31], v[14:15] neg_lo:[0,1] neg_hi:[0,1]
	v_cmp_eq_f32_e32 vcc, s11, v27
	v_add_f32_e32 v9, v10, v9
	v_add_f32_e32 v8, v8, v9
	;; [unrolled: 1-line block ×3, first 2 shown]
	v_mul_f32_e32 v10, v34, v9
	v_mul_f32_e32 v12, v29, v10
	v_fma_f32 v14, v10, v29, -v12
	v_fmac_f32_e32 v14, v10, v33
	v_sub_f32_e32 v13, v13, v9
	v_add_f32_e32 v29, v8, v13
	v_add_f32_e32 v8, v12, v14
	v_sub_f32_e32 v13, v9, v8
	v_pk_add_f32 v[30:31], v[8:9], v[12:13] neg_lo:[0,1] neg_hi:[0,1]
	v_mov_b32_e32 v15, v8
	v_pk_add_f32 v[8:9], v[30:31], v[14:15] neg_lo:[0,1] neg_hi:[0,1]
	s_or_b64 vcc, s[60:61], vcc
	v_add_f32_e32 v9, v29, v9
	v_add_f32_e32 v8, v8, v9
	;; [unrolled: 1-line block ×4, first 2 shown]
	v_sub_f32_e32 v12, v9, v35
	v_mul_f32_e32 v8, v34, v8
	v_sub_f32_e32 v10, v10, v12
	v_add_f32_e32 v10, v10, v8
	v_add_f32_e32 v12, v9, v10
	v_mul_f32_e32 v14, v12, v12
	v_fmamk_f32 v8, v14, 0x3e9b6dac, v139
	v_fmaak_f32 v29, v14, v8, 0x3f2aaada
	v_cvt_f32_i32_e32 v8, v32
	v_sub_f32_e32 v9, v12, v9
	v_sub_f32_e32 v9, v10, v9
	v_ldexp_f32 v10, v9, 1
	v_mul_f32_e32 v9, v12, v14
	v_pk_mul_f32 v[14:15], v[8:9], v[28:29]
	v_ldexp_f32 v13, v12, 1
	v_fma_f32 v12, v8, s13, -v14
	v_fmac_f32_e32 v12, 0xb102e308, v8
	v_pk_add_f32 v[8:9], v[14:15], v[12:13]
	v_mov_b32_e32 v30, v14
	v_sub_f32_e32 v13, v9, v13
	v_sub_f32_e32 v13, v15, v13
	v_add_f32_e32 v31, v10, v13
	v_pk_add_f32 v[14:15], v[8:9], v[14:15] neg_lo:[0,1] neg_hi:[0,1]
	v_pk_add_f32 v[32:33], v[8:9], v[30:31]
	v_mov_b32_e32 v13, v8
	v_mov_b32_e32 v15, v33
	v_pk_add_f32 v[34:35], v[12:13], v[14:15] neg_lo:[0,1] neg_hi:[0,1]
	v_pk_add_f32 v[12:13], v[12:13], v[14:15]
	s_nop 0
	v_mov_b32_e32 v10, v13
	v_pk_add_f32 v[14:15], v[10:11], v[8:9] neg_lo:[0,1] neg_hi:[0,1]
	v_mov_b32_e32 v12, v33
	v_mov_b32_e32 v15, v14
	v_pk_add_f32 v[36:37], v[32:33], v[14:15] neg_lo:[0,1] neg_hi:[0,1]
	v_mov_b32_e32 v32, v9
	v_mov_b32_e32 v33, v14
	;; [unrolled: 1-line block ×3, first 2 shown]
	v_pk_add_f32 v[12:13], v[12:13], v[32:33] neg_lo:[0,1] neg_hi:[0,1]
	v_mov_b32_e32 v14, v31
	v_mov_b32_e32 v15, v8
	v_pk_add_f32 v[8:9], v[14:15], v[12:13] neg_lo:[0,1] neg_hi:[0,1]
	v_mov_b32_e32 v36, v34
	v_pk_add_f32 v[12:13], v[36:37], v[8:9]
	s_nop 0
	v_mov_b32_e32 v14, v13
	v_pk_add_f32 v[14:15], v[12:13], v[14:15]
	s_nop 0
	v_pk_add_f32 v[30:31], v[10:11], v[14:15]
	v_mov_b32_e32 v9, v14
	v_mov_b32_e32 v13, v30
	v_pk_add_f32 v[32:33], v[12:13], v[34:35] neg_lo:[0,1] neg_hi:[0,1]
	s_nop 0
	v_sub_f32_e32 v10, v12, v32
	v_pk_add_f32 v[8:9], v[8:9], v[32:33] neg_lo:[0,1] neg_hi:[0,1]
	v_sub_f32_e32 v10, v34, v10
	v_add_f32_e32 v8, v8, v10
	v_add_f32_e32 v8, v8, v9
	;; [unrolled: 1-line block ×3, first 2 shown]
	v_cndmask_b32_e32 v157, v8, v27, vcc
.LBB61_103:                             ;   in Loop: Header=BB61_13 Depth=1
	s_or_b64 exec, exec, s[4:5]
	v_lshlrev_b32_e32 v8, 16, v11
	v_readlane_b32 s2, v166, 2
	s_nop 1
	v_add_f32_e32 v46, s2, v8
	v_readlane_b32 s2, v166, 23
	v_cmp_ge_f32_e32 vcc, s6, v46
	v_readlane_b32 s3, v166, 24
	s_and_b64 s[2:3], s[2:3], vcc
	s_and_saveexec_b64 s[4:5], s[2:3]
	s_cbranch_execz .LBB61_105
; %bb.104:                              ;   in Loop: Header=BB61_13 Depth=1
	v_mul_f32_e32 v8, 0x3fb8aa3b, v46
	v_rndne_f32_e32 v9, v8
	v_sub_f32_e32 v10, v8, v9
	v_fma_f32 v8, v46, s8, -v8
	v_fmac_f32_e32 v8, 0x32a5705f, v46
	v_add_f32_e32 v8, v10, v8
	v_cvt_i32_f32_e32 v9, v9
	v_exp_f32_e32 v8, v8
	v_cmp_ngt_f32_e32 vcc, s9, v46
	v_ldexp_f32 v8, v8, v9
	s_nop 0
	v_cndmask_b32_e32 v8, 0, v8, vcc
	v_cmp_nlt_f32_e32 vcc, s10, v46
	s_nop 1
	v_cndmask_b32_e32 v27, v140, v8, vcc
	v_add_f32_e32 v10, 1.0, v27
	v_add_f32_e32 v8, -1.0, v10
	v_sub_f32_e32 v9, v8, v10
	v_add_f32_e32 v9, 1.0, v9
	v_sub_f32_e32 v8, v27, v8
	v_add_f32_e32 v12, v8, v9
	v_frexp_mant_f32_e32 v13, v10
	v_cvt_f64_f32_e32 v[8:9], v10
	v_frexp_exp_i32_f64_e32 v8, v[8:9]
	v_cmp_gt_f32_e32 vcc, s12, v13
	v_cmp_gt_f32_e64 s[60:61], s14, v27
	s_nop 0
	v_subbrev_co_u32_e32 v32, vcc, 0, v8, vcc
	v_sub_u32_e32 v8, 0, v32
	v_ldexp_f32 v9, v10, v8
	v_add_f32_e32 v10, -1.0, v9
	v_add_f32_e32 v13, 1.0, v9
	v_ldexp_f32 v8, v12, v8
	v_add_f32_e32 v12, 1.0, v10
	v_add_f32_e32 v14, -1.0, v13
	v_sub_f32_e32 v12, v9, v12
	v_sub_f32_e32 v9, v9, v14
	v_add_f32_e32 v12, v8, v12
	v_add_f32_e32 v8, v8, v9
	v_add_f32_e32 v29, v13, v8
	v_rcp_f32_e32 v34, v29
	v_sub_f32_e32 v9, v13, v29
	v_add_f32_e32 v33, v8, v9
	v_add_f32_e32 v9, v10, v12
	v_sub_f32_e32 v8, v10, v9
	v_mul_f32_e32 v35, v9, v34
	v_add_f32_e32 v10, v12, v8
	v_mul_f32_e32 v12, v29, v35
	v_fma_f32 v14, v35, v29, -v12
	v_fmac_f32_e32 v14, v35, v33
	v_add_f32_e32 v8, v12, v14
	v_sub_f32_e32 v13, v9, v8
	v_pk_add_f32 v[30:31], v[8:9], v[12:13] neg_lo:[0,1] neg_hi:[0,1]
	v_mov_b32_e32 v15, v8
	v_pk_add_f32 v[8:9], v[30:31], v[14:15] neg_lo:[0,1] neg_hi:[0,1]
	v_cmp_eq_f32_e32 vcc, s11, v27
	v_add_f32_e32 v9, v10, v9
	v_add_f32_e32 v8, v8, v9
	;; [unrolled: 1-line block ×3, first 2 shown]
	v_mul_f32_e32 v10, v34, v9
	v_mul_f32_e32 v12, v29, v10
	v_fma_f32 v14, v10, v29, -v12
	v_fmac_f32_e32 v14, v10, v33
	v_sub_f32_e32 v13, v13, v9
	v_add_f32_e32 v29, v8, v13
	v_add_f32_e32 v8, v12, v14
	v_sub_f32_e32 v13, v9, v8
	v_pk_add_f32 v[30:31], v[8:9], v[12:13] neg_lo:[0,1] neg_hi:[0,1]
	v_mov_b32_e32 v15, v8
	v_pk_add_f32 v[8:9], v[30:31], v[14:15] neg_lo:[0,1] neg_hi:[0,1]
	s_or_b64 vcc, s[60:61], vcc
	v_add_f32_e32 v9, v29, v9
	v_add_f32_e32 v8, v8, v9
	;; [unrolled: 1-line block ×4, first 2 shown]
	v_sub_f32_e32 v12, v9, v35
	v_mul_f32_e32 v8, v34, v8
	v_sub_f32_e32 v10, v10, v12
	v_add_f32_e32 v10, v10, v8
	v_add_f32_e32 v12, v9, v10
	v_mul_f32_e32 v14, v12, v12
	v_fmamk_f32 v8, v14, 0x3e9b6dac, v139
	v_fmaak_f32 v29, v14, v8, 0x3f2aaada
	v_cvt_f32_i32_e32 v8, v32
	v_sub_f32_e32 v9, v12, v9
	v_sub_f32_e32 v9, v10, v9
	v_ldexp_f32 v10, v9, 1
	v_mul_f32_e32 v9, v12, v14
	v_pk_mul_f32 v[14:15], v[8:9], v[28:29]
	v_ldexp_f32 v13, v12, 1
	v_fma_f32 v12, v8, s13, -v14
	v_fmac_f32_e32 v12, 0xb102e308, v8
	v_pk_add_f32 v[8:9], v[14:15], v[12:13]
	v_mov_b32_e32 v30, v14
	v_sub_f32_e32 v13, v9, v13
	v_sub_f32_e32 v13, v15, v13
	v_add_f32_e32 v31, v10, v13
	v_pk_add_f32 v[14:15], v[8:9], v[14:15] neg_lo:[0,1] neg_hi:[0,1]
	v_pk_add_f32 v[32:33], v[8:9], v[30:31]
	v_mov_b32_e32 v13, v8
	v_mov_b32_e32 v15, v33
	v_pk_add_f32 v[34:35], v[12:13], v[14:15] neg_lo:[0,1] neg_hi:[0,1]
	v_pk_add_f32 v[12:13], v[12:13], v[14:15]
	s_nop 0
	v_mov_b32_e32 v10, v13
	v_pk_add_f32 v[14:15], v[10:11], v[8:9] neg_lo:[0,1] neg_hi:[0,1]
	v_mov_b32_e32 v12, v33
	v_mov_b32_e32 v15, v14
	v_pk_add_f32 v[36:37], v[32:33], v[14:15] neg_lo:[0,1] neg_hi:[0,1]
	v_mov_b32_e32 v32, v9
	v_mov_b32_e32 v33, v14
	;; [unrolled: 1-line block ×3, first 2 shown]
	v_pk_add_f32 v[12:13], v[12:13], v[32:33] neg_lo:[0,1] neg_hi:[0,1]
	v_mov_b32_e32 v14, v31
	v_mov_b32_e32 v15, v8
	v_pk_add_f32 v[8:9], v[14:15], v[12:13] neg_lo:[0,1] neg_hi:[0,1]
	v_mov_b32_e32 v36, v34
	v_pk_add_f32 v[12:13], v[36:37], v[8:9]
	s_nop 0
	v_mov_b32_e32 v14, v13
	v_pk_add_f32 v[14:15], v[12:13], v[14:15]
	s_nop 0
	v_pk_add_f32 v[30:31], v[10:11], v[14:15]
	v_mov_b32_e32 v9, v14
	v_mov_b32_e32 v13, v30
	v_pk_add_f32 v[32:33], v[12:13], v[34:35] neg_lo:[0,1] neg_hi:[0,1]
	s_nop 0
	v_sub_f32_e32 v10, v12, v32
	v_pk_add_f32 v[8:9], v[8:9], v[32:33] neg_lo:[0,1] neg_hi:[0,1]
	v_sub_f32_e32 v10, v34, v10
	v_add_f32_e32 v8, v8, v10
	v_add_f32_e32 v8, v8, v9
	;; [unrolled: 1-line block ×3, first 2 shown]
	v_cndmask_b32_e32 v46, v8, v27, vcc
.LBB61_105:                             ;   in Loop: Header=BB61_13 Depth=1
	s_or_b64 exec, exec, s[4:5]
	v_and_b32_e32 v8, 0xffff0000, v11
	v_readlane_b32 s2, v166, 2
	s_nop 1
	v_add_f32_e32 v47, s2, v8
	v_readlane_b32 s2, v166, 23
	v_cmp_ge_f32_e32 vcc, s6, v47
	v_readlane_b32 s3, v166, 24
	s_and_b64 s[2:3], s[2:3], vcc
	s_and_saveexec_b64 s[4:5], s[2:3]
	s_cbranch_execz .LBB61_107
; %bb.106:                              ;   in Loop: Header=BB61_13 Depth=1
	v_mul_f32_e32 v8, 0x3fb8aa3b, v47
	v_rndne_f32_e32 v9, v8
	v_sub_f32_e32 v10, v8, v9
	v_fma_f32 v8, v47, s8, -v8
	v_fmac_f32_e32 v8, 0x32a5705f, v47
	v_add_f32_e32 v8, v10, v8
	v_cvt_i32_f32_e32 v9, v9
	v_exp_f32_e32 v8, v8
	v_cmp_ngt_f32_e32 vcc, s9, v47
	v_ldexp_f32 v8, v8, v9
	s_nop 0
	v_cndmask_b32_e32 v8, 0, v8, vcc
	v_cmp_nlt_f32_e32 vcc, s10, v47
	s_nop 1
	v_cndmask_b32_e32 v27, v140, v8, vcc
	v_add_f32_e32 v10, 1.0, v27
	v_add_f32_e32 v8, -1.0, v10
	v_sub_f32_e32 v9, v8, v10
	v_add_f32_e32 v9, 1.0, v9
	v_sub_f32_e32 v8, v27, v8
	v_add_f32_e32 v11, v8, v9
	v_frexp_mant_f32_e32 v12, v10
	v_cvt_f64_f32_e32 v[8:9], v10
	v_frexp_exp_i32_f64_e32 v8, v[8:9]
	v_cmp_gt_f32_e32 vcc, s12, v12
	v_cmp_gt_f32_e64 s[60:61], s14, v27
	s_nop 0
	v_subbrev_co_u32_e32 v30, vcc, 0, v8, vcc
	v_sub_u32_e32 v8, 0, v30
	v_ldexp_f32 v9, v10, v8
	v_add_f32_e32 v10, -1.0, v9
	v_add_f32_e32 v12, 1.0, v9
	v_ldexp_f32 v8, v11, v8
	v_add_f32_e32 v11, 1.0, v10
	v_add_f32_e32 v13, -1.0, v12
	v_sub_f32_e32 v11, v9, v11
	v_sub_f32_e32 v9, v9, v13
	v_add_f32_e32 v11, v8, v11
	v_add_f32_e32 v8, v8, v9
	;; [unrolled: 1-line block ×3, first 2 shown]
	v_rcp_f32_e32 v32, v29
	v_sub_f32_e32 v9, v12, v29
	v_add_f32_e32 v31, v8, v9
	v_add_f32_e32 v9, v10, v11
	v_mul_f32_e32 v34, v9, v32
	v_sub_f32_e32 v8, v10, v9
	v_mul_f32_e32 v10, v29, v34
	v_fma_f32 v12, v34, v29, -v10
	v_fmac_f32_e32 v12, v34, v31
	v_add_f32_e32 v33, v11, v8
	v_add_f32_e32 v8, v10, v12
	v_sub_f32_e32 v11, v9, v8
	v_pk_add_f32 v[14:15], v[8:9], v[10:11] neg_lo:[0,1] neg_hi:[0,1]
	v_mov_b32_e32 v13, v8
	v_pk_add_f32 v[8:9], v[14:15], v[12:13] neg_lo:[0,1] neg_hi:[0,1]
	v_cmp_eq_f32_e32 vcc, s11, v27
	v_add_f32_e32 v9, v33, v9
	v_add_f32_e32 v8, v8, v9
	v_add_f32_e32 v9, v11, v8
	v_mul_f32_e32 v33, v32, v9
	v_mul_f32_e32 v10, v29, v33
	v_fma_f32 v12, v33, v29, -v10
	v_fmac_f32_e32 v12, v33, v31
	v_sub_f32_e32 v11, v11, v9
	v_add_f32_e32 v29, v8, v11
	v_add_f32_e32 v8, v10, v12
	v_sub_f32_e32 v11, v9, v8
	v_pk_add_f32 v[14:15], v[8:9], v[10:11] neg_lo:[0,1] neg_hi:[0,1]
	v_mov_b32_e32 v13, v8
	v_pk_add_f32 v[8:9], v[14:15], v[12:13] neg_lo:[0,1] neg_hi:[0,1]
	s_or_b64 vcc, s[60:61], vcc
	v_add_f32_e32 v9, v29, v9
	v_add_f32_e32 v8, v8, v9
	;; [unrolled: 1-line block ×4, first 2 shown]
	v_sub_f32_e32 v10, v9, v34
	v_mul_f32_e32 v8, v32, v8
	v_sub_f32_e32 v10, v33, v10
	v_add_f32_e32 v10, v10, v8
	v_add_f32_e32 v12, v9, v10
	v_mul_f32_e32 v13, v12, v12
	v_fmamk_f32 v8, v13, 0x3e9b6dac, v139
	v_fmaak_f32 v29, v13, v8, 0x3f2aaada
	v_cvt_f32_i32_e32 v8, v30
	v_sub_f32_e32 v9, v12, v9
	v_sub_f32_e32 v9, v10, v9
	v_ldexp_f32 v14, v9, 1
	v_mul_f32_e32 v9, v12, v13
	v_ldexp_f32 v11, v12, 1
	v_pk_mul_f32 v[12:13], v[8:9], v[28:29]
	s_nop 0
	v_fma_f32 v10, v8, s13, -v12
	v_fmac_f32_e32 v10, 0xb102e308, v8
	v_pk_add_f32 v[8:9], v[12:13], v[10:11]
	s_nop 0
	v_sub_f32_e32 v11, v9, v11
	v_sub_f32_e32 v11, v13, v11
	v_add_f32_e32 v15, v14, v11
	v_mov_b32_e32 v14, v12
	v_pk_add_f32 v[12:13], v[8:9], v[12:13] neg_lo:[0,1] neg_hi:[0,1]
	v_pk_add_f32 v[30:31], v[8:9], v[14:15]
	v_mov_b32_e32 v11, v8
	v_mov_b32_e32 v13, v31
	v_pk_add_f32 v[32:33], v[10:11], v[12:13] neg_lo:[0,1] neg_hi:[0,1]
	v_pk_add_f32 v[10:11], v[10:11], v[12:13]
	v_mov_b32_e32 v14, v15
	v_mov_b32_e32 v12, v11
	v_pk_add_f32 v[34:35], v[12:13], v[8:9] neg_lo:[0,1] neg_hi:[0,1]
	v_mov_b32_e32 v10, v31
	v_mov_b32_e32 v13, v34
	v_pk_add_f32 v[36:37], v[30:31], v[12:13] neg_lo:[0,1] neg_hi:[0,1]
	v_mov_b32_e32 v30, v9
	v_mov_b32_e32 v31, v34
	;; [unrolled: 1-line block ×3, first 2 shown]
	v_pk_add_f32 v[10:11], v[10:11], v[30:31] neg_lo:[0,1] neg_hi:[0,1]
	v_mov_b32_e32 v15, v8
	v_pk_add_f32 v[8:9], v[14:15], v[10:11] neg_lo:[0,1] neg_hi:[0,1]
	v_mov_b32_e32 v36, v32
	v_pk_add_f32 v[10:11], v[36:37], v[8:9]
	s_nop 0
	v_mov_b32_e32 v14, v11
	v_pk_add_f32 v[14:15], v[10:11], v[14:15]
	s_nop 0
	v_pk_add_f32 v[12:13], v[12:13], v[14:15]
	v_mov_b32_e32 v9, v14
	v_mov_b32_e32 v11, v12
	v_pk_add_f32 v[30:31], v[10:11], v[32:33] neg_lo:[0,1] neg_hi:[0,1]
	s_nop 0
	v_sub_f32_e32 v10, v10, v30
	v_pk_add_f32 v[8:9], v[8:9], v[30:31] neg_lo:[0,1] neg_hi:[0,1]
	v_sub_f32_e32 v10, v32, v10
	v_add_f32_e32 v8, v8, v10
	v_add_f32_e32 v8, v8, v9
	;; [unrolled: 1-line block ×3, first 2 shown]
	v_cndmask_b32_e32 v47, v8, v27, vcc
.LBB61_107:                             ;   in Loop: Header=BB61_13 Depth=1
	s_or_b64 exec, exec, s[4:5]
	v_lshlrev_b32_e32 v8, 16, v7
	v_readlane_b32 s2, v166, 3
	v_and_b32_e32 v15, 0xffff0000, v7
	v_and_b32_e32 v7, 0xffff0000, v6
	v_lshlrev_b32_e32 v6, 16, v6
	v_and_b32_e32 v9, 0xffff0000, v5
	v_lshlrev_b32_e32 v5, 16, v5
	;; [unrolled: 2-line block ×7, first 2 shown]
	v_mul_f32_e32 v30, s2, v8
	v_mul_f32_e32 v33, s2, v7
	v_mul_f32_e32 v32, s2, v6
	v_mul_f32_e32 v35, s2, v9
	v_mul_f32_e32 v34, s2, v5
	v_mul_f32_e32 v37, s2, v10
	v_mul_f32_e32 v36, s2, v4
	v_mul_f32_e32 v39, s2, v11
	v_mul_f32_e32 v38, s2, v3
	v_mul_f32_e32 v41, s2, v12
	v_mul_f32_e32 v40, s2, v2
	v_mul_f32_e32 v43, s2, v13
	v_mul_f32_e32 v42, s2, v1
	v_mul_f32_e32 v45, s2, v14
	v_mul_f32_e32 v44, s2, v0
	v_mul_f32_e32 v31, s2, v15
	v_readlane_b32 s2, v166, 25
	v_readlane_b32 s3, v166, 26
	s_and_b64 vcc, exec, s[2:3]
	s_barrier
	s_cbranch_vccz .LBB61_204
; %bb.108:                              ;   in Loop: Header=BB61_13 Depth=1
	v_readlane_b32 s2, v166, 9
	v_readlane_b32 s3, v166, 10
	v_mul_f32_e32 v128, v144, v0
	v_cmp_gt_u32_e32 vcc, s88, v19
	v_lshl_add_u64 v[48:49], s[2:3], 0, v[16:17]
	v_readlane_b32 s2, v166, 19
	v_readlane_b32 s3, v166, 20
	v_or_b32_e32 v0, 1, v19
	v_mov_b32_e32 v27, v17
	v_lshl_add_u64 v[50:51], s[2:3], 0, v[16:17]
	v_readlane_b32 s3, v166, 60
	s_cmp_lg_u32 s3, 0
	v_readlane_b32 s2, v166, 30
	s_cselect_b64 s[94:95], -1, 0
	s_cmp_eq_u32 s3, s2
	v_readlane_b32 s2, v166, 51
	v_readlane_b32 s3, v166, 52
	s_cselect_b64 s[96:97], -1, 0
	s_or_b64 s[60:61], s[2:3], vcc
	v_cmp_gt_u32_e32 vcc, s88, v0
	v_or_b32_e32 v0, 2, v19
	s_or_b64 s[62:63], s[2:3], vcc
	v_cmp_gt_u32_e32 vcc, s88, v0
	v_or_b32_e32 v0, 3, v19
	;; [unrolled: 3-line block ×14, first 2 shown]
	v_cmp_gt_u32_e64 s[88:89], s88, v0
	s_or_b64 s[88:89], s[2:3], s[88:89]
	s_or_b64 s[90:91], s[2:3], vcc
	v_readlane_b32 s2, v166, 27
	s_mov_b32 s6, 0
	v_readlane_b32 s3, v166, 28
	v_mul_f32_e32 v29, v47, v15
	v_lshl_add_u64 v[48:49], v[48:49], 0, v[26:27]
	v_lshl_add_u64 v[50:51], v[50:51], 0, v[26:27]
	v_mul_f32_e32 v16, v46, v8
	v_mul_f32_e32 v27, v157, v7
	;; [unrolled: 1-line block ×14, first 2 shown]
	s_mov_b32 s92, s6
	s_mov_b32 s98, s6
	;; [unrolled: 1-line block ×4, first 2 shown]
	v_readlane_b32 s9, v166, 59
	s_branch .LBB61_110
.LBB61_109:                             ;   in Loop: Header=BB61_110 Depth=2
	s_or_b64 exec, exec, s[2:3]
	v_cndmask_b32_e64 v8, v8, v71, s[24:25]
	v_cndmask_b32_e64 v52, v62, v70, s[24:25]
	v_mul_f32_e32 v52, v52, v130
	v_fma_f32 v8, v8, v130, v129
	v_cndmask_b32_e64 v8, v8, v129, s[22:23]
	v_cndmask_b32_e64 v52, v52, v130, s[22:23]
	s_waitcnt lgkmcnt(0)
	v_fmac_f32_e32 v8, v65, v52
	v_fmac_f32_e32 v9, v8, v131
	;; [unrolled: 1-line block ×12, first 2 shown]
	v_readlane_b32 s12, v166, 31
	v_fmac_f32_e32 v56, v59, v64
	v_readlane_b32 s13, v166, 32
	v_readlane_b32 s14, v166, 33
	;; [unrolled: 1-line block ×7, first 2 shown]
	v_fmac_f32_e32 v57, v56, v60
	s_add_i32 s98, s98, s12
	v_readlane_b32 s12, v166, 11
	v_fmac_f32_e32 v61, v57, v66
	v_readlane_b32 s2, v166, 4
	v_readlane_b32 s13, v166, 12
	;; [unrolled: 1-line block ×3, first 2 shown]
	v_fmac_f32_e32 v63, v61, v67
	v_and_b32_e32 v53, 0xffff0000, v4
	v_and_b32_e32 v65, 0xffff0000, v5
	v_lshlrev_b32_e32 v52, 16, v4
	v_lshlrev_b32_e32 v64, 16, v5
	v_and_b32_e32 v5, 0xffff0000, v6
	v_and_b32_e32 v67, 0xffff0000, v7
	v_lshlrev_b32_e32 v4, 16, v6
	v_lshlrev_b32_e32 v66, 16, v7
	;; [unrolled: 4-line block ×4, first 2 shown]
	v_mov_b32_e32 v62, v61
	s_add_i32 s9, s9, 8
	s_add_i32 s8, s8, -1
	s_add_i32 s4, s4, s2
	s_add_i32 s92, s92, s16
	;; [unrolled: 1-line block ×3, first 2 shown]
	v_pk_fma_f32 v[42:43], v[10:11], v[64:65], v[42:43]
	v_pk_fma_f32 v[44:45], v[8:9], v[52:53], v[44:45]
	;; [unrolled: 1-line block ×7, first 2 shown]
	s_cmp_eq_u32 s8, 0
	v_pk_fma_f32 v[32:33], v[56:57], v[0:1], v[32:33]
	v_readlane_b32 s14, v166, 13
	v_readlane_b32 s15, v166, 14
	;; [unrolled: 1-line block ×5, first 2 shown]
	s_cbranch_scc1 .LBB61_203
.LBB61_110:                             ;   Parent Loop BB61_13 Depth=1
                                        ; =>  This Inner Loop Header: Depth=2
	s_lshl_b64 s[2:3], s[6:7], 2
	v_readlane_b32 s5, v166, 7
	s_add_u32 s2, s5, s2
	v_readlane_b32 s5, v166, 8
	s_addc_u32 s3, s5, s3
	global_load_dword v54, v17, s[2:3]
	s_mov_b32 s93, s7
	v_lshl_add_u64 v[0:1], s[92:93], 1, v[48:49]
	v_mov_b32_e32 v2, 0
	v_mov_b32_e32 v3, 0
	s_and_saveexec_b64 s[2:3], s[26:27]
	s_cbranch_execz .LBB61_112
; %bb.111:                              ;   in Loop: Header=BB61_110 Depth=2
	global_load_ushort v3, v[0:1], off
.LBB61_112:                             ;   in Loop: Header=BB61_110 Depth=2
	s_or_b64 exec, exec, s[2:3]
	s_and_saveexec_b64 s[2:3], s[28:29]
	s_cbranch_execz .LBB61_114
; %bb.113:                              ;   in Loop: Header=BB61_110 Depth=2
	global_load_ushort v2, v[0:1], off offset:128
.LBB61_114:                             ;   in Loop: Header=BB61_110 Depth=2
	s_or_b64 exec, exec, s[2:3]
	v_mov_b32_e32 v4, 0
	v_mov_b32_e32 v5, 0
	s_and_saveexec_b64 s[2:3], s[30:31]
	s_cbranch_execz .LBB61_116
; %bb.115:                              ;   in Loop: Header=BB61_110 Depth=2
	global_load_ushort v5, v[0:1], off offset:256
.LBB61_116:                             ;   in Loop: Header=BB61_110 Depth=2
	s_or_b64 exec, exec, s[2:3]
	s_and_saveexec_b64 s[2:3], s[34:35]
	s_cbranch_execz .LBB61_118
; %bb.117:                              ;   in Loop: Header=BB61_110 Depth=2
	global_load_ushort v4, v[0:1], off offset:384
.LBB61_118:                             ;   in Loop: Header=BB61_110 Depth=2
	s_or_b64 exec, exec, s[2:3]
	v_mov_b32_e32 v6, 0
	v_mov_b32_e32 v7, 0
	s_and_saveexec_b64 s[2:3], s[36:37]
	s_cbranch_execz .LBB61_120
; %bb.119:                              ;   in Loop: Header=BB61_110 Depth=2
	global_load_ushort v7, v[0:1], off offset:512
.LBB61_120:                             ;   in Loop: Header=BB61_110 Depth=2
	s_or_b64 exec, exec, s[2:3]
	s_and_saveexec_b64 s[2:3], s[38:39]
	s_cbranch_execz .LBB61_122
; %bb.121:                              ;   in Loop: Header=BB61_110 Depth=2
	global_load_ushort v6, v[0:1], off offset:640
.LBB61_122:                             ;   in Loop: Header=BB61_110 Depth=2
	s_or_b64 exec, exec, s[2:3]
	v_mov_b32_e32 v8, 0
	v_mov_b32_e32 v9, 0
	s_and_saveexec_b64 s[2:3], s[40:41]
	s_cbranch_execz .LBB61_124
; %bb.123:                              ;   in Loop: Header=BB61_110 Depth=2
	global_load_ushort v9, v[0:1], off offset:768
.LBB61_124:                             ;   in Loop: Header=BB61_110 Depth=2
	s_or_b64 exec, exec, s[2:3]
	s_and_saveexec_b64 s[2:3], s[42:43]
	s_cbranch_execz .LBB61_126
; %bb.125:                              ;   in Loop: Header=BB61_110 Depth=2
	global_load_ushort v8, v[0:1], off offset:896
.LBB61_126:                             ;   in Loop: Header=BB61_110 Depth=2
	s_or_b64 exec, exec, s[2:3]
	v_mov_b32_e32 v10, 0
	v_mov_b32_e32 v11, 0
	s_and_saveexec_b64 s[2:3], s[44:45]
	s_cbranch_execz .LBB61_128
; %bb.127:                              ;   in Loop: Header=BB61_110 Depth=2
	global_load_ushort v11, v[0:1], off offset:1024
.LBB61_128:                             ;   in Loop: Header=BB61_110 Depth=2
	s_or_b64 exec, exec, s[2:3]
	s_and_saveexec_b64 s[2:3], s[46:47]
	s_cbranch_execz .LBB61_130
; %bb.129:                              ;   in Loop: Header=BB61_110 Depth=2
	global_load_ushort v10, v[0:1], off offset:1152
.LBB61_130:                             ;   in Loop: Header=BB61_110 Depth=2
	s_or_b64 exec, exec, s[2:3]
	v_mov_b32_e32 v12, 0
	v_mov_b32_e32 v13, 0
	s_and_saveexec_b64 s[2:3], s[48:49]
	s_cbranch_execz .LBB61_132
; %bb.131:                              ;   in Loop: Header=BB61_110 Depth=2
	global_load_ushort v13, v[0:1], off offset:1280
.LBB61_132:                             ;   in Loop: Header=BB61_110 Depth=2
	s_or_b64 exec, exec, s[2:3]
	s_and_saveexec_b64 s[2:3], s[50:51]
	s_cbranch_execz .LBB61_134
; %bb.133:                              ;   in Loop: Header=BB61_110 Depth=2
	global_load_ushort v12, v[0:1], off offset:1408
.LBB61_134:                             ;   in Loop: Header=BB61_110 Depth=2
	s_or_b64 exec, exec, s[2:3]
	v_mov_b32_e32 v14, 0
	v_mov_b32_e32 v15, 0
	s_and_saveexec_b64 s[2:3], s[52:53]
	s_cbranch_execz .LBB61_136
; %bb.135:                              ;   in Loop: Header=BB61_110 Depth=2
	global_load_ushort v15, v[0:1], off offset:1536
.LBB61_136:                             ;   in Loop: Header=BB61_110 Depth=2
	s_or_b64 exec, exec, s[2:3]
	s_and_saveexec_b64 s[2:3], s[54:55]
	s_cbranch_execz .LBB61_138
; %bb.137:                              ;   in Loop: Header=BB61_110 Depth=2
	global_load_ushort v14, v[0:1], off offset:1664
.LBB61_138:                             ;   in Loop: Header=BB61_110 Depth=2
	s_or_b64 exec, exec, s[2:3]
	v_mov_b32_e32 v52, 0
	v_mov_b32_e32 v53, 0
	s_and_saveexec_b64 s[2:3], s[56:57]
	s_cbranch_execz .LBB61_140
; %bb.139:                              ;   in Loop: Header=BB61_110 Depth=2
	global_load_ushort v53, v[0:1], off offset:1792
.LBB61_140:                             ;   in Loop: Header=BB61_110 Depth=2
	s_or_b64 exec, exec, s[2:3]
	s_and_saveexec_b64 s[2:3], s[58:59]
	s_cbranch_execz .LBB61_142
; %bb.141:                              ;   in Loop: Header=BB61_110 Depth=2
	global_load_ushort v52, v[0:1], off offset:1920
.LBB61_142:                             ;   in Loop: Header=BB61_110 Depth=2
	s_or_b64 exec, exec, s[2:3]
	s_waitcnt vmcnt(0)
	ds_write_b16 v88, v3
	ds_write_b16 v89, v2 offset:128
	ds_write_b16 v90, v5 offset:256
	;; [unrolled: 1-line block ×15, first 2 shown]
	; wave barrier
	ds_read_b128 v[12:15], v119
	ds_read_b128 v[8:11], v119 offset:16
	s_mov_b32 s99, s7
	v_lshl_add_u64 v[0:1], s[98:99], 1, v[50:51]
	v_mov_b32_e32 v2, 0
	v_mov_b32_e32 v3, 0
	s_and_saveexec_b64 s[2:3], s[26:27]
	s_cbranch_execz .LBB61_144
; %bb.143:                              ;   in Loop: Header=BB61_110 Depth=2
	global_load_ushort v3, v[0:1], off
.LBB61_144:                             ;   in Loop: Header=BB61_110 Depth=2
	s_or_b64 exec, exec, s[2:3]
	s_and_saveexec_b64 s[2:3], s[28:29]
	s_cbranch_execz .LBB61_146
; %bb.145:                              ;   in Loop: Header=BB61_110 Depth=2
	global_load_ushort v2, v[0:1], off offset:128
.LBB61_146:                             ;   in Loop: Header=BB61_110 Depth=2
	s_or_b64 exec, exec, s[2:3]
	v_mov_b32_e32 v4, 0
	v_mov_b32_e32 v5, 0
	s_and_saveexec_b64 s[2:3], s[30:31]
	s_cbranch_execz .LBB61_148
; %bb.147:                              ;   in Loop: Header=BB61_110 Depth=2
	global_load_ushort v5, v[0:1], off offset:256
.LBB61_148:                             ;   in Loop: Header=BB61_110 Depth=2
	s_or_b64 exec, exec, s[2:3]
	s_and_saveexec_b64 s[2:3], s[34:35]
	s_cbranch_execz .LBB61_150
; %bb.149:                              ;   in Loop: Header=BB61_110 Depth=2
	global_load_ushort v4, v[0:1], off offset:384
.LBB61_150:                             ;   in Loop: Header=BB61_110 Depth=2
	s_or_b64 exec, exec, s[2:3]
	v_mov_b32_e32 v6, 0
	v_mov_b32_e32 v7, 0
	s_and_saveexec_b64 s[2:3], s[36:37]
	s_cbranch_execz .LBB61_152
; %bb.151:                              ;   in Loop: Header=BB61_110 Depth=2
	global_load_ushort v7, v[0:1], off offset:512
.LBB61_152:                             ;   in Loop: Header=BB61_110 Depth=2
	;; [unrolled: 14-line block ×7, first 2 shown]
	s_or_b64 exec, exec, s[2:3]
	s_and_saveexec_b64 s[2:3], s[58:59]
	s_cbranch_execz .LBB61_174
; %bb.173:                              ;   in Loop: Header=BB61_110 Depth=2
	global_load_ushort v61, v[0:1], off offset:1920
.LBB61_174:                             ;   in Loop: Header=BB61_110 Depth=2
	s_or_b64 exec, exec, s[2:3]
	s_waitcnt vmcnt(0)
	ds_write_b16 v88, v3 offset:4224
	ds_write_b16 v101, v2 offset:128
	;; [unrolled: 1-line block ×16, first 2 shown]
	; wave barrier
	ds_read_b128 v[4:7], v119 offset:4224
	ds_read_b128 v[0:3], v120 offset:16
	s_andn2_b64 vcc, exec, s[94:95]
	s_cbranch_vccnz .LBB61_176
; %bb.175:                              ;   in Loop: Header=BB61_110 Depth=2
	v_mov_b32_e32 v52, s9
	ds_read_b64 v[52:53], v52
	s_cbranch_execz .LBB61_177
	s_branch .LBB61_180
.LBB61_176:                             ;   in Loop: Header=BB61_110 Depth=2
                                        ; implicit-def: $vgpr53
.LBB61_177:                             ;   in Loop: Header=BB61_110 Depth=2
	v_readlane_b32 s2, v166, 0
	v_readlane_b32 s3, v166, 1
	s_andn2_b64 vcc, exec, s[2:3]
	s_waitcnt lgkmcnt(0)
	v_mov_b32_e32 v53, 0
	s_cbranch_vccnz .LBB61_179
; %bb.178:                              ;   in Loop: Header=BB61_110 Depth=2
	s_mov_b32 s5, s7
	s_lshl_b64 s[2:3], s[4:5], 2
	v_readlane_b32 s5, v166, 21
	s_add_u32 s2, s5, s2
	v_readlane_b32 s5, v166, 22
	s_addc_u32 s3, s5, s3
	global_load_dword v53, v17, s[2:3]
.LBB61_179:                             ;   in Loop: Header=BB61_110 Depth=2
	v_mov_b32_e32 v52, 1.0
.LBB61_180:                             ;   in Loop: Header=BB61_110 Depth=2
	s_waitcnt lgkmcnt(14)
	v_lshlrev_b32_e32 v59, 16, v8
	v_and_b32_e32 v60, 0xffff0000, v8
	v_mul_f32_e32 v8, 0x3fb8aa3b, v54
	v_lshlrev_b32_e32 v61, 16, v9
	v_and_b32_e32 v63, 0xffff0000, v9
	v_mul_f32_e32 v9, v8, v144
	v_cmp_gt_f32_e32 vcc, s33, v9
	v_lshlrev_b32_e32 v64, 16, v10
	v_and_b32_e32 v65, 0xffff0000, v10
	v_cndmask_b32_e32 v9, 0, v141, vcc
	v_fmac_f32_e32 v9, v8, v144
	v_exp_f32_e32 v9, v9
	v_cndmask_b32_e32 v10, 1.0, v142, vcc
	v_lshlrev_b32_e32 v55, 16, v12
	v_lshlrev_b32_e32 v68, 16, v11
	v_mul_f32_e32 v9, v9, v10
	v_cndmask_b32_e64 v130, 1.0, v9, s[60:61]
	v_mul_f32_e32 v9, v8, v145
	v_cmp_gt_f32_e32 vcc, s33, v9
	v_mul_f32_e32 v10, v128, v55
	v_cndmask_b32_e64 v129, 0, v10, s[60:61]
	v_cndmask_b32_e32 v9, 0, v141, vcc
	v_fmac_f32_e32 v9, v8, v145
	v_exp_f32_e32 v9, v9
	v_cndmask_b32_e32 v10, 1.0, v142, vcc
	v_and_b32_e32 v62, 0xffff0000, v11
	v_and_b32_e32 v12, 0xffff0000, v12
	v_mul_f32_e32 v10, v9, v10
	v_cndmask_b32_e64 v131, 1.0, v10, s[62:63]
	v_mul_f32_e32 v10, v8, v146
	v_cmp_gt_f32_e32 vcc, s33, v10
	v_mul_f32_e32 v9, v127, v12
	v_lshlrev_b32_e32 v56, 16, v13
	v_cndmask_b32_e32 v10, 0, v141, vcc
	v_fmac_f32_e32 v10, v8, v146
	v_exp_f32_e32 v10, v10
	v_cndmask_b32_e32 v11, 1.0, v142, vcc
	v_and_b32_e32 v13, 0xffff0000, v13
	v_lshlrev_b32_e32 v57, 16, v14
	v_mul_f32_e32 v11, v10, v11
	v_cndmask_b32_e64 v132, 1.0, v11, s[64:65]
	v_mul_f32_e32 v11, v8, v147
	v_cmp_gt_f32_e32 vcc, s33, v11
	v_and_b32_e32 v14, 0xffff0000, v14
	v_mul_f32_e32 v10, v126, v56
	v_cndmask_b32_e32 v11, 0, v141, vcc
	v_fmac_f32_e32 v11, v8, v147
	v_exp_f32_e32 v11, v11
	v_cndmask_b32_e32 v12, 1.0, v142, vcc
	v_lshlrev_b32_e32 v58, 16, v15
	v_cndmask_b32_e64 v9, 0, v9, s[62:63]
	v_mul_f32_e32 v12, v11, v12
	v_cndmask_b32_e64 v133, 1.0, v12, s[66:67]
	v_mul_f32_e32 v12, v8, v148
	v_cmp_gt_f32_e32 vcc, s33, v12
	v_mul_f32_e32 v11, v125, v13
	v_pk_mul_f32 v[66:67], v[8:9], v[46:47] op_sel_hi:[0,1]
	v_cndmask_b32_e32 v12, 0, v141, vcc
	v_fmac_f32_e32 v12, v8, v148
	v_exp_f32_e32 v12, v12
	v_cndmask_b32_e32 v13, 1.0, v142, vcc
	v_mul_f32_e32 v62, v29, v62
	v_cndmask_b32_e64 v10, 0, v10, s[64:65]
	v_mul_f32_e32 v13, v12, v13
	v_cndmask_b32_e64 v134, 1.0, v13, s[68:69]
	v_mul_f32_e32 v13, v8, v149
	v_cmp_gt_f32_e32 vcc, s33, v13
	v_mul_f32_e32 v12, v124, v57
	v_cndmask_b32_e64 v11, 0, v11, s[66:67]
	v_cndmask_b32_e32 v13, 0, v141, vcc
	v_fmac_f32_e32 v13, v8, v149
	v_exp_f32_e32 v13, v13
	v_cndmask_b32_e32 v54, 1.0, v142, vcc
	v_cndmask_b32_e64 v12, 0, v12, s[68:69]
	v_and_b32_e32 v15, 0xffff0000, v15
	v_mul_f32_e32 v54, v13, v54
	v_mul_f32_e32 v13, v165, v14
	;; [unrolled: 1-line block ×3, first 2 shown]
	v_cmp_gt_f32_e32 vcc, s33, v14
	v_cndmask_b32_e64 v135, 1.0, v54, s[70:71]
	v_cndmask_b32_e64 v13, 0, v13, s[70:71]
	v_cndmask_b32_e32 v14, 0, v141, vcc
	v_fmac_f32_e32 v14, v8, v150
	v_exp_f32_e32 v14, v14
	v_cndmask_b32_e32 v54, 1.0, v142, vcc
	v_mul_f32_e32 v15, v163, v15
	v_cndmask_b32_e64 v15, 0, v15, s[74:75]
	v_mul_f32_e32 v54, v14, v54
	v_cndmask_b32_e64 v136, 1.0, v54, s[72:73]
	v_mul_f32_e32 v54, v8, v151
	v_cmp_gt_f32_e32 vcc, s33, v54
	v_mul_f32_e32 v14, v164, v58
	v_cndmask_b32_e64 v14, 0, v14, s[72:73]
	v_cndmask_b32_e32 v54, 0, v141, vcc
	v_fmac_f32_e32 v54, v8, v151
	v_exp_f32_e32 v54, v54
	v_cndmask_b32_e32 v55, 1.0, v142, vcc
	v_readlane_b32 s10, v166, 39
	v_readlane_b32 s11, v166, 40
	v_mul_f32_e32 v54, v54, v55
	v_cndmask_b32_e64 v137, 1.0, v54, s[74:75]
	v_mul_f32_e32 v54, v8, v152
	v_cmp_gt_f32_e32 vcc, s33, v54
	s_nop 1
	v_cndmask_b32_e32 v54, 0, v141, vcc
	v_fmac_f32_e32 v54, v8, v152
	v_exp_f32_e32 v54, v54
	v_cndmask_b32_e32 v55, 1.0, v142, vcc
	v_mul_f32_e32 v55, v54, v55
	v_cndmask_b32_e64 v138, 1.0, v55, s[76:77]
	v_mul_f32_e32 v55, v8, v153
	v_cmp_gt_f32_e32 vcc, s33, v55
	v_mul_f32_e32 v54, v162, v59
	v_cndmask_b32_e64 v54, 0, v54, s[76:77]
	v_cndmask_b32_e32 v55, 0, v141, vcc
	v_fmac_f32_e32 v55, v8, v153
	v_exp_f32_e32 v55, v55
	v_cndmask_b32_e32 v56, 1.0, v142, vcc
	v_mul_f32_e32 v56, v55, v56
	v_cndmask_b32_e64 v73, 1.0, v56, s[78:79]
	v_mul_f32_e32 v56, v8, v154
	v_cmp_gt_f32_e32 vcc, s33, v56
	v_mul_f32_e32 v55, v161, v60
	v_cndmask_b32_e64 v55, 0, v55, s[78:79]
	;; [unrolled: 10-line block ×4, first 2 shown]
	v_cndmask_b32_e32 v56, 0, v141, vcc
	v_fmac_f32_e32 v56, v8, v156
	v_exp_f32_e32 v56, v56
	v_cndmask_b32_e32 v57, 1.0, v142, vcc
	v_mul_f32_e32 v57, v56, v57
	v_mul_f32_e32 v56, v158, v64
	v_cndmask_b32_e64 v64, 1.0, v57, s[84:85]
	v_mul_f32_e32 v57, v8, v157
	v_cmp_gt_f32_e32 vcc, s33, v57
	v_cndmask_b32_e64 v56, 0, v56, s[84:85]
	s_nop 0
	v_cndmask_b32_e32 v57, 0, v141, vcc
	v_fmac_f32_e32 v57, v8, v157
	v_cndmask_b32_e32 v60, 1.0, v142, vcc
	v_mul_f32_e32 v8, v16, v68
	v_cmp_gt_f32_e32 vcc, s33, v66
	v_cndmask_b32_e64 v61, 0, v8, s[90:91]
	v_exp_f32_e32 v57, v57
	v_cndmask_b32_e32 v8, 0, v141, vcc
	v_add_f32_e32 v8, v66, v8
	v_exp_f32_e32 v8, v8
	v_cndmask_b32_e32 v63, 1.0, v142, vcc
	v_cmp_gt_f32_e32 vcc, s33, v67
	v_mul_f32_e32 v60, v57, v60
	v_mul_f32_e32 v8, v8, v63
	v_cndmask_b32_e32 v63, 0, v141, vcc
	v_add_f32_e32 v63, v67, v63
	v_exp_f32_e32 v63, v63
	v_mul_f32_e32 v57, v27, v65
	v_cndmask_b32_e32 v65, 1.0, v142, vcc
	v_cndmask_b32_e64 v66, 1.0, v8, s[90:91]
	v_mul_f32_e32 v65, v63, v65
	v_cndmask_b32_e64 v63, 0, v62, s[88:89]
	v_mul_f32_e32 v8, v131, v130
	v_fma_f32 v62, v131, v129, v9
	v_mul_f32_e32 v8, v8, v132
	v_fma_f32 v62, v62, v132, v10
	;; [unrolled: 2-line block ×11, first 2 shown]
	v_cndmask_b32_e64 v57, 0, v57, s[86:87]
	v_cndmask_b32_e64 v60, 1.0, v60, s[86:87]
	v_fma_f32 v8, v8, v64, v56
	v_cndmask_b32_e64 v67, 1.0, v65, s[88:89]
	v_fma_f32 v69, v8, v60, v57
	v_mov_b32_e32 v65, v66
	v_pk_mul_f32 v[76:77], v[68:69], v[64:65]
	v_pk_fma_f32 v[68:69], v[68:69], v[64:65], v[60:61]
	v_pk_mul_f32 v[76:77], v[76:77], v[60:61]
	v_mov_b32_e32 v70, v67
	v_mov_b32_e32 v77, v69
	;; [unrolled: 1-line block ×3, first 2 shown]
	v_pk_mul_f32 v[68:69], v[76:77], v[66:67]
	v_mov_b32_e32 v62, v67
	v_pk_mul_f32 v[70:71], v[68:69], v[70:71]
	v_pk_fma_f32 v[68:69], v[76:77], v[66:67], v[62:63]
	s_nop 0
	v_mov_b32_dpp v8, v70 row_shr:1 row_mask:0xf bank_mask:0xf
	v_mov_b32_dpp v62, v69 row_shr:1 row_mask:0xf bank_mask:0xf
	v_mul_f32_e32 v65, v70, v8
	v_fma_f32 v62, v70, v62, v69
	v_cndmask_b32_e64 v68, v65, v70, s[0:1]
	v_cndmask_b32_e64 v71, v62, v69, s[0:1]
	;; [unrolled: 1-line block ×4, first 2 shown]
	v_mov_b32_dpp v65, v71 row_shr:2 row_mask:0xf bank_mask:0xf
	v_mov_b32_dpp v62, v70 row_shr:2 row_mask:0xf bank_mask:0xf
	s_and_saveexec_b64 s[2:3], s[10:11]
; %bb.181:                              ;   in Loop: Header=BB61_110 Depth=2
	v_fmac_f32_e32 v71, v70, v65
	v_mul_f32_e32 v70, v70, v62
	v_mov_b32_e32 v68, v70
	v_mov_b32_e32 v8, v71
; %bb.182:                              ;   in Loop: Header=BB61_110 Depth=2
	s_or_b64 exec, exec, s[2:3]
	v_readlane_b32 s10, v166, 41
	v_mov_b32_dpp v62, v70 row_shr:4 row_mask:0xf bank_mask:0xf
	v_mov_b32_dpp v65, v71 row_shr:4 row_mask:0xf bank_mask:0xf
	v_readlane_b32 s11, v166, 42
	s_and_saveexec_b64 s[2:3], s[10:11]
; %bb.183:                              ;   in Loop: Header=BB61_110 Depth=2
	v_fmac_f32_e32 v71, v70, v65
	v_mul_f32_e32 v70, v70, v62
	v_mov_b32_e32 v68, v70
	v_mov_b32_e32 v8, v71
; %bb.184:                              ;   in Loop: Header=BB61_110 Depth=2
	s_or_b64 exec, exec, s[2:3]
	v_readlane_b32 s10, v166, 43
	v_mov_b32_dpp v62, v70 row_shr:8 row_mask:0xf bank_mask:0xf
	v_mov_b32_dpp v65, v71 row_shr:8 row_mask:0xf bank_mask:0xf
	v_readlane_b32 s11, v166, 44
	s_and_saveexec_b64 s[2:3], s[10:11]
; %bb.185:                              ;   in Loop: Header=BB61_110 Depth=2
	v_fmac_f32_e32 v71, v70, v65
	v_mul_f32_e32 v70, v70, v62
	v_mov_b32_e32 v68, v70
	v_mov_b32_e32 v8, v71
; %bb.186:                              ;   in Loop: Header=BB61_110 Depth=2
	s_or_b64 exec, exec, s[2:3]
	v_readlane_b32 s10, v166, 45
	v_mov_b32_dpp v62, v70 row_bcast:15 row_mask:0xf bank_mask:0xf
	v_mov_b32_dpp v65, v71 row_bcast:15 row_mask:0xf bank_mask:0xf
	v_readlane_b32 s11, v166, 46
	s_and_saveexec_b64 s[2:3], s[10:11]
; %bb.187:                              ;   in Loop: Header=BB61_110 Depth=2
	v_fmac_f32_e32 v71, v70, v65
	v_mul_f32_e32 v70, v70, v62
	v_mov_b32_e32 v68, v70
	v_mov_b32_e32 v8, v71
; %bb.188:                              ;   in Loop: Header=BB61_110 Depth=2
	s_or_b64 exec, exec, s[2:3]
	v_readlane_b32 s10, v166, 53
	v_mov_b32_dpp v65, v70 row_bcast:31 row_mask:0xf bank_mask:0xf
	v_mov_b32_dpp v62, v71 row_bcast:31 row_mask:0xf bank_mask:0xf
	v_readlane_b32 s11, v166, 54
	s_and_saveexec_b64 s[2:3], s[10:11]
; %bb.189:                              ;   in Loop: Header=BB61_110 Depth=2
	v_fmac_f32_e32 v71, v70, v62
	v_mul_f32_e32 v68, v70, v65
	v_mov_b32_e32 v69, v71
	v_mov_b32_e32 v8, v71
	v_mov_b64_e32 v[70:71], v[68:69]
; %bb.190:                              ;   in Loop: Header=BB61_110 Depth=2
	s_or_b64 exec, exec, s[2:3]
	v_readlane_b32 s10, v166, 47
	v_readlane_b32 s11, v166, 48
	s_and_saveexec_b64 s[2:3], s[10:11]
	s_cbranch_execz .LBB61_192
; %bb.191:                              ;   in Loop: Header=BB61_110 Depth=2
	ds_write_b64 v121, v[70:71] offset:8448
.LBB61_192:                             ;   in Loop: Header=BB61_110 Depth=2
	s_or_b64 exec, exec, s[2:3]
	v_readlane_b32 s10, v166, 55
	v_readlane_b32 s11, v166, 56
	s_waitcnt lgkmcnt(0)
	s_barrier
	s_and_saveexec_b64 s[2:3], s[10:11]
	s_cbranch_execz .LBB61_194
; %bb.193:                              ;   in Loop: Header=BB61_110 Depth=2
	ds_read_b64 v[70:71], v122 offset:8448
	v_readlane_b32 s10, v166, 49
	v_readlane_b32 s11, v166, 50
	s_waitcnt lgkmcnt(0)
	v_mov_b32_dpp v62, v70 row_shr:1 row_mask:0xf bank_mask:0xf
	v_mov_b32_dpp v65, v71 row_shr:1 row_mask:0xf bank_mask:0xf
	v_fma_f32 v65, v70, v65, v71
	v_mul_f32_e32 v62, v70, v62
	v_cndmask_b32_e64 v70, v62, v70, s[10:11]
	v_cndmask_b32_e64 v71, v65, v71, s[10:11]
	ds_write_b64 v122, v[70:71] offset:8448
.LBB61_194:                             ;   in Loop: Header=BB61_110 Depth=2
	s_or_b64 exec, exec, s[2:3]
	s_waitcnt lgkmcnt(0)
	s_barrier
	s_waitcnt lgkmcnt(0)
                                        ; implicit-def: $vgpr70
	s_and_saveexec_b64 s[2:3], s[20:21]
	s_cbranch_execz .LBB61_196
; %bb.195:                              ;   in Loop: Header=BB61_110 Depth=2
	ds_read_b64 v[70:71], v121 offset:8440
	s_waitcnt lgkmcnt(0)
	v_mul_f32_e32 v62, v68, v70
	v_fmac_f32_e32 v8, v68, v71
	v_mov_b32_e32 v68, v62
.LBB61_196:                             ;   in Loop: Header=BB61_110 Depth=2
	s_or_b64 exec, exec, s[2:3]
	ds_bpermute_b32 v62, v123, v68
	ds_bpermute_b32 v8, v123, v8
	v_readlane_b32 s10, v166, 57
	s_waitcnt vmcnt(0)
	v_mov_b32_e32 v69, v53
	v_readlane_b32 s11, v166, 58
	s_and_saveexec_b64 s[2:3], s[10:11]
	s_cbranch_execz .LBB61_200
; %bb.197:                              ;   in Loop: Header=BB61_110 Depth=2
	ds_read_b64 v[68:69], v17 offset:8456
	s_and_saveexec_b64 vcc, s[22:23]
	s_cbranch_execz .LBB61_199
; %bb.198:                              ;   in Loop: Header=BB61_110 Depth=2
	ds_write_b64 v17, v[52:53] offset:8456
.LBB61_199:                             ;   in Loop: Header=BB61_110 Depth=2
	s_or_b64 exec, exec, vcc
	s_waitcnt lgkmcnt(0)
	v_fmac_f32_e32 v69, v53, v68
	v_mul_f32_e32 v52, v52, v68
	v_mov_b32_e32 v53, v69
.LBB61_200:                             ;   in Loop: Header=BB61_110 Depth=2
	s_or_b64 exec, exec, s[2:3]
	s_waitcnt lgkmcnt(0)
	s_barrier
	ds_read_b32 v65, v17 offset:8460
	s_and_saveexec_b64 s[2:3], s[22:23]
	s_cbranch_execz .LBB61_109
; %bb.201:                              ;   in Loop: Header=BB61_110 Depth=2
	v_mov_b32_e32 v68, s9
	s_andn2_b64 vcc, exec, s[96:97]
	ds_write_b64 v68, v[52:53]
	s_cbranch_vccnz .LBB61_109
; %bb.202:                              ;   in Loop: Header=BB61_110 Depth=2
	s_mov_b32 s5, s7
	s_lshl_b64 s[10:11], s[4:5], 2
	v_readlane_b32 s5, v166, 21
	s_add_u32 s10, s5, s10
	v_readlane_b32 s5, v166, 22
	s_addc_u32 s11, s5, s11
	global_store_dword v17, v69, s[10:11]
	s_branch .LBB61_109
.LBB61_203:                             ;   in Loop: Header=BB61_13 Depth=1
	s_mov_b32 s6, 0x41a00000
	s_mov_b32 s8, 0x3fb8aa3b
	;; [unrolled: 1-line block ×8, first 2 shown]
.LBB61_204:                             ;   in Loop: Header=BB61_13 Depth=1
	v_bfe_u32 v0, v44, 16, 1
	s_movk_i32 s2, 0x7fff
	v_bfe_u32 v1, v45, 16, 1
	v_add3_u32 v0, v44, v0, s2
	v_bfe_u32 v2, v42, 16, 1
	v_add3_u32 v1, v45, v1, s2
	v_lshrrev_b32_e32 v0, 16, v0
	v_cmp_o_f32_e32 vcc, v44, v44
	v_bfe_u32 v3, v43, 16, 1
	v_add3_u32 v2, v42, v2, s2
	v_lshrrev_b32_e32 v1, 16, v1
	v_cndmask_b32_e32 v0, v143, v0, vcc
	v_cmp_o_f32_e32 vcc, v45, v45
	v_add3_u32 v3, v43, v3, s2
	v_lshrrev_b32_e32 v2, 16, v2
	v_cndmask_b32_e32 v4, v143, v1, vcc
	v_cmp_o_f32_e32 vcc, v42, v42
	v_lshrrev_b32_e32 v3, 16, v3
	v_bfe_u32 v6, v38, 16, 1
	v_cndmask_b32_e32 v1, v143, v2, vcc
	v_cmp_o_f32_e32 vcc, v43, v43
	v_bfe_u32 v2, v40, 16, 1
	v_add3_u32 v2, v40, v2, s2
	v_cndmask_b32_e32 v5, v143, v3, vcc
	v_bfe_u32 v3, v41, 16, 1
	v_add3_u32 v3, v41, v3, s2
	v_lshrrev_b32_e32 v2, 16, v2
	v_cmp_o_f32_e32 vcc, v40, v40
	v_bfe_u32 v7, v39, 16, 1
	v_add3_u32 v6, v38, v6, s2
	v_lshrrev_b32_e32 v3, 16, v3
	v_cndmask_b32_e32 v2, v143, v2, vcc
	v_cmp_o_f32_e32 vcc, v41, v41
	v_add3_u32 v7, v39, v7, s2
	v_lshrrev_b32_e32 v6, 16, v6
	v_cndmask_b32_e32 v8, v143, v3, vcc
	v_cmp_o_f32_e32 vcc, v38, v38
	v_lshrrev_b32_e32 v7, 16, v7
	s_mov_b32 s3, 0x5040100
	v_cndmask_b32_e32 v3, v143, v6, vcc
	v_cmp_o_f32_e32 vcc, v39, v39
	v_perm_b32 v2, v8, v2, s3
	v_perm_b32 v1, v5, v1, s3
	v_cndmask_b32_e32 v6, v143, v7, vcc
	v_perm_b32 v3, v6, v3, s3
	v_perm_b32 v0, v4, v0, s3
	s_barrier
	ds_write_b128 v119, v[0:3]
	v_bfe_u32 v0, v36, 16, 1
	v_bfe_u32 v1, v37, 16, 1
	v_add3_u32 v0, v36, v0, s2
	v_bfe_u32 v2, v34, 16, 1
	v_add3_u32 v1, v37, v1, s2
	v_lshrrev_b32_e32 v0, 16, v0
	v_cmp_o_f32_e32 vcc, v36, v36
	v_bfe_u32 v3, v35, 16, 1
	v_add3_u32 v2, v34, v2, s2
	v_lshrrev_b32_e32 v1, 16, v1
	v_cndmask_b32_e32 v0, v143, v0, vcc
	v_cmp_o_f32_e32 vcc, v37, v37
	v_add3_u32 v3, v35, v3, s2
	v_lshrrev_b32_e32 v2, 16, v2
	v_cndmask_b32_e32 v4, v143, v1, vcc
	v_cmp_o_f32_e32 vcc, v34, v34
	v_lshrrev_b32_e32 v3, 16, v3
	v_bfe_u32 v6, v30, 16, 1
	v_cndmask_b32_e32 v1, v143, v2, vcc
	v_cmp_o_f32_e32 vcc, v35, v35
	v_bfe_u32 v2, v32, 16, 1
	v_add3_u32 v2, v32, v2, s2
	v_cndmask_b32_e32 v5, v143, v3, vcc
	v_bfe_u32 v3, v33, 16, 1
	v_add3_u32 v3, v33, v3, s2
	v_lshrrev_b32_e32 v2, 16, v2
	v_cmp_o_f32_e32 vcc, v32, v32
	v_bfe_u32 v7, v31, 16, 1
	v_add3_u32 v6, v30, v6, s2
	v_lshrrev_b32_e32 v3, 16, v3
	v_cndmask_b32_e32 v2, v143, v2, vcc
	v_cmp_o_f32_e32 vcc, v33, v33
	v_add3_u32 v7, v31, v7, s2
	v_lshrrev_b32_e32 v6, 16, v6
	v_cndmask_b32_e32 v8, v143, v3, vcc
	v_cmp_o_f32_e32 vcc, v30, v30
	v_lshrrev_b32_e32 v7, 16, v7
	v_perm_b32 v2, v8, v2, s3
	v_cndmask_b32_e32 v3, v143, v6, vcc
	v_cmp_o_f32_e32 vcc, v31, v31
	v_perm_b32 v1, v5, v1, s3
	v_perm_b32 v0, v4, v0, s3
	v_cndmask_b32_e32 v6, v143, v7, vcc
	v_perm_b32 v3, v6, v3, s3
	ds_write_b128 v119, v[0:3] offset:16
	; wave barrier
	ds_read_u16 v16, v89 offset:128
	ds_read_u16 v15, v90 offset:256
	;; [unrolled: 1-line block ×15, first 2 shown]
	v_readlane_b32 s2, v166, 61
	v_readlane_b32 s3, v166, 62
	s_mov_b32 s3, s7
	s_mov_b64 s[18:19], s[2:3]
	v_lshl_add_u64 v[0:1], s[2:3], 1, v[20:21]
	s_and_saveexec_b64 s[2:3], s[26:27]
	s_cbranch_execnz .LBB61_271
; %bb.205:                              ;   in Loop: Header=BB61_13 Depth=1
	s_or_b64 exec, exec, s[2:3]
	s_and_saveexec_b64 s[2:3], s[28:29]
	s_cbranch_execnz .LBB61_272
.LBB61_206:                             ;   in Loop: Header=BB61_13 Depth=1
	s_or_b64 exec, exec, s[2:3]
	s_and_saveexec_b64 s[2:3], s[30:31]
	s_cbranch_execnz .LBB61_273
.LBB61_207:                             ;   in Loop: Header=BB61_13 Depth=1
	s_or_b64 exec, exec, s[2:3]
	s_and_saveexec_b64 s[2:3], s[34:35]
	s_cbranch_execnz .LBB61_274
.LBB61_208:                             ;   in Loop: Header=BB61_13 Depth=1
	s_or_b64 exec, exec, s[2:3]
	s_and_saveexec_b64 s[2:3], s[36:37]
	s_cbranch_execnz .LBB61_275
.LBB61_209:                             ;   in Loop: Header=BB61_13 Depth=1
	s_or_b64 exec, exec, s[2:3]
	s_and_saveexec_b64 s[2:3], s[38:39]
	s_cbranch_execnz .LBB61_276
.LBB61_210:                             ;   in Loop: Header=BB61_13 Depth=1
	s_or_b64 exec, exec, s[2:3]
	s_and_saveexec_b64 s[2:3], s[40:41]
	s_cbranch_execnz .LBB61_277
.LBB61_211:                             ;   in Loop: Header=BB61_13 Depth=1
	s_or_b64 exec, exec, s[2:3]
	s_and_saveexec_b64 s[2:3], s[42:43]
	s_cbranch_execnz .LBB61_278
.LBB61_212:                             ;   in Loop: Header=BB61_13 Depth=1
	s_or_b64 exec, exec, s[2:3]
	s_and_saveexec_b64 s[2:3], s[44:45]
	s_cbranch_execnz .LBB61_279
.LBB61_213:                             ;   in Loop: Header=BB61_13 Depth=1
	s_or_b64 exec, exec, s[2:3]
	s_and_saveexec_b64 s[2:3], s[46:47]
	s_cbranch_execnz .LBB61_280
.LBB61_214:                             ;   in Loop: Header=BB61_13 Depth=1
	s_or_b64 exec, exec, s[2:3]
	s_and_saveexec_b64 s[2:3], s[48:49]
	s_cbranch_execnz .LBB61_281
.LBB61_215:                             ;   in Loop: Header=BB61_13 Depth=1
	s_or_b64 exec, exec, s[2:3]
	s_and_saveexec_b64 s[2:3], s[50:51]
	s_cbranch_execnz .LBB61_282
.LBB61_216:                             ;   in Loop: Header=BB61_13 Depth=1
	s_or_b64 exec, exec, s[2:3]
	s_and_saveexec_b64 s[2:3], s[52:53]
	s_cbranch_execnz .LBB61_283
.LBB61_217:                             ;   in Loop: Header=BB61_13 Depth=1
	s_or_b64 exec, exec, s[2:3]
	s_and_saveexec_b64 s[2:3], s[54:55]
	s_cbranch_execnz .LBB61_284
.LBB61_218:                             ;   in Loop: Header=BB61_13 Depth=1
	s_or_b64 exec, exec, s[2:3]
	s_and_saveexec_b64 s[2:3], s[56:57]
	s_cbranch_execnz .LBB61_285
.LBB61_219:                             ;   in Loop: Header=BB61_13 Depth=1
	s_or_b64 exec, exec, s[2:3]
	s_and_saveexec_b64 s[2:3], s[58:59]
	s_cbranch_execz .LBB61_221
.LBB61_220:                             ;   in Loop: Header=BB61_13 Depth=1
	s_waitcnt lgkmcnt(0)
	global_store_short v[0:1], v2, off offset:1920
.LBB61_221:                             ;   in Loop: Header=BB61_13 Depth=1
	s_or_b64 exec, exec, s[2:3]
	v_lshl_add_u64 v[0:1], s[18:19], 1, v[22:23]
	s_waitcnt lgkmcnt(0)
	v_mov_b32_e32 v2, 0
	v_mov_b32_e32 v3, 0
	s_barrier
	s_and_saveexec_b64 s[2:3], s[26:27]
	s_cbranch_execz .LBB61_223
; %bb.222:                              ;   in Loop: Header=BB61_13 Depth=1
	global_load_ushort v3, v[0:1], off
.LBB61_223:                             ;   in Loop: Header=BB61_13 Depth=1
	s_or_b64 exec, exec, s[2:3]
	s_and_saveexec_b64 s[2:3], s[28:29]
	s_cbranch_execz .LBB61_225
; %bb.224:                              ;   in Loop: Header=BB61_13 Depth=1
	global_load_ushort v2, v[0:1], off offset:128
.LBB61_225:                             ;   in Loop: Header=BB61_13 Depth=1
	s_or_b64 exec, exec, s[2:3]
	v_mov_b32_e32 v4, 0
	v_mov_b32_e32 v5, 0
	s_and_saveexec_b64 s[2:3], s[30:31]
	s_cbranch_execz .LBB61_227
; %bb.226:                              ;   in Loop: Header=BB61_13 Depth=1
	global_load_ushort v5, v[0:1], off offset:256
.LBB61_227:                             ;   in Loop: Header=BB61_13 Depth=1
	s_or_b64 exec, exec, s[2:3]
	s_and_saveexec_b64 s[2:3], s[34:35]
	s_cbranch_execz .LBB61_229
; %bb.228:                              ;   in Loop: Header=BB61_13 Depth=1
	global_load_ushort v4, v[0:1], off offset:384
.LBB61_229:                             ;   in Loop: Header=BB61_13 Depth=1
	s_or_b64 exec, exec, s[2:3]
	v_mov_b32_e32 v6, 0
	v_mov_b32_e32 v7, 0
	s_and_saveexec_b64 s[2:3], s[36:37]
	s_cbranch_execz .LBB61_231
; %bb.230:                              ;   in Loop: Header=BB61_13 Depth=1
	global_load_ushort v7, v[0:1], off offset:512
.LBB61_231:                             ;   in Loop: Header=BB61_13 Depth=1
	;; [unrolled: 14-line block ×7, first 2 shown]
	s_or_b64 exec, exec, s[2:3]
	s_and_saveexec_b64 s[2:3], s[58:59]
	s_cbranch_execz .LBB61_253
; %bb.252:                              ;   in Loop: Header=BB61_13 Depth=1
	global_load_ushort v16, v[0:1], off offset:1920
.LBB61_253:                             ;   in Loop: Header=BB61_13 Depth=1
	s_or_b64 exec, exec, s[2:3]
	s_waitcnt vmcnt(0)
	ds_write_b16 v88, v3
	ds_write_b16 v89, v2 offset:128
	ds_write_b16 v90, v5 offset:256
	;; [unrolled: 1-line block ×15, first 2 shown]
	; wave barrier
	ds_read_b128 v[4:7], v119
	ds_read_b128 v[0:3], v119 offset:16
	s_mov_b32 s5, 0xbfb8aa3b
	s_mov_b32 s15, 0x42ce8ed0
	;; [unrolled: 1-line block ×3, first 2 shown]
	s_waitcnt lgkmcnt(1)
	v_and_b32_e32 v11, 0xffff0000, v5
	v_and_b32_e32 v10, 0xffff0000, v4
	v_lshlrev_b32_e32 v12, 16, v4
	v_mul_f32_e32 v4, 0xbfb8aa3b, v11
	v_lshlrev_b32_e32 v13, 16, v5
	v_fma_f32 v5, v11, s5, -v4
	v_rndne_f32_e32 v8, v4
	v_fmac_f32_e32 v5, 0xb2a5705f, v11
	v_sub_f32_e32 v4, v4, v8
	v_add_f32_e32 v4, v4, v5
	v_exp_f32_e32 v4, v4
	v_cvt_i32_f32_e32 v5, v8
	v_cmp_nlt_f32_e32 vcc, s15, v11
	s_movk_i32 s4, 0x7fff
	s_waitcnt lgkmcnt(0)
	v_ldexp_f32 v4, v4, v5
	v_cndmask_b32_e32 v4, 0, v4, vcc
	v_cmp_ngt_f32_e32 vcc, s16, v11
	s_barrier
	s_nop 0
	v_cndmask_b32_e32 v5, v140, v4, vcc
	v_mul_f32_e32 v4, 0xbfb8aa3b, v10
	v_fma_f32 v8, v10, s5, -v4
	v_rndne_f32_e32 v9, v4
	v_fmac_f32_e32 v8, 0xb2a5705f, v10
	v_sub_f32_e32 v4, v4, v9
	v_add_f32_e32 v4, v4, v8
	v_exp_f32_e32 v4, v4
	v_cvt_i32_f32_e32 v8, v9
	v_cmp_nlt_f32_e32 vcc, s15, v10
	v_ldexp_f32 v4, v4, v8
	s_nop 0
	v_cndmask_b32_e32 v4, 0, v4, vcc
	v_cmp_ngt_f32_e32 vcc, s16, v10
	s_nop 1
	v_cndmask_b32_e32 v9, v140, v4, vcc
	v_mul_f32_e32 v4, 0xbfb8aa3b, v13
	v_rndne_f32_e32 v8, v4
	v_sub_f32_e32 v14, v4, v8
	v_fma_f32 v4, v13, s5, -v4
	v_fmac_f32_e32 v4, 0xb2a5705f, v13
	v_add_f32_e32 v4, v14, v4
	v_exp_f32_e32 v4, v4
	v_cvt_i32_f32_e32 v8, v8
	v_cmp_nlt_f32_e32 vcc, s15, v13
	v_ldexp_f32 v4, v4, v8
	v_mul_f32_e32 v8, 0xbfb8aa3b, v12
	v_rndne_f32_e32 v14, v8
	v_sub_f32_e32 v15, v8, v14
	v_fma_f32 v8, v12, s5, -v8
	v_fmac_f32_e32 v8, 0xb2a5705f, v12
	v_add_f32_e32 v8, v15, v8
	v_exp_f32_e32 v8, v8
	v_cvt_i32_f32_e32 v14, v14
	v_cndmask_b32_e32 v4, 0, v4, vcc
	v_cmp_ngt_f32_e32 vcc, s16, v13
	v_ldexp_f32 v8, v8, v14
	s_nop 0
	v_cndmask_b32_e32 v4, v140, v4, vcc
	v_pk_add_f32 v[4:5], v[4:5], 1.0 op_sel_hi:[1,0]
	v_cmp_nlt_f32_e32 vcc, s15, v12
	v_div_scale_f32 v14, s[2:3], v5, v5, v11
	v_rcp_f32_e32 v15, v14
	v_cndmask_b32_e32 v8, 0, v8, vcc
	v_cmp_ngt_f32_e32 vcc, s16, v12
	v_fma_f32 v16, -v14, v15, 1.0
	s_nop 0
	v_cndmask_b32_e32 v8, v140, v8, vcc
	v_fmac_f32_e32 v15, v16, v15
	v_div_scale_f32 v16, vcc, v11, v5, v11
	v_mul_f32_e32 v27, v16, v15
	v_fma_f32 v29, -v14, v27, v16
	v_fmac_f32_e32 v27, v29, v15
	v_fma_f32 v14, -v14, v27, v16
	v_div_fmas_f32 v14, v14, v15, v27
	v_div_fixup_f32 v5, v14, v5, v11
	v_div_scale_f32 v11, s[2:3], v4, v4, v13
	v_rcp_f32_e32 v14, v11
	v_pk_add_f32 v[8:9], v[8:9], 1.0 op_sel_hi:[1,0]
	v_fma_f32 v15, -v11, v14, 1.0
	v_fmac_f32_e32 v14, v15, v14
	v_div_scale_f32 v15, vcc, v13, v4, v13
	v_mul_f32_e32 v16, v15, v14
	v_fma_f32 v27, -v11, v16, v15
	v_fmac_f32_e32 v16, v27, v14
	v_fma_f32 v11, -v11, v16, v15
	v_div_fmas_f32 v11, v11, v14, v16
	v_div_fixup_f32 v4, v11, v4, v13
	v_div_scale_f32 v11, s[2:3], v9, v9, v10
	v_rcp_f32_e32 v13, v11
	s_nop 0
	v_fma_f32 v14, -v11, v13, 1.0
	v_fmac_f32_e32 v13, v14, v13
	v_div_scale_f32 v14, vcc, v10, v9, v10
	v_mul_f32_e32 v15, v14, v13
	v_fma_f32 v16, -v11, v15, v14
	v_fmac_f32_e32 v15, v16, v13
	v_fma_f32 v11, -v11, v15, v14
	v_div_fmas_f32 v11, v11, v13, v15
	v_div_fixup_f32 v9, v11, v9, v10
	v_div_scale_f32 v10, s[2:3], v8, v8, v12
	v_rcp_f32_e32 v11, v10
	s_nop 0
	v_fma_f32 v13, -v10, v11, 1.0
	v_fmac_f32_e32 v11, v13, v11
	v_div_scale_f32 v13, vcc, v12, v8, v12
	v_mul_f32_e32 v14, v13, v11
	v_fma_f32 v15, -v10, v14, v13
	v_fmac_f32_e32 v14, v15, v11
	v_fma_f32 v10, -v10, v14, v13
	v_div_fmas_f32 v10, v10, v11, v14
	v_div_fixup_f32 v8, v10, v8, v12
	v_pk_mul_f32 v[8:9], v[44:45], v[8:9]
	v_pk_mul_f32 v[10:11], v[42:43], v[4:5]
	v_bfe_u32 v4, v8, 16, 1
	v_bfe_u32 v5, v9, 16, 1
	v_add3_u32 v4, v8, v4, s4
	v_bfe_u32 v12, v10, 16, 1
	v_add3_u32 v5, v9, v5, s4
	v_lshrrev_b32_e32 v4, 16, v4
	v_cmp_o_f32_e32 vcc, v8, v8
	v_bfe_u32 v13, v11, 16, 1
	v_add3_u32 v12, v10, v12, s4
	v_lshrrev_b32_e32 v5, 16, v5
	v_cndmask_b32_e32 v4, v143, v4, vcc
	v_cmp_o_f32_e32 vcc, v9, v9
	v_add3_u32 v13, v11, v13, s4
	v_lshrrev_b32_e32 v12, 16, v12
	v_cndmask_b32_e32 v5, v143, v5, vcc
	v_cmp_o_f32_e32 vcc, v10, v10
	v_lshrrev_b32_e32 v13, 16, v13
	v_lshlrev_b32_e32 v14, 16, v6
	v_cndmask_b32_e32 v8, v143, v12, vcc
	v_cmp_o_f32_e32 vcc, v11, v11
	v_and_b32_e32 v12, 0xffff0000, v6
	v_lshlrev_b32_e32 v15, 16, v7
	v_cndmask_b32_e32 v9, v143, v13, vcc
	v_and_b32_e32 v13, 0xffff0000, v7
	v_mul_f32_e32 v6, 0xbfb8aa3b, v13
	v_fma_f32 v7, v13, s5, -v6
	v_rndne_f32_e32 v10, v6
	v_fmac_f32_e32 v7, 0xb2a5705f, v13
	v_sub_f32_e32 v6, v6, v10
	v_add_f32_e32 v6, v6, v7
	v_exp_f32_e32 v6, v6
	v_cvt_i32_f32_e32 v7, v10
	v_cmp_nlt_f32_e32 vcc, s15, v13
	v_ldexp_f32 v6, v6, v7
	s_nop 0
	v_cndmask_b32_e32 v6, 0, v6, vcc
	v_cmp_ngt_f32_e32 vcc, s16, v13
	s_nop 1
	v_cndmask_b32_e32 v7, v140, v6, vcc
	v_mul_f32_e32 v6, 0xbfb8aa3b, v12
	v_fma_f32 v10, v12, s5, -v6
	v_rndne_f32_e32 v11, v6
	v_fmac_f32_e32 v10, 0xb2a5705f, v12
	v_sub_f32_e32 v6, v6, v11
	v_add_f32_e32 v6, v6, v10
	v_exp_f32_e32 v6, v6
	v_cvt_i32_f32_e32 v10, v11
	v_cmp_nlt_f32_e32 vcc, s15, v12
	v_ldexp_f32 v6, v6, v10
	s_nop 0
	v_cndmask_b32_e32 v6, 0, v6, vcc
	v_cmp_ngt_f32_e32 vcc, s16, v12
	s_nop 1
	v_cndmask_b32_e32 v11, v140, v6, vcc
	v_mul_f32_e32 v6, 0xbfb8aa3b, v15
	v_rndne_f32_e32 v10, v6
	v_sub_f32_e32 v16, v6, v10
	v_fma_f32 v6, v15, s5, -v6
	v_fmac_f32_e32 v6, 0xb2a5705f, v15
	v_add_f32_e32 v6, v16, v6
	v_exp_f32_e32 v6, v6
	v_cvt_i32_f32_e32 v10, v10
	v_cmp_nlt_f32_e32 vcc, s15, v15
	v_ldexp_f32 v6, v6, v10
	v_mul_f32_e32 v10, 0xbfb8aa3b, v14
	v_rndne_f32_e32 v16, v10
	v_sub_f32_e32 v27, v10, v16
	v_fma_f32 v10, v14, s5, -v10
	v_fmac_f32_e32 v10, 0xb2a5705f, v14
	v_add_f32_e32 v10, v27, v10
	v_exp_f32_e32 v10, v10
	v_cvt_i32_f32_e32 v16, v16
	v_cndmask_b32_e32 v6, 0, v6, vcc
	v_cmp_ngt_f32_e32 vcc, s16, v15
	v_ldexp_f32 v10, v10, v16
	s_nop 0
	v_cndmask_b32_e32 v6, v140, v6, vcc
	v_pk_add_f32 v[6:7], v[6:7], 1.0 op_sel_hi:[1,0]
	v_cmp_nlt_f32_e32 vcc, s15, v14
	v_div_scale_f32 v16, s[2:3], v7, v7, v13
	v_rcp_f32_e32 v27, v16
	v_cndmask_b32_e32 v10, 0, v10, vcc
	v_cmp_ngt_f32_e32 vcc, s16, v14
	v_fma_f32 v29, -v16, v27, 1.0
	s_nop 0
	v_cndmask_b32_e32 v10, v140, v10, vcc
	v_fmac_f32_e32 v27, v29, v27
	v_div_scale_f32 v29, vcc, v13, v7, v13
	v_mul_f32_e32 v42, v29, v27
	v_fma_f32 v43, -v16, v42, v29
	v_fmac_f32_e32 v42, v43, v27
	v_fma_f32 v16, -v16, v42, v29
	v_div_fmas_f32 v16, v16, v27, v42
	v_div_fixup_f32 v7, v16, v7, v13
	v_div_scale_f32 v13, s[2:3], v6, v6, v15
	v_rcp_f32_e32 v16, v13
	v_pk_add_f32 v[10:11], v[10:11], 1.0 op_sel_hi:[1,0]
	v_fma_f32 v27, -v13, v16, 1.0
	v_fmac_f32_e32 v16, v27, v16
	v_div_scale_f32 v27, vcc, v15, v6, v15
	v_mul_f32_e32 v29, v27, v16
	v_fma_f32 v42, -v13, v29, v27
	v_fmac_f32_e32 v29, v42, v16
	v_fma_f32 v13, -v13, v29, v27
	v_div_fmas_f32 v13, v13, v16, v29
	v_div_fixup_f32 v6, v13, v6, v15
	v_div_scale_f32 v13, s[2:3], v11, v11, v12
	v_rcp_f32_e32 v15, v13
	s_nop 0
	v_fma_f32 v16, -v13, v15, 1.0
	v_fmac_f32_e32 v15, v16, v15
	v_div_scale_f32 v16, vcc, v12, v11, v12
	v_mul_f32_e32 v27, v16, v15
	v_fma_f32 v29, -v13, v27, v16
	v_fmac_f32_e32 v27, v29, v15
	v_fma_f32 v13, -v13, v27, v16
	v_div_fmas_f32 v13, v13, v15, v27
	v_div_fixup_f32 v11, v13, v11, v12
	v_div_scale_f32 v12, s[2:3], v10, v10, v14
	v_rcp_f32_e32 v13, v12
	s_nop 0
	v_fma_f32 v15, -v12, v13, 1.0
	v_fmac_f32_e32 v13, v15, v13
	v_div_scale_f32 v15, vcc, v14, v10, v14
	v_mul_f32_e32 v16, v15, v13
	v_fma_f32 v27, -v12, v16, v15
	v_fmac_f32_e32 v16, v27, v13
	v_fma_f32 v12, -v12, v16, v15
	v_div_fmas_f32 v12, v12, v13, v16
	v_div_fixup_f32 v10, v12, v10, v14
	v_pk_mul_f32 v[10:11], v[40:41], v[10:11]
	v_pk_mul_f32 v[12:13], v[38:39], v[6:7]
	v_bfe_u32 v6, v10, 16, 1
	v_bfe_u32 v7, v11, 16, 1
	v_add3_u32 v6, v10, v6, s4
	v_bfe_u32 v14, v12, 16, 1
	v_add3_u32 v7, v11, v7, s4
	v_lshrrev_b32_e32 v6, 16, v6
	v_cmp_o_f32_e32 vcc, v10, v10
	v_bfe_u32 v15, v13, 16, 1
	v_add3_u32 v14, v12, v14, s4
	v_lshrrev_b32_e32 v7, 16, v7
	v_cndmask_b32_e32 v6, v143, v6, vcc
	v_cmp_o_f32_e32 vcc, v11, v11
	v_add3_u32 v15, v13, v15, s4
	v_lshrrev_b32_e32 v14, 16, v14
	v_cndmask_b32_e32 v7, v143, v7, vcc
	v_cmp_o_f32_e32 vcc, v12, v12
	v_lshrrev_b32_e32 v15, 16, v15
	v_lshlrev_b32_e32 v16, 16, v0
	v_cndmask_b32_e32 v10, v143, v14, vcc
	v_cmp_o_f32_e32 vcc, v13, v13
	v_and_b32_e32 v14, 0xffff0000, v0
	v_lshlrev_b32_e32 v27, 16, v1
	v_cndmask_b32_e32 v11, v143, v15, vcc
	v_and_b32_e32 v15, 0xffff0000, v1
	v_mul_f32_e32 v0, 0xbfb8aa3b, v15
	v_fma_f32 v1, v15, s5, -v0
	v_rndne_f32_e32 v12, v0
	v_fmac_f32_e32 v1, 0xb2a5705f, v15
	v_sub_f32_e32 v0, v0, v12
	v_add_f32_e32 v0, v0, v1
	v_exp_f32_e32 v0, v0
	v_cvt_i32_f32_e32 v1, v12
	v_cmp_nlt_f32_e32 vcc, s15, v15
	v_ldexp_f32 v0, v0, v1
	s_nop 0
	v_cndmask_b32_e32 v0, 0, v0, vcc
	v_cmp_ngt_f32_e32 vcc, s16, v15
	s_nop 1
	v_cndmask_b32_e32 v1, v140, v0, vcc
	v_mul_f32_e32 v0, 0xbfb8aa3b, v14
	v_fma_f32 v12, v14, s5, -v0
	v_rndne_f32_e32 v13, v0
	v_fmac_f32_e32 v12, 0xb2a5705f, v14
	v_sub_f32_e32 v0, v0, v13
	v_add_f32_e32 v0, v0, v12
	v_exp_f32_e32 v0, v0
	v_cvt_i32_f32_e32 v12, v13
	v_cmp_nlt_f32_e32 vcc, s15, v14
	v_ldexp_f32 v0, v0, v12
	s_nop 0
	v_cndmask_b32_e32 v0, 0, v0, vcc
	v_cmp_ngt_f32_e32 vcc, s16, v14
	s_nop 1
	v_cndmask_b32_e32 v13, v140, v0, vcc
	v_mul_f32_e32 v0, 0xbfb8aa3b, v27
	v_rndne_f32_e32 v12, v0
	v_sub_f32_e32 v29, v0, v12
	v_fma_f32 v0, v27, s5, -v0
	v_fmac_f32_e32 v0, 0xb2a5705f, v27
	v_add_f32_e32 v0, v29, v0
	v_exp_f32_e32 v0, v0
	v_cvt_i32_f32_e32 v12, v12
	v_cmp_nlt_f32_e32 vcc, s15, v27
	v_ldexp_f32 v0, v0, v12
	v_mul_f32_e32 v12, 0xbfb8aa3b, v16
	v_rndne_f32_e32 v29, v12
	v_sub_f32_e32 v38, v12, v29
	v_fma_f32 v12, v16, s5, -v12
	v_fmac_f32_e32 v12, 0xb2a5705f, v16
	v_add_f32_e32 v12, v38, v12
	v_exp_f32_e32 v12, v12
	v_cvt_i32_f32_e32 v29, v29
	v_cndmask_b32_e32 v0, 0, v0, vcc
	v_cmp_ngt_f32_e32 vcc, s16, v27
	v_ldexp_f32 v12, v12, v29
	s_nop 0
	v_cndmask_b32_e32 v0, v140, v0, vcc
	v_pk_add_f32 v[0:1], v[0:1], 1.0 op_sel_hi:[1,0]
	v_cmp_nlt_f32_e32 vcc, s15, v16
	v_div_scale_f32 v29, s[2:3], v1, v1, v15
	v_rcp_f32_e32 v38, v29
	v_cndmask_b32_e32 v12, 0, v12, vcc
	v_cmp_ngt_f32_e32 vcc, s16, v16
	v_fma_f32 v39, -v29, v38, 1.0
	s_nop 0
	v_cndmask_b32_e32 v12, v140, v12, vcc
	v_fmac_f32_e32 v38, v39, v38
	v_div_scale_f32 v39, vcc, v15, v1, v15
	v_mul_f32_e32 v40, v39, v38
	v_fma_f32 v41, -v29, v40, v39
	v_fmac_f32_e32 v40, v41, v38
	v_fma_f32 v29, -v29, v40, v39
	v_div_fmas_f32 v29, v29, v38, v40
	v_div_fixup_f32 v1, v29, v1, v15
	v_div_scale_f32 v15, s[2:3], v0, v0, v27
	v_rcp_f32_e32 v29, v15
	v_pk_add_f32 v[12:13], v[12:13], 1.0 op_sel_hi:[1,0]
	v_fma_f32 v38, -v15, v29, 1.0
	v_fmac_f32_e32 v29, v38, v29
	v_div_scale_f32 v38, vcc, v27, v0, v27
	v_mul_f32_e32 v39, v38, v29
	v_fma_f32 v40, -v15, v39, v38
	v_fmac_f32_e32 v39, v40, v29
	v_fma_f32 v15, -v15, v39, v38
	v_div_fmas_f32 v15, v15, v29, v39
	v_div_fixup_f32 v0, v15, v0, v27
	v_div_scale_f32 v15, s[2:3], v13, v13, v14
	v_rcp_f32_e32 v27, v15
	s_nop 0
	v_fma_f32 v29, -v15, v27, 1.0
	v_fmac_f32_e32 v27, v29, v27
	v_div_scale_f32 v29, vcc, v14, v13, v14
	v_mul_f32_e32 v38, v29, v27
	v_fma_f32 v39, -v15, v38, v29
	v_fmac_f32_e32 v38, v39, v27
	v_fma_f32 v15, -v15, v38, v29
	v_div_fmas_f32 v15, v15, v27, v38
	v_div_fixup_f32 v13, v15, v13, v14
	v_div_scale_f32 v14, s[2:3], v12, v12, v16
	v_rcp_f32_e32 v15, v14
	s_nop 0
	v_fma_f32 v27, -v14, v15, 1.0
	v_fmac_f32_e32 v15, v27, v15
	v_div_scale_f32 v27, vcc, v16, v12, v16
	v_mul_f32_e32 v29, v27, v15
	v_fma_f32 v38, -v14, v29, v27
	v_fmac_f32_e32 v29, v38, v15
	v_fma_f32 v14, -v14, v29, v27
	v_div_fmas_f32 v14, v14, v15, v29
	v_div_fixup_f32 v12, v14, v12, v16
	v_pk_mul_f32 v[12:13], v[36:37], v[12:13]
	v_pk_mul_f32 v[14:15], v[34:35], v[0:1]
	v_bfe_u32 v0, v12, 16, 1
	v_bfe_u32 v1, v13, 16, 1
	v_add3_u32 v0, v12, v0, s4
	v_bfe_u32 v16, v14, 16, 1
	v_add3_u32 v1, v13, v1, s4
	v_lshrrev_b32_e32 v0, 16, v0
	v_cmp_o_f32_e32 vcc, v12, v12
	v_bfe_u32 v27, v15, 16, 1
	v_add3_u32 v16, v14, v16, s4
	v_lshrrev_b32_e32 v1, 16, v1
	v_cndmask_b32_e32 v0, v143, v0, vcc
	v_cmp_o_f32_e32 vcc, v13, v13
	v_add3_u32 v27, v15, v27, s4
	v_lshrrev_b32_e32 v16, 16, v16
	v_cndmask_b32_e32 v1, v143, v1, vcc
	v_cmp_o_f32_e32 vcc, v14, v14
	v_lshrrev_b32_e32 v27, 16, v27
	v_lshlrev_b32_e32 v29, 16, v2
	v_cndmask_b32_e32 v14, v143, v16, vcc
	v_cmp_o_f32_e32 vcc, v15, v15
	v_and_b32_e32 v16, 0xffff0000, v2
	v_lshlrev_b32_e32 v34, 16, v3
	v_cndmask_b32_e32 v15, v143, v27, vcc
	v_and_b32_e32 v27, 0xffff0000, v3
	v_mul_f32_e32 v2, 0xbfb8aa3b, v27
	v_fma_f32 v3, v27, s5, -v2
	v_rndne_f32_e32 v12, v2
	v_fmac_f32_e32 v3, 0xb2a5705f, v27
	v_sub_f32_e32 v2, v2, v12
	v_add_f32_e32 v2, v2, v3
	v_exp_f32_e32 v2, v2
	v_cvt_i32_f32_e32 v3, v12
	v_cmp_nlt_f32_e32 vcc, s15, v27
	v_ldexp_f32 v2, v2, v3
	s_nop 0
	v_cndmask_b32_e32 v2, 0, v2, vcc
	v_cmp_ngt_f32_e32 vcc, s16, v27
	s_nop 1
	v_cndmask_b32_e32 v3, v140, v2, vcc
	v_mul_f32_e32 v2, 0xbfb8aa3b, v16
	v_fma_f32 v12, v16, s5, -v2
	v_rndne_f32_e32 v13, v2
	v_fmac_f32_e32 v12, 0xb2a5705f, v16
	v_sub_f32_e32 v2, v2, v13
	v_add_f32_e32 v2, v2, v12
	v_exp_f32_e32 v2, v2
	v_cvt_i32_f32_e32 v12, v13
	v_cmp_nlt_f32_e32 vcc, s15, v16
	v_ldexp_f32 v2, v2, v12
	s_nop 0
	v_cndmask_b32_e32 v2, 0, v2, vcc
	v_cmp_ngt_f32_e32 vcc, s16, v16
	s_nop 1
	v_cndmask_b32_e32 v13, v140, v2, vcc
	v_mul_f32_e32 v2, 0xbfb8aa3b, v34
	v_rndne_f32_e32 v12, v2
	v_sub_f32_e32 v35, v2, v12
	v_fma_f32 v2, v34, s5, -v2
	v_fmac_f32_e32 v2, 0xb2a5705f, v34
	v_add_f32_e32 v2, v35, v2
	v_exp_f32_e32 v2, v2
	v_cvt_i32_f32_e32 v12, v12
	v_cmp_nlt_f32_e32 vcc, s15, v34
	v_ldexp_f32 v2, v2, v12
	v_mul_f32_e32 v12, 0xbfb8aa3b, v29
	v_rndne_f32_e32 v35, v12
	v_sub_f32_e32 v36, v12, v35
	v_fma_f32 v12, v29, s5, -v12
	v_fmac_f32_e32 v12, 0xb2a5705f, v29
	v_add_f32_e32 v12, v36, v12
	v_exp_f32_e32 v12, v12
	v_cvt_i32_f32_e32 v35, v35
	v_cndmask_b32_e32 v2, 0, v2, vcc
	v_cmp_ngt_f32_e32 vcc, s16, v34
	v_ldexp_f32 v12, v12, v35
	s_nop 0
	v_cndmask_b32_e32 v2, v140, v2, vcc
	v_pk_add_f32 v[2:3], v[2:3], 1.0 op_sel_hi:[1,0]
	v_cmp_nlt_f32_e32 vcc, s15, v29
	v_div_scale_f32 v35, s[2:3], v3, v3, v27
	v_rcp_f32_e32 v36, v35
	v_cndmask_b32_e32 v12, 0, v12, vcc
	v_cmp_ngt_f32_e32 vcc, s16, v29
	v_fma_f32 v37, -v35, v36, 1.0
	s_nop 0
	v_cndmask_b32_e32 v12, v140, v12, vcc
	v_fmac_f32_e32 v36, v37, v36
	v_div_scale_f32 v37, vcc, v27, v3, v27
	v_mul_f32_e32 v38, v37, v36
	v_fma_f32 v39, -v35, v38, v37
	v_fmac_f32_e32 v38, v39, v36
	v_fma_f32 v35, -v35, v38, v37
	v_div_fmas_f32 v35, v35, v36, v38
	v_div_fixup_f32 v3, v35, v3, v27
	v_div_scale_f32 v27, s[2:3], v2, v2, v34
	v_rcp_f32_e32 v35, v27
	v_pk_add_f32 v[12:13], v[12:13], 1.0 op_sel_hi:[1,0]
	v_fma_f32 v36, -v27, v35, 1.0
	v_fmac_f32_e32 v35, v36, v35
	v_div_scale_f32 v36, vcc, v34, v2, v34
	v_mul_f32_e32 v37, v36, v35
	v_fma_f32 v38, -v27, v37, v36
	v_fmac_f32_e32 v37, v38, v35
	v_fma_f32 v27, -v27, v37, v36
	v_div_fmas_f32 v27, v27, v35, v37
	v_div_fixup_f32 v2, v27, v2, v34
	v_div_scale_f32 v27, s[2:3], v13, v13, v16
	v_rcp_f32_e32 v34, v27
	v_pk_mul_f32 v[2:3], v[30:31], v[2:3]
	v_fma_f32 v35, -v27, v34, 1.0
	v_fmac_f32_e32 v34, v35, v34
	v_div_scale_f32 v35, vcc, v16, v13, v16
	v_mul_f32_e32 v36, v35, v34
	v_fma_f32 v37, -v27, v36, v35
	v_fmac_f32_e32 v36, v37, v34
	v_fma_f32 v27, -v27, v36, v35
	v_div_fmas_f32 v27, v27, v34, v36
	v_div_fixup_f32 v13, v27, v13, v16
	v_div_scale_f32 v16, s[2:3], v12, v12, v29
	v_rcp_f32_e32 v27, v16
	v_bfe_u32 v30, v3, 16, 1
	v_add3_u32 v30, v3, v30, s4
	v_lshrrev_b32_e32 v30, 16, v30
	v_fma_f32 v34, -v16, v27, 1.0
	v_fmac_f32_e32 v27, v34, v27
	v_div_scale_f32 v34, vcc, v29, v12, v29
	v_mul_f32_e32 v35, v34, v27
	v_fma_f32 v36, -v16, v35, v34
	v_fmac_f32_e32 v35, v36, v27
	v_fma_f32 v16, -v16, v35, v34
	v_div_fmas_f32 v16, v16, v27, v35
	v_div_fixup_f32 v12, v16, v12, v29
	v_pk_mul_f32 v[12:13], v[32:33], v[12:13]
	v_bfe_u32 v29, v2, 16, 1
	v_bfe_u32 v16, v12, 16, 1
	;; [unrolled: 1-line block ×3, first 2 shown]
	v_add3_u32 v16, v12, v16, s4
	v_add3_u32 v27, v13, v27, s4
	v_lshrrev_b32_e32 v16, 16, v16
	v_cmp_o_f32_e32 vcc, v12, v12
	v_add3_u32 v29, v2, v29, s4
	v_lshrrev_b32_e32 v27, 16, v27
	v_cndmask_b32_e32 v12, v143, v16, vcc
	v_cmp_o_f32_e32 vcc, v13, v13
	v_lshrrev_b32_e32 v29, 16, v29
	s_mov_b32 s2, 0x5040100
	v_cndmask_b32_e32 v13, v143, v27, vcc
	v_cmp_o_f32_e32 vcc, v2, v2
	v_perm_b32 v11, v11, v10, s2
	v_perm_b32 v10, v7, v6, s2
	v_cndmask_b32_e32 v2, v143, v29, vcc
	v_cmp_o_f32_e32 vcc, v3, v3
	v_perm_b32 v9, v9, v8, s2
	v_perm_b32 v8, v5, v4, s2
	v_cndmask_b32_e32 v3, v143, v30, vcc
	v_perm_b32 v5, v3, v2, s2
	v_perm_b32 v4, v13, v12, s2
	;; [unrolled: 1-line block ×4, first 2 shown]
	ds_write_b128 v119, v[8:11]
	ds_write_b128 v119, v[2:5] offset:16
	; wave barrier
	ds_read_u16 v16, v89 offset:128
	ds_read_u16 v15, v90 offset:256
	;; [unrolled: 1-line block ×15, first 2 shown]
	v_lshl_add_u64 v[0:1], s[18:19], 1, v[24:25]
	s_and_saveexec_b64 s[2:3], s[26:27]
	s_cbranch_execnz .LBB61_286
; %bb.254:                              ;   in Loop: Header=BB61_13 Depth=1
	s_or_b64 exec, exec, s[2:3]
	s_and_saveexec_b64 s[2:3], s[28:29]
	s_cbranch_execnz .LBB61_287
.LBB61_255:                             ;   in Loop: Header=BB61_13 Depth=1
	s_or_b64 exec, exec, s[2:3]
	s_and_saveexec_b64 s[2:3], s[30:31]
	s_cbranch_execnz .LBB61_288
.LBB61_256:                             ;   in Loop: Header=BB61_13 Depth=1
	s_or_b64 exec, exec, s[2:3]
	s_and_saveexec_b64 s[2:3], s[34:35]
	s_cbranch_execnz .LBB61_289
.LBB61_257:                             ;   in Loop: Header=BB61_13 Depth=1
	s_or_b64 exec, exec, s[2:3]
	s_and_saveexec_b64 s[2:3], s[36:37]
	s_cbranch_execnz .LBB61_290
.LBB61_258:                             ;   in Loop: Header=BB61_13 Depth=1
	s_or_b64 exec, exec, s[2:3]
	s_and_saveexec_b64 s[2:3], s[38:39]
	s_cbranch_execnz .LBB61_291
.LBB61_259:                             ;   in Loop: Header=BB61_13 Depth=1
	s_or_b64 exec, exec, s[2:3]
	s_and_saveexec_b64 s[2:3], s[40:41]
	s_cbranch_execnz .LBB61_292
.LBB61_260:                             ;   in Loop: Header=BB61_13 Depth=1
	s_or_b64 exec, exec, s[2:3]
	s_and_saveexec_b64 s[2:3], s[42:43]
	s_cbranch_execnz .LBB61_293
.LBB61_261:                             ;   in Loop: Header=BB61_13 Depth=1
	s_or_b64 exec, exec, s[2:3]
	s_and_saveexec_b64 s[2:3], s[44:45]
	s_cbranch_execnz .LBB61_294
.LBB61_262:                             ;   in Loop: Header=BB61_13 Depth=1
	s_or_b64 exec, exec, s[2:3]
	s_and_saveexec_b64 s[2:3], s[46:47]
	s_cbranch_execnz .LBB61_295
.LBB61_263:                             ;   in Loop: Header=BB61_13 Depth=1
	s_or_b64 exec, exec, s[2:3]
	s_and_saveexec_b64 s[2:3], s[48:49]
	s_cbranch_execnz .LBB61_296
.LBB61_264:                             ;   in Loop: Header=BB61_13 Depth=1
	s_or_b64 exec, exec, s[2:3]
	s_and_saveexec_b64 s[2:3], s[50:51]
	s_cbranch_execnz .LBB61_297
.LBB61_265:                             ;   in Loop: Header=BB61_13 Depth=1
	s_or_b64 exec, exec, s[2:3]
	s_and_saveexec_b64 s[2:3], s[52:53]
	s_cbranch_execnz .LBB61_298
.LBB61_266:                             ;   in Loop: Header=BB61_13 Depth=1
	s_or_b64 exec, exec, s[2:3]
	s_and_saveexec_b64 s[2:3], s[54:55]
	s_cbranch_execnz .LBB61_299
.LBB61_267:                             ;   in Loop: Header=BB61_13 Depth=1
	s_or_b64 exec, exec, s[2:3]
	s_and_saveexec_b64 s[2:3], s[56:57]
	s_cbranch_execnz .LBB61_300
.LBB61_268:                             ;   in Loop: Header=BB61_13 Depth=1
	s_or_b64 exec, exec, s[2:3]
	s_and_saveexec_b64 s[2:3], s[58:59]
	s_cbranch_execz .LBB61_12
	s_branch .LBB61_301
.LBB61_269:                             ;   in Loop: Header=BB61_13 Depth=1
	global_load_ushort v36, v[8:9], off offset:1664
	s_or_b64 exec, exec, s[2:3]
	s_and_saveexec_b64 s[2:3], s[56:57]
	s_cbranch_execz .LBB61_73
.LBB61_270:                             ;   in Loop: Header=BB61_13 Depth=1
	global_load_ushort v35, v[8:9], off offset:1792
	s_or_b64 exec, exec, s[2:3]
	v_mov_b32_e32 v37, 0
	s_and_saveexec_b64 s[2:3], s[58:59]
	s_cbranch_execnz .LBB61_74
	s_branch .LBB61_75
.LBB61_271:                             ;   in Loop: Header=BB61_13 Depth=1
	ds_read_u16 v27, v88
	s_waitcnt lgkmcnt(0)
	global_store_short v[0:1], v27, off
	s_or_b64 exec, exec, s[2:3]
	s_and_saveexec_b64 s[2:3], s[28:29]
	s_cbranch_execz .LBB61_206
.LBB61_272:                             ;   in Loop: Header=BB61_13 Depth=1
	s_waitcnt lgkmcnt(14)
	global_store_short v[0:1], v16, off offset:128
	s_or_b64 exec, exec, s[2:3]
	s_and_saveexec_b64 s[2:3], s[30:31]
	s_cbranch_execz .LBB61_207
.LBB61_273:                             ;   in Loop: Header=BB61_13 Depth=1
	s_waitcnt lgkmcnt(13)
	global_store_short v[0:1], v15, off offset:256
	s_or_b64 exec, exec, s[2:3]
	s_and_saveexec_b64 s[2:3], s[34:35]
	s_cbranch_execz .LBB61_208
.LBB61_274:                             ;   in Loop: Header=BB61_13 Depth=1
	s_waitcnt lgkmcnt(12)
	global_store_short v[0:1], v14, off offset:384
	s_or_b64 exec, exec, s[2:3]
	s_and_saveexec_b64 s[2:3], s[36:37]
	s_cbranch_execz .LBB61_209
.LBB61_275:                             ;   in Loop: Header=BB61_13 Depth=1
	s_waitcnt lgkmcnt(11)
	global_store_short v[0:1], v13, off offset:512
	s_or_b64 exec, exec, s[2:3]
	s_and_saveexec_b64 s[2:3], s[38:39]
	s_cbranch_execz .LBB61_210
.LBB61_276:                             ;   in Loop: Header=BB61_13 Depth=1
	s_waitcnt lgkmcnt(10)
	global_store_short v[0:1], v12, off offset:640
	s_or_b64 exec, exec, s[2:3]
	s_and_saveexec_b64 s[2:3], s[40:41]
	s_cbranch_execz .LBB61_211
.LBB61_277:                             ;   in Loop: Header=BB61_13 Depth=1
	s_waitcnt lgkmcnt(9)
	global_store_short v[0:1], v11, off offset:768
	s_or_b64 exec, exec, s[2:3]
	s_and_saveexec_b64 s[2:3], s[42:43]
	s_cbranch_execz .LBB61_212
.LBB61_278:                             ;   in Loop: Header=BB61_13 Depth=1
	s_waitcnt lgkmcnt(8)
	global_store_short v[0:1], v10, off offset:896
	s_or_b64 exec, exec, s[2:3]
	s_and_saveexec_b64 s[2:3], s[44:45]
	s_cbranch_execz .LBB61_213
.LBB61_279:                             ;   in Loop: Header=BB61_13 Depth=1
	s_waitcnt lgkmcnt(7)
	global_store_short v[0:1], v9, off offset:1024
	s_or_b64 exec, exec, s[2:3]
	s_and_saveexec_b64 s[2:3], s[46:47]
	s_cbranch_execz .LBB61_214
.LBB61_280:                             ;   in Loop: Header=BB61_13 Depth=1
	s_waitcnt lgkmcnt(6)
	global_store_short v[0:1], v8, off offset:1152
	s_or_b64 exec, exec, s[2:3]
	s_and_saveexec_b64 s[2:3], s[48:49]
	s_cbranch_execz .LBB61_215
.LBB61_281:                             ;   in Loop: Header=BB61_13 Depth=1
	s_waitcnt lgkmcnt(5)
	global_store_short v[0:1], v7, off offset:1280
	s_or_b64 exec, exec, s[2:3]
	s_and_saveexec_b64 s[2:3], s[50:51]
	s_cbranch_execz .LBB61_216
.LBB61_282:                             ;   in Loop: Header=BB61_13 Depth=1
	s_waitcnt lgkmcnt(4)
	global_store_short v[0:1], v6, off offset:1408
	s_or_b64 exec, exec, s[2:3]
	s_and_saveexec_b64 s[2:3], s[52:53]
	s_cbranch_execz .LBB61_217
.LBB61_283:                             ;   in Loop: Header=BB61_13 Depth=1
	s_waitcnt lgkmcnt(3)
	global_store_short v[0:1], v5, off offset:1536
	s_or_b64 exec, exec, s[2:3]
	s_and_saveexec_b64 s[2:3], s[54:55]
	s_cbranch_execz .LBB61_218
.LBB61_284:                             ;   in Loop: Header=BB61_13 Depth=1
	s_waitcnt lgkmcnt(2)
	global_store_short v[0:1], v4, off offset:1664
	s_or_b64 exec, exec, s[2:3]
	s_and_saveexec_b64 s[2:3], s[56:57]
	s_cbranch_execz .LBB61_219
.LBB61_285:                             ;   in Loop: Header=BB61_13 Depth=1
	s_waitcnt lgkmcnt(1)
	global_store_short v[0:1], v3, off offset:1792
	s_or_b64 exec, exec, s[2:3]
	s_and_saveexec_b64 s[2:3], s[58:59]
	s_cbranch_execnz .LBB61_220
	s_branch .LBB61_221
.LBB61_286:                             ;   in Loop: Header=BB61_13 Depth=1
	ds_read_u16 v27, v88
	s_waitcnt lgkmcnt(0)
	global_store_short v[0:1], v27, off
	s_or_b64 exec, exec, s[2:3]
	s_and_saveexec_b64 s[2:3], s[28:29]
	s_cbranch_execz .LBB61_255
.LBB61_287:                             ;   in Loop: Header=BB61_13 Depth=1
	s_waitcnt lgkmcnt(14)
	global_store_short v[0:1], v16, off offset:128
	s_or_b64 exec, exec, s[2:3]
	s_and_saveexec_b64 s[2:3], s[30:31]
	s_cbranch_execz .LBB61_256
.LBB61_288:                             ;   in Loop: Header=BB61_13 Depth=1
	s_waitcnt lgkmcnt(13)
	global_store_short v[0:1], v15, off offset:256
	s_or_b64 exec, exec, s[2:3]
	s_and_saveexec_b64 s[2:3], s[34:35]
	s_cbranch_execz .LBB61_257
.LBB61_289:                             ;   in Loop: Header=BB61_13 Depth=1
	s_waitcnt lgkmcnt(12)
	global_store_short v[0:1], v14, off offset:384
	s_or_b64 exec, exec, s[2:3]
	s_and_saveexec_b64 s[2:3], s[36:37]
	s_cbranch_execz .LBB61_258
.LBB61_290:                             ;   in Loop: Header=BB61_13 Depth=1
	s_waitcnt lgkmcnt(11)
	global_store_short v[0:1], v13, off offset:512
	s_or_b64 exec, exec, s[2:3]
	s_and_saveexec_b64 s[2:3], s[38:39]
	s_cbranch_execz .LBB61_259
.LBB61_291:                             ;   in Loop: Header=BB61_13 Depth=1
	s_waitcnt lgkmcnt(10)
	global_store_short v[0:1], v12, off offset:640
	s_or_b64 exec, exec, s[2:3]
	s_and_saveexec_b64 s[2:3], s[40:41]
	s_cbranch_execz .LBB61_260
.LBB61_292:                             ;   in Loop: Header=BB61_13 Depth=1
	s_waitcnt lgkmcnt(9)
	global_store_short v[0:1], v11, off offset:768
	s_or_b64 exec, exec, s[2:3]
	s_and_saveexec_b64 s[2:3], s[42:43]
	s_cbranch_execz .LBB61_261
.LBB61_293:                             ;   in Loop: Header=BB61_13 Depth=1
	s_waitcnt lgkmcnt(8)
	global_store_short v[0:1], v10, off offset:896
	s_or_b64 exec, exec, s[2:3]
	s_and_saveexec_b64 s[2:3], s[44:45]
	s_cbranch_execz .LBB61_262
.LBB61_294:                             ;   in Loop: Header=BB61_13 Depth=1
	s_waitcnt lgkmcnt(7)
	global_store_short v[0:1], v9, off offset:1024
	s_or_b64 exec, exec, s[2:3]
	s_and_saveexec_b64 s[2:3], s[46:47]
	s_cbranch_execz .LBB61_263
.LBB61_295:                             ;   in Loop: Header=BB61_13 Depth=1
	s_waitcnt lgkmcnt(6)
	global_store_short v[0:1], v8, off offset:1152
	s_or_b64 exec, exec, s[2:3]
	s_and_saveexec_b64 s[2:3], s[48:49]
	s_cbranch_execz .LBB61_264
.LBB61_296:                             ;   in Loop: Header=BB61_13 Depth=1
	s_waitcnt lgkmcnt(5)
	global_store_short v[0:1], v7, off offset:1280
	s_or_b64 exec, exec, s[2:3]
	s_and_saveexec_b64 s[2:3], s[50:51]
	s_cbranch_execz .LBB61_265
.LBB61_297:                             ;   in Loop: Header=BB61_13 Depth=1
	s_waitcnt lgkmcnt(4)
	global_store_short v[0:1], v6, off offset:1408
	s_or_b64 exec, exec, s[2:3]
	s_and_saveexec_b64 s[2:3], s[52:53]
	s_cbranch_execz .LBB61_266
.LBB61_298:                             ;   in Loop: Header=BB61_13 Depth=1
	s_waitcnt lgkmcnt(3)
	global_store_short v[0:1], v5, off offset:1536
	s_or_b64 exec, exec, s[2:3]
	s_and_saveexec_b64 s[2:3], s[54:55]
	s_cbranch_execz .LBB61_267
.LBB61_299:                             ;   in Loop: Header=BB61_13 Depth=1
	s_waitcnt lgkmcnt(2)
	global_store_short v[0:1], v4, off offset:1664
	s_or_b64 exec, exec, s[2:3]
	s_and_saveexec_b64 s[2:3], s[56:57]
	s_cbranch_execz .LBB61_268
.LBB61_300:                             ;   in Loop: Header=BB61_13 Depth=1
	s_waitcnt lgkmcnt(1)
	global_store_short v[0:1], v3, off offset:1792
	s_or_b64 exec, exec, s[2:3]
	s_and_saveexec_b64 s[2:3], s[58:59]
	s_cbranch_execz .LBB61_12
.LBB61_301:                             ;   in Loop: Header=BB61_13 Depth=1
	s_waitcnt lgkmcnt(0)
	global_store_short v[0:1], v2, off offset:1920
	s_branch .LBB61_12
.LBB61_302:
	s_endpgm
	.section	.rodata,"a",@progbits
	.p2align	6, 0x0
	.amdhsa_kernel _Z25selective_scan_fwd_kernelI32Selective_Scan_fwd_kernel_traitsILi128ELi16ELi1ELb0ELb1ELb1ELb1ELb0EN3c108BFloat16EffEEv13SSMParamsBase
		.amdhsa_group_segment_fixed_size 0
		.amdhsa_private_segment_fixed_size 0
		.amdhsa_kernarg_size 248
		.amdhsa_user_sgpr_count 2
		.amdhsa_user_sgpr_dispatch_ptr 0
		.amdhsa_user_sgpr_queue_ptr 0
		.amdhsa_user_sgpr_kernarg_segment_ptr 1
		.amdhsa_user_sgpr_dispatch_id 0
		.amdhsa_user_sgpr_kernarg_preload_length 0
		.amdhsa_user_sgpr_kernarg_preload_offset 0
		.amdhsa_user_sgpr_private_segment_size 0
		.amdhsa_uses_dynamic_stack 0
		.amdhsa_enable_private_segment 0
		.amdhsa_system_sgpr_workgroup_id_x 1
		.amdhsa_system_sgpr_workgroup_id_y 1
		.amdhsa_system_sgpr_workgroup_id_z 0
		.amdhsa_system_sgpr_workgroup_info 0
		.amdhsa_system_vgpr_workitem_id 0
		.amdhsa_next_free_vgpr 168
		.amdhsa_next_free_sgpr 100
		.amdhsa_accum_offset 168
		.amdhsa_reserve_vcc 1
		.amdhsa_float_round_mode_32 0
		.amdhsa_float_round_mode_16_64 0
		.amdhsa_float_denorm_mode_32 3
		.amdhsa_float_denorm_mode_16_64 3
		.amdhsa_dx10_clamp 1
		.amdhsa_ieee_mode 1
		.amdhsa_fp16_overflow 0
		.amdhsa_tg_split 0
		.amdhsa_exception_fp_ieee_invalid_op 0
		.amdhsa_exception_fp_denorm_src 0
		.amdhsa_exception_fp_ieee_div_zero 0
		.amdhsa_exception_fp_ieee_overflow 0
		.amdhsa_exception_fp_ieee_underflow 0
		.amdhsa_exception_fp_ieee_inexact 0
		.amdhsa_exception_int_div_zero 0
	.end_amdhsa_kernel
	.section	.text._Z25selective_scan_fwd_kernelI32Selective_Scan_fwd_kernel_traitsILi128ELi16ELi1ELb0ELb1ELb1ELb1ELb0EN3c108BFloat16EffEEv13SSMParamsBase,"axG",@progbits,_Z25selective_scan_fwd_kernelI32Selective_Scan_fwd_kernel_traitsILi128ELi16ELi1ELb0ELb1ELb1ELb1ELb0EN3c108BFloat16EffEEv13SSMParamsBase,comdat
.Lfunc_end61:
	.size	_Z25selective_scan_fwd_kernelI32Selective_Scan_fwd_kernel_traitsILi128ELi16ELi1ELb0ELb1ELb1ELb1ELb0EN3c108BFloat16EffEEv13SSMParamsBase, .Lfunc_end61-_Z25selective_scan_fwd_kernelI32Selective_Scan_fwd_kernel_traitsILi128ELi16ELi1ELb0ELb1ELb1ELb1ELb0EN3c108BFloat16EffEEv13SSMParamsBase
                                        ; -- End function
	.section	.AMDGPU.csdata,"",@progbits
; Kernel info:
; codeLenInByte = 25400
; NumSgprs: 106
; NumVgprs: 168
; NumAgprs: 0
; TotalNumVgprs: 168
; ScratchSize: 0
; MemoryBound: 0
; FloatMode: 240
; IeeeMode: 1
; LDSByteSize: 0 bytes/workgroup (compile time only)
; SGPRBlocks: 13
; VGPRBlocks: 20
; NumSGPRsForWavesPerEU: 106
; NumVGPRsForWavesPerEU: 168
; AccumOffset: 168
; Occupancy: 3
; WaveLimiterHint : 0
; COMPUTE_PGM_RSRC2:SCRATCH_EN: 0
; COMPUTE_PGM_RSRC2:USER_SGPR: 2
; COMPUTE_PGM_RSRC2:TRAP_HANDLER: 0
; COMPUTE_PGM_RSRC2:TGID_X_EN: 1
; COMPUTE_PGM_RSRC2:TGID_Y_EN: 1
; COMPUTE_PGM_RSRC2:TGID_Z_EN: 0
; COMPUTE_PGM_RSRC2:TIDIG_COMP_CNT: 0
; COMPUTE_PGM_RSRC3_GFX90A:ACCUM_OFFSET: 41
; COMPUTE_PGM_RSRC3_GFX90A:TG_SPLIT: 0
	.section	.text._Z25selective_scan_fwd_kernelI32Selective_Scan_fwd_kernel_traitsILi128ELi16ELi1ELb0ELb1ELb1ELb0ELb1EN3c108BFloat16EffEEv13SSMParamsBase,"axG",@progbits,_Z25selective_scan_fwd_kernelI32Selective_Scan_fwd_kernel_traitsILi128ELi16ELi1ELb0ELb1ELb1ELb0ELb1EN3c108BFloat16EffEEv13SSMParamsBase,comdat
	.protected	_Z25selective_scan_fwd_kernelI32Selective_Scan_fwd_kernel_traitsILi128ELi16ELi1ELb0ELb1ELb1ELb0ELb1EN3c108BFloat16EffEEv13SSMParamsBase ; -- Begin function _Z25selective_scan_fwd_kernelI32Selective_Scan_fwd_kernel_traitsILi128ELi16ELi1ELb0ELb1ELb1ELb0ELb1EN3c108BFloat16EffEEv13SSMParamsBase
	.globl	_Z25selective_scan_fwd_kernelI32Selective_Scan_fwd_kernel_traitsILi128ELi16ELi1ELb0ELb1ELb1ELb0ELb1EN3c108BFloat16EffEEv13SSMParamsBase
	.p2align	8
	.type	_Z25selective_scan_fwd_kernelI32Selective_Scan_fwd_kernel_traitsILi128ELi16ELi1ELb0ELb1ELb1ELb0ELb1EN3c108BFloat16EffEEv13SSMParamsBase,@function
_Z25selective_scan_fwd_kernelI32Selective_Scan_fwd_kernel_traitsILi128ELi16ELi1ELb0ELb1ELb1ELb0ELb1EN3c108BFloat16EffEEv13SSMParamsBase: ; @_Z25selective_scan_fwd_kernelI32Selective_Scan_fwd_kernel_traitsILi128ELi16ELi1ELb0ELb1ELb1ELb0ELb1EN3c108BFloat16EffEEv13SSMParamsBase
; %bb.0:
	s_load_dword s29, s[0:1], 0x18
	s_load_dwordx4 s[4:7], s[0:1], 0xe0
	s_load_dwordx2 s[10:11], s[0:1], 0xf0
	s_mov_b32 s24, s3
	s_ashr_i32 s3, s2, 31
	s_waitcnt lgkmcnt(0)
	s_abs_i32 s28, s29
	v_cvt_f32_u32_e32 v1, s28
	s_lshl_b64 s[8:9], s[2:3], 2
	s_add_u32 s26, s4, s8
	s_addc_u32 s27, s5, s9
	v_rcp_iflag_f32_e32 v1, v1
	s_cmp_eq_u64 s[10:11], 0
                                        ; implicit-def: $vgpr167 : SGPR spill to VGPR lane
	v_mul_f32_e32 v1, 0x4f7ffffe, v1
	v_cvt_u32_f32_e32 v1, v1
	s_nop 0
	v_readfirstlane_b32 s30, v1
	s_cbranch_scc1 .LBB62_2
; %bb.1:
	s_add_u32 s4, s10, s2
	s_addc_u32 s5, s11, s3
	v_mov_b32_e32 v1, 0
	global_load_ubyte v1, v1, s[4:5]
	s_waitcnt vmcnt(0)
	v_and_b32_e32 v1, 1, v1
	v_cmp_eq_u32_e64 s[4:5], 1, v1
	s_branch .LBB62_3
.LBB62_2:
	s_mov_b64 s[4:5], 0
.LBB62_3:
	s_nop 0
	v_writelane_b32 v167, s4, 0
	s_cmp_eq_u64 s[6:7], 0
	s_nop 0
	v_writelane_b32 v167, s5, 1
	s_load_dwordx2 s[4:5], s[0:1], 0x20
	s_cbranch_scc1 .LBB62_5
; %bb.4:
	s_add_u32 s2, s6, s8
	s_addc_u32 s3, s7, s9
	s_load_dword s2, s[2:3], 0x0
	s_waitcnt lgkmcnt(0)
	s_ashr_i32 s3, s2, 31
.LBB62_5:
	s_waitcnt lgkmcnt(0)
	s_cmp_eq_u64 s[4:5], s[2:3]
	s_cbranch_scc1 .LBB62_238
; %bb.6:
	s_load_dwordx16 s[36:51], s[0:1], 0x88
	s_load_dwordx2 s[4:5], s[26:27], 0x0
	s_mov_b32 s3, 0
	v_writelane_b32 v167, s3, 2
	v_writelane_b32 v167, s3, 3
	s_waitcnt lgkmcnt(0)
	s_cmp_eq_u64 s[42:43], 0
	s_cbranch_scc1 .LBB62_8
; %bb.7:
	s_ashr_i32 s25, s24, 31
	s_lshl_b64 s[6:7], s[24:25], 2
	s_add_u32 s6, s42, s6
	s_addc_u32 s7, s43, s7
	s_load_dword s3, s[6:7], 0x0
	s_waitcnt lgkmcnt(0)
	v_writelane_b32 v167, s3, 3
.LBB62_8:
	s_cmp_eq_u64 s[48:49], 0
	s_cbranch_scc1 .LBB62_10
; %bb.9:
	s_ashr_i32 s25, s24, 31
	s_lshl_b64 s[6:7], s[24:25], 2
	s_add_u32 s6, s48, s6
	s_addc_u32 s7, s49, s7
	s_load_dword s3, s[6:7], 0x0
	s_waitcnt lgkmcnt(0)
	v_writelane_b32 v167, s3, 2
.LBB62_10:
	s_sub_i32 s31, s5, s4
	s_cmp_lt_i32 s31, 1
	s_cbranch_scc1 .LBB62_238
; %bb.11:
	s_sub_i32 s3, 0, s28
	s_mul_i32 s3, s3, s30
	s_mul_hi_u32 s3, s30, s3
	s_load_dwordx8 s[8:15], s[0:1], 0x2c
	s_load_dwordx2 s[20:21], s[0:1], 0x5c
	s_load_dwordx4 s[52:55], s[0:1], 0x4c
	s_abs_i32 s5, s24
	s_add_i32 s30, s30, s3
	s_load_dwordx4 s[56:59], s[0:1], 0x7c
	s_load_dwordx2 s[18:19], s[0:1], 0x6c
	s_load_dwordx2 s[26:27], s[0:1], 0xc8
	s_mul_hi_u32 s3, s5, s30
	s_waitcnt lgkmcnt(0)
	s_load_dword s11, s[0:1], 0xc
	s_load_dword s25, s[0:1], 0x28
	s_ashr_i32 s0, s24, 31
	s_ashr_i32 s1, s29, 31
	s_xor_b32 s0, s0, s1
	s_mul_i32 s1, s3, s28
	s_sub_i32 s1, s5, s1
	s_add_i32 s5, s3, 1
	s_sub_i32 s6, s1, s28
	s_cmp_ge_u32 s1, s28
	s_cselect_b32 s3, s5, s3
	s_cselect_b32 s1, s6, s1
	s_add_i32 s5, s3, 1
	s_cmp_ge_u32 s1, s28
	s_cselect_b32 s1, s5, s3
	s_xor_b32 s1, s1, s0
	s_mul_i32 s6, s4, s54
	s_mov_b32 s7, 0
	s_sub_i32 s3, s1, s0
	s_lshl_b64 s[0:1], s[6:7], 1
	s_add_u32 s5, s44, s0
	s_mul_i32 s6, s55, s24
	s_addc_u32 s16, s45, s1
	s_lshl_b64 s[0:1], s[6:7], 1
	s_add_u32 s22, s5, s0
	s_mul_i32 s6, s4, s20
	s_addc_u32 s23, s16, s1
	;; [unrolled: 4-line block ×3, first 2 shown]
	s_lshl_b64 s[0:1], s[6:7], 1
	s_add_u32 s0, s5, s0
	s_addc_u32 s1, s16, s1
	v_writelane_b32 v167, s0, 4
	s_mul_i32 s6, s8, s24
	v_mbcnt_lo_u32_b32 v1, -1, 0
	v_writelane_b32 v167, s1, 5
	s_lshl_b64 s[0:1], s[6:7], 2
	s_add_u32 s0, s36, s0
	v_writelane_b32 v167, s0, 6
	s_addc_u32 s0, s37, s1
	s_mul_i32 s6, s4, s10
	v_writelane_b32 v167, s0, 7
	s_lshl_b64 s[0:1], s[6:7], 1
	s_add_u32 s5, s38, s0
	s_mul_i32 s6, s3, s13
	s_addc_u32 s8, s39, s1
	s_lshl_b64 s[0:1], s[6:7], 1
	s_add_u32 s0, s5, s0
	s_addc_u32 s1, s8, s1
	v_writelane_b32 v167, s0, 8
	v_lshlrev_b32_e32 v19, 4, v0
	v_mbcnt_hi_u32_b32 v18, -1, v1
	v_writelane_b32 v167, s1, 9
	s_waitcnt lgkmcnt(0)
	v_writelane_b32 v167, s8, 10
	s_mul_i32 s6, s4, s14
	s_lshl_b64 s[0:1], s[6:7], 1
	v_writelane_b32 v167, s9, 11
	v_writelane_b32 v167, s10, 12
	;; [unrolled: 1-line block ×7, first 2 shown]
	s_add_u32 s5, s40, s0
	v_writelane_b32 v167, s52, 18
	s_mul_i32 s6, s3, s53
	s_addc_u32 s8, s41, s1
	v_writelane_b32 v167, s53, 19
	s_lshl_b64 s[0:1], s[6:7], 1
	v_writelane_b32 v167, s54, 20
	s_add_u32 s0, s5, s0
	v_writelane_b32 v167, s55, 21
	s_addc_u32 s1, s8, s1
	v_writelane_b32 v167, s0, 22
	s_mul_i32 s6, s2, s56
	v_and_b32_e32 v2, 0x400, v19
	v_writelane_b32 v167, s1, 23
	s_lshl_b64 s[0:1], s[6:7], 2
	v_writelane_b32 v167, s56, 24
	s_add_u32 s2, s26, s0
	s_mul_i32 s6, s57, s24
	v_writelane_b32 v167, s57, 25
	s_addc_u32 s3, s27, s1
	v_writelane_b32 v167, s58, 26
	s_lshl_b64 s[0:1], s[6:7], 2
	v_writelane_b32 v167, s59, 27
	s_add_u32 s0, s2, s0
	v_writelane_b32 v167, s0, 28
	s_addc_u32 s0, s3, s1
	v_writelane_b32 v167, s0, 29
	s_add_i32 s0, s31, 0x7ff
	s_lshr_b32 s1, s0, 11
	s_bitcmp1_b32 s25, 0
	v_or_b32_e32 v68, v18, v2
	s_cselect_b64 s[2:3], -1, 0
	v_lshrrev_b32_e32 v1, 5, v68
	v_writelane_b32 v167, s2, 30
	v_and_b32_e32 v1, 34, v1
	v_and_b32_e32 v20, 64, v0
	v_writelane_b32 v167, s3, 31
	s_cmp_gt_i32 s11, 0
	v_add_u32_e32 v69, 64, v68
	v_or_b32_e32 v133, 0x80, v68
	v_add_u32_e32 v134, 0xc0, v68
	v_or_b32_e32 v72, 0x100, v68
	;; [unrolled: 2-line block ×7, first 2 shown]
	v_add_u32_e32 v83, 0x3c0, v68
	v_add_u32_e32 v1, v1, v68
	v_add_u16_e32 v22, v18, v20
	v_writelane_b32 v167, s11, 32
	s_cselect_b64 s[2:3], -1, 0
	v_lshl_add_u32 v84, v1, 1, 0
	v_lshrrev_b32_e32 v1, 5, v69
	v_lshrrev_b32_e32 v3, 5, v133
	;; [unrolled: 1-line block ×15, first 2 shown]
	v_lshrrev_b16_e32 v22, 1, v22
	v_writelane_b32 v167, s2, 33
	v_and_b32_e32 v1, 38, v1
	v_and_b32_e32 v3, 38, v3
	;; [unrolled: 1-line block ×15, first 2 shown]
	v_add_lshl_u32 v21, v18, v20, 4
	v_and_b32_e32 v22, 0x7e, v22
	v_writelane_b32 v167, s3, 34
	v_add_lshl_u32 v1, v1, v68, 1
	v_add_lshl_u32 v3, v3, v68, 1
	;; [unrolled: 1-line block ×16, first 2 shown]
	s_add_i32 s0, 0, 0x1080
	v_writelane_b32 v167, s31, 35
	v_add_u32_e32 v101, s0, v1
	v_add_u32_e32 v102, s0, v3
	;; [unrolled: 1-line block ×16, first 2 shown]
	v_writelane_b32 v167, s1, 36
	s_add_i32 s0, s1, -1
	s_mul_i32 s6, s4, s18
	s_and_b32 s5, s31, 0x7ff
	v_writelane_b32 v167, s0, 37
	s_lshl_b64 s[0:1], s[6:7], 1
	s_add_u32 s2, s50, s0
	s_mul_i32 s6, s19, s24
	s_addc_u32 s3, s51, s1
	s_lshl_b64 s[0:1], s[6:7], 1
	s_add_u32 s2, s2, s0
	s_addc_u32 s3, s3, s1
	s_cmp_eq_u32 s5, 0
	s_cselect_b64 s[0:1], -1, 0
	v_add_u32_e32 v85, 0, v1
	v_writelane_b32 v167, s0, 38
	v_and_b32_e32 v1, 15, v18
	v_cmp_lt_u32_e64 s[4:5], 1, v1
	v_writelane_b32 v167, s1, 39
	v_cmp_eq_u32_e64 s[0:1], 0, v1
	v_writelane_b32 v167, s4, 40
	v_add_u32_e32 v86, 0, v3
	v_and_b32_e32 v3, 64, v18
	v_writelane_b32 v167, s5, 41
	v_cmp_lt_u32_e64 s[4:5], 3, v1
	v_mov_b32_e32 v17, 0
	v_add_u32_e32 v99, 0, v16
	v_writelane_b32 v167, s4, 42
	v_lshlrev_b32_e32 v16, 1, v18
	s_mov_b64 s[8:9], s[22:23]
	v_writelane_b32 v167, s5, 43
	v_cmp_lt_u32_e64 s[4:5], 7, v1
	v_and_b32_e32 v1, 16, v18
	v_lshl_add_u32 v118, v0, 3, 0
	v_writelane_b32 v167, s4, 44
	v_cmp_lt_u32_e64 s[20:21], 63, v0
	v_cmp_eq_u32_e64 s[22:23], 0, v0
	v_writelane_b32 v167, s5, 45
	v_cmp_ne_u32_e64 s[4:5], 0, v1
	v_or_b32_e32 v1, 63, v20
	v_add_u32_e32 v87, 0, v4
	v_writelane_b32 v167, s4, 46
	v_add_u32_e32 v88, 0, v5
	v_add_u32_e32 v89, 0, v6
	v_writelane_b32 v167, s5, 47
	v_cmp_lt_u32_e64 s[4:5], 31, v18
	v_add_u32_e32 v90, 0, v7
	v_add_u32_e32 v91, 0, v8
	v_writelane_b32 v167, s4, 48
	v_add_u32_e32 v92, 0, v9
	v_add_u32_e32 v93, 0, v10
	v_writelane_b32 v167, s5, 49
	v_cmp_eq_u32_e64 s[4:5], v1, v0
	v_lshrrev_b32_e32 v1, 3, v0
	v_and_b32_e32 v1, 8, v1
	v_writelane_b32 v167, s4, 50
	v_add_u32_e32 v117, 0, v1
	v_and_b32_e32 v1, 1, v18
	v_writelane_b32 v167, s5, 51
	v_cmp_gt_u32_e64 s[4:5], 2, v0
	v_add_u32_e32 v94, 0, v11
	v_add_u32_e32 v95, 0, v12
	v_writelane_b32 v167, s4, 52
	v_add_u32_e32 v96, 0, v13
	v_add_u32_e32 v97, 0, v14
	v_writelane_b32 v167, s5, 53
	v_cmp_eq_u32_e64 s[4:5], 0, v1
	v_add_u32_e32 v1, -1, v18
	v_cmp_lt_i32_e32 vcc, v1, v3
	v_writelane_b32 v167, s4, 54
	v_add_u32_e32 v98, 0, v15
	v_cndmask_b32_e32 v1, v1, v18, vcc
	v_writelane_b32 v167, s5, 55
	v_cmp_gt_u32_e64 s[4:5], 64, v0
	v_lshlrev_b32_e32 v119, 2, v1
	v_lshl_add_u64 v[0:1], s[2:3], 0, v[16:17]
	v_writelane_b32 v167, s4, 56
	v_lshlrev_b32_e32 v16, 1, v2
	s_add_i32 s2, 0, 0x2110
	v_writelane_b32 v167, s5, 57
	v_add_u32_e32 v100, 0, v21
	v_cmp_eq_u32_e64 s[24:25], 0, v18
	v_lshl_add_u64 v[20:21], v[0:1], 0, v[16:17]
	v_lshlrev_b32_e32 v22, 1, v2
	s_mov_b32 s6, 0x41a00000
	s_mov_b32 s10, 0x3fb8aa3b
	;; [unrolled: 1-line block ×8, first 2 shown]
	v_writelane_b32 v167, s2, 58
	s_mov_b32 s33, 0xc2fc0000
	s_mov_b32 s3, 0
	v_mov_b32_e32 v135, 0x3ecc95a3
	v_mov_b32_e32 v136, 0x7f800000
	;; [unrolled: 1-line block ×6, first 2 shown]
                                        ; implicit-def: $vgpr0
	s_branch .LBB62_13
.LBB62_12:                              ;   in Loop: Header=BB62_13 Depth=1
	s_or_b64 exec, exec, s[2:3]
	v_readlane_b32 s2, v167, 4
	v_readlane_b32 s3, v167, 5
	s_add_u32 s2, s2, 0x1000
	s_addc_u32 s3, s3, 0
	v_writelane_b32 v167, s2, 4
	s_add_u32 s8, s8, 0x1000
	s_addc_u32 s9, s9, 0
	v_writelane_b32 v167, s3, 5
	s_nop 0
	v_readlane_b32 s2, v167, 8
	v_readlane_b32 s3, v167, 9
	s_add_u32 s2, s2, 0x1000
	s_addc_u32 s3, s3, 0
	v_writelane_b32 v167, s2, 8
	s_nop 1
	v_writelane_b32 v167, s3, 9
	s_nop 0
	v_readlane_b32 s2, v167, 22
	v_readlane_b32 s3, v167, 23
	s_add_u32 s2, s2, 0x1000
	s_addc_u32 s3, s3, 0
	v_writelane_b32 v167, s2, 22
	s_nop 1
	v_writelane_b32 v167, s3, 23
	s_nop 0
	v_readlane_b32 s3, v167, 59
	s_add_i32 s3, s3, 1
	v_readlane_b32 s2, v167, 36
	s_cmp_eq_u32 s3, s2
	s_cbranch_scc1 .LBB62_238
.LBB62_13:                              ; =>This Loop Header: Depth=1
                                        ;     Child Loop BB62_110 Depth 2
	s_lshl_b32 s18, s3, 11
	v_writelane_b32 v167, s3, 59
	s_mov_b32 s4, s18
	v_readlane_b32 s2, v167, 35
	v_writelane_b32 v167, s4, 60
	s_waitcnt lgkmcnt(14)
	v_lshlrev_b32_e32 v16, 1, v18
	s_sub_i32 s88, s2, s18
	v_writelane_b32 v167, s5, 61
	v_writelane_b32 v167, s8, 62
	v_mov_b32_e32 v23, v17
	v_cmp_gt_u32_e64 s[26:27], s88, v68
	v_lshl_add_u64 v[0:1], s[8:9], 0, v[16:17]
	v_writelane_b32 v167, s9, 63
	v_lshl_add_u64 v[0:1], v[0:1], 0, v[22:23]
	s_waitcnt lgkmcnt(0)
	v_mov_b32_e32 v2, 0
	s_barrier
	s_and_saveexec_b64 s[2:3], s[26:27]
	s_cbranch_execz .LBB62_15
; %bb.14:                               ;   in Loop: Header=BB62_13 Depth=1
	global_load_ushort v2, v[0:1], off
.LBB62_15:                              ;   in Loop: Header=BB62_13 Depth=1
	s_or_b64 exec, exec, s[2:3]
	v_cmp_gt_u32_e64 s[28:29], s88, v69
	v_mov_b32_e32 v3, 0
	v_mov_b32_e32 v4, 0
	s_and_saveexec_b64 s[2:3], s[28:29]
	s_cbranch_execz .LBB62_17
; %bb.16:                               ;   in Loop: Header=BB62_13 Depth=1
	global_load_ushort v4, v[0:1], off offset:128
.LBB62_17:                              ;   in Loop: Header=BB62_13 Depth=1
	s_or_b64 exec, exec, s[2:3]
	v_cmp_gt_u32_e64 s[30:31], s88, v133
	s_and_saveexec_b64 s[2:3], s[30:31]
	s_cbranch_execz .LBB62_19
; %bb.18:                               ;   in Loop: Header=BB62_13 Depth=1
	global_load_ushort v3, v[0:1], off offset:256
.LBB62_19:                              ;   in Loop: Header=BB62_13 Depth=1
	s_or_b64 exec, exec, s[2:3]
	v_cmp_gt_u32_e64 s[34:35], s88, v134
	v_mov_b32_e32 v5, 0
	v_mov_b32_e32 v6, 0
	s_and_saveexec_b64 s[2:3], s[34:35]
	s_cbranch_execz .LBB62_21
; %bb.20:                               ;   in Loop: Header=BB62_13 Depth=1
	global_load_ushort v6, v[0:1], off offset:384
.LBB62_21:                              ;   in Loop: Header=BB62_13 Depth=1
	s_or_b64 exec, exec, s[2:3]
	v_cmp_gt_u32_e64 s[36:37], s88, v72
	s_and_saveexec_b64 s[2:3], s[36:37]
	s_cbranch_execz .LBB62_23
; %bb.22:                               ;   in Loop: Header=BB62_13 Depth=1
	global_load_ushort v5, v[0:1], off offset:512
.LBB62_23:                              ;   in Loop: Header=BB62_13 Depth=1
	;; [unrolled: 16-line block ×7, first 2 shown]
	s_or_b64 exec, exec, s[2:3]
	v_cmp_gt_u32_e64 s[58:59], s88, v83
	v_mov_b32_e32 v10, 0
	v_mov_b32_e32 v26, 0
	s_and_saveexec_b64 s[2:3], s[58:59]
	s_cbranch_execz .LBB62_45
; %bb.44:                               ;   in Loop: Header=BB62_13 Depth=1
	global_load_ushort v26, v[0:1], off offset:1920
.LBB62_45:                              ;   in Loop: Header=BB62_13 Depth=1
	s_or_b64 exec, exec, s[2:3]
	s_waitcnt vmcnt(0)
	ds_write_b16 v84, v2
	ds_write_b16 v85, v4 offset:128
	ds_write_b16 v86, v3 offset:256
	;; [unrolled: 1-line block ×15, first 2 shown]
	; wave barrier
	ds_read_b128 v[0:3], v100
	ds_read_b128 v[4:7], v100 offset:16
	v_readlane_b32 s2, v167, 4
	v_readlane_b32 s3, v167, 5
	v_mov_b32_e32 v23, v17
	s_waitcnt lgkmcnt(0)
	v_lshl_add_u64 v[8:9], s[2:3], 0, v[16:17]
	v_lshl_add_u64 v[8:9], v[8:9], 0, v[22:23]
	s_barrier
	s_and_saveexec_b64 s[2:3], s[26:27]
	s_cbranch_execz .LBB62_47
; %bb.46:                               ;   in Loop: Header=BB62_13 Depth=1
	global_load_ushort v10, v[8:9], off
.LBB62_47:                              ;   in Loop: Header=BB62_13 Depth=1
	s_or_b64 exec, exec, s[2:3]
	v_mov_b32_e32 v11, 0
	v_mov_b32_e32 v12, 0
	s_and_saveexec_b64 s[2:3], s[28:29]
	s_cbranch_execz .LBB62_49
; %bb.48:                               ;   in Loop: Header=BB62_13 Depth=1
	global_load_ushort v12, v[8:9], off offset:128
.LBB62_49:                              ;   in Loop: Header=BB62_13 Depth=1
	s_or_b64 exec, exec, s[2:3]
	s_and_saveexec_b64 s[2:3], s[30:31]
	s_cbranch_execz .LBB62_51
; %bb.50:                               ;   in Loop: Header=BB62_13 Depth=1
	global_load_ushort v11, v[8:9], off offset:256
.LBB62_51:                              ;   in Loop: Header=BB62_13 Depth=1
	s_or_b64 exec, exec, s[2:3]
	v_mov_b32_e32 v13, 0
	v_mov_b32_e32 v14, 0
	s_and_saveexec_b64 s[2:3], s[34:35]
	s_cbranch_execz .LBB62_53
; %bb.52:                               ;   in Loop: Header=BB62_13 Depth=1
	global_load_ushort v14, v[8:9], off offset:384
.LBB62_53:                              ;   in Loop: Header=BB62_13 Depth=1
	s_or_b64 exec, exec, s[2:3]
	s_and_saveexec_b64 s[2:3], s[36:37]
	s_cbranch_execz .LBB62_55
; %bb.54:                               ;   in Loop: Header=BB62_13 Depth=1
	global_load_ushort v13, v[8:9], off offset:512
.LBB62_55:                              ;   in Loop: Header=BB62_13 Depth=1
	;; [unrolled: 14-line block ×6, first 2 shown]
	s_or_b64 exec, exec, s[2:3]
	v_mov_b32_e32 v31, 0
	v_mov_b32_e32 v32, 0
	s_and_saveexec_b64 s[2:3], s[54:55]
	s_cbranch_execnz .LBB62_221
; %bb.72:                               ;   in Loop: Header=BB62_13 Depth=1
	s_or_b64 exec, exec, s[2:3]
	s_and_saveexec_b64 s[2:3], s[56:57]
	s_cbranch_execnz .LBB62_222
.LBB62_73:                              ;   in Loop: Header=BB62_13 Depth=1
	s_or_b64 exec, exec, s[2:3]
	v_mov_b32_e32 v33, 0
	s_and_saveexec_b64 s[2:3], s[58:59]
	s_cbranch_execz .LBB62_75
.LBB62_74:                              ;   in Loop: Header=BB62_13 Depth=1
	global_load_ushort v33, v[8:9], off offset:1920
.LBB62_75:                              ;   in Loop: Header=BB62_13 Depth=1
	s_or_b64 exec, exec, s[2:3]
	s_waitcnt vmcnt(0)
	ds_write_b16 v84, v10
	ds_write_b16 v85, v12 offset:128
	ds_write_b16 v86, v11 offset:256
	;; [unrolled: 1-line block ×15, first 2 shown]
	; wave barrier
	ds_read_b128 v[12:15], v100
	ds_read_b128 v[8:11], v100 offset:16
	v_readlane_b32 s2, v167, 2
	s_waitcnt lgkmcnt(1)
	v_lshlrev_b32_e32 v23, 16, v12
	v_add_f32_e32 v140, s2, v23
	v_readlane_b32 s2, v167, 30
	v_cmp_ge_f32_e32 vcc, s6, v140
	v_readlane_b32 s3, v167, 31
	s_and_b64 s[2:3], s[2:3], vcc
	s_and_saveexec_b64 s[4:5], s[2:3]
	s_cbranch_execz .LBB62_77
; %bb.76:                               ;   in Loop: Header=BB62_13 Depth=1
	v_mul_f32_e32 v23, 0x3fb8aa3b, v140
	v_rndne_f32_e32 v25, v23
	v_sub_f32_e32 v26, v23, v25
	v_fma_f32 v23, v140, s10, -v23
	v_fmac_f32_e32 v23, 0x32a5705f, v140
	v_add_f32_e32 v23, v26, v23
	v_cvt_i32_f32_e32 v25, v25
	v_exp_f32_e32 v23, v23
	v_cmp_ngt_f32_e32 vcc, s11, v140
	v_ldexp_f32 v23, v23, v25
	s_nop 0
	v_cndmask_b32_e32 v23, 0, v23, vcc
	v_cmp_nlt_f32_e32 vcc, s12, v140
	s_nop 1
	v_cndmask_b32_e32 v42, v136, v23, vcc
	v_add_f32_e32 v23, 1.0, v42
	v_add_f32_e32 v25, -1.0, v23
	v_sub_f32_e32 v26, v25, v23
	v_add_f32_e32 v26, 1.0, v26
	v_sub_f32_e32 v25, v42, v25
	v_add_f32_e32 v25, v25, v26
	v_frexp_mant_f32_e32 v28, v23
	v_cvt_f64_f32_e32 v[26:27], v23
	v_frexp_exp_i32_f64_e32 v26, v[26:27]
	v_cmp_gt_f32_e32 vcc, s14, v28
	v_cmp_gt_f32_e64 s[60:61], s16, v42
	s_nop 0
	v_subbrev_co_u32_e32 v34, vcc, 0, v26, vcc
	v_sub_u32_e32 v26, 0, v34
	v_ldexp_f32 v23, v23, v26
	v_ldexp_f32 v25, v25, v26
	v_add_f32_e32 v26, -1.0, v23
	v_add_f32_e32 v27, 1.0, v26
	v_sub_f32_e32 v27, v23, v27
	v_add_f32_e32 v28, v25, v27
	v_add_f32_e32 v27, 1.0, v23
	v_add_f32_e32 v29, -1.0, v27
	v_sub_f32_e32 v23, v23, v29
	v_add_f32_e32 v23, v25, v23
	v_add_f32_e32 v25, v27, v23
	v_rcp_f32_e32 v35, v25
	v_sub_f32_e32 v27, v27, v25
	v_add_f32_e32 v23, v23, v27
	v_add_f32_e32 v27, v26, v28
	v_sub_f32_e32 v26, v26, v27
	v_mul_f32_e32 v37, v27, v35
	v_add_f32_e32 v36, v28, v26
	v_mul_f32_e32 v28, v25, v37
	v_fma_f32 v30, v37, v25, -v28
	v_fmac_f32_e32 v30, v37, v23
	v_add_f32_e32 v26, v28, v30
	v_sub_f32_e32 v29, v27, v26
	v_pk_add_f32 v[32:33], v[26:27], v[28:29] neg_lo:[0,1] neg_hi:[0,1]
	v_mov_b32_e32 v31, v26
	v_pk_add_f32 v[26:27], v[32:33], v[30:31] neg_lo:[0,1] neg_hi:[0,1]
	v_cmp_eq_f32_e32 vcc, s13, v42
	v_add_f32_e32 v27, v36, v27
	v_add_f32_e32 v26, v26, v27
	;; [unrolled: 1-line block ×3, first 2 shown]
	v_mul_f32_e32 v36, v35, v27
	v_mul_f32_e32 v28, v25, v36
	v_fma_f32 v30, v36, v25, -v28
	v_fmac_f32_e32 v30, v36, v23
	v_sub_f32_e32 v23, v29, v27
	v_add_f32_e32 v23, v26, v23
	v_add_f32_e32 v26, v28, v30
	v_sub_f32_e32 v29, v27, v26
	v_pk_add_f32 v[32:33], v[26:27], v[28:29] neg_lo:[0,1] neg_hi:[0,1]
	v_mov_b32_e32 v31, v26
	v_pk_add_f32 v[26:27], v[32:33], v[30:31] neg_lo:[0,1] neg_hi:[0,1]
	s_or_b64 vcc, s[60:61], vcc
	v_add_f32_e32 v23, v23, v27
	v_add_f32_e32 v23, v26, v23
	;; [unrolled: 1-line block ×4, first 2 shown]
	v_sub_f32_e32 v25, v27, v37
	v_mul_f32_e32 v23, v35, v23
	v_sub_f32_e32 v25, v36, v25
	v_add_f32_e32 v23, v25, v23
	v_add_f32_e32 v28, v27, v23
	v_cvt_f32_i32_e32 v26, v34
	v_mul_f32_e32 v30, v28, v28
	v_fmamk_f32 v25, v30, 0x3e9b6dac, v135
	v_sub_f32_e32 v27, v28, v27
	v_fmaak_f32 v25, v30, v25, 0x3f2aaada
	v_sub_f32_e32 v23, v23, v27
	v_mul_f32_e32 v27, v28, v30
	v_pk_mul_f32 v[30:31], v[26:27], v[24:25]
	v_ldexp_f32 v29, v28, 1
	v_fma_f32 v28, v26, s15, -v30
	v_fmac_f32_e32 v28, 0xb102e308, v26
	v_pk_add_f32 v[26:27], v[30:31], v[28:29]
	v_ldexp_f32 v23, v23, 1
	v_sub_f32_e32 v25, v27, v29
	v_sub_f32_e32 v25, v31, v25
	v_add_f32_e32 v33, v23, v25
	v_mov_b32_e32 v32, v30
	v_pk_add_f32 v[30:31], v[26:27], v[30:31] neg_lo:[0,1] neg_hi:[0,1]
	v_pk_add_f32 v[34:35], v[26:27], v[32:33]
	v_mov_b32_e32 v29, v26
	v_mov_b32_e32 v31, v35
	v_pk_add_f32 v[36:37], v[28:29], v[30:31] neg_lo:[0,1] neg_hi:[0,1]
	v_pk_add_f32 v[28:29], v[28:29], v[30:31]
	v_mov_b32_e32 v32, v33
	v_mov_b32_e32 v30, v29
	v_pk_add_f32 v[38:39], v[30:31], v[26:27] neg_lo:[0,1] neg_hi:[0,1]
	v_mov_b32_e32 v28, v35
	v_mov_b32_e32 v23, v38
	v_pk_add_f32 v[40:41], v[34:35], v[22:23] neg_lo:[0,1] neg_hi:[0,1]
	v_mov_b32_e32 v34, v27
	v_mov_b32_e32 v35, v38
	;; [unrolled: 1-line block ×3, first 2 shown]
	v_pk_add_f32 v[28:29], v[28:29], v[34:35] neg_lo:[0,1] neg_hi:[0,1]
	v_mov_b32_e32 v33, v26
	v_pk_add_f32 v[26:27], v[32:33], v[28:29] neg_lo:[0,1] neg_hi:[0,1]
	v_mov_b32_e32 v40, v36
	v_pk_add_f32 v[28:29], v[40:41], v[26:27]
	s_nop 0
	v_mov_b32_e32 v32, v29
	v_pk_add_f32 v[32:33], v[28:29], v[32:33]
	s_nop 0
	v_pk_add_f32 v[30:31], v[30:31], v[32:33]
	v_mov_b32_e32 v27, v32
	v_mov_b32_e32 v29, v30
	v_pk_add_f32 v[34:35], v[28:29], v[36:37] neg_lo:[0,1] neg_hi:[0,1]
	s_nop 0
	v_sub_f32_e32 v23, v28, v34
	v_pk_add_f32 v[26:27], v[26:27], v[34:35] neg_lo:[0,1] neg_hi:[0,1]
	v_sub_f32_e32 v23, v36, v23
	v_add_f32_e32 v23, v26, v23
	v_add_f32_e32 v23, v23, v27
	;; [unrolled: 1-line block ×3, first 2 shown]
	v_cndmask_b32_e32 v140, v23, v42, vcc
.LBB62_77:                              ;   in Loop: Header=BB62_13 Depth=1
	s_or_b64 exec, exec, s[4:5]
	v_and_b32_e32 v12, 0xffff0000, v12
	v_readlane_b32 s2, v167, 2
	s_nop 1
	v_add_f32_e32 v141, s2, v12
	v_readlane_b32 s2, v167, 30
	v_cmp_ge_f32_e32 vcc, s6, v141
	v_readlane_b32 s3, v167, 31
	s_and_b64 s[2:3], s[2:3], vcc
	s_and_saveexec_b64 s[4:5], s[2:3]
	s_cbranch_execz .LBB62_79
; %bb.78:                               ;   in Loop: Header=BB62_13 Depth=1
	v_mul_f32_e32 v12, 0x3fb8aa3b, v141
	v_rndne_f32_e32 v23, v12
	v_sub_f32_e32 v25, v12, v23
	v_fma_f32 v12, v141, s10, -v12
	v_fmac_f32_e32 v12, 0x32a5705f, v141
	v_add_f32_e32 v12, v25, v12
	v_cvt_i32_f32_e32 v23, v23
	v_exp_f32_e32 v12, v12
	v_cmp_ngt_f32_e32 vcc, s11, v141
	v_ldexp_f32 v12, v12, v23
	s_nop 0
	v_cndmask_b32_e32 v12, 0, v12, vcc
	v_cmp_nlt_f32_e32 vcc, s12, v141
	s_nop 1
	v_cndmask_b32_e32 v40, v136, v12, vcc
	v_add_f32_e32 v12, 1.0, v40
	v_add_f32_e32 v23, -1.0, v12
	v_sub_f32_e32 v25, v23, v12
	v_add_f32_e32 v25, 1.0, v25
	v_sub_f32_e32 v23, v40, v23
	v_add_f32_e32 v23, v23, v25
	v_frexp_mant_f32_e32 v25, v12
	v_cvt_f64_f32_e32 v[26:27], v12
	v_frexp_exp_i32_f64_e32 v26, v[26:27]
	v_cmp_gt_f32_e32 vcc, s14, v25
	v_cmp_gt_f32_e64 s[60:61], s16, v40
	s_nop 0
	v_subbrev_co_u32_e32 v34, vcc, 0, v26, vcc
	v_sub_u32_e32 v25, 0, v34
	v_ldexp_f32 v12, v12, v25
	v_ldexp_f32 v23, v23, v25
	v_add_f32_e32 v25, -1.0, v12
	v_add_f32_e32 v27, 1.0, v12
	v_add_f32_e32 v26, 1.0, v25
	v_add_f32_e32 v28, -1.0, v27
	v_sub_f32_e32 v26, v12, v26
	v_sub_f32_e32 v12, v12, v28
	v_add_f32_e32 v12, v23, v12
	v_add_f32_e32 v26, v23, v26
	;; [unrolled: 1-line block ×3, first 2 shown]
	v_rcp_f32_e32 v35, v23
	v_sub_f32_e32 v27, v27, v23
	v_add_f32_e32 v12, v12, v27
	v_add_f32_e32 v27, v25, v26
	v_mul_f32_e32 v36, v27, v35
	v_mul_f32_e32 v28, v23, v36
	v_fma_f32 v30, v36, v23, -v28
	v_sub_f32_e32 v25, v25, v27
	v_fmac_f32_e32 v30, v36, v12
	v_add_f32_e32 v25, v26, v25
	v_add_f32_e32 v26, v28, v30
	v_sub_f32_e32 v29, v27, v26
	v_pk_add_f32 v[32:33], v[26:27], v[28:29] neg_lo:[0,1] neg_hi:[0,1]
	v_mov_b32_e32 v31, v26
	v_pk_add_f32 v[26:27], v[32:33], v[30:31] neg_lo:[0,1] neg_hi:[0,1]
	v_cmp_eq_f32_e32 vcc, s13, v40
	v_add_f32_e32 v25, v25, v27
	v_add_f32_e32 v25, v26, v25
	v_add_f32_e32 v27, v29, v25
	v_mul_f32_e32 v37, v35, v27
	v_mul_f32_e32 v28, v23, v37
	v_fma_f32 v30, v37, v23, -v28
	v_fmac_f32_e32 v30, v37, v12
	v_add_f32_e32 v26, v28, v30
	v_sub_f32_e32 v12, v29, v27
	v_sub_f32_e32 v29, v27, v26
	v_pk_add_f32 v[32:33], v[26:27], v[28:29] neg_lo:[0,1] neg_hi:[0,1]
	v_mov_b32_e32 v31, v26
	v_add_f32_e32 v12, v25, v12
	v_pk_add_f32 v[26:27], v[32:33], v[30:31] neg_lo:[0,1] neg_hi:[0,1]
	v_add_f32_e32 v23, v36, v37
	v_add_f32_e32 v12, v12, v27
	;; [unrolled: 1-line block ×4, first 2 shown]
	v_sub_f32_e32 v25, v23, v36
	v_mul_f32_e32 v12, v35, v12
	v_sub_f32_e32 v25, v37, v25
	v_add_f32_e32 v12, v25, v12
	v_add_f32_e32 v27, v23, v12
	v_cvt_f32_i32_e32 v26, v34
	v_mul_f32_e32 v28, v27, v27
	v_fmamk_f32 v25, v28, 0x3e9b6dac, v135
	v_fmaak_f32 v25, v28, v25, 0x3f2aaada
	v_sub_f32_e32 v23, v27, v23
	v_ldexp_f32 v29, v27, 1
	v_mul_f32_e32 v27, v27, v28
	v_pk_mul_f32 v[30:31], v[26:27], v[24:25]
	v_sub_f32_e32 v12, v12, v23
	v_fma_f32 v28, v26, s15, -v30
	v_fmac_f32_e32 v28, 0xb102e308, v26
	v_pk_add_f32 v[26:27], v[30:31], v[28:29]
	v_ldexp_f32 v12, v12, 1
	v_sub_f32_e32 v23, v27, v29
	v_sub_f32_e32 v23, v31, v23
	v_add_f32_e32 v33, v12, v23
	v_mov_b32_e32 v32, v30
	v_pk_add_f32 v[30:31], v[26:27], v[30:31] neg_lo:[0,1] neg_hi:[0,1]
	v_pk_add_f32 v[34:35], v[26:27], v[32:33]
	v_mov_b32_e32 v29, v26
	v_mov_b32_e32 v31, v35
	v_pk_add_f32 v[36:37], v[28:29], v[30:31] neg_lo:[0,1] neg_hi:[0,1]
	v_pk_add_f32 v[28:29], v[28:29], v[30:31]
	s_or_b64 vcc, s[60:61], vcc
	v_mov_b32_e32 v12, v29
	v_pk_add_f32 v[30:31], v[12:13], v[26:27] neg_lo:[0,1] neg_hi:[0,1]
	v_mov_b32_e32 v28, v35
	v_mov_b32_e32 v23, v30
	v_pk_add_f32 v[38:39], v[34:35], v[22:23] neg_lo:[0,1] neg_hi:[0,1]
	v_mov_b32_e32 v34, v27
	v_mov_b32_e32 v35, v30
	;; [unrolled: 1-line block ×3, first 2 shown]
	v_pk_add_f32 v[28:29], v[28:29], v[34:35] neg_lo:[0,1] neg_hi:[0,1]
	v_mov_b32_e32 v30, v33
	v_mov_b32_e32 v31, v26
	v_pk_add_f32 v[26:27], v[30:31], v[28:29] neg_lo:[0,1] neg_hi:[0,1]
	v_mov_b32_e32 v38, v36
	v_pk_add_f32 v[28:29], v[38:39], v[26:27]
	s_nop 0
	v_mov_b32_e32 v30, v29
	v_pk_add_f32 v[30:31], v[28:29], v[30:31]
	s_nop 0
	v_pk_add_f32 v[32:33], v[12:13], v[30:31]
	v_mov_b32_e32 v27, v30
	v_mov_b32_e32 v29, v32
	v_pk_add_f32 v[34:35], v[28:29], v[36:37] neg_lo:[0,1] neg_hi:[0,1]
	s_nop 0
	v_sub_f32_e32 v12, v28, v34
	v_pk_add_f32 v[26:27], v[26:27], v[34:35] neg_lo:[0,1] neg_hi:[0,1]
	v_sub_f32_e32 v12, v36, v12
	v_add_f32_e32 v12, v26, v12
	v_add_f32_e32 v12, v12, v27
	v_add_f32_e32 v12, v32, v12
	v_cndmask_b32_e32 v141, v12, v40, vcc
.LBB62_79:                              ;   in Loop: Header=BB62_13 Depth=1
	s_or_b64 exec, exec, s[4:5]
	v_lshlrev_b32_e32 v12, 16, v13
	v_readlane_b32 s2, v167, 2
	s_nop 1
	v_add_f32_e32 v142, s2, v12
	v_readlane_b32 s2, v167, 30
	v_cmp_ge_f32_e32 vcc, s6, v142
	v_readlane_b32 s3, v167, 31
	s_and_b64 s[2:3], s[2:3], vcc
	s_and_saveexec_b64 s[4:5], s[2:3]
	s_cbranch_execz .LBB62_81
; %bb.80:                               ;   in Loop: Header=BB62_13 Depth=1
	v_mul_f32_e32 v12, 0x3fb8aa3b, v142
	v_rndne_f32_e32 v23, v12
	v_sub_f32_e32 v25, v12, v23
	v_fma_f32 v12, v142, s10, -v12
	v_fmac_f32_e32 v12, 0x32a5705f, v142
	v_add_f32_e32 v12, v25, v12
	v_cvt_i32_f32_e32 v23, v23
	v_exp_f32_e32 v12, v12
	v_cmp_ngt_f32_e32 vcc, s11, v142
	v_ldexp_f32 v12, v12, v23
	s_nop 0
	v_cndmask_b32_e32 v12, 0, v12, vcc
	v_cmp_nlt_f32_e32 vcc, s12, v142
	s_nop 1
	v_cndmask_b32_e32 v40, v136, v12, vcc
	v_add_f32_e32 v12, 1.0, v40
	v_add_f32_e32 v23, -1.0, v12
	v_sub_f32_e32 v25, v23, v12
	v_add_f32_e32 v25, 1.0, v25
	v_sub_f32_e32 v23, v40, v23
	v_add_f32_e32 v23, v23, v25
	v_frexp_mant_f32_e32 v25, v12
	v_cvt_f64_f32_e32 v[26:27], v12
	v_frexp_exp_i32_f64_e32 v26, v[26:27]
	v_cmp_gt_f32_e32 vcc, s14, v25
	v_cmp_gt_f32_e64 s[60:61], s16, v40
	s_nop 0
	v_subbrev_co_u32_e32 v34, vcc, 0, v26, vcc
	v_sub_u32_e32 v25, 0, v34
	v_ldexp_f32 v12, v12, v25
	v_ldexp_f32 v23, v23, v25
	v_add_f32_e32 v25, -1.0, v12
	v_add_f32_e32 v27, 1.0, v12
	v_add_f32_e32 v26, 1.0, v25
	v_add_f32_e32 v28, -1.0, v27
	v_sub_f32_e32 v26, v12, v26
	v_sub_f32_e32 v12, v12, v28
	v_add_f32_e32 v12, v23, v12
	v_add_f32_e32 v26, v23, v26
	;; [unrolled: 1-line block ×3, first 2 shown]
	v_rcp_f32_e32 v35, v23
	v_sub_f32_e32 v27, v27, v23
	v_add_f32_e32 v12, v12, v27
	v_add_f32_e32 v27, v25, v26
	v_mul_f32_e32 v36, v27, v35
	v_mul_f32_e32 v28, v23, v36
	v_fma_f32 v30, v36, v23, -v28
	v_sub_f32_e32 v25, v25, v27
	v_fmac_f32_e32 v30, v36, v12
	v_add_f32_e32 v25, v26, v25
	v_add_f32_e32 v26, v28, v30
	v_sub_f32_e32 v29, v27, v26
	v_pk_add_f32 v[32:33], v[26:27], v[28:29] neg_lo:[0,1] neg_hi:[0,1]
	v_mov_b32_e32 v31, v26
	v_pk_add_f32 v[26:27], v[32:33], v[30:31] neg_lo:[0,1] neg_hi:[0,1]
	v_cmp_eq_f32_e32 vcc, s13, v40
	v_add_f32_e32 v25, v25, v27
	v_add_f32_e32 v25, v26, v25
	;; [unrolled: 1-line block ×3, first 2 shown]
	v_mul_f32_e32 v37, v35, v27
	v_mul_f32_e32 v28, v23, v37
	v_fma_f32 v30, v37, v23, -v28
	v_fmac_f32_e32 v30, v37, v12
	v_add_f32_e32 v26, v28, v30
	v_sub_f32_e32 v12, v29, v27
	v_sub_f32_e32 v29, v27, v26
	v_pk_add_f32 v[32:33], v[26:27], v[28:29] neg_lo:[0,1] neg_hi:[0,1]
	v_mov_b32_e32 v31, v26
	v_add_f32_e32 v12, v25, v12
	v_pk_add_f32 v[26:27], v[32:33], v[30:31] neg_lo:[0,1] neg_hi:[0,1]
	v_add_f32_e32 v23, v36, v37
	v_add_f32_e32 v12, v12, v27
	;; [unrolled: 1-line block ×4, first 2 shown]
	v_sub_f32_e32 v25, v23, v36
	v_mul_f32_e32 v12, v35, v12
	v_sub_f32_e32 v25, v37, v25
	v_add_f32_e32 v12, v25, v12
	v_add_f32_e32 v27, v23, v12
	v_cvt_f32_i32_e32 v26, v34
	v_mul_f32_e32 v28, v27, v27
	v_fmamk_f32 v25, v28, 0x3e9b6dac, v135
	v_fmaak_f32 v25, v28, v25, 0x3f2aaada
	v_sub_f32_e32 v23, v27, v23
	v_ldexp_f32 v29, v27, 1
	v_mul_f32_e32 v27, v27, v28
	v_pk_mul_f32 v[30:31], v[26:27], v[24:25]
	v_sub_f32_e32 v12, v12, v23
	v_fma_f32 v28, v26, s15, -v30
	v_fmac_f32_e32 v28, 0xb102e308, v26
	v_pk_add_f32 v[26:27], v[30:31], v[28:29]
	v_ldexp_f32 v12, v12, 1
	v_sub_f32_e32 v23, v27, v29
	v_sub_f32_e32 v23, v31, v23
	v_add_f32_e32 v33, v12, v23
	v_mov_b32_e32 v32, v30
	v_pk_add_f32 v[30:31], v[26:27], v[30:31] neg_lo:[0,1] neg_hi:[0,1]
	v_pk_add_f32 v[34:35], v[26:27], v[32:33]
	v_mov_b32_e32 v29, v26
	v_mov_b32_e32 v31, v35
	v_pk_add_f32 v[36:37], v[28:29], v[30:31] neg_lo:[0,1] neg_hi:[0,1]
	v_pk_add_f32 v[28:29], v[28:29], v[30:31]
	s_or_b64 vcc, s[60:61], vcc
	v_mov_b32_e32 v12, v29
	v_pk_add_f32 v[30:31], v[12:13], v[26:27] neg_lo:[0,1] neg_hi:[0,1]
	v_mov_b32_e32 v28, v35
	v_mov_b32_e32 v23, v30
	v_pk_add_f32 v[38:39], v[34:35], v[22:23] neg_lo:[0,1] neg_hi:[0,1]
	v_mov_b32_e32 v34, v27
	v_mov_b32_e32 v35, v30
	;; [unrolled: 1-line block ×3, first 2 shown]
	v_pk_add_f32 v[28:29], v[28:29], v[34:35] neg_lo:[0,1] neg_hi:[0,1]
	v_mov_b32_e32 v30, v33
	v_mov_b32_e32 v31, v26
	v_pk_add_f32 v[26:27], v[30:31], v[28:29] neg_lo:[0,1] neg_hi:[0,1]
	v_mov_b32_e32 v38, v36
	v_pk_add_f32 v[28:29], v[38:39], v[26:27]
	s_nop 0
	v_mov_b32_e32 v30, v29
	v_pk_add_f32 v[30:31], v[28:29], v[30:31]
	s_nop 0
	v_pk_add_f32 v[32:33], v[12:13], v[30:31]
	v_mov_b32_e32 v27, v30
	v_mov_b32_e32 v29, v32
	v_pk_add_f32 v[34:35], v[28:29], v[36:37] neg_lo:[0,1] neg_hi:[0,1]
	s_nop 0
	v_sub_f32_e32 v12, v28, v34
	v_pk_add_f32 v[26:27], v[26:27], v[34:35] neg_lo:[0,1] neg_hi:[0,1]
	v_sub_f32_e32 v12, v36, v12
	v_add_f32_e32 v12, v26, v12
	v_add_f32_e32 v12, v12, v27
	;; [unrolled: 1-line block ×3, first 2 shown]
	v_cndmask_b32_e32 v142, v12, v40, vcc
.LBB62_81:                              ;   in Loop: Header=BB62_13 Depth=1
	s_or_b64 exec, exec, s[4:5]
	v_and_b32_e32 v12, 0xffff0000, v13
	v_readlane_b32 s2, v167, 2
	s_nop 1
	v_add_f32_e32 v143, s2, v12
	v_readlane_b32 s2, v167, 30
	v_cmp_ge_f32_e32 vcc, s6, v143
	v_readlane_b32 s3, v167, 31
	s_and_b64 s[2:3], s[2:3], vcc
	s_and_saveexec_b64 s[4:5], s[2:3]
	s_cbranch_execz .LBB62_83
; %bb.82:                               ;   in Loop: Header=BB62_13 Depth=1
	v_mul_f32_e32 v12, 0x3fb8aa3b, v143
	v_rndne_f32_e32 v13, v12
	v_sub_f32_e32 v23, v12, v13
	v_fma_f32 v12, v143, s10, -v12
	v_fmac_f32_e32 v12, 0x32a5705f, v143
	v_add_f32_e32 v12, v23, v12
	v_cvt_i32_f32_e32 v13, v13
	v_exp_f32_e32 v12, v12
	v_cmp_ngt_f32_e32 vcc, s11, v143
	v_ldexp_f32 v12, v12, v13
	s_nop 0
	v_cndmask_b32_e32 v12, 0, v12, vcc
	v_cmp_nlt_f32_e32 vcc, s12, v143
	s_nop 1
	v_cndmask_b32_e32 v40, v136, v12, vcc
	v_add_f32_e32 v23, 1.0, v40
	v_add_f32_e32 v12, -1.0, v23
	v_sub_f32_e32 v13, v12, v23
	v_add_f32_e32 v13, 1.0, v13
	v_sub_f32_e32 v12, v40, v12
	v_add_f32_e32 v25, v12, v13
	v_frexp_mant_f32_e32 v26, v23
	v_cvt_f64_f32_e32 v[12:13], v23
	v_frexp_exp_i32_f64_e32 v12, v[12:13]
	v_cmp_gt_f32_e32 vcc, s14, v26
	v_cmp_gt_f32_e64 s[60:61], s16, v40
	s_nop 0
	v_subbrev_co_u32_e32 v32, vcc, 0, v12, vcc
	v_sub_u32_e32 v12, 0, v32
	v_ldexp_f32 v13, v23, v12
	v_add_f32_e32 v23, -1.0, v13
	v_add_f32_e32 v26, 1.0, v13
	v_ldexp_f32 v12, v25, v12
	v_add_f32_e32 v25, 1.0, v23
	v_add_f32_e32 v27, -1.0, v26
	v_sub_f32_e32 v25, v13, v25
	v_sub_f32_e32 v13, v13, v27
	v_add_f32_e32 v25, v12, v25
	v_add_f32_e32 v12, v12, v13
	;; [unrolled: 1-line block ×3, first 2 shown]
	v_rcp_f32_e32 v35, v33
	v_sub_f32_e32 v13, v26, v33
	v_add_f32_e32 v34, v12, v13
	v_add_f32_e32 v13, v23, v25
	v_sub_f32_e32 v12, v23, v13
	v_add_f32_e32 v23, v25, v12
	v_mul_f32_e32 v25, v13, v35
	v_mul_f32_e32 v26, v33, v25
	v_fma_f32 v28, v25, v33, -v26
	v_fmac_f32_e32 v28, v25, v34
	v_add_f32_e32 v12, v26, v28
	v_sub_f32_e32 v27, v13, v12
	v_pk_add_f32 v[30:31], v[12:13], v[26:27] neg_lo:[0,1] neg_hi:[0,1]
	v_mov_b32_e32 v29, v12
	v_pk_add_f32 v[12:13], v[30:31], v[28:29] neg_lo:[0,1] neg_hi:[0,1]
	v_cmp_eq_f32_e32 vcc, s13, v40
	v_add_f32_e32 v13, v23, v13
	v_add_f32_e32 v12, v12, v13
	;; [unrolled: 1-line block ×3, first 2 shown]
	v_mul_f32_e32 v23, v35, v13
	v_mul_f32_e32 v26, v33, v23
	v_fma_f32 v28, v23, v33, -v26
	v_fmac_f32_e32 v28, v23, v34
	v_sub_f32_e32 v27, v27, v13
	v_add_f32_e32 v33, v12, v27
	v_add_f32_e32 v12, v26, v28
	v_sub_f32_e32 v27, v13, v12
	v_pk_add_f32 v[30:31], v[12:13], v[26:27] neg_lo:[0,1] neg_hi:[0,1]
	v_mov_b32_e32 v29, v12
	v_pk_add_f32 v[12:13], v[30:31], v[28:29] neg_lo:[0,1] neg_hi:[0,1]
	s_or_b64 vcc, s[60:61], vcc
	v_add_f32_e32 v13, v33, v13
	v_add_f32_e32 v12, v12, v13
	;; [unrolled: 1-line block ×4, first 2 shown]
	v_sub_f32_e32 v25, v13, v25
	v_mul_f32_e32 v12, v35, v12
	v_sub_f32_e32 v23, v23, v25
	v_add_f32_e32 v23, v23, v12
	v_add_f32_e32 v26, v13, v23
	v_mul_f32_e32 v28, v26, v26
	v_fmamk_f32 v12, v28, 0x3e9b6dac, v135
	v_fmaak_f32 v25, v28, v12, 0x3f2aaada
	v_cvt_f32_i32_e32 v12, v32
	v_sub_f32_e32 v13, v26, v13
	v_sub_f32_e32 v13, v23, v13
	v_ldexp_f32 v23, v13, 1
	v_mul_f32_e32 v13, v26, v28
	v_pk_mul_f32 v[28:29], v[12:13], v[24:25]
	v_ldexp_f32 v27, v26, 1
	v_fma_f32 v26, v12, s15, -v28
	v_fmac_f32_e32 v26, 0xb102e308, v12
	v_pk_add_f32 v[12:13], v[28:29], v[26:27]
	v_mov_b32_e32 v30, v28
	v_sub_f32_e32 v25, v13, v27
	v_sub_f32_e32 v25, v29, v25
	v_add_f32_e32 v31, v23, v25
	v_pk_add_f32 v[28:29], v[12:13], v[28:29] neg_lo:[0,1] neg_hi:[0,1]
	v_pk_add_f32 v[32:33], v[12:13], v[30:31]
	v_mov_b32_e32 v27, v12
	v_mov_b32_e32 v29, v33
	v_pk_add_f32 v[34:35], v[26:27], v[28:29] neg_lo:[0,1] neg_hi:[0,1]
	v_pk_add_f32 v[26:27], v[26:27], v[28:29]
	v_mov_b32_e32 v30, v31
	v_mov_b32_e32 v28, v27
	v_pk_add_f32 v[36:37], v[28:29], v[12:13] neg_lo:[0,1] neg_hi:[0,1]
	v_mov_b32_e32 v26, v33
	v_mov_b32_e32 v23, v36
	v_pk_add_f32 v[38:39], v[32:33], v[22:23] neg_lo:[0,1] neg_hi:[0,1]
	v_mov_b32_e32 v32, v13
	v_mov_b32_e32 v33, v36
	;; [unrolled: 1-line block ×3, first 2 shown]
	v_pk_add_f32 v[26:27], v[26:27], v[32:33] neg_lo:[0,1] neg_hi:[0,1]
	v_mov_b32_e32 v31, v12
	v_pk_add_f32 v[12:13], v[30:31], v[26:27] neg_lo:[0,1] neg_hi:[0,1]
	v_mov_b32_e32 v38, v34
	v_pk_add_f32 v[26:27], v[38:39], v[12:13]
	s_nop 0
	v_mov_b32_e32 v30, v27
	v_pk_add_f32 v[30:31], v[26:27], v[30:31]
	s_nop 0
	v_pk_add_f32 v[28:29], v[28:29], v[30:31]
	v_mov_b32_e32 v13, v30
	v_mov_b32_e32 v27, v28
	v_pk_add_f32 v[32:33], v[26:27], v[34:35] neg_lo:[0,1] neg_hi:[0,1]
	s_nop 0
	v_sub_f32_e32 v23, v26, v32
	v_pk_add_f32 v[12:13], v[12:13], v[32:33] neg_lo:[0,1] neg_hi:[0,1]
	v_sub_f32_e32 v23, v34, v23
	v_add_f32_e32 v12, v12, v23
	v_add_f32_e32 v12, v12, v13
	;; [unrolled: 1-line block ×3, first 2 shown]
	v_cndmask_b32_e32 v143, v12, v40, vcc
.LBB62_83:                              ;   in Loop: Header=BB62_13 Depth=1
	s_or_b64 exec, exec, s[4:5]
	v_lshlrev_b32_e32 v12, 16, v14
	v_readlane_b32 s2, v167, 2
	s_nop 1
	v_add_f32_e32 v144, s2, v12
	v_readlane_b32 s2, v167, 30
	v_cmp_ge_f32_e32 vcc, s6, v144
	v_readlane_b32 s3, v167, 31
	s_and_b64 s[2:3], s[2:3], vcc
	s_and_saveexec_b64 s[4:5], s[2:3]
	s_cbranch_execz .LBB62_85
; %bb.84:                               ;   in Loop: Header=BB62_13 Depth=1
	v_mul_f32_e32 v12, 0x3fb8aa3b, v144
	v_rndne_f32_e32 v13, v12
	v_sub_f32_e32 v23, v12, v13
	v_fma_f32 v12, v144, s10, -v12
	v_fmac_f32_e32 v12, 0x32a5705f, v144
	v_add_f32_e32 v12, v23, v12
	v_cvt_i32_f32_e32 v13, v13
	v_exp_f32_e32 v12, v12
	v_cmp_ngt_f32_e32 vcc, s11, v144
	v_ldexp_f32 v12, v12, v13
	s_nop 0
	v_cndmask_b32_e32 v12, 0, v12, vcc
	v_cmp_nlt_f32_e32 vcc, s12, v144
	s_nop 1
	v_cndmask_b32_e32 v40, v136, v12, vcc
	v_add_f32_e32 v23, 1.0, v40
	v_add_f32_e32 v12, -1.0, v23
	v_sub_f32_e32 v13, v12, v23
	v_add_f32_e32 v13, 1.0, v13
	v_sub_f32_e32 v12, v40, v12
	v_add_f32_e32 v25, v12, v13
	v_frexp_mant_f32_e32 v26, v23
	v_cvt_f64_f32_e32 v[12:13], v23
	v_frexp_exp_i32_f64_e32 v12, v[12:13]
	v_cmp_gt_f32_e32 vcc, s14, v26
	v_cmp_gt_f32_e64 s[60:61], s16, v40
	s_nop 0
	v_subbrev_co_u32_e32 v32, vcc, 0, v12, vcc
	v_sub_u32_e32 v12, 0, v32
	v_ldexp_f32 v13, v23, v12
	v_add_f32_e32 v23, -1.0, v13
	v_add_f32_e32 v26, 1.0, v13
	v_ldexp_f32 v12, v25, v12
	v_add_f32_e32 v25, 1.0, v23
	v_add_f32_e32 v27, -1.0, v26
	v_sub_f32_e32 v25, v13, v25
	v_sub_f32_e32 v13, v13, v27
	v_add_f32_e32 v25, v12, v25
	v_add_f32_e32 v12, v12, v13
	;; [unrolled: 1-line block ×3, first 2 shown]
	v_rcp_f32_e32 v35, v33
	v_sub_f32_e32 v13, v26, v33
	v_add_f32_e32 v34, v12, v13
	v_add_f32_e32 v13, v23, v25
	v_sub_f32_e32 v12, v23, v13
	v_add_f32_e32 v23, v25, v12
	v_mul_f32_e32 v25, v13, v35
	v_mul_f32_e32 v26, v33, v25
	v_fma_f32 v28, v25, v33, -v26
	v_fmac_f32_e32 v28, v25, v34
	v_add_f32_e32 v12, v26, v28
	v_sub_f32_e32 v27, v13, v12
	v_pk_add_f32 v[30:31], v[12:13], v[26:27] neg_lo:[0,1] neg_hi:[0,1]
	v_mov_b32_e32 v29, v12
	v_pk_add_f32 v[12:13], v[30:31], v[28:29] neg_lo:[0,1] neg_hi:[0,1]
	v_cmp_eq_f32_e32 vcc, s13, v40
	v_add_f32_e32 v13, v23, v13
	v_add_f32_e32 v12, v12, v13
	;; [unrolled: 1-line block ×3, first 2 shown]
	v_mul_f32_e32 v23, v35, v13
	v_mul_f32_e32 v26, v33, v23
	v_fma_f32 v28, v23, v33, -v26
	v_fmac_f32_e32 v28, v23, v34
	v_sub_f32_e32 v27, v27, v13
	v_add_f32_e32 v33, v12, v27
	v_add_f32_e32 v12, v26, v28
	v_sub_f32_e32 v27, v13, v12
	v_pk_add_f32 v[30:31], v[12:13], v[26:27] neg_lo:[0,1] neg_hi:[0,1]
	v_mov_b32_e32 v29, v12
	v_pk_add_f32 v[12:13], v[30:31], v[28:29] neg_lo:[0,1] neg_hi:[0,1]
	s_or_b64 vcc, s[60:61], vcc
	v_add_f32_e32 v13, v33, v13
	v_add_f32_e32 v12, v12, v13
	v_add_f32_e32 v13, v25, v23
	v_add_f32_e32 v12, v27, v12
	v_sub_f32_e32 v25, v13, v25
	v_mul_f32_e32 v12, v35, v12
	v_sub_f32_e32 v23, v23, v25
	v_add_f32_e32 v23, v23, v12
	v_add_f32_e32 v26, v13, v23
	v_mul_f32_e32 v28, v26, v26
	v_fmamk_f32 v12, v28, 0x3e9b6dac, v135
	v_fmaak_f32 v25, v28, v12, 0x3f2aaada
	v_cvt_f32_i32_e32 v12, v32
	v_sub_f32_e32 v13, v26, v13
	v_sub_f32_e32 v13, v23, v13
	v_ldexp_f32 v23, v13, 1
	v_mul_f32_e32 v13, v26, v28
	v_pk_mul_f32 v[28:29], v[12:13], v[24:25]
	v_ldexp_f32 v27, v26, 1
	v_fma_f32 v26, v12, s15, -v28
	v_fmac_f32_e32 v26, 0xb102e308, v12
	v_pk_add_f32 v[12:13], v[28:29], v[26:27]
	v_mov_b32_e32 v30, v28
	v_sub_f32_e32 v25, v13, v27
	v_sub_f32_e32 v25, v29, v25
	v_add_f32_e32 v31, v23, v25
	v_pk_add_f32 v[28:29], v[12:13], v[28:29] neg_lo:[0,1] neg_hi:[0,1]
	v_pk_add_f32 v[32:33], v[12:13], v[30:31]
	v_mov_b32_e32 v27, v12
	v_mov_b32_e32 v29, v33
	v_pk_add_f32 v[34:35], v[26:27], v[28:29] neg_lo:[0,1] neg_hi:[0,1]
	v_pk_add_f32 v[26:27], v[26:27], v[28:29]
	v_mov_b32_e32 v30, v31
	v_mov_b32_e32 v28, v27
	v_pk_add_f32 v[36:37], v[28:29], v[12:13] neg_lo:[0,1] neg_hi:[0,1]
	v_mov_b32_e32 v26, v33
	v_mov_b32_e32 v23, v36
	v_pk_add_f32 v[38:39], v[32:33], v[22:23] neg_lo:[0,1] neg_hi:[0,1]
	v_mov_b32_e32 v32, v13
	v_mov_b32_e32 v33, v36
	;; [unrolled: 1-line block ×3, first 2 shown]
	v_pk_add_f32 v[26:27], v[26:27], v[32:33] neg_lo:[0,1] neg_hi:[0,1]
	v_mov_b32_e32 v31, v12
	v_pk_add_f32 v[12:13], v[30:31], v[26:27] neg_lo:[0,1] neg_hi:[0,1]
	v_mov_b32_e32 v38, v34
	v_pk_add_f32 v[26:27], v[38:39], v[12:13]
	s_nop 0
	v_mov_b32_e32 v30, v27
	v_pk_add_f32 v[30:31], v[26:27], v[30:31]
	s_nop 0
	v_pk_add_f32 v[28:29], v[28:29], v[30:31]
	v_mov_b32_e32 v13, v30
	v_mov_b32_e32 v27, v28
	v_pk_add_f32 v[32:33], v[26:27], v[34:35] neg_lo:[0,1] neg_hi:[0,1]
	s_nop 0
	v_sub_f32_e32 v23, v26, v32
	v_pk_add_f32 v[12:13], v[12:13], v[32:33] neg_lo:[0,1] neg_hi:[0,1]
	v_sub_f32_e32 v23, v34, v23
	v_add_f32_e32 v12, v12, v23
	v_add_f32_e32 v12, v12, v13
	;; [unrolled: 1-line block ×3, first 2 shown]
	v_cndmask_b32_e32 v144, v12, v40, vcc
.LBB62_85:                              ;   in Loop: Header=BB62_13 Depth=1
	s_or_b64 exec, exec, s[4:5]
	v_and_b32_e32 v12, 0xffff0000, v14
	v_readlane_b32 s2, v167, 2
	s_nop 1
	v_add_f32_e32 v145, s2, v12
	v_readlane_b32 s2, v167, 30
	v_cmp_ge_f32_e32 vcc, s6, v145
	v_readlane_b32 s3, v167, 31
	s_and_b64 s[2:3], s[2:3], vcc
	s_and_saveexec_b64 s[4:5], s[2:3]
	s_cbranch_execz .LBB62_87
; %bb.86:                               ;   in Loop: Header=BB62_13 Depth=1
	v_mul_f32_e32 v12, 0x3fb8aa3b, v145
	v_rndne_f32_e32 v13, v12
	v_sub_f32_e32 v14, v12, v13
	v_fma_f32 v12, v145, s10, -v12
	v_fmac_f32_e32 v12, 0x32a5705f, v145
	v_add_f32_e32 v12, v14, v12
	v_cvt_i32_f32_e32 v13, v13
	v_exp_f32_e32 v12, v12
	v_cmp_ngt_f32_e32 vcc, s11, v145
	v_ldexp_f32 v12, v12, v13
	s_nop 0
	v_cndmask_b32_e32 v12, 0, v12, vcc
	v_cmp_nlt_f32_e32 vcc, s12, v145
	s_nop 1
	v_cndmask_b32_e32 v38, v136, v12, vcc
	v_add_f32_e32 v14, 1.0, v38
	v_add_f32_e32 v12, -1.0, v14
	v_sub_f32_e32 v13, v12, v14
	v_add_f32_e32 v13, 1.0, v13
	v_sub_f32_e32 v12, v38, v12
	v_add_f32_e32 v23, v12, v13
	v_frexp_mant_f32_e32 v25, v14
	v_cvt_f64_f32_e32 v[12:13], v14
	v_frexp_exp_i32_f64_e32 v12, v[12:13]
	v_cmp_gt_f32_e32 vcc, s14, v25
	v_cmp_gt_f32_e64 s[60:61], s16, v38
	s_nop 0
	v_subbrev_co_u32_e32 v32, vcc, 0, v12, vcc
	v_sub_u32_e32 v12, 0, v32
	v_ldexp_f32 v13, v14, v12
	v_add_f32_e32 v14, -1.0, v13
	v_add_f32_e32 v25, 1.0, v13
	v_ldexp_f32 v12, v23, v12
	v_add_f32_e32 v23, 1.0, v14
	v_add_f32_e32 v26, -1.0, v25
	v_sub_f32_e32 v23, v13, v23
	v_sub_f32_e32 v13, v13, v26
	v_add_f32_e32 v23, v12, v23
	v_add_f32_e32 v12, v12, v13
	;; [unrolled: 1-line block ×3, first 2 shown]
	v_rcp_f32_e32 v34, v33
	v_sub_f32_e32 v13, v25, v33
	v_add_f32_e32 v25, v12, v13
	v_add_f32_e32 v13, v14, v23
	v_sub_f32_e32 v12, v14, v13
	v_add_f32_e32 v14, v23, v12
	v_mul_f32_e32 v23, v13, v34
	v_mul_f32_e32 v26, v33, v23
	v_fma_f32 v28, v23, v33, -v26
	v_fmac_f32_e32 v28, v23, v25
	v_add_f32_e32 v12, v26, v28
	v_sub_f32_e32 v27, v13, v12
	v_pk_add_f32 v[30:31], v[12:13], v[26:27] neg_lo:[0,1] neg_hi:[0,1]
	v_mov_b32_e32 v29, v12
	v_pk_add_f32 v[12:13], v[30:31], v[28:29] neg_lo:[0,1] neg_hi:[0,1]
	v_cmp_eq_f32_e32 vcc, s13, v38
	v_add_f32_e32 v13, v14, v13
	v_add_f32_e32 v12, v12, v13
	;; [unrolled: 1-line block ×3, first 2 shown]
	v_mul_f32_e32 v14, v34, v13
	v_mul_f32_e32 v26, v33, v14
	v_fma_f32 v28, v14, v33, -v26
	v_fmac_f32_e32 v28, v14, v25
	v_sub_f32_e32 v25, v27, v13
	v_add_f32_e32 v25, v12, v25
	v_add_f32_e32 v12, v26, v28
	v_sub_f32_e32 v27, v13, v12
	v_pk_add_f32 v[30:31], v[12:13], v[26:27] neg_lo:[0,1] neg_hi:[0,1]
	v_mov_b32_e32 v29, v12
	v_pk_add_f32 v[12:13], v[30:31], v[28:29] neg_lo:[0,1] neg_hi:[0,1]
	s_or_b64 vcc, s[60:61], vcc
	v_add_f32_e32 v13, v25, v13
	v_add_f32_e32 v12, v12, v13
	;; [unrolled: 1-line block ×4, first 2 shown]
	v_sub_f32_e32 v23, v13, v23
	v_mul_f32_e32 v12, v34, v12
	v_sub_f32_e32 v14, v14, v23
	v_add_f32_e32 v14, v14, v12
	v_add_f32_e32 v23, v13, v14
	v_mul_f32_e32 v26, v23, v23
	v_fmamk_f32 v12, v26, 0x3e9b6dac, v135
	v_fmaak_f32 v25, v26, v12, 0x3f2aaada
	v_cvt_f32_i32_e32 v12, v32
	v_sub_f32_e32 v13, v23, v13
	v_sub_f32_e32 v13, v14, v13
	v_ldexp_f32 v14, v13, 1
	v_mul_f32_e32 v13, v23, v26
	v_pk_mul_f32 v[28:29], v[12:13], v[24:25]
	v_ldexp_f32 v27, v23, 1
	v_fma_f32 v26, v12, s15, -v28
	v_fmac_f32_e32 v26, 0xb102e308, v12
	v_pk_add_f32 v[12:13], v[28:29], v[26:27]
	v_mov_b32_e32 v30, v28
	v_sub_f32_e32 v23, v13, v27
	v_sub_f32_e32 v23, v29, v23
	v_add_f32_e32 v31, v14, v23
	v_pk_add_f32 v[28:29], v[12:13], v[28:29] neg_lo:[0,1] neg_hi:[0,1]
	v_pk_add_f32 v[32:33], v[12:13], v[30:31]
	v_mov_b32_e32 v27, v12
	v_mov_b32_e32 v29, v33
	v_pk_add_f32 v[34:35], v[26:27], v[28:29] neg_lo:[0,1] neg_hi:[0,1]
	v_pk_add_f32 v[26:27], v[26:27], v[28:29]
	s_nop 0
	v_mov_b32_e32 v14, v27
	v_pk_add_f32 v[28:29], v[14:15], v[12:13] neg_lo:[0,1] neg_hi:[0,1]
	v_mov_b32_e32 v26, v33
	v_mov_b32_e32 v23, v28
	v_pk_add_f32 v[36:37], v[32:33], v[22:23] neg_lo:[0,1] neg_hi:[0,1]
	v_mov_b32_e32 v32, v13
	v_mov_b32_e32 v33, v28
	;; [unrolled: 1-line block ×3, first 2 shown]
	v_pk_add_f32 v[26:27], v[26:27], v[32:33] neg_lo:[0,1] neg_hi:[0,1]
	v_mov_b32_e32 v28, v31
	v_mov_b32_e32 v29, v12
	v_pk_add_f32 v[12:13], v[28:29], v[26:27] neg_lo:[0,1] neg_hi:[0,1]
	v_mov_b32_e32 v36, v34
	v_pk_add_f32 v[26:27], v[36:37], v[12:13]
	s_nop 0
	v_mov_b32_e32 v28, v27
	v_pk_add_f32 v[28:29], v[26:27], v[28:29]
	s_nop 0
	v_pk_add_f32 v[30:31], v[14:15], v[28:29]
	v_mov_b32_e32 v13, v28
	v_mov_b32_e32 v27, v30
	v_pk_add_f32 v[32:33], v[26:27], v[34:35] neg_lo:[0,1] neg_hi:[0,1]
	s_nop 0
	v_sub_f32_e32 v14, v26, v32
	v_pk_add_f32 v[12:13], v[12:13], v[32:33] neg_lo:[0,1] neg_hi:[0,1]
	v_sub_f32_e32 v14, v34, v14
	v_add_f32_e32 v12, v12, v14
	v_add_f32_e32 v12, v12, v13
	;; [unrolled: 1-line block ×3, first 2 shown]
	v_cndmask_b32_e32 v145, v12, v38, vcc
.LBB62_87:                              ;   in Loop: Header=BB62_13 Depth=1
	s_or_b64 exec, exec, s[4:5]
	v_lshlrev_b32_e32 v12, 16, v15
	v_readlane_b32 s2, v167, 2
	s_nop 1
	v_add_f32_e32 v146, s2, v12
	v_readlane_b32 s2, v167, 30
	v_cmp_ge_f32_e32 vcc, s6, v146
	v_readlane_b32 s3, v167, 31
	s_and_b64 s[2:3], s[2:3], vcc
	s_and_saveexec_b64 s[4:5], s[2:3]
	s_cbranch_execz .LBB62_89
; %bb.88:                               ;   in Loop: Header=BB62_13 Depth=1
	v_mul_f32_e32 v12, 0x3fb8aa3b, v146
	v_rndne_f32_e32 v13, v12
	v_sub_f32_e32 v14, v12, v13
	v_fma_f32 v12, v146, s10, -v12
	v_fmac_f32_e32 v12, 0x32a5705f, v146
	v_add_f32_e32 v12, v14, v12
	v_cvt_i32_f32_e32 v13, v13
	v_exp_f32_e32 v12, v12
	v_cmp_ngt_f32_e32 vcc, s11, v146
	v_ldexp_f32 v12, v12, v13
	s_nop 0
	v_cndmask_b32_e32 v12, 0, v12, vcc
	v_cmp_nlt_f32_e32 vcc, s12, v146
	s_nop 1
	v_cndmask_b32_e32 v38, v136, v12, vcc
	v_add_f32_e32 v14, 1.0, v38
	v_add_f32_e32 v12, -1.0, v14
	v_sub_f32_e32 v13, v12, v14
	v_add_f32_e32 v13, 1.0, v13
	v_sub_f32_e32 v12, v38, v12
	v_add_f32_e32 v23, v12, v13
	v_frexp_mant_f32_e32 v25, v14
	v_cvt_f64_f32_e32 v[12:13], v14
	v_frexp_exp_i32_f64_e32 v12, v[12:13]
	v_cmp_gt_f32_e32 vcc, s14, v25
	v_cmp_gt_f32_e64 s[60:61], s16, v38
	s_nop 0
	v_subbrev_co_u32_e32 v32, vcc, 0, v12, vcc
	v_sub_u32_e32 v12, 0, v32
	v_ldexp_f32 v13, v14, v12
	v_add_f32_e32 v14, -1.0, v13
	v_add_f32_e32 v25, 1.0, v13
	v_ldexp_f32 v12, v23, v12
	v_add_f32_e32 v23, 1.0, v14
	v_add_f32_e32 v26, -1.0, v25
	v_sub_f32_e32 v23, v13, v23
	v_sub_f32_e32 v13, v13, v26
	v_add_f32_e32 v23, v12, v23
	v_add_f32_e32 v12, v12, v13
	;; [unrolled: 1-line block ×3, first 2 shown]
	v_rcp_f32_e32 v34, v33
	v_sub_f32_e32 v13, v25, v33
	v_add_f32_e32 v25, v12, v13
	v_add_f32_e32 v13, v14, v23
	v_sub_f32_e32 v12, v14, v13
	v_add_f32_e32 v14, v23, v12
	v_mul_f32_e32 v23, v13, v34
	v_mul_f32_e32 v26, v33, v23
	v_fma_f32 v28, v23, v33, -v26
	v_fmac_f32_e32 v28, v23, v25
	v_add_f32_e32 v12, v26, v28
	v_sub_f32_e32 v27, v13, v12
	v_pk_add_f32 v[30:31], v[12:13], v[26:27] neg_lo:[0,1] neg_hi:[0,1]
	v_mov_b32_e32 v29, v12
	v_pk_add_f32 v[12:13], v[30:31], v[28:29] neg_lo:[0,1] neg_hi:[0,1]
	v_cmp_eq_f32_e32 vcc, s13, v38
	v_add_f32_e32 v13, v14, v13
	v_add_f32_e32 v12, v12, v13
	v_add_f32_e32 v13, v27, v12
	v_mul_f32_e32 v14, v34, v13
	v_mul_f32_e32 v26, v33, v14
	v_fma_f32 v28, v14, v33, -v26
	v_fmac_f32_e32 v28, v14, v25
	v_sub_f32_e32 v25, v27, v13
	v_add_f32_e32 v25, v12, v25
	v_add_f32_e32 v12, v26, v28
	v_sub_f32_e32 v27, v13, v12
	v_pk_add_f32 v[30:31], v[12:13], v[26:27] neg_lo:[0,1] neg_hi:[0,1]
	v_mov_b32_e32 v29, v12
	v_pk_add_f32 v[12:13], v[30:31], v[28:29] neg_lo:[0,1] neg_hi:[0,1]
	s_or_b64 vcc, s[60:61], vcc
	v_add_f32_e32 v13, v25, v13
	v_add_f32_e32 v12, v12, v13
	;; [unrolled: 1-line block ×4, first 2 shown]
	v_sub_f32_e32 v23, v13, v23
	v_mul_f32_e32 v12, v34, v12
	v_sub_f32_e32 v14, v14, v23
	v_add_f32_e32 v14, v14, v12
	v_add_f32_e32 v23, v13, v14
	v_mul_f32_e32 v26, v23, v23
	v_fmamk_f32 v12, v26, 0x3e9b6dac, v135
	v_fmaak_f32 v25, v26, v12, 0x3f2aaada
	v_cvt_f32_i32_e32 v12, v32
	v_sub_f32_e32 v13, v23, v13
	v_sub_f32_e32 v13, v14, v13
	v_ldexp_f32 v14, v13, 1
	v_mul_f32_e32 v13, v23, v26
	v_pk_mul_f32 v[28:29], v[12:13], v[24:25]
	v_ldexp_f32 v27, v23, 1
	v_fma_f32 v26, v12, s15, -v28
	v_fmac_f32_e32 v26, 0xb102e308, v12
	v_pk_add_f32 v[12:13], v[28:29], v[26:27]
	v_mov_b32_e32 v30, v28
	v_sub_f32_e32 v23, v13, v27
	v_sub_f32_e32 v23, v29, v23
	v_add_f32_e32 v31, v14, v23
	v_pk_add_f32 v[28:29], v[12:13], v[28:29] neg_lo:[0,1] neg_hi:[0,1]
	v_pk_add_f32 v[32:33], v[12:13], v[30:31]
	v_mov_b32_e32 v27, v12
	v_mov_b32_e32 v29, v33
	v_pk_add_f32 v[34:35], v[26:27], v[28:29] neg_lo:[0,1] neg_hi:[0,1]
	v_pk_add_f32 v[26:27], v[26:27], v[28:29]
	s_nop 0
	v_mov_b32_e32 v14, v27
	v_pk_add_f32 v[28:29], v[14:15], v[12:13] neg_lo:[0,1] neg_hi:[0,1]
	v_mov_b32_e32 v26, v33
	v_mov_b32_e32 v23, v28
	v_pk_add_f32 v[36:37], v[32:33], v[22:23] neg_lo:[0,1] neg_hi:[0,1]
	v_mov_b32_e32 v32, v13
	v_mov_b32_e32 v33, v28
	;; [unrolled: 1-line block ×3, first 2 shown]
	v_pk_add_f32 v[26:27], v[26:27], v[32:33] neg_lo:[0,1] neg_hi:[0,1]
	v_mov_b32_e32 v28, v31
	v_mov_b32_e32 v29, v12
	v_pk_add_f32 v[12:13], v[28:29], v[26:27] neg_lo:[0,1] neg_hi:[0,1]
	v_mov_b32_e32 v36, v34
	v_pk_add_f32 v[26:27], v[36:37], v[12:13]
	s_nop 0
	v_mov_b32_e32 v28, v27
	v_pk_add_f32 v[28:29], v[26:27], v[28:29]
	s_nop 0
	v_pk_add_f32 v[30:31], v[14:15], v[28:29]
	v_mov_b32_e32 v13, v28
	v_mov_b32_e32 v27, v30
	v_pk_add_f32 v[32:33], v[26:27], v[34:35] neg_lo:[0,1] neg_hi:[0,1]
	s_nop 0
	v_sub_f32_e32 v14, v26, v32
	v_pk_add_f32 v[12:13], v[12:13], v[32:33] neg_lo:[0,1] neg_hi:[0,1]
	v_sub_f32_e32 v14, v34, v14
	v_add_f32_e32 v12, v12, v14
	v_add_f32_e32 v12, v12, v13
	v_add_f32_e32 v12, v30, v12
	v_cndmask_b32_e32 v146, v12, v38, vcc
.LBB62_89:                              ;   in Loop: Header=BB62_13 Depth=1
	s_or_b64 exec, exec, s[4:5]
	v_and_b32_e32 v12, 0xffff0000, v15
	v_readlane_b32 s2, v167, 2
	s_nop 1
	v_add_f32_e32 v147, s2, v12
	v_readlane_b32 s2, v167, 30
	v_cmp_ge_f32_e32 vcc, s6, v147
	v_readlane_b32 s3, v167, 31
	s_and_b64 s[2:3], s[2:3], vcc
	s_and_saveexec_b64 s[4:5], s[2:3]
	s_cbranch_execz .LBB62_91
; %bb.90:                               ;   in Loop: Header=BB62_13 Depth=1
	v_mul_f32_e32 v12, 0x3fb8aa3b, v147
	v_rndne_f32_e32 v13, v12
	v_sub_f32_e32 v14, v12, v13
	v_fma_f32 v12, v147, s10, -v12
	v_fmac_f32_e32 v12, 0x32a5705f, v147
	v_add_f32_e32 v12, v14, v12
	v_cvt_i32_f32_e32 v13, v13
	v_exp_f32_e32 v12, v12
	v_cmp_ngt_f32_e32 vcc, s11, v147
	v_ldexp_f32 v12, v12, v13
	s_nop 0
	v_cndmask_b32_e32 v12, 0, v12, vcc
	v_cmp_nlt_f32_e32 vcc, s12, v147
	s_nop 1
	v_cndmask_b32_e32 v38, v136, v12, vcc
	v_add_f32_e32 v14, 1.0, v38
	v_add_f32_e32 v12, -1.0, v14
	v_sub_f32_e32 v13, v12, v14
	v_add_f32_e32 v13, 1.0, v13
	v_sub_f32_e32 v12, v38, v12
	v_add_f32_e32 v15, v12, v13
	v_frexp_mant_f32_e32 v23, v14
	v_cvt_f64_f32_e32 v[12:13], v14
	v_frexp_exp_i32_f64_e32 v12, v[12:13]
	v_cmp_gt_f32_e32 vcc, s14, v23
	v_cmp_gt_f32_e64 s[60:61], s16, v38
	s_nop 0
	v_subbrev_co_u32_e32 v23, vcc, 0, v12, vcc
	v_sub_u32_e32 v12, 0, v23
	v_ldexp_f32 v13, v14, v12
	v_add_f32_e32 v14, -1.0, v13
	v_add_f32_e32 v25, 1.0, v13
	v_ldexp_f32 v12, v15, v12
	v_add_f32_e32 v15, 1.0, v14
	v_add_f32_e32 v26, -1.0, v25
	v_sub_f32_e32 v15, v13, v15
	v_sub_f32_e32 v13, v13, v26
	v_add_f32_e32 v15, v12, v15
	v_add_f32_e32 v12, v12, v13
	;; [unrolled: 1-line block ×3, first 2 shown]
	v_rcp_f32_e32 v31, v30
	v_sub_f32_e32 v13, v25, v30
	v_add_f32_e32 v25, v12, v13
	v_add_f32_e32 v13, v14, v15
	v_mul_f32_e32 v33, v13, v31
	v_sub_f32_e32 v12, v14, v13
	v_mul_f32_e32 v14, v30, v33
	v_fma_f32 v26, v33, v30, -v14
	v_fmac_f32_e32 v26, v33, v25
	v_add_f32_e32 v32, v15, v12
	v_add_f32_e32 v12, v14, v26
	v_sub_f32_e32 v15, v13, v12
	v_pk_add_f32 v[28:29], v[12:13], v[14:15] neg_lo:[0,1] neg_hi:[0,1]
	v_mov_b32_e32 v27, v12
	v_pk_add_f32 v[12:13], v[28:29], v[26:27] neg_lo:[0,1] neg_hi:[0,1]
	v_cmp_eq_f32_e32 vcc, s13, v38
	v_add_f32_e32 v13, v32, v13
	v_add_f32_e32 v12, v12, v13
	;; [unrolled: 1-line block ×3, first 2 shown]
	v_mul_f32_e32 v32, v31, v13
	v_mul_f32_e32 v14, v30, v32
	v_fma_f32 v26, v32, v30, -v14
	v_fmac_f32_e32 v26, v32, v25
	v_sub_f32_e32 v15, v15, v13
	v_add_f32_e32 v25, v12, v15
	v_add_f32_e32 v12, v14, v26
	v_sub_f32_e32 v15, v13, v12
	v_pk_add_f32 v[28:29], v[12:13], v[14:15] neg_lo:[0,1] neg_hi:[0,1]
	v_mov_b32_e32 v27, v12
	v_pk_add_f32 v[12:13], v[28:29], v[26:27] neg_lo:[0,1] neg_hi:[0,1]
	s_or_b64 vcc, s[60:61], vcc
	v_add_f32_e32 v13, v25, v13
	v_add_f32_e32 v12, v12, v13
	;; [unrolled: 1-line block ×4, first 2 shown]
	v_sub_f32_e32 v14, v13, v33
	v_mul_f32_e32 v12, v31, v12
	v_sub_f32_e32 v14, v32, v14
	v_add_f32_e32 v14, v14, v12
	v_add_f32_e32 v26, v13, v14
	v_mul_f32_e32 v27, v26, v26
	v_fmamk_f32 v12, v27, 0x3e9b6dac, v135
	v_fmaak_f32 v25, v27, v12, 0x3f2aaada
	v_cvt_f32_i32_e32 v12, v23
	v_sub_f32_e32 v13, v26, v13
	v_sub_f32_e32 v13, v14, v13
	v_ldexp_f32 v23, v13, 1
	v_mul_f32_e32 v13, v26, v27
	v_ldexp_f32 v15, v26, 1
	v_pk_mul_f32 v[26:27], v[12:13], v[24:25]
	s_nop 0
	v_fma_f32 v14, v12, s15, -v26
	v_fmac_f32_e32 v14, 0xb102e308, v12
	v_pk_add_f32 v[12:13], v[26:27], v[14:15]
	v_mov_b32_e32 v28, v26
	v_sub_f32_e32 v15, v13, v15
	v_sub_f32_e32 v15, v27, v15
	v_add_f32_e32 v29, v23, v15
	v_pk_add_f32 v[26:27], v[12:13], v[26:27] neg_lo:[0,1] neg_hi:[0,1]
	v_pk_add_f32 v[30:31], v[12:13], v[28:29]
	v_mov_b32_e32 v15, v12
	v_mov_b32_e32 v27, v31
	v_pk_add_f32 v[32:33], v[14:15], v[26:27] neg_lo:[0,1] neg_hi:[0,1]
	v_pk_add_f32 v[14:15], v[14:15], v[26:27]
	v_mov_b32_e32 v28, v29
	v_mov_b32_e32 v26, v15
	v_pk_add_f32 v[34:35], v[26:27], v[12:13] neg_lo:[0,1] neg_hi:[0,1]
	v_mov_b32_e32 v14, v31
	v_mov_b32_e32 v23, v34
	v_pk_add_f32 v[36:37], v[30:31], v[22:23] neg_lo:[0,1] neg_hi:[0,1]
	v_mov_b32_e32 v30, v13
	v_mov_b32_e32 v31, v34
	;; [unrolled: 1-line block ×3, first 2 shown]
	v_pk_add_f32 v[14:15], v[14:15], v[30:31] neg_lo:[0,1] neg_hi:[0,1]
	v_mov_b32_e32 v29, v12
	v_pk_add_f32 v[12:13], v[28:29], v[14:15] neg_lo:[0,1] neg_hi:[0,1]
	v_mov_b32_e32 v36, v32
	v_pk_add_f32 v[14:15], v[36:37], v[12:13]
	s_nop 0
	v_mov_b32_e32 v28, v15
	v_pk_add_f32 v[28:29], v[14:15], v[28:29]
	s_nop 0
	v_pk_add_f32 v[26:27], v[26:27], v[28:29]
	v_mov_b32_e32 v13, v28
	v_mov_b32_e32 v15, v26
	v_pk_add_f32 v[30:31], v[14:15], v[32:33] neg_lo:[0,1] neg_hi:[0,1]
	s_nop 0
	v_sub_f32_e32 v14, v14, v30
	v_pk_add_f32 v[12:13], v[12:13], v[30:31] neg_lo:[0,1] neg_hi:[0,1]
	v_sub_f32_e32 v14, v32, v14
	v_add_f32_e32 v12, v12, v14
	v_add_f32_e32 v12, v12, v13
	;; [unrolled: 1-line block ×3, first 2 shown]
	v_cndmask_b32_e32 v147, v12, v38, vcc
.LBB62_91:                              ;   in Loop: Header=BB62_13 Depth=1
	s_or_b64 exec, exec, s[4:5]
	s_waitcnt lgkmcnt(0)
	v_lshlrev_b32_e32 v12, 16, v8
	v_readlane_b32 s2, v167, 2
	s_nop 1
	v_add_f32_e32 v148, s2, v12
	v_readlane_b32 s2, v167, 30
	v_cmp_ge_f32_e32 vcc, s6, v148
	v_readlane_b32 s3, v167, 31
	s_and_b64 s[2:3], s[2:3], vcc
	s_and_saveexec_b64 s[4:5], s[2:3]
	s_cbranch_execz .LBB62_93
; %bb.92:                               ;   in Loop: Header=BB62_13 Depth=1
	v_mul_f32_e32 v12, 0x3fb8aa3b, v148
	v_rndne_f32_e32 v13, v12
	v_sub_f32_e32 v14, v12, v13
	v_fma_f32 v12, v148, s10, -v12
	v_fmac_f32_e32 v12, 0x32a5705f, v148
	v_add_f32_e32 v12, v14, v12
	v_cvt_i32_f32_e32 v13, v13
	v_exp_f32_e32 v12, v12
	v_cmp_ngt_f32_e32 vcc, s11, v148
	v_ldexp_f32 v12, v12, v13
	s_nop 0
	v_cndmask_b32_e32 v12, 0, v12, vcc
	v_cmp_nlt_f32_e32 vcc, s12, v148
	s_nop 1
	v_cndmask_b32_e32 v38, v136, v12, vcc
	v_add_f32_e32 v14, 1.0, v38
	v_add_f32_e32 v12, -1.0, v14
	v_sub_f32_e32 v13, v12, v14
	v_add_f32_e32 v13, 1.0, v13
	v_sub_f32_e32 v12, v38, v12
	v_add_f32_e32 v15, v12, v13
	v_frexp_mant_f32_e32 v23, v14
	v_cvt_f64_f32_e32 v[12:13], v14
	v_frexp_exp_i32_f64_e32 v12, v[12:13]
	v_cmp_gt_f32_e32 vcc, s14, v23
	v_cmp_gt_f32_e64 s[60:61], s16, v38
	s_nop 0
	v_subbrev_co_u32_e32 v23, vcc, 0, v12, vcc
	v_sub_u32_e32 v12, 0, v23
	v_ldexp_f32 v13, v14, v12
	v_add_f32_e32 v14, -1.0, v13
	v_add_f32_e32 v25, 1.0, v13
	v_ldexp_f32 v12, v15, v12
	v_add_f32_e32 v15, 1.0, v14
	v_add_f32_e32 v26, -1.0, v25
	v_sub_f32_e32 v15, v13, v15
	v_sub_f32_e32 v13, v13, v26
	v_add_f32_e32 v15, v12, v15
	v_add_f32_e32 v12, v12, v13
	;; [unrolled: 1-line block ×3, first 2 shown]
	v_rcp_f32_e32 v31, v30
	v_sub_f32_e32 v13, v25, v30
	v_add_f32_e32 v25, v12, v13
	v_add_f32_e32 v13, v14, v15
	v_mul_f32_e32 v33, v13, v31
	v_sub_f32_e32 v12, v14, v13
	v_mul_f32_e32 v14, v30, v33
	v_fma_f32 v26, v33, v30, -v14
	v_fmac_f32_e32 v26, v33, v25
	v_add_f32_e32 v32, v15, v12
	v_add_f32_e32 v12, v14, v26
	v_sub_f32_e32 v15, v13, v12
	v_pk_add_f32 v[28:29], v[12:13], v[14:15] neg_lo:[0,1] neg_hi:[0,1]
	v_mov_b32_e32 v27, v12
	v_pk_add_f32 v[12:13], v[28:29], v[26:27] neg_lo:[0,1] neg_hi:[0,1]
	v_cmp_eq_f32_e32 vcc, s13, v38
	v_add_f32_e32 v13, v32, v13
	v_add_f32_e32 v12, v12, v13
	;; [unrolled: 1-line block ×3, first 2 shown]
	v_mul_f32_e32 v32, v31, v13
	v_mul_f32_e32 v14, v30, v32
	v_fma_f32 v26, v32, v30, -v14
	v_fmac_f32_e32 v26, v32, v25
	v_sub_f32_e32 v15, v15, v13
	v_add_f32_e32 v25, v12, v15
	v_add_f32_e32 v12, v14, v26
	v_sub_f32_e32 v15, v13, v12
	v_pk_add_f32 v[28:29], v[12:13], v[14:15] neg_lo:[0,1] neg_hi:[0,1]
	v_mov_b32_e32 v27, v12
	v_pk_add_f32 v[12:13], v[28:29], v[26:27] neg_lo:[0,1] neg_hi:[0,1]
	s_or_b64 vcc, s[60:61], vcc
	v_add_f32_e32 v13, v25, v13
	v_add_f32_e32 v12, v12, v13
	;; [unrolled: 1-line block ×4, first 2 shown]
	v_sub_f32_e32 v14, v13, v33
	v_mul_f32_e32 v12, v31, v12
	v_sub_f32_e32 v14, v32, v14
	v_add_f32_e32 v14, v14, v12
	v_add_f32_e32 v26, v13, v14
	v_mul_f32_e32 v27, v26, v26
	v_fmamk_f32 v12, v27, 0x3e9b6dac, v135
	v_fmaak_f32 v25, v27, v12, 0x3f2aaada
	v_cvt_f32_i32_e32 v12, v23
	v_sub_f32_e32 v13, v26, v13
	v_sub_f32_e32 v13, v14, v13
	v_ldexp_f32 v23, v13, 1
	v_mul_f32_e32 v13, v26, v27
	v_ldexp_f32 v15, v26, 1
	v_pk_mul_f32 v[26:27], v[12:13], v[24:25]
	s_nop 0
	v_fma_f32 v14, v12, s15, -v26
	v_fmac_f32_e32 v14, 0xb102e308, v12
	v_pk_add_f32 v[12:13], v[26:27], v[14:15]
	v_mov_b32_e32 v28, v26
	v_sub_f32_e32 v15, v13, v15
	v_sub_f32_e32 v15, v27, v15
	v_add_f32_e32 v29, v23, v15
	v_pk_add_f32 v[26:27], v[12:13], v[26:27] neg_lo:[0,1] neg_hi:[0,1]
	v_pk_add_f32 v[30:31], v[12:13], v[28:29]
	v_mov_b32_e32 v15, v12
	v_mov_b32_e32 v27, v31
	v_pk_add_f32 v[32:33], v[14:15], v[26:27] neg_lo:[0,1] neg_hi:[0,1]
	v_pk_add_f32 v[14:15], v[14:15], v[26:27]
	v_mov_b32_e32 v28, v29
	v_mov_b32_e32 v26, v15
	v_pk_add_f32 v[34:35], v[26:27], v[12:13] neg_lo:[0,1] neg_hi:[0,1]
	v_mov_b32_e32 v14, v31
	v_mov_b32_e32 v23, v34
	v_pk_add_f32 v[36:37], v[30:31], v[22:23] neg_lo:[0,1] neg_hi:[0,1]
	v_mov_b32_e32 v30, v13
	v_mov_b32_e32 v31, v34
	;; [unrolled: 1-line block ×3, first 2 shown]
	v_pk_add_f32 v[14:15], v[14:15], v[30:31] neg_lo:[0,1] neg_hi:[0,1]
	v_mov_b32_e32 v29, v12
	v_pk_add_f32 v[12:13], v[28:29], v[14:15] neg_lo:[0,1] neg_hi:[0,1]
	v_mov_b32_e32 v36, v32
	v_pk_add_f32 v[14:15], v[36:37], v[12:13]
	s_nop 0
	v_mov_b32_e32 v28, v15
	v_pk_add_f32 v[28:29], v[14:15], v[28:29]
	s_nop 0
	v_pk_add_f32 v[26:27], v[26:27], v[28:29]
	v_mov_b32_e32 v13, v28
	v_mov_b32_e32 v15, v26
	v_pk_add_f32 v[30:31], v[14:15], v[32:33] neg_lo:[0,1] neg_hi:[0,1]
	s_nop 0
	v_sub_f32_e32 v14, v14, v30
	v_pk_add_f32 v[12:13], v[12:13], v[30:31] neg_lo:[0,1] neg_hi:[0,1]
	v_sub_f32_e32 v14, v32, v14
	v_add_f32_e32 v12, v12, v14
	v_add_f32_e32 v12, v12, v13
	;; [unrolled: 1-line block ×3, first 2 shown]
	v_cndmask_b32_e32 v148, v12, v38, vcc
.LBB62_93:                              ;   in Loop: Header=BB62_13 Depth=1
	s_or_b64 exec, exec, s[4:5]
	v_and_b32_e32 v8, 0xffff0000, v8
	v_readlane_b32 s2, v167, 2
	s_nop 1
	v_add_f32_e32 v149, s2, v8
	v_readlane_b32 s2, v167, 30
	v_cmp_ge_f32_e32 vcc, s6, v149
	v_readlane_b32 s3, v167, 31
	s_and_b64 s[2:3], s[2:3], vcc
	s_and_saveexec_b64 s[4:5], s[2:3]
	s_cbranch_execz .LBB62_95
; %bb.94:                               ;   in Loop: Header=BB62_13 Depth=1
	v_mul_f32_e32 v8, 0x3fb8aa3b, v149
	v_rndne_f32_e32 v12, v8
	v_sub_f32_e32 v13, v8, v12
	v_fma_f32 v8, v149, s10, -v8
	v_fmac_f32_e32 v8, 0x32a5705f, v149
	v_add_f32_e32 v8, v13, v8
	v_cvt_i32_f32_e32 v12, v12
	v_exp_f32_e32 v8, v8
	v_cmp_ngt_f32_e32 vcc, s11, v149
	v_ldexp_f32 v8, v8, v12
	s_nop 0
	v_cndmask_b32_e32 v8, 0, v8, vcc
	v_cmp_nlt_f32_e32 vcc, s12, v149
	s_nop 1
	v_cndmask_b32_e32 v36, v136, v8, vcc
	v_add_f32_e32 v8, 1.0, v36
	v_add_f32_e32 v12, -1.0, v8
	v_sub_f32_e32 v13, v12, v8
	v_add_f32_e32 v13, 1.0, v13
	v_sub_f32_e32 v12, v36, v12
	v_add_f32_e32 v14, v12, v13
	v_frexp_mant_f32_e32 v15, v8
	v_cvt_f64_f32_e32 v[12:13], v8
	v_frexp_exp_i32_f64_e32 v12, v[12:13]
	v_cmp_gt_f32_e32 vcc, s14, v15
	v_cmp_gt_f32_e64 s[60:61], s16, v36
	s_nop 0
	v_subbrev_co_u32_e32 v23, vcc, 0, v12, vcc
	v_sub_u32_e32 v12, 0, v23
	v_ldexp_f32 v8, v8, v12
	v_ldexp_f32 v12, v14, v12
	v_add_f32_e32 v14, -1.0, v8
	v_add_f32_e32 v13, 1.0, v14
	v_sub_f32_e32 v13, v8, v13
	v_add_f32_e32 v15, v12, v13
	v_add_f32_e32 v13, 1.0, v8
	v_add_f32_e32 v25, -1.0, v13
	v_sub_f32_e32 v8, v8, v25
	v_add_f32_e32 v8, v12, v8
	v_add_f32_e32 v25, v13, v8
	v_rcp_f32_e32 v30, v25
	v_sub_f32_e32 v12, v13, v25
	v_add_f32_e32 v13, v14, v15
	v_add_f32_e32 v8, v8, v12
	v_mul_f32_e32 v32, v13, v30
	v_sub_f32_e32 v12, v14, v13
	v_mul_f32_e32 v14, v25, v32
	v_fma_f32 v26, v32, v25, -v14
	v_fmac_f32_e32 v26, v32, v8
	v_add_f32_e32 v31, v15, v12
	v_add_f32_e32 v12, v14, v26
	v_sub_f32_e32 v15, v13, v12
	v_pk_add_f32 v[28:29], v[12:13], v[14:15] neg_lo:[0,1] neg_hi:[0,1]
	v_mov_b32_e32 v27, v12
	v_pk_add_f32 v[12:13], v[28:29], v[26:27] neg_lo:[0,1] neg_hi:[0,1]
	v_cmp_eq_f32_e32 vcc, s13, v36
	v_add_f32_e32 v13, v31, v13
	v_add_f32_e32 v12, v12, v13
	;; [unrolled: 1-line block ×3, first 2 shown]
	v_mul_f32_e32 v31, v30, v13
	v_mul_f32_e32 v14, v25, v31
	v_fma_f32 v26, v31, v25, -v14
	v_fmac_f32_e32 v26, v31, v8
	v_sub_f32_e32 v8, v15, v13
	v_add_f32_e32 v8, v12, v8
	v_add_f32_e32 v12, v14, v26
	v_sub_f32_e32 v15, v13, v12
	v_pk_add_f32 v[28:29], v[12:13], v[14:15] neg_lo:[0,1] neg_hi:[0,1]
	v_mov_b32_e32 v27, v12
	v_pk_add_f32 v[12:13], v[28:29], v[26:27] neg_lo:[0,1] neg_hi:[0,1]
	s_or_b64 vcc, s[60:61], vcc
	v_add_f32_e32 v8, v8, v13
	v_add_f32_e32 v8, v12, v8
	;; [unrolled: 1-line block ×4, first 2 shown]
	v_sub_f32_e32 v12, v13, v32
	v_mul_f32_e32 v8, v30, v8
	v_sub_f32_e32 v12, v31, v12
	v_add_f32_e32 v8, v12, v8
	v_add_f32_e32 v14, v13, v8
	v_mul_f32_e32 v26, v14, v14
	v_fmamk_f32 v12, v26, 0x3e9b6dac, v135
	v_fmaak_f32 v25, v26, v12, 0x3f2aaada
	v_cvt_f32_i32_e32 v12, v23
	v_sub_f32_e32 v13, v14, v13
	v_sub_f32_e32 v8, v8, v13
	v_mul_f32_e32 v13, v14, v26
	v_pk_mul_f32 v[26:27], v[12:13], v[24:25]
	v_ldexp_f32 v15, v14, 1
	v_fma_f32 v14, v12, s15, -v26
	v_fmac_f32_e32 v14, 0xb102e308, v12
	v_pk_add_f32 v[12:13], v[26:27], v[14:15]
	v_ldexp_f32 v8, v8, 1
	v_sub_f32_e32 v15, v13, v15
	v_sub_f32_e32 v15, v27, v15
	v_add_f32_e32 v29, v8, v15
	v_mov_b32_e32 v28, v26
	v_pk_add_f32 v[26:27], v[12:13], v[26:27] neg_lo:[0,1] neg_hi:[0,1]
	v_pk_add_f32 v[30:31], v[12:13], v[28:29]
	v_mov_b32_e32 v15, v12
	v_mov_b32_e32 v27, v31
	v_pk_add_f32 v[32:33], v[14:15], v[26:27] neg_lo:[0,1] neg_hi:[0,1]
	v_pk_add_f32 v[14:15], v[14:15], v[26:27]
	s_nop 0
	v_mov_b32_e32 v8, v15
	v_pk_add_f32 v[26:27], v[8:9], v[12:13] neg_lo:[0,1] neg_hi:[0,1]
	v_mov_b32_e32 v14, v31
	v_mov_b32_e32 v23, v26
	v_pk_add_f32 v[34:35], v[30:31], v[22:23] neg_lo:[0,1] neg_hi:[0,1]
	v_mov_b32_e32 v30, v13
	v_mov_b32_e32 v31, v26
	;; [unrolled: 1-line block ×3, first 2 shown]
	v_pk_add_f32 v[14:15], v[14:15], v[30:31] neg_lo:[0,1] neg_hi:[0,1]
	v_mov_b32_e32 v26, v29
	v_mov_b32_e32 v27, v12
	v_pk_add_f32 v[12:13], v[26:27], v[14:15] neg_lo:[0,1] neg_hi:[0,1]
	v_mov_b32_e32 v34, v32
	v_pk_add_f32 v[14:15], v[34:35], v[12:13]
	s_nop 0
	v_mov_b32_e32 v26, v15
	v_pk_add_f32 v[26:27], v[14:15], v[26:27]
	s_nop 0
	v_pk_add_f32 v[28:29], v[8:9], v[26:27]
	v_mov_b32_e32 v13, v26
	v_mov_b32_e32 v15, v28
	v_pk_add_f32 v[30:31], v[14:15], v[32:33] neg_lo:[0,1] neg_hi:[0,1]
	s_nop 0
	v_sub_f32_e32 v8, v14, v30
	v_pk_add_f32 v[12:13], v[12:13], v[30:31] neg_lo:[0,1] neg_hi:[0,1]
	v_sub_f32_e32 v8, v32, v8
	v_add_f32_e32 v8, v12, v8
	v_add_f32_e32 v8, v8, v13
	v_add_f32_e32 v8, v28, v8
	v_cndmask_b32_e32 v149, v8, v36, vcc
.LBB62_95:                              ;   in Loop: Header=BB62_13 Depth=1
	s_or_b64 exec, exec, s[4:5]
	v_lshlrev_b32_e32 v8, 16, v9
	v_readlane_b32 s2, v167, 2
	s_nop 1
	v_add_f32_e32 v150, s2, v8
	v_readlane_b32 s2, v167, 30
	v_cmp_ge_f32_e32 vcc, s6, v150
	v_readlane_b32 s3, v167, 31
	s_and_b64 s[2:3], s[2:3], vcc
	s_and_saveexec_b64 s[4:5], s[2:3]
	s_cbranch_execz .LBB62_97
; %bb.96:                               ;   in Loop: Header=BB62_13 Depth=1
	v_mul_f32_e32 v8, 0x3fb8aa3b, v150
	v_rndne_f32_e32 v12, v8
	v_sub_f32_e32 v13, v8, v12
	v_fma_f32 v8, v150, s10, -v8
	v_fmac_f32_e32 v8, 0x32a5705f, v150
	v_add_f32_e32 v8, v13, v8
	v_cvt_i32_f32_e32 v12, v12
	v_exp_f32_e32 v8, v8
	v_cmp_ngt_f32_e32 vcc, s11, v150
	v_ldexp_f32 v8, v8, v12
	s_nop 0
	v_cndmask_b32_e32 v8, 0, v8, vcc
	v_cmp_nlt_f32_e32 vcc, s12, v150
	s_nop 1
	v_cndmask_b32_e32 v36, v136, v8, vcc
	v_add_f32_e32 v8, 1.0, v36
	v_add_f32_e32 v12, -1.0, v8
	v_sub_f32_e32 v13, v12, v8
	v_add_f32_e32 v13, 1.0, v13
	v_sub_f32_e32 v12, v36, v12
	v_add_f32_e32 v14, v12, v13
	v_frexp_mant_f32_e32 v15, v8
	v_cvt_f64_f32_e32 v[12:13], v8
	v_frexp_exp_i32_f64_e32 v12, v[12:13]
	v_cmp_gt_f32_e32 vcc, s14, v15
	v_cmp_gt_f32_e64 s[60:61], s16, v36
	s_nop 0
	v_subbrev_co_u32_e32 v23, vcc, 0, v12, vcc
	v_sub_u32_e32 v12, 0, v23
	v_ldexp_f32 v8, v8, v12
	v_ldexp_f32 v12, v14, v12
	v_add_f32_e32 v14, -1.0, v8
	v_add_f32_e32 v13, 1.0, v14
	v_sub_f32_e32 v13, v8, v13
	v_add_f32_e32 v15, v12, v13
	v_add_f32_e32 v13, 1.0, v8
	v_add_f32_e32 v25, -1.0, v13
	v_sub_f32_e32 v8, v8, v25
	v_add_f32_e32 v8, v12, v8
	v_add_f32_e32 v25, v13, v8
	v_rcp_f32_e32 v30, v25
	v_sub_f32_e32 v12, v13, v25
	v_add_f32_e32 v13, v14, v15
	v_add_f32_e32 v8, v8, v12
	v_mul_f32_e32 v32, v13, v30
	v_sub_f32_e32 v12, v14, v13
	v_mul_f32_e32 v14, v25, v32
	v_fma_f32 v26, v32, v25, -v14
	v_fmac_f32_e32 v26, v32, v8
	v_add_f32_e32 v31, v15, v12
	v_add_f32_e32 v12, v14, v26
	v_sub_f32_e32 v15, v13, v12
	v_pk_add_f32 v[28:29], v[12:13], v[14:15] neg_lo:[0,1] neg_hi:[0,1]
	v_mov_b32_e32 v27, v12
	v_pk_add_f32 v[12:13], v[28:29], v[26:27] neg_lo:[0,1] neg_hi:[0,1]
	v_cmp_eq_f32_e32 vcc, s13, v36
	v_add_f32_e32 v13, v31, v13
	v_add_f32_e32 v12, v12, v13
	v_add_f32_e32 v13, v15, v12
	v_mul_f32_e32 v31, v30, v13
	v_mul_f32_e32 v14, v25, v31
	v_fma_f32 v26, v31, v25, -v14
	v_fmac_f32_e32 v26, v31, v8
	v_sub_f32_e32 v8, v15, v13
	v_add_f32_e32 v8, v12, v8
	v_add_f32_e32 v12, v14, v26
	v_sub_f32_e32 v15, v13, v12
	v_pk_add_f32 v[28:29], v[12:13], v[14:15] neg_lo:[0,1] neg_hi:[0,1]
	v_mov_b32_e32 v27, v12
	v_pk_add_f32 v[12:13], v[28:29], v[26:27] neg_lo:[0,1] neg_hi:[0,1]
	s_or_b64 vcc, s[60:61], vcc
	v_add_f32_e32 v8, v8, v13
	v_add_f32_e32 v8, v12, v8
	;; [unrolled: 1-line block ×4, first 2 shown]
	v_sub_f32_e32 v12, v13, v32
	v_mul_f32_e32 v8, v30, v8
	v_sub_f32_e32 v12, v31, v12
	v_add_f32_e32 v8, v12, v8
	v_add_f32_e32 v14, v13, v8
	v_mul_f32_e32 v26, v14, v14
	v_fmamk_f32 v12, v26, 0x3e9b6dac, v135
	v_fmaak_f32 v25, v26, v12, 0x3f2aaada
	v_cvt_f32_i32_e32 v12, v23
	v_sub_f32_e32 v13, v14, v13
	v_sub_f32_e32 v8, v8, v13
	v_mul_f32_e32 v13, v14, v26
	v_pk_mul_f32 v[26:27], v[12:13], v[24:25]
	v_ldexp_f32 v15, v14, 1
	v_fma_f32 v14, v12, s15, -v26
	v_fmac_f32_e32 v14, 0xb102e308, v12
	v_pk_add_f32 v[12:13], v[26:27], v[14:15]
	v_ldexp_f32 v8, v8, 1
	v_sub_f32_e32 v15, v13, v15
	v_sub_f32_e32 v15, v27, v15
	v_add_f32_e32 v29, v8, v15
	v_mov_b32_e32 v28, v26
	v_pk_add_f32 v[26:27], v[12:13], v[26:27] neg_lo:[0,1] neg_hi:[0,1]
	v_pk_add_f32 v[30:31], v[12:13], v[28:29]
	v_mov_b32_e32 v15, v12
	v_mov_b32_e32 v27, v31
	v_pk_add_f32 v[32:33], v[14:15], v[26:27] neg_lo:[0,1] neg_hi:[0,1]
	v_pk_add_f32 v[14:15], v[14:15], v[26:27]
	s_nop 0
	v_mov_b32_e32 v8, v15
	v_pk_add_f32 v[26:27], v[8:9], v[12:13] neg_lo:[0,1] neg_hi:[0,1]
	v_mov_b32_e32 v14, v31
	v_mov_b32_e32 v23, v26
	v_pk_add_f32 v[34:35], v[30:31], v[22:23] neg_lo:[0,1] neg_hi:[0,1]
	v_mov_b32_e32 v30, v13
	v_mov_b32_e32 v31, v26
	;; [unrolled: 1-line block ×3, first 2 shown]
	v_pk_add_f32 v[14:15], v[14:15], v[30:31] neg_lo:[0,1] neg_hi:[0,1]
	v_mov_b32_e32 v26, v29
	v_mov_b32_e32 v27, v12
	v_pk_add_f32 v[12:13], v[26:27], v[14:15] neg_lo:[0,1] neg_hi:[0,1]
	v_mov_b32_e32 v34, v32
	v_pk_add_f32 v[14:15], v[34:35], v[12:13]
	s_nop 0
	v_mov_b32_e32 v26, v15
	v_pk_add_f32 v[26:27], v[14:15], v[26:27]
	s_nop 0
	v_pk_add_f32 v[28:29], v[8:9], v[26:27]
	v_mov_b32_e32 v13, v26
	v_mov_b32_e32 v15, v28
	v_pk_add_f32 v[30:31], v[14:15], v[32:33] neg_lo:[0,1] neg_hi:[0,1]
	s_nop 0
	v_sub_f32_e32 v8, v14, v30
	v_pk_add_f32 v[12:13], v[12:13], v[30:31] neg_lo:[0,1] neg_hi:[0,1]
	v_sub_f32_e32 v8, v32, v8
	v_add_f32_e32 v8, v12, v8
	v_add_f32_e32 v8, v8, v13
	;; [unrolled: 1-line block ×3, first 2 shown]
	v_cndmask_b32_e32 v150, v8, v36, vcc
.LBB62_97:                              ;   in Loop: Header=BB62_13 Depth=1
	s_or_b64 exec, exec, s[4:5]
	v_and_b32_e32 v8, 0xffff0000, v9
	v_readlane_b32 s2, v167, 2
	s_nop 1
	v_add_f32_e32 v151, s2, v8
	v_readlane_b32 s2, v167, 30
	v_cmp_ge_f32_e32 vcc, s6, v151
	v_readlane_b32 s3, v167, 31
	s_and_b64 s[2:3], s[2:3], vcc
	s_and_saveexec_b64 s[4:5], s[2:3]
	s_cbranch_execz .LBB62_99
; %bb.98:                               ;   in Loop: Header=BB62_13 Depth=1
	v_mul_f32_e32 v8, 0x3fb8aa3b, v151
	v_rndne_f32_e32 v9, v8
	v_sub_f32_e32 v12, v8, v9
	v_fma_f32 v8, v151, s10, -v8
	v_fmac_f32_e32 v8, 0x32a5705f, v151
	v_add_f32_e32 v8, v12, v8
	v_cvt_i32_f32_e32 v9, v9
	v_exp_f32_e32 v8, v8
	v_cmp_ngt_f32_e32 vcc, s11, v151
	v_ldexp_f32 v8, v8, v9
	s_nop 0
	v_cndmask_b32_e32 v8, 0, v8, vcc
	v_cmp_nlt_f32_e32 vcc, s12, v151
	s_nop 1
	v_cndmask_b32_e32 v23, v136, v8, vcc
	v_add_f32_e32 v12, 1.0, v23
	v_add_f32_e32 v8, -1.0, v12
	v_sub_f32_e32 v9, v8, v12
	v_add_f32_e32 v9, 1.0, v9
	v_sub_f32_e32 v8, v23, v8
	v_add_f32_e32 v13, v8, v9
	v_frexp_mant_f32_e32 v14, v12
	v_cvt_f64_f32_e32 v[8:9], v12
	v_frexp_exp_i32_f64_e32 v8, v[8:9]
	v_cmp_gt_f32_e32 vcc, s14, v14
	v_cmp_gt_f32_e64 s[60:61], s16, v23
	s_nop 0
	v_subbrev_co_u32_e32 v28, vcc, 0, v8, vcc
	v_sub_u32_e32 v8, 0, v28
	v_ldexp_f32 v9, v12, v8
	v_add_f32_e32 v12, -1.0, v9
	v_add_f32_e32 v14, 1.0, v9
	v_ldexp_f32 v8, v13, v8
	v_add_f32_e32 v13, 1.0, v12
	v_add_f32_e32 v15, -1.0, v14
	v_sub_f32_e32 v13, v9, v13
	v_sub_f32_e32 v9, v9, v15
	v_add_f32_e32 v13, v8, v13
	v_add_f32_e32 v8, v8, v9
	;; [unrolled: 1-line block ×3, first 2 shown]
	v_rcp_f32_e32 v30, v25
	v_sub_f32_e32 v9, v14, v25
	v_add_f32_e32 v29, v8, v9
	v_add_f32_e32 v9, v12, v13
	v_mul_f32_e32 v32, v9, v30
	v_sub_f32_e32 v8, v12, v9
	v_mul_f32_e32 v12, v25, v32
	v_fma_f32 v14, v32, v25, -v12
	v_fmac_f32_e32 v14, v32, v29
	v_add_f32_e32 v31, v13, v8
	v_add_f32_e32 v8, v12, v14
	v_sub_f32_e32 v13, v9, v8
	v_pk_add_f32 v[26:27], v[8:9], v[12:13] neg_lo:[0,1] neg_hi:[0,1]
	v_mov_b32_e32 v15, v8
	v_pk_add_f32 v[8:9], v[26:27], v[14:15] neg_lo:[0,1] neg_hi:[0,1]
	v_cmp_eq_f32_e32 vcc, s13, v23
	v_add_f32_e32 v9, v31, v9
	v_add_f32_e32 v8, v8, v9
	;; [unrolled: 1-line block ×3, first 2 shown]
	v_mul_f32_e32 v31, v30, v9
	v_mul_f32_e32 v12, v25, v31
	v_fma_f32 v14, v31, v25, -v12
	v_fmac_f32_e32 v14, v31, v29
	v_sub_f32_e32 v13, v13, v9
	v_add_f32_e32 v25, v8, v13
	v_add_f32_e32 v8, v12, v14
	v_sub_f32_e32 v13, v9, v8
	v_pk_add_f32 v[26:27], v[8:9], v[12:13] neg_lo:[0,1] neg_hi:[0,1]
	v_mov_b32_e32 v15, v8
	v_pk_add_f32 v[8:9], v[26:27], v[14:15] neg_lo:[0,1] neg_hi:[0,1]
	s_or_b64 vcc, s[60:61], vcc
	v_add_f32_e32 v9, v25, v9
	v_add_f32_e32 v8, v8, v9
	;; [unrolled: 1-line block ×4, first 2 shown]
	v_sub_f32_e32 v12, v9, v32
	v_mul_f32_e32 v8, v30, v8
	v_sub_f32_e32 v12, v31, v12
	v_add_f32_e32 v12, v12, v8
	v_add_f32_e32 v14, v9, v12
	v_mul_f32_e32 v15, v14, v14
	v_fmamk_f32 v8, v15, 0x3e9b6dac, v135
	v_fmaak_f32 v25, v15, v8, 0x3f2aaada
	v_cvt_f32_i32_e32 v8, v28
	v_sub_f32_e32 v9, v14, v9
	v_sub_f32_e32 v9, v12, v9
	v_ldexp_f32 v26, v9, 1
	v_mul_f32_e32 v9, v14, v15
	v_ldexp_f32 v13, v14, 1
	v_pk_mul_f32 v[14:15], v[8:9], v[24:25]
	s_nop 0
	v_fma_f32 v12, v8, s15, -v14
	v_fmac_f32_e32 v12, 0xb102e308, v8
	v_pk_add_f32 v[8:9], v[14:15], v[12:13]
	s_nop 0
	v_sub_f32_e32 v13, v9, v13
	v_sub_f32_e32 v13, v15, v13
	v_add_f32_e32 v27, v26, v13
	v_mov_b32_e32 v26, v14
	v_pk_add_f32 v[14:15], v[8:9], v[14:15] neg_lo:[0,1] neg_hi:[0,1]
	v_pk_add_f32 v[28:29], v[8:9], v[26:27]
	v_mov_b32_e32 v13, v8
	v_mov_b32_e32 v15, v29
	v_pk_add_f32 v[30:31], v[12:13], v[14:15] neg_lo:[0,1] neg_hi:[0,1]
	v_pk_add_f32 v[12:13], v[12:13], v[14:15]
	v_mov_b32_e32 v26, v27
	v_mov_b32_e32 v14, v13
	v_pk_add_f32 v[32:33], v[14:15], v[8:9] neg_lo:[0,1] neg_hi:[0,1]
	v_mov_b32_e32 v12, v29
	v_mov_b32_e32 v15, v32
	v_pk_add_f32 v[34:35], v[28:29], v[14:15] neg_lo:[0,1] neg_hi:[0,1]
	v_mov_b32_e32 v28, v9
	v_mov_b32_e32 v29, v32
	;; [unrolled: 1-line block ×3, first 2 shown]
	v_pk_add_f32 v[12:13], v[12:13], v[28:29] neg_lo:[0,1] neg_hi:[0,1]
	v_mov_b32_e32 v27, v8
	v_pk_add_f32 v[8:9], v[26:27], v[12:13] neg_lo:[0,1] neg_hi:[0,1]
	v_mov_b32_e32 v34, v30
	v_pk_add_f32 v[12:13], v[34:35], v[8:9]
	s_nop 0
	v_mov_b32_e32 v26, v13
	v_pk_add_f32 v[26:27], v[12:13], v[26:27]
	s_nop 0
	v_pk_add_f32 v[14:15], v[14:15], v[26:27]
	v_mov_b32_e32 v9, v26
	v_mov_b32_e32 v13, v14
	v_pk_add_f32 v[28:29], v[12:13], v[30:31] neg_lo:[0,1] neg_hi:[0,1]
	s_nop 0
	v_sub_f32_e32 v12, v12, v28
	v_pk_add_f32 v[8:9], v[8:9], v[28:29] neg_lo:[0,1] neg_hi:[0,1]
	v_sub_f32_e32 v12, v30, v12
	v_add_f32_e32 v8, v8, v12
	v_add_f32_e32 v8, v8, v9
	;; [unrolled: 1-line block ×3, first 2 shown]
	v_cndmask_b32_e32 v151, v8, v23, vcc
.LBB62_99:                              ;   in Loop: Header=BB62_13 Depth=1
	s_or_b64 exec, exec, s[4:5]
	v_lshlrev_b32_e32 v8, 16, v10
	v_readlane_b32 s2, v167, 2
	s_nop 1
	v_add_f32_e32 v152, s2, v8
	v_readlane_b32 s2, v167, 30
	v_cmp_ge_f32_e32 vcc, s6, v152
	v_readlane_b32 s3, v167, 31
	s_and_b64 s[2:3], s[2:3], vcc
	s_and_saveexec_b64 s[4:5], s[2:3]
	s_cbranch_execz .LBB62_101
; %bb.100:                              ;   in Loop: Header=BB62_13 Depth=1
	v_mul_f32_e32 v8, 0x3fb8aa3b, v152
	v_rndne_f32_e32 v9, v8
	v_sub_f32_e32 v12, v8, v9
	v_fma_f32 v8, v152, s10, -v8
	v_fmac_f32_e32 v8, 0x32a5705f, v152
	v_add_f32_e32 v8, v12, v8
	v_cvt_i32_f32_e32 v9, v9
	v_exp_f32_e32 v8, v8
	v_cmp_ngt_f32_e32 vcc, s11, v152
	v_ldexp_f32 v8, v8, v9
	s_nop 0
	v_cndmask_b32_e32 v8, 0, v8, vcc
	v_cmp_nlt_f32_e32 vcc, s12, v152
	s_nop 1
	v_cndmask_b32_e32 v23, v136, v8, vcc
	v_add_f32_e32 v12, 1.0, v23
	v_add_f32_e32 v8, -1.0, v12
	v_sub_f32_e32 v9, v8, v12
	v_add_f32_e32 v9, 1.0, v9
	v_sub_f32_e32 v8, v23, v8
	v_add_f32_e32 v13, v8, v9
	v_frexp_mant_f32_e32 v14, v12
	v_cvt_f64_f32_e32 v[8:9], v12
	v_frexp_exp_i32_f64_e32 v8, v[8:9]
	v_cmp_gt_f32_e32 vcc, s14, v14
	v_cmp_gt_f32_e64 s[60:61], s16, v23
	s_nop 0
	v_subbrev_co_u32_e32 v28, vcc, 0, v8, vcc
	v_sub_u32_e32 v8, 0, v28
	v_ldexp_f32 v9, v12, v8
	v_add_f32_e32 v12, -1.0, v9
	v_add_f32_e32 v14, 1.0, v9
	v_ldexp_f32 v8, v13, v8
	v_add_f32_e32 v13, 1.0, v12
	v_add_f32_e32 v15, -1.0, v14
	v_sub_f32_e32 v13, v9, v13
	v_sub_f32_e32 v9, v9, v15
	v_add_f32_e32 v13, v8, v13
	v_add_f32_e32 v8, v8, v9
	;; [unrolled: 1-line block ×3, first 2 shown]
	v_rcp_f32_e32 v30, v25
	v_sub_f32_e32 v9, v14, v25
	v_add_f32_e32 v29, v8, v9
	v_add_f32_e32 v9, v12, v13
	v_mul_f32_e32 v32, v9, v30
	v_sub_f32_e32 v8, v12, v9
	v_mul_f32_e32 v12, v25, v32
	v_fma_f32 v14, v32, v25, -v12
	v_fmac_f32_e32 v14, v32, v29
	v_add_f32_e32 v31, v13, v8
	v_add_f32_e32 v8, v12, v14
	v_sub_f32_e32 v13, v9, v8
	v_pk_add_f32 v[26:27], v[8:9], v[12:13] neg_lo:[0,1] neg_hi:[0,1]
	v_mov_b32_e32 v15, v8
	v_pk_add_f32 v[8:9], v[26:27], v[14:15] neg_lo:[0,1] neg_hi:[0,1]
	v_cmp_eq_f32_e32 vcc, s13, v23
	v_add_f32_e32 v9, v31, v9
	v_add_f32_e32 v8, v8, v9
	;; [unrolled: 1-line block ×3, first 2 shown]
	v_mul_f32_e32 v31, v30, v9
	v_mul_f32_e32 v12, v25, v31
	v_fma_f32 v14, v31, v25, -v12
	v_fmac_f32_e32 v14, v31, v29
	v_sub_f32_e32 v13, v13, v9
	v_add_f32_e32 v25, v8, v13
	v_add_f32_e32 v8, v12, v14
	v_sub_f32_e32 v13, v9, v8
	v_pk_add_f32 v[26:27], v[8:9], v[12:13] neg_lo:[0,1] neg_hi:[0,1]
	v_mov_b32_e32 v15, v8
	v_pk_add_f32 v[8:9], v[26:27], v[14:15] neg_lo:[0,1] neg_hi:[0,1]
	s_or_b64 vcc, s[60:61], vcc
	v_add_f32_e32 v9, v25, v9
	v_add_f32_e32 v8, v8, v9
	;; [unrolled: 1-line block ×4, first 2 shown]
	v_sub_f32_e32 v12, v9, v32
	v_mul_f32_e32 v8, v30, v8
	v_sub_f32_e32 v12, v31, v12
	v_add_f32_e32 v12, v12, v8
	v_add_f32_e32 v14, v9, v12
	v_mul_f32_e32 v15, v14, v14
	v_fmamk_f32 v8, v15, 0x3e9b6dac, v135
	v_fmaak_f32 v25, v15, v8, 0x3f2aaada
	v_cvt_f32_i32_e32 v8, v28
	v_sub_f32_e32 v9, v14, v9
	v_sub_f32_e32 v9, v12, v9
	v_ldexp_f32 v26, v9, 1
	v_mul_f32_e32 v9, v14, v15
	v_ldexp_f32 v13, v14, 1
	v_pk_mul_f32 v[14:15], v[8:9], v[24:25]
	s_nop 0
	v_fma_f32 v12, v8, s15, -v14
	v_fmac_f32_e32 v12, 0xb102e308, v8
	v_pk_add_f32 v[8:9], v[14:15], v[12:13]
	s_nop 0
	v_sub_f32_e32 v13, v9, v13
	v_sub_f32_e32 v13, v15, v13
	v_add_f32_e32 v27, v26, v13
	v_mov_b32_e32 v26, v14
	v_pk_add_f32 v[14:15], v[8:9], v[14:15] neg_lo:[0,1] neg_hi:[0,1]
	v_pk_add_f32 v[28:29], v[8:9], v[26:27]
	v_mov_b32_e32 v13, v8
	v_mov_b32_e32 v15, v29
	v_pk_add_f32 v[30:31], v[12:13], v[14:15] neg_lo:[0,1] neg_hi:[0,1]
	v_pk_add_f32 v[12:13], v[12:13], v[14:15]
	v_mov_b32_e32 v26, v27
	v_mov_b32_e32 v14, v13
	v_pk_add_f32 v[32:33], v[14:15], v[8:9] neg_lo:[0,1] neg_hi:[0,1]
	v_mov_b32_e32 v12, v29
	v_mov_b32_e32 v15, v32
	v_pk_add_f32 v[34:35], v[28:29], v[14:15] neg_lo:[0,1] neg_hi:[0,1]
	v_mov_b32_e32 v28, v9
	v_mov_b32_e32 v29, v32
	;; [unrolled: 1-line block ×3, first 2 shown]
	v_pk_add_f32 v[12:13], v[12:13], v[28:29] neg_lo:[0,1] neg_hi:[0,1]
	v_mov_b32_e32 v27, v8
	v_pk_add_f32 v[8:9], v[26:27], v[12:13] neg_lo:[0,1] neg_hi:[0,1]
	v_mov_b32_e32 v34, v30
	v_pk_add_f32 v[12:13], v[34:35], v[8:9]
	s_nop 0
	v_mov_b32_e32 v26, v13
	v_pk_add_f32 v[26:27], v[12:13], v[26:27]
	s_nop 0
	v_pk_add_f32 v[14:15], v[14:15], v[26:27]
	v_mov_b32_e32 v9, v26
	v_mov_b32_e32 v13, v14
	v_pk_add_f32 v[28:29], v[12:13], v[30:31] neg_lo:[0,1] neg_hi:[0,1]
	s_nop 0
	v_sub_f32_e32 v12, v12, v28
	v_pk_add_f32 v[8:9], v[8:9], v[28:29] neg_lo:[0,1] neg_hi:[0,1]
	v_sub_f32_e32 v12, v30, v12
	v_add_f32_e32 v8, v8, v12
	v_add_f32_e32 v8, v8, v9
	;; [unrolled: 1-line block ×3, first 2 shown]
	v_cndmask_b32_e32 v152, v8, v23, vcc
.LBB62_101:                             ;   in Loop: Header=BB62_13 Depth=1
	s_or_b64 exec, exec, s[4:5]
	v_and_b32_e32 v8, 0xffff0000, v10
	v_readlane_b32 s2, v167, 2
	s_nop 1
	v_add_f32_e32 v153, s2, v8
	v_readlane_b32 s2, v167, 30
	v_cmp_ge_f32_e32 vcc, s6, v153
	v_readlane_b32 s3, v167, 31
	s_and_b64 s[2:3], s[2:3], vcc
	s_and_saveexec_b64 s[4:5], s[2:3]
	s_cbranch_execz .LBB62_103
; %bb.102:                              ;   in Loop: Header=BB62_13 Depth=1
	v_mul_f32_e32 v8, 0x3fb8aa3b, v153
	v_rndne_f32_e32 v9, v8
	v_sub_f32_e32 v10, v8, v9
	v_fma_f32 v8, v153, s10, -v8
	v_fmac_f32_e32 v8, 0x32a5705f, v153
	v_add_f32_e32 v8, v10, v8
	v_cvt_i32_f32_e32 v9, v9
	v_exp_f32_e32 v8, v8
	v_cmp_ngt_f32_e32 vcc, s11, v153
	v_ldexp_f32 v8, v8, v9
	s_nop 0
	v_cndmask_b32_e32 v8, 0, v8, vcc
	v_cmp_nlt_f32_e32 vcc, s12, v153
	s_nop 1
	v_cndmask_b32_e32 v23, v136, v8, vcc
	v_add_f32_e32 v10, 1.0, v23
	v_add_f32_e32 v8, -1.0, v10
	v_sub_f32_e32 v9, v8, v10
	v_add_f32_e32 v9, 1.0, v9
	v_sub_f32_e32 v8, v23, v8
	v_add_f32_e32 v12, v8, v9
	v_frexp_mant_f32_e32 v13, v10
	v_cvt_f64_f32_e32 v[8:9], v10
	v_frexp_exp_i32_f64_e32 v8, v[8:9]
	v_cmp_gt_f32_e32 vcc, s14, v13
	v_cmp_gt_f32_e64 s[60:61], s16, v23
	s_nop 0
	v_subbrev_co_u32_e32 v28, vcc, 0, v8, vcc
	v_sub_u32_e32 v8, 0, v28
	v_ldexp_f32 v9, v10, v8
	v_add_f32_e32 v10, -1.0, v9
	v_add_f32_e32 v13, 1.0, v9
	v_ldexp_f32 v8, v12, v8
	v_add_f32_e32 v12, 1.0, v10
	v_add_f32_e32 v14, -1.0, v13
	v_sub_f32_e32 v12, v9, v12
	v_sub_f32_e32 v9, v9, v14
	v_add_f32_e32 v12, v8, v12
	v_add_f32_e32 v8, v8, v9
	;; [unrolled: 1-line block ×3, first 2 shown]
	v_rcp_f32_e32 v30, v25
	v_sub_f32_e32 v9, v13, v25
	v_add_f32_e32 v29, v8, v9
	v_add_f32_e32 v9, v10, v12
	v_sub_f32_e32 v8, v10, v9
	v_mul_f32_e32 v31, v9, v30
	v_add_f32_e32 v10, v12, v8
	v_mul_f32_e32 v12, v25, v31
	v_fma_f32 v14, v31, v25, -v12
	v_fmac_f32_e32 v14, v31, v29
	v_add_f32_e32 v8, v12, v14
	v_sub_f32_e32 v13, v9, v8
	v_pk_add_f32 v[26:27], v[8:9], v[12:13] neg_lo:[0,1] neg_hi:[0,1]
	v_mov_b32_e32 v15, v8
	v_pk_add_f32 v[8:9], v[26:27], v[14:15] neg_lo:[0,1] neg_hi:[0,1]
	v_cmp_eq_f32_e32 vcc, s13, v23
	v_add_f32_e32 v9, v10, v9
	v_add_f32_e32 v8, v8, v9
	;; [unrolled: 1-line block ×3, first 2 shown]
	v_mul_f32_e32 v10, v30, v9
	v_mul_f32_e32 v12, v25, v10
	v_fma_f32 v14, v10, v25, -v12
	v_fmac_f32_e32 v14, v10, v29
	v_sub_f32_e32 v13, v13, v9
	v_add_f32_e32 v25, v8, v13
	v_add_f32_e32 v8, v12, v14
	v_sub_f32_e32 v13, v9, v8
	v_pk_add_f32 v[26:27], v[8:9], v[12:13] neg_lo:[0,1] neg_hi:[0,1]
	v_mov_b32_e32 v15, v8
	v_pk_add_f32 v[8:9], v[26:27], v[14:15] neg_lo:[0,1] neg_hi:[0,1]
	s_or_b64 vcc, s[60:61], vcc
	v_add_f32_e32 v9, v25, v9
	v_add_f32_e32 v8, v8, v9
	;; [unrolled: 1-line block ×4, first 2 shown]
	v_sub_f32_e32 v12, v9, v31
	v_mul_f32_e32 v8, v30, v8
	v_sub_f32_e32 v10, v10, v12
	v_add_f32_e32 v10, v10, v8
	v_add_f32_e32 v12, v9, v10
	v_mul_f32_e32 v14, v12, v12
	v_fmamk_f32 v8, v14, 0x3e9b6dac, v135
	v_fmaak_f32 v25, v14, v8, 0x3f2aaada
	v_cvt_f32_i32_e32 v8, v28
	v_sub_f32_e32 v9, v12, v9
	v_sub_f32_e32 v9, v10, v9
	v_ldexp_f32 v10, v9, 1
	v_mul_f32_e32 v9, v12, v14
	v_pk_mul_f32 v[14:15], v[8:9], v[24:25]
	v_ldexp_f32 v13, v12, 1
	v_fma_f32 v12, v8, s15, -v14
	v_fmac_f32_e32 v12, 0xb102e308, v8
	v_pk_add_f32 v[8:9], v[14:15], v[12:13]
	v_mov_b32_e32 v26, v14
	v_sub_f32_e32 v13, v9, v13
	v_sub_f32_e32 v13, v15, v13
	v_add_f32_e32 v27, v10, v13
	v_pk_add_f32 v[14:15], v[8:9], v[14:15] neg_lo:[0,1] neg_hi:[0,1]
	v_pk_add_f32 v[28:29], v[8:9], v[26:27]
	v_mov_b32_e32 v13, v8
	v_mov_b32_e32 v15, v29
	v_pk_add_f32 v[30:31], v[12:13], v[14:15] neg_lo:[0,1] neg_hi:[0,1]
	v_pk_add_f32 v[12:13], v[12:13], v[14:15]
	s_nop 0
	v_mov_b32_e32 v10, v13
	v_pk_add_f32 v[14:15], v[10:11], v[8:9] neg_lo:[0,1] neg_hi:[0,1]
	v_mov_b32_e32 v12, v29
	v_mov_b32_e32 v15, v14
	v_pk_add_f32 v[32:33], v[28:29], v[14:15] neg_lo:[0,1] neg_hi:[0,1]
	v_mov_b32_e32 v28, v9
	v_mov_b32_e32 v29, v14
	;; [unrolled: 1-line block ×3, first 2 shown]
	v_pk_add_f32 v[12:13], v[12:13], v[28:29] neg_lo:[0,1] neg_hi:[0,1]
	v_mov_b32_e32 v14, v27
	v_mov_b32_e32 v15, v8
	v_pk_add_f32 v[8:9], v[14:15], v[12:13] neg_lo:[0,1] neg_hi:[0,1]
	v_mov_b32_e32 v32, v30
	v_pk_add_f32 v[12:13], v[32:33], v[8:9]
	s_nop 0
	v_mov_b32_e32 v14, v13
	v_pk_add_f32 v[14:15], v[12:13], v[14:15]
	s_nop 0
	v_pk_add_f32 v[26:27], v[10:11], v[14:15]
	v_mov_b32_e32 v9, v14
	v_mov_b32_e32 v13, v26
	v_pk_add_f32 v[28:29], v[12:13], v[30:31] neg_lo:[0,1] neg_hi:[0,1]
	s_nop 0
	v_sub_f32_e32 v10, v12, v28
	v_pk_add_f32 v[8:9], v[8:9], v[28:29] neg_lo:[0,1] neg_hi:[0,1]
	v_sub_f32_e32 v10, v30, v10
	v_add_f32_e32 v8, v8, v10
	v_add_f32_e32 v8, v8, v9
	;; [unrolled: 1-line block ×3, first 2 shown]
	v_cndmask_b32_e32 v153, v8, v23, vcc
.LBB62_103:                             ;   in Loop: Header=BB62_13 Depth=1
	s_or_b64 exec, exec, s[4:5]
	v_lshlrev_b32_e32 v8, 16, v11
	v_readlane_b32 s2, v167, 2
	s_nop 1
	v_add_f32_e32 v26, s2, v8
	v_readlane_b32 s2, v167, 30
	v_cmp_ge_f32_e32 vcc, s6, v26
	v_readlane_b32 s3, v167, 31
	s_and_b64 s[2:3], s[2:3], vcc
	s_and_saveexec_b64 s[4:5], s[2:3]
	s_cbranch_execz .LBB62_105
; %bb.104:                              ;   in Loop: Header=BB62_13 Depth=1
	v_mul_f32_e32 v8, 0x3fb8aa3b, v26
	v_rndne_f32_e32 v9, v8
	v_sub_f32_e32 v10, v8, v9
	v_fma_f32 v8, v26, s10, -v8
	v_fmac_f32_e32 v8, 0x32a5705f, v26
	v_add_f32_e32 v8, v10, v8
	v_cvt_i32_f32_e32 v9, v9
	v_exp_f32_e32 v8, v8
	v_cmp_ngt_f32_e32 vcc, s11, v26
	v_ldexp_f32 v8, v8, v9
	s_nop 0
	v_cndmask_b32_e32 v8, 0, v8, vcc
	v_cmp_nlt_f32_e32 vcc, s12, v26
	s_nop 1
	v_cndmask_b32_e32 v23, v136, v8, vcc
	v_add_f32_e32 v10, 1.0, v23
	v_add_f32_e32 v8, -1.0, v10
	v_sub_f32_e32 v9, v8, v10
	v_add_f32_e32 v9, 1.0, v9
	v_sub_f32_e32 v8, v23, v8
	v_add_f32_e32 v12, v8, v9
	v_frexp_mant_f32_e32 v13, v10
	v_cvt_f64_f32_e32 v[8:9], v10
	v_frexp_exp_i32_f64_e32 v8, v[8:9]
	v_cmp_gt_f32_e32 vcc, s14, v13
	v_cmp_gt_f32_e64 s[60:61], s16, v23
	s_nop 0
	v_subbrev_co_u32_e32 v28, vcc, 0, v8, vcc
	v_sub_u32_e32 v8, 0, v28
	v_ldexp_f32 v9, v10, v8
	v_add_f32_e32 v10, -1.0, v9
	v_add_f32_e32 v13, 1.0, v9
	v_ldexp_f32 v8, v12, v8
	v_add_f32_e32 v12, 1.0, v10
	v_add_f32_e32 v14, -1.0, v13
	v_sub_f32_e32 v12, v9, v12
	v_sub_f32_e32 v9, v9, v14
	v_add_f32_e32 v12, v8, v12
	v_add_f32_e32 v8, v8, v9
	;; [unrolled: 1-line block ×3, first 2 shown]
	v_rcp_f32_e32 v30, v25
	v_sub_f32_e32 v9, v13, v25
	v_add_f32_e32 v29, v8, v9
	v_add_f32_e32 v9, v10, v12
	v_sub_f32_e32 v8, v10, v9
	v_mul_f32_e32 v31, v9, v30
	v_add_f32_e32 v10, v12, v8
	v_mul_f32_e32 v12, v25, v31
	v_fma_f32 v14, v31, v25, -v12
	v_fmac_f32_e32 v14, v31, v29
	v_add_f32_e32 v8, v12, v14
	v_sub_f32_e32 v13, v9, v8
	v_pk_add_f32 v[26:27], v[8:9], v[12:13] neg_lo:[0,1] neg_hi:[0,1]
	v_mov_b32_e32 v15, v8
	v_pk_add_f32 v[8:9], v[26:27], v[14:15] neg_lo:[0,1] neg_hi:[0,1]
	v_cmp_eq_f32_e32 vcc, s13, v23
	v_add_f32_e32 v9, v10, v9
	v_add_f32_e32 v8, v8, v9
	;; [unrolled: 1-line block ×3, first 2 shown]
	v_mul_f32_e32 v10, v30, v9
	v_mul_f32_e32 v12, v25, v10
	v_fma_f32 v14, v10, v25, -v12
	v_fmac_f32_e32 v14, v10, v29
	v_sub_f32_e32 v13, v13, v9
	v_add_f32_e32 v25, v8, v13
	v_add_f32_e32 v8, v12, v14
	v_sub_f32_e32 v13, v9, v8
	v_pk_add_f32 v[26:27], v[8:9], v[12:13] neg_lo:[0,1] neg_hi:[0,1]
	v_mov_b32_e32 v15, v8
	v_pk_add_f32 v[8:9], v[26:27], v[14:15] neg_lo:[0,1] neg_hi:[0,1]
	s_or_b64 vcc, s[60:61], vcc
	v_add_f32_e32 v9, v25, v9
	v_add_f32_e32 v8, v8, v9
	;; [unrolled: 1-line block ×4, first 2 shown]
	v_sub_f32_e32 v12, v9, v31
	v_mul_f32_e32 v8, v30, v8
	v_sub_f32_e32 v10, v10, v12
	v_add_f32_e32 v10, v10, v8
	v_add_f32_e32 v12, v9, v10
	v_mul_f32_e32 v14, v12, v12
	v_fmamk_f32 v8, v14, 0x3e9b6dac, v135
	v_fmaak_f32 v25, v14, v8, 0x3f2aaada
	v_cvt_f32_i32_e32 v8, v28
	v_sub_f32_e32 v9, v12, v9
	v_sub_f32_e32 v9, v10, v9
	v_ldexp_f32 v10, v9, 1
	v_mul_f32_e32 v9, v12, v14
	v_pk_mul_f32 v[14:15], v[8:9], v[24:25]
	v_ldexp_f32 v13, v12, 1
	v_fma_f32 v12, v8, s15, -v14
	v_fmac_f32_e32 v12, 0xb102e308, v8
	v_pk_add_f32 v[8:9], v[14:15], v[12:13]
	v_mov_b32_e32 v26, v14
	v_sub_f32_e32 v13, v9, v13
	v_sub_f32_e32 v13, v15, v13
	v_add_f32_e32 v27, v10, v13
	v_pk_add_f32 v[14:15], v[8:9], v[14:15] neg_lo:[0,1] neg_hi:[0,1]
	v_pk_add_f32 v[28:29], v[8:9], v[26:27]
	v_mov_b32_e32 v13, v8
	v_mov_b32_e32 v15, v29
	v_pk_add_f32 v[30:31], v[12:13], v[14:15] neg_lo:[0,1] neg_hi:[0,1]
	v_pk_add_f32 v[12:13], v[12:13], v[14:15]
	s_nop 0
	v_mov_b32_e32 v10, v13
	v_pk_add_f32 v[14:15], v[10:11], v[8:9] neg_lo:[0,1] neg_hi:[0,1]
	v_mov_b32_e32 v12, v29
	v_mov_b32_e32 v15, v14
	v_pk_add_f32 v[32:33], v[28:29], v[14:15] neg_lo:[0,1] neg_hi:[0,1]
	v_mov_b32_e32 v28, v9
	v_mov_b32_e32 v29, v14
	;; [unrolled: 1-line block ×3, first 2 shown]
	v_pk_add_f32 v[12:13], v[12:13], v[28:29] neg_lo:[0,1] neg_hi:[0,1]
	v_mov_b32_e32 v14, v27
	v_mov_b32_e32 v15, v8
	v_pk_add_f32 v[8:9], v[14:15], v[12:13] neg_lo:[0,1] neg_hi:[0,1]
	v_mov_b32_e32 v32, v30
	v_pk_add_f32 v[12:13], v[32:33], v[8:9]
	s_nop 0
	v_mov_b32_e32 v14, v13
	v_pk_add_f32 v[14:15], v[12:13], v[14:15]
	s_nop 0
	v_pk_add_f32 v[26:27], v[10:11], v[14:15]
	v_mov_b32_e32 v9, v14
	v_mov_b32_e32 v13, v26
	v_pk_add_f32 v[28:29], v[12:13], v[30:31] neg_lo:[0,1] neg_hi:[0,1]
	s_nop 0
	v_sub_f32_e32 v10, v12, v28
	v_pk_add_f32 v[8:9], v[8:9], v[28:29] neg_lo:[0,1] neg_hi:[0,1]
	v_sub_f32_e32 v10, v30, v10
	v_add_f32_e32 v8, v8, v10
	v_add_f32_e32 v8, v8, v9
	;; [unrolled: 1-line block ×3, first 2 shown]
	v_cndmask_b32_e32 v26, v8, v23, vcc
.LBB62_105:                             ;   in Loop: Header=BB62_13 Depth=1
	s_or_b64 exec, exec, s[4:5]
	v_and_b32_e32 v8, 0xffff0000, v11
	v_readlane_b32 s2, v167, 2
	s_nop 1
	v_add_f32_e32 v27, s2, v8
	v_readlane_b32 s2, v167, 30
	v_cmp_ge_f32_e32 vcc, s6, v27
	v_readlane_b32 s3, v167, 31
	s_and_b64 s[2:3], s[2:3], vcc
	s_and_saveexec_b64 s[4:5], s[2:3]
	s_cbranch_execz .LBB62_107
; %bb.106:                              ;   in Loop: Header=BB62_13 Depth=1
	v_mul_f32_e32 v8, 0x3fb8aa3b, v27
	v_rndne_f32_e32 v9, v8
	v_sub_f32_e32 v10, v8, v9
	v_fma_f32 v8, v27, s10, -v8
	v_fmac_f32_e32 v8, 0x32a5705f, v27
	v_add_f32_e32 v8, v10, v8
	v_cvt_i32_f32_e32 v9, v9
	v_exp_f32_e32 v8, v8
	v_cmp_ngt_f32_e32 vcc, s11, v27
	v_ldexp_f32 v8, v8, v9
	s_nop 0
	v_cndmask_b32_e32 v8, 0, v8, vcc
	v_cmp_nlt_f32_e32 vcc, s12, v27
	s_nop 1
	v_cndmask_b32_e32 v23, v136, v8, vcc
	v_add_f32_e32 v10, 1.0, v23
	v_add_f32_e32 v8, -1.0, v10
	v_sub_f32_e32 v9, v8, v10
	v_add_f32_e32 v9, 1.0, v9
	v_sub_f32_e32 v8, v23, v8
	v_add_f32_e32 v11, v8, v9
	v_frexp_mant_f32_e32 v12, v10
	v_cvt_f64_f32_e32 v[8:9], v10
	v_frexp_exp_i32_f64_e32 v8, v[8:9]
	v_cmp_gt_f32_e32 vcc, s14, v12
	v_cmp_gt_f32_e64 s[60:61], s16, v23
	s_nop 0
	v_subbrev_co_u32_e32 v27, vcc, 0, v8, vcc
	v_sub_u32_e32 v8, 0, v27
	v_ldexp_f32 v9, v10, v8
	v_add_f32_e32 v10, -1.0, v9
	v_add_f32_e32 v12, 1.0, v9
	v_ldexp_f32 v8, v11, v8
	v_add_f32_e32 v11, 1.0, v10
	v_add_f32_e32 v13, -1.0, v12
	v_sub_f32_e32 v11, v9, v11
	v_sub_f32_e32 v9, v9, v13
	v_add_f32_e32 v11, v8, v11
	v_add_f32_e32 v8, v8, v9
	;; [unrolled: 1-line block ×3, first 2 shown]
	v_rcp_f32_e32 v29, v25
	v_sub_f32_e32 v9, v12, v25
	v_add_f32_e32 v28, v8, v9
	v_add_f32_e32 v9, v10, v11
	v_mul_f32_e32 v31, v9, v29
	v_sub_f32_e32 v8, v10, v9
	v_mul_f32_e32 v10, v25, v31
	v_fma_f32 v12, v31, v25, -v10
	v_fmac_f32_e32 v12, v31, v28
	v_add_f32_e32 v30, v11, v8
	v_add_f32_e32 v8, v10, v12
	v_sub_f32_e32 v11, v9, v8
	v_pk_add_f32 v[14:15], v[8:9], v[10:11] neg_lo:[0,1] neg_hi:[0,1]
	v_mov_b32_e32 v13, v8
	v_pk_add_f32 v[8:9], v[14:15], v[12:13] neg_lo:[0,1] neg_hi:[0,1]
	v_cmp_eq_f32_e32 vcc, s13, v23
	v_add_f32_e32 v9, v30, v9
	v_add_f32_e32 v8, v8, v9
	;; [unrolled: 1-line block ×3, first 2 shown]
	v_mul_f32_e32 v30, v29, v9
	v_mul_f32_e32 v10, v25, v30
	v_fma_f32 v12, v30, v25, -v10
	v_fmac_f32_e32 v12, v30, v28
	v_sub_f32_e32 v11, v11, v9
	v_add_f32_e32 v25, v8, v11
	v_add_f32_e32 v8, v10, v12
	v_sub_f32_e32 v11, v9, v8
	v_pk_add_f32 v[14:15], v[8:9], v[10:11] neg_lo:[0,1] neg_hi:[0,1]
	v_mov_b32_e32 v13, v8
	v_pk_add_f32 v[8:9], v[14:15], v[12:13] neg_lo:[0,1] neg_hi:[0,1]
	s_or_b64 vcc, s[60:61], vcc
	v_add_f32_e32 v9, v25, v9
	v_add_f32_e32 v8, v8, v9
	;; [unrolled: 1-line block ×4, first 2 shown]
	v_sub_f32_e32 v10, v9, v31
	v_mul_f32_e32 v8, v29, v8
	v_sub_f32_e32 v10, v30, v10
	v_add_f32_e32 v10, v10, v8
	v_add_f32_e32 v12, v9, v10
	v_mul_f32_e32 v13, v12, v12
	v_fmamk_f32 v8, v13, 0x3e9b6dac, v135
	v_fmaak_f32 v25, v13, v8, 0x3f2aaada
	v_cvt_f32_i32_e32 v8, v27
	v_sub_f32_e32 v9, v12, v9
	v_sub_f32_e32 v9, v10, v9
	v_ldexp_f32 v14, v9, 1
	v_mul_f32_e32 v9, v12, v13
	v_ldexp_f32 v11, v12, 1
	v_pk_mul_f32 v[12:13], v[8:9], v[24:25]
	s_nop 0
	v_fma_f32 v10, v8, s15, -v12
	v_fmac_f32_e32 v10, 0xb102e308, v8
	v_pk_add_f32 v[8:9], v[12:13], v[10:11]
	s_nop 0
	v_sub_f32_e32 v11, v9, v11
	v_sub_f32_e32 v11, v13, v11
	v_add_f32_e32 v15, v14, v11
	v_mov_b32_e32 v14, v12
	v_pk_add_f32 v[12:13], v[8:9], v[12:13] neg_lo:[0,1] neg_hi:[0,1]
	v_pk_add_f32 v[28:29], v[8:9], v[14:15]
	v_mov_b32_e32 v11, v8
	v_mov_b32_e32 v13, v29
	v_pk_add_f32 v[30:31], v[10:11], v[12:13] neg_lo:[0,1] neg_hi:[0,1]
	v_pk_add_f32 v[10:11], v[10:11], v[12:13]
	v_mov_b32_e32 v14, v15
	v_mov_b32_e32 v12, v11
	v_pk_add_f32 v[32:33], v[12:13], v[8:9] neg_lo:[0,1] neg_hi:[0,1]
	v_mov_b32_e32 v10, v29
	v_mov_b32_e32 v13, v32
	v_pk_add_f32 v[34:35], v[28:29], v[12:13] neg_lo:[0,1] neg_hi:[0,1]
	v_mov_b32_e32 v28, v9
	v_mov_b32_e32 v29, v32
	;; [unrolled: 1-line block ×3, first 2 shown]
	v_pk_add_f32 v[10:11], v[10:11], v[28:29] neg_lo:[0,1] neg_hi:[0,1]
	v_mov_b32_e32 v15, v8
	v_pk_add_f32 v[8:9], v[14:15], v[10:11] neg_lo:[0,1] neg_hi:[0,1]
	v_mov_b32_e32 v34, v30
	v_pk_add_f32 v[10:11], v[34:35], v[8:9]
	s_nop 0
	v_mov_b32_e32 v14, v11
	v_pk_add_f32 v[14:15], v[10:11], v[14:15]
	s_nop 0
	v_pk_add_f32 v[12:13], v[12:13], v[14:15]
	v_mov_b32_e32 v9, v14
	v_mov_b32_e32 v11, v12
	v_pk_add_f32 v[28:29], v[10:11], v[30:31] neg_lo:[0,1] neg_hi:[0,1]
	s_nop 0
	v_sub_f32_e32 v10, v10, v28
	v_pk_add_f32 v[8:9], v[8:9], v[28:29] neg_lo:[0,1] neg_hi:[0,1]
	v_sub_f32_e32 v10, v30, v10
	v_add_f32_e32 v8, v8, v10
	v_add_f32_e32 v8, v8, v9
	;; [unrolled: 1-line block ×3, first 2 shown]
	v_cndmask_b32_e32 v27, v8, v23, vcc
.LBB62_107:                             ;   in Loop: Header=BB62_13 Depth=1
	s_or_b64 exec, exec, s[4:5]
	v_lshlrev_b32_e32 v8, 16, v7
	v_readlane_b32 s2, v167, 3
	v_and_b32_e32 v15, 0xffff0000, v7
	v_and_b32_e32 v7, 0xffff0000, v6
	v_lshlrev_b32_e32 v6, 16, v6
	v_and_b32_e32 v9, 0xffff0000, v5
	v_lshlrev_b32_e32 v5, 16, v5
	;; [unrolled: 2-line block ×7, first 2 shown]
	v_mul_f32_e32 v28, s2, v8
	v_mul_f32_e32 v31, s2, v7
	;; [unrolled: 1-line block ×16, first 2 shown]
	v_readlane_b32 s2, v167, 33
	v_readlane_b32 s3, v167, 34
	s_and_b64 vcc, exec, s[2:3]
	s_barrier
	s_cbranch_vccz .LBB62_204
; %bb.108:                              ;   in Loop: Header=BB62_13 Depth=1
	v_readlane_b32 s2, v167, 8
	v_readlane_b32 s3, v167, 9
	v_mul_f32_e32 v166, v140, v0
	v_cmp_gt_u32_e32 vcc, s88, v19
	v_lshl_add_u64 v[44:45], s[2:3], 0, v[16:17]
	v_readlane_b32 s2, v167, 22
	v_readlane_b32 s3, v167, 23
	v_or_b32_e32 v0, 1, v19
	v_mov_b32_e32 v23, v17
	v_lshl_add_u64 v[46:47], s[2:3], 0, v[16:17]
	v_readlane_b32 s3, v167, 59
	s_cmp_lg_u32 s3, 0
	v_readlane_b32 s2, v167, 37
	s_cselect_b64 s[94:95], -1, 0
	s_cmp_eq_u32 s3, s2
	v_readlane_b32 s2, v167, 38
	v_readlane_b32 s3, v167, 39
	s_cselect_b64 s[96:97], -1, 0
	s_or_b64 s[60:61], s[2:3], vcc
	v_cmp_gt_u32_e32 vcc, s88, v0
	v_or_b32_e32 v0, 2, v19
	s_or_b64 s[62:63], s[2:3], vcc
	v_cmp_gt_u32_e32 vcc, s88, v0
	v_or_b32_e32 v0, 3, v19
	;; [unrolled: 3-line block ×14, first 2 shown]
	s_mov_b32 s6, 0
	v_cmp_gt_u32_e64 s[88:89], s88, v0
	v_mul_f32_e32 v25, v27, v15
	v_lshl_add_u64 v[44:45], v[44:45], 0, v[22:23]
	v_lshl_add_u64 v[46:47], v[46:47], 0, v[22:23]
	v_mul_f32_e32 v16, v26, v8
	v_mul_f32_e32 v23, v153, v7
	;; [unrolled: 1-line block ×14, first 2 shown]
	s_or_b64 s[88:89], s[2:3], s[88:89]
	s_or_b64 s[90:91], s[2:3], vcc
	s_mov_b32 s92, s6
	s_mov_b32 s98, s6
	;; [unrolled: 1-line block ×3, first 2 shown]
	v_readlane_b32 s8, v167, 32
	v_readlane_b32 s9, v167, 58
	s_branch .LBB62_110
.LBB62_109:                             ;   in Loop: Header=BB62_110 Depth=2
	s_or_b64 exec, exec, s[2:3]
	v_cndmask_b32_e64 v8, v8, v67, s[24:25]
	v_cndmask_b32_e64 v48, v58, v66, s[24:25]
	v_mul_f32_e32 v48, v48, v121
	v_fma_f32 v8, v8, v121, v120
	v_cndmask_b32_e64 v8, v8, v120, s[22:23]
	v_cndmask_b32_e64 v48, v48, v121, s[22:23]
	s_waitcnt lgkmcnt(0)
	v_fmac_f32_e32 v8, v61, v48
	v_fmac_f32_e32 v9, v8, v122
	;; [unrolled: 1-line block ×10, first 2 shown]
	v_readlane_b32 s12, v167, 24
	v_fmac_f32_e32 v54, v51, v131
	v_readlane_b32 s13, v167, 25
	v_readlane_b32 s14, v167, 26
	;; [unrolled: 1-line block ×3, first 2 shown]
	v_fmac_f32_e32 v55, v54, v132
	s_add_i32 s4, s4, s14
	v_readlane_b32 s12, v167, 18
	v_fmac_f32_e32 v52, v55, v60
	v_readlane_b32 s13, v167, 19
	v_readlane_b32 s14, v167, 20
	;; [unrolled: 1-line block ×3, first 2 shown]
	v_fmac_f32_e32 v53, v52, v56
	s_add_i32 s98, s98, s12
	v_readlane_b32 s12, v167, 10
	v_fmac_f32_e32 v57, v53, v62
	v_readlane_b32 s13, v167, 11
	v_readlane_b32 s16, v167, 14
	v_fmac_f32_e32 v59, v57, v63
	v_and_b32_e32 v49, 0xffff0000, v4
	v_and_b32_e32 v61, 0xffff0000, v5
	v_lshlrev_b32_e32 v48, 16, v4
	v_lshlrev_b32_e32 v60, 16, v5
	v_and_b32_e32 v5, 0xffff0000, v6
	v_and_b32_e32 v63, 0xffff0000, v7
	v_lshlrev_b32_e32 v4, 16, v6
	v_lshlrev_b32_e32 v62, 16, v7
	;; [unrolled: 4-line block ×4, first 2 shown]
	v_mov_b32_e32 v58, v57
	s_add_i32 s9, s9, 8
	s_add_i32 s8, s8, -1
	s_add_i32 s92, s92, s16
	s_add_i32 s6, s6, s13
	v_pk_fma_f32 v[40:41], v[10:11], v[60:61], v[40:41]
	v_pk_fma_f32 v[42:43], v[8:9], v[48:49], v[42:43]
	;; [unrolled: 1-line block ×7, first 2 shown]
	s_cmp_eq_u32 s8, 0
	v_pk_fma_f32 v[30:31], v[52:53], v[0:1], v[30:31]
	v_readlane_b32 s14, v167, 12
	v_readlane_b32 s15, v167, 13
	v_readlane_b32 s17, v167, 15
	v_readlane_b32 s18, v167, 16
	v_readlane_b32 s19, v167, 17
	s_cbranch_scc1 .LBB62_203
.LBB62_110:                             ;   Parent Loop BB62_13 Depth=1
                                        ; =>  This Inner Loop Header: Depth=2
	s_lshl_b64 s[2:3], s[6:7], 2
	v_readlane_b32 s5, v167, 6
	s_add_u32 s2, s5, s2
	v_readlane_b32 s5, v167, 7
	s_addc_u32 s3, s5, s3
	global_load_dword v50, v17, s[2:3]
	s_mov_b32 s93, s7
	v_lshl_add_u64 v[0:1], s[92:93], 1, v[44:45]
	v_mov_b32_e32 v2, 0
	v_mov_b32_e32 v3, 0
	s_and_saveexec_b64 s[2:3], s[26:27]
	s_cbranch_execz .LBB62_112
; %bb.111:                              ;   in Loop: Header=BB62_110 Depth=2
	global_load_ushort v3, v[0:1], off
.LBB62_112:                             ;   in Loop: Header=BB62_110 Depth=2
	s_or_b64 exec, exec, s[2:3]
	s_and_saveexec_b64 s[2:3], s[28:29]
	s_cbranch_execz .LBB62_114
; %bb.113:                              ;   in Loop: Header=BB62_110 Depth=2
	global_load_ushort v2, v[0:1], off offset:128
.LBB62_114:                             ;   in Loop: Header=BB62_110 Depth=2
	s_or_b64 exec, exec, s[2:3]
	v_mov_b32_e32 v4, 0
	v_mov_b32_e32 v5, 0
	s_and_saveexec_b64 s[2:3], s[30:31]
	s_cbranch_execz .LBB62_116
; %bb.115:                              ;   in Loop: Header=BB62_110 Depth=2
	global_load_ushort v5, v[0:1], off offset:256
.LBB62_116:                             ;   in Loop: Header=BB62_110 Depth=2
	s_or_b64 exec, exec, s[2:3]
	s_and_saveexec_b64 s[2:3], s[34:35]
	s_cbranch_execz .LBB62_118
; %bb.117:                              ;   in Loop: Header=BB62_110 Depth=2
	global_load_ushort v4, v[0:1], off offset:384
.LBB62_118:                             ;   in Loop: Header=BB62_110 Depth=2
	s_or_b64 exec, exec, s[2:3]
	v_mov_b32_e32 v6, 0
	v_mov_b32_e32 v7, 0
	s_and_saveexec_b64 s[2:3], s[36:37]
	s_cbranch_execz .LBB62_120
; %bb.119:                              ;   in Loop: Header=BB62_110 Depth=2
	global_load_ushort v7, v[0:1], off offset:512
.LBB62_120:                             ;   in Loop: Header=BB62_110 Depth=2
	;; [unrolled: 14-line block ×7, first 2 shown]
	s_or_b64 exec, exec, s[2:3]
	s_and_saveexec_b64 s[2:3], s[58:59]
	s_cbranch_execz .LBB62_142
; %bb.141:                              ;   in Loop: Header=BB62_110 Depth=2
	global_load_ushort v48, v[0:1], off offset:1920
.LBB62_142:                             ;   in Loop: Header=BB62_110 Depth=2
	s_or_b64 exec, exec, s[2:3]
	s_waitcnt vmcnt(0)
	ds_write_b16 v84, v3
	ds_write_b16 v85, v2 offset:128
	ds_write_b16 v86, v5 offset:256
	;; [unrolled: 1-line block ×15, first 2 shown]
	; wave barrier
	ds_read_b128 v[12:15], v100
	ds_read_b128 v[8:11], v100 offset:16
	s_mov_b32 s99, s7
	v_lshl_add_u64 v[0:1], s[98:99], 1, v[46:47]
	v_mov_b32_e32 v2, 0
	v_mov_b32_e32 v3, 0
	s_and_saveexec_b64 s[2:3], s[26:27]
	s_cbranch_execz .LBB62_144
; %bb.143:                              ;   in Loop: Header=BB62_110 Depth=2
	global_load_ushort v3, v[0:1], off
.LBB62_144:                             ;   in Loop: Header=BB62_110 Depth=2
	s_or_b64 exec, exec, s[2:3]
	s_and_saveexec_b64 s[2:3], s[28:29]
	s_cbranch_execz .LBB62_146
; %bb.145:                              ;   in Loop: Header=BB62_110 Depth=2
	global_load_ushort v2, v[0:1], off offset:128
.LBB62_146:                             ;   in Loop: Header=BB62_110 Depth=2
	s_or_b64 exec, exec, s[2:3]
	v_mov_b32_e32 v4, 0
	v_mov_b32_e32 v5, 0
	s_and_saveexec_b64 s[2:3], s[30:31]
	s_cbranch_execz .LBB62_148
; %bb.147:                              ;   in Loop: Header=BB62_110 Depth=2
	global_load_ushort v5, v[0:1], off offset:256
.LBB62_148:                             ;   in Loop: Header=BB62_110 Depth=2
	s_or_b64 exec, exec, s[2:3]
	s_and_saveexec_b64 s[2:3], s[34:35]
	s_cbranch_execz .LBB62_150
; %bb.149:                              ;   in Loop: Header=BB62_110 Depth=2
	global_load_ushort v4, v[0:1], off offset:384
.LBB62_150:                             ;   in Loop: Header=BB62_110 Depth=2
	s_or_b64 exec, exec, s[2:3]
	v_mov_b32_e32 v6, 0
	v_mov_b32_e32 v7, 0
	s_and_saveexec_b64 s[2:3], s[36:37]
	s_cbranch_execz .LBB62_152
; %bb.151:                              ;   in Loop: Header=BB62_110 Depth=2
	global_load_ushort v7, v[0:1], off offset:512
.LBB62_152:                             ;   in Loop: Header=BB62_110 Depth=2
	;; [unrolled: 14-line block ×7, first 2 shown]
	s_or_b64 exec, exec, s[2:3]
	s_and_saveexec_b64 s[2:3], s[58:59]
	s_cbranch_execz .LBB62_174
; %bb.173:                              ;   in Loop: Header=BB62_110 Depth=2
	global_load_ushort v57, v[0:1], off offset:1920
.LBB62_174:                             ;   in Loop: Header=BB62_110 Depth=2
	s_or_b64 exec, exec, s[2:3]
	s_waitcnt vmcnt(0)
	ds_write_b16 v84, v3 offset:4224
	ds_write_b16 v101, v2 offset:128
	;; [unrolled: 1-line block ×16, first 2 shown]
	; wave barrier
	ds_read_b128 v[4:7], v100 offset:4224
	ds_read_b128 v[0:3], v116 offset:16
	s_andn2_b64 vcc, exec, s[94:95]
	s_cbranch_vccnz .LBB62_176
; %bb.175:                              ;   in Loop: Header=BB62_110 Depth=2
	v_mov_b32_e32 v48, s9
	ds_read_b64 v[48:49], v48
	s_cbranch_execz .LBB62_177
	s_branch .LBB62_180
.LBB62_176:                             ;   in Loop: Header=BB62_110 Depth=2
                                        ; implicit-def: $vgpr49
.LBB62_177:                             ;   in Loop: Header=BB62_110 Depth=2
	v_readlane_b32 s2, v167, 0
	v_readlane_b32 s3, v167, 1
	s_andn2_b64 vcc, exec, s[2:3]
	s_waitcnt lgkmcnt(0)
	v_mov_b32_e32 v49, 0
	s_cbranch_vccnz .LBB62_179
; %bb.178:                              ;   in Loop: Header=BB62_110 Depth=2
	s_mov_b32 s5, s7
	s_lshl_b64 s[2:3], s[4:5], 2
	v_readlane_b32 s5, v167, 28
	s_add_u32 s2, s5, s2
	v_readlane_b32 s5, v167, 29
	s_addc_u32 s3, s5, s3
	global_load_dword v49, v17, s[2:3]
.LBB62_179:                             ;   in Loop: Header=BB62_110 Depth=2
	v_mov_b32_e32 v48, 1.0
.LBB62_180:                             ;   in Loop: Header=BB62_110 Depth=2
	s_waitcnt lgkmcnt(14)
	v_lshlrev_b32_e32 v55, 16, v8
	v_and_b32_e32 v56, 0xffff0000, v8
	v_mul_f32_e32 v8, 0x3fb8aa3b, v50
	v_lshlrev_b32_e32 v57, 16, v9
	v_and_b32_e32 v59, 0xffff0000, v9
	v_mul_f32_e32 v9, v8, v140
	v_cmp_gt_f32_e32 vcc, s33, v9
	v_lshlrev_b32_e32 v60, 16, v10
	v_and_b32_e32 v61, 0xffff0000, v10
	v_cndmask_b32_e32 v9, 0, v137, vcc
	v_fmac_f32_e32 v9, v8, v140
	v_exp_f32_e32 v9, v9
	v_cndmask_b32_e32 v10, 1.0, v138, vcc
	v_lshlrev_b32_e32 v51, 16, v12
	v_lshlrev_b32_e32 v64, 16, v11
	v_mul_f32_e32 v9, v9, v10
	v_cndmask_b32_e64 v121, 1.0, v9, s[60:61]
	v_mul_f32_e32 v9, v8, v141
	v_cmp_gt_f32_e32 vcc, s33, v9
	v_mul_f32_e32 v10, v166, v51
	v_cndmask_b32_e64 v120, 0, v10, s[60:61]
	v_cndmask_b32_e32 v9, 0, v137, vcc
	v_fmac_f32_e32 v9, v8, v141
	v_exp_f32_e32 v9, v9
	v_cndmask_b32_e32 v10, 1.0, v138, vcc
	v_and_b32_e32 v58, 0xffff0000, v11
	v_and_b32_e32 v12, 0xffff0000, v12
	v_mul_f32_e32 v10, v9, v10
	v_cndmask_b32_e64 v122, 1.0, v10, s[62:63]
	v_mul_f32_e32 v10, v8, v142
	v_cmp_gt_f32_e32 vcc, s33, v10
	v_mul_f32_e32 v9, v165, v12
	v_lshlrev_b32_e32 v52, 16, v13
	v_cndmask_b32_e32 v10, 0, v137, vcc
	v_fmac_f32_e32 v10, v8, v142
	v_exp_f32_e32 v10, v10
	v_cndmask_b32_e32 v11, 1.0, v138, vcc
	v_and_b32_e32 v13, 0xffff0000, v13
	v_lshlrev_b32_e32 v53, 16, v14
	v_mul_f32_e32 v11, v10, v11
	v_cndmask_b32_e64 v123, 1.0, v11, s[64:65]
	v_mul_f32_e32 v11, v8, v143
	v_cmp_gt_f32_e32 vcc, s33, v11
	v_and_b32_e32 v14, 0xffff0000, v14
	v_mul_f32_e32 v10, v164, v52
	v_cndmask_b32_e32 v11, 0, v137, vcc
	v_fmac_f32_e32 v11, v8, v143
	v_exp_f32_e32 v11, v11
	v_cndmask_b32_e32 v12, 1.0, v138, vcc
	v_lshlrev_b32_e32 v54, 16, v15
	v_cndmask_b32_e64 v9, 0, v9, s[62:63]
	v_mul_f32_e32 v12, v11, v12
	v_cndmask_b32_e64 v124, 1.0, v12, s[66:67]
	v_mul_f32_e32 v12, v8, v144
	v_cmp_gt_f32_e32 vcc, s33, v12
	v_mul_f32_e32 v11, v163, v13
	v_pk_mul_f32 v[62:63], v[8:9], v[26:27] op_sel_hi:[0,1]
	v_cndmask_b32_e32 v12, 0, v137, vcc
	v_fmac_f32_e32 v12, v8, v144
	v_exp_f32_e32 v12, v12
	v_cndmask_b32_e32 v13, 1.0, v138, vcc
	v_mul_f32_e32 v58, v25, v58
	v_cndmask_b32_e64 v10, 0, v10, s[64:65]
	v_mul_f32_e32 v13, v12, v13
	v_cndmask_b32_e64 v125, 1.0, v13, s[68:69]
	v_mul_f32_e32 v13, v8, v145
	v_cmp_gt_f32_e32 vcc, s33, v13
	v_mul_f32_e32 v12, v162, v53
	v_cndmask_b32_e64 v11, 0, v11, s[66:67]
	v_cndmask_b32_e32 v13, 0, v137, vcc
	v_fmac_f32_e32 v13, v8, v145
	v_exp_f32_e32 v13, v13
	v_cndmask_b32_e32 v50, 1.0, v138, vcc
	v_cndmask_b32_e64 v12, 0, v12, s[68:69]
	v_and_b32_e32 v15, 0xffff0000, v15
	v_mul_f32_e32 v50, v13, v50
	v_mul_f32_e32 v13, v161, v14
	;; [unrolled: 1-line block ×3, first 2 shown]
	v_cmp_gt_f32_e32 vcc, s33, v14
	v_cndmask_b32_e64 v126, 1.0, v50, s[70:71]
	v_cndmask_b32_e64 v13, 0, v13, s[70:71]
	v_cndmask_b32_e32 v14, 0, v137, vcc
	v_fmac_f32_e32 v14, v8, v146
	v_exp_f32_e32 v14, v14
	v_cndmask_b32_e32 v50, 1.0, v138, vcc
	v_mul_f32_e32 v15, v159, v15
	v_cndmask_b32_e64 v15, 0, v15, s[74:75]
	v_mul_f32_e32 v50, v14, v50
	v_cndmask_b32_e64 v127, 1.0, v50, s[72:73]
	v_mul_f32_e32 v50, v8, v147
	v_cmp_gt_f32_e32 vcc, s33, v50
	v_mul_f32_e32 v14, v160, v54
	v_cndmask_b32_e64 v14, 0, v14, s[72:73]
	v_cndmask_b32_e32 v50, 0, v137, vcc
	v_fmac_f32_e32 v50, v8, v147
	v_exp_f32_e32 v50, v50
	v_cndmask_b32_e32 v51, 1.0, v138, vcc
	v_readlane_b32 s10, v167, 40
	v_readlane_b32 s11, v167, 41
	v_mul_f32_e32 v50, v50, v51
	v_cndmask_b32_e64 v128, 1.0, v50, s[74:75]
	v_mul_f32_e32 v50, v8, v148
	v_cmp_gt_f32_e32 vcc, s33, v50
	s_nop 1
	v_cndmask_b32_e32 v50, 0, v137, vcc
	v_fmac_f32_e32 v50, v8, v148
	v_exp_f32_e32 v50, v50
	v_cndmask_b32_e32 v51, 1.0, v138, vcc
	v_mul_f32_e32 v51, v50, v51
	v_cndmask_b32_e64 v129, 1.0, v51, s[76:77]
	v_mul_f32_e32 v51, v8, v149
	v_cmp_gt_f32_e32 vcc, s33, v51
	v_mul_f32_e32 v50, v158, v55
	v_cndmask_b32_e64 v50, 0, v50, s[76:77]
	v_cndmask_b32_e32 v51, 0, v137, vcc
	v_fmac_f32_e32 v51, v8, v149
	v_exp_f32_e32 v51, v51
	v_cndmask_b32_e32 v52, 1.0, v138, vcc
	v_mul_f32_e32 v52, v51, v52
	v_cndmask_b32_e64 v130, 1.0, v52, s[78:79]
	v_mul_f32_e32 v52, v8, v150
	v_cmp_gt_f32_e32 vcc, s33, v52
	v_mul_f32_e32 v51, v157, v56
	v_cndmask_b32_e64 v51, 0, v51, s[78:79]
	;; [unrolled: 10-line block ×4, first 2 shown]
	v_cndmask_b32_e32 v52, 0, v137, vcc
	v_fmac_f32_e32 v52, v8, v152
	v_exp_f32_e32 v52, v52
	v_cndmask_b32_e32 v53, 1.0, v138, vcc
	v_mul_f32_e32 v53, v52, v53
	v_mul_f32_e32 v52, v154, v60
	v_cndmask_b32_e64 v60, 1.0, v53, s[84:85]
	v_mul_f32_e32 v53, v8, v153
	v_cmp_gt_f32_e32 vcc, s33, v53
	v_cndmask_b32_e64 v52, 0, v52, s[84:85]
	s_nop 0
	v_cndmask_b32_e32 v53, 0, v137, vcc
	v_fmac_f32_e32 v53, v8, v153
	v_cndmask_b32_e32 v56, 1.0, v138, vcc
	v_mul_f32_e32 v8, v16, v64
	v_cmp_gt_f32_e32 vcc, s33, v62
	v_cndmask_b32_e64 v57, 0, v8, s[90:91]
	v_exp_f32_e32 v53, v53
	v_cndmask_b32_e32 v8, 0, v137, vcc
	v_add_f32_e32 v8, v62, v8
	v_exp_f32_e32 v8, v8
	v_cndmask_b32_e32 v59, 1.0, v138, vcc
	v_cmp_gt_f32_e32 vcc, s33, v63
	v_mul_f32_e32 v56, v53, v56
	v_mul_f32_e32 v8, v8, v59
	v_cndmask_b32_e32 v59, 0, v137, vcc
	v_add_f32_e32 v59, v63, v59
	v_exp_f32_e32 v59, v59
	v_mul_f32_e32 v53, v23, v61
	v_cndmask_b32_e32 v61, 1.0, v138, vcc
	v_cndmask_b32_e64 v62, 1.0, v8, s[90:91]
	v_mul_f32_e32 v61, v59, v61
	v_cndmask_b32_e64 v59, 0, v58, s[88:89]
	v_mul_f32_e32 v8, v122, v121
	v_fma_f32 v58, v122, v120, v9
	v_mul_f32_e32 v8, v8, v123
	v_fma_f32 v58, v58, v123, v10
	;; [unrolled: 2-line block ×11, first 2 shown]
	v_cndmask_b32_e64 v53, 0, v53, s[86:87]
	v_cndmask_b32_e64 v56, 1.0, v56, s[86:87]
	v_fma_f32 v8, v8, v60, v52
	v_cndmask_b32_e64 v63, 1.0, v61, s[88:89]
	v_fma_f32 v65, v8, v56, v53
	v_mov_b32_e32 v61, v62
	v_pk_mul_f32 v[70:71], v[64:65], v[60:61]
	v_pk_fma_f32 v[64:65], v[64:65], v[60:61], v[56:57]
	v_pk_mul_f32 v[70:71], v[70:71], v[56:57]
	v_mov_b32_e32 v66, v63
	v_mov_b32_e32 v71, v65
	;; [unrolled: 1-line block ×3, first 2 shown]
	v_pk_mul_f32 v[64:65], v[70:71], v[62:63]
	v_mov_b32_e32 v58, v63
	v_pk_mul_f32 v[66:67], v[64:65], v[66:67]
	v_pk_fma_f32 v[64:65], v[70:71], v[62:63], v[58:59]
	s_nop 0
	v_mov_b32_dpp v8, v66 row_shr:1 row_mask:0xf bank_mask:0xf
	v_mov_b32_dpp v58, v65 row_shr:1 row_mask:0xf bank_mask:0xf
	v_mul_f32_e32 v61, v66, v8
	v_fma_f32 v58, v66, v58, v65
	v_cndmask_b32_e64 v64, v61, v66, s[0:1]
	v_cndmask_b32_e64 v67, v58, v65, s[0:1]
	;; [unrolled: 1-line block ×4, first 2 shown]
	v_mov_b32_dpp v61, v67 row_shr:2 row_mask:0xf bank_mask:0xf
	v_mov_b32_dpp v58, v66 row_shr:2 row_mask:0xf bank_mask:0xf
	s_and_saveexec_b64 s[2:3], s[10:11]
; %bb.181:                              ;   in Loop: Header=BB62_110 Depth=2
	v_fmac_f32_e32 v67, v66, v61
	v_mul_f32_e32 v66, v66, v58
	v_mov_b32_e32 v64, v66
	v_mov_b32_e32 v8, v67
; %bb.182:                              ;   in Loop: Header=BB62_110 Depth=2
	s_or_b64 exec, exec, s[2:3]
	v_readlane_b32 s10, v167, 42
	v_mov_b32_dpp v58, v66 row_shr:4 row_mask:0xf bank_mask:0xf
	v_mov_b32_dpp v61, v67 row_shr:4 row_mask:0xf bank_mask:0xf
	v_readlane_b32 s11, v167, 43
	s_and_saveexec_b64 s[2:3], s[10:11]
; %bb.183:                              ;   in Loop: Header=BB62_110 Depth=2
	v_fmac_f32_e32 v67, v66, v61
	v_mul_f32_e32 v66, v66, v58
	v_mov_b32_e32 v64, v66
	v_mov_b32_e32 v8, v67
; %bb.184:                              ;   in Loop: Header=BB62_110 Depth=2
	s_or_b64 exec, exec, s[2:3]
	v_readlane_b32 s10, v167, 44
	v_mov_b32_dpp v58, v66 row_shr:8 row_mask:0xf bank_mask:0xf
	v_mov_b32_dpp v61, v67 row_shr:8 row_mask:0xf bank_mask:0xf
	v_readlane_b32 s11, v167, 45
	s_and_saveexec_b64 s[2:3], s[10:11]
; %bb.185:                              ;   in Loop: Header=BB62_110 Depth=2
	v_fmac_f32_e32 v67, v66, v61
	v_mul_f32_e32 v66, v66, v58
	v_mov_b32_e32 v64, v66
	v_mov_b32_e32 v8, v67
; %bb.186:                              ;   in Loop: Header=BB62_110 Depth=2
	s_or_b64 exec, exec, s[2:3]
	v_readlane_b32 s10, v167, 46
	v_mov_b32_dpp v58, v66 row_bcast:15 row_mask:0xf bank_mask:0xf
	v_mov_b32_dpp v61, v67 row_bcast:15 row_mask:0xf bank_mask:0xf
	v_readlane_b32 s11, v167, 47
	s_and_saveexec_b64 s[2:3], s[10:11]
; %bb.187:                              ;   in Loop: Header=BB62_110 Depth=2
	v_fmac_f32_e32 v67, v66, v61
	v_mul_f32_e32 v66, v66, v58
	v_mov_b32_e32 v64, v66
	v_mov_b32_e32 v8, v67
; %bb.188:                              ;   in Loop: Header=BB62_110 Depth=2
	s_or_b64 exec, exec, s[2:3]
	v_readlane_b32 s10, v167, 48
	v_mov_b32_dpp v61, v66 row_bcast:31 row_mask:0xf bank_mask:0xf
	v_mov_b32_dpp v58, v67 row_bcast:31 row_mask:0xf bank_mask:0xf
	v_readlane_b32 s11, v167, 49
	s_and_saveexec_b64 s[2:3], s[10:11]
; %bb.189:                              ;   in Loop: Header=BB62_110 Depth=2
	v_fmac_f32_e32 v67, v66, v58
	v_mul_f32_e32 v64, v66, v61
	v_mov_b32_e32 v65, v67
	v_mov_b32_e32 v8, v67
	v_mov_b64_e32 v[66:67], v[64:65]
; %bb.190:                              ;   in Loop: Header=BB62_110 Depth=2
	s_or_b64 exec, exec, s[2:3]
	v_readlane_b32 s10, v167, 50
	v_readlane_b32 s11, v167, 51
	s_and_saveexec_b64 s[2:3], s[10:11]
	s_cbranch_execz .LBB62_192
; %bb.191:                              ;   in Loop: Header=BB62_110 Depth=2
	ds_write_b64 v117, v[66:67] offset:8448
.LBB62_192:                             ;   in Loop: Header=BB62_110 Depth=2
	s_or_b64 exec, exec, s[2:3]
	v_readlane_b32 s10, v167, 52
	v_readlane_b32 s11, v167, 53
	s_waitcnt lgkmcnt(0)
	s_barrier
	s_and_saveexec_b64 s[2:3], s[10:11]
	s_cbranch_execz .LBB62_194
; %bb.193:                              ;   in Loop: Header=BB62_110 Depth=2
	ds_read_b64 v[66:67], v118 offset:8448
	v_readlane_b32 s10, v167, 54
	v_readlane_b32 s11, v167, 55
	s_waitcnt lgkmcnt(0)
	v_mov_b32_dpp v58, v66 row_shr:1 row_mask:0xf bank_mask:0xf
	v_mov_b32_dpp v61, v67 row_shr:1 row_mask:0xf bank_mask:0xf
	v_fma_f32 v61, v66, v61, v67
	v_mul_f32_e32 v58, v66, v58
	v_cndmask_b32_e64 v66, v58, v66, s[10:11]
	v_cndmask_b32_e64 v67, v61, v67, s[10:11]
	ds_write_b64 v118, v[66:67] offset:8448
.LBB62_194:                             ;   in Loop: Header=BB62_110 Depth=2
	s_or_b64 exec, exec, s[2:3]
	s_waitcnt lgkmcnt(0)
	s_barrier
	s_waitcnt lgkmcnt(0)
                                        ; implicit-def: $vgpr66
	s_and_saveexec_b64 s[2:3], s[20:21]
	s_cbranch_execz .LBB62_196
; %bb.195:                              ;   in Loop: Header=BB62_110 Depth=2
	ds_read_b64 v[66:67], v117 offset:8440
	s_waitcnt lgkmcnt(0)
	v_mul_f32_e32 v58, v64, v66
	v_fmac_f32_e32 v8, v64, v67
	v_mov_b32_e32 v64, v58
.LBB62_196:                             ;   in Loop: Header=BB62_110 Depth=2
	s_or_b64 exec, exec, s[2:3]
	ds_bpermute_b32 v58, v119, v64
	ds_bpermute_b32 v8, v119, v8
	v_readlane_b32 s10, v167, 56
	s_waitcnt vmcnt(0)
	v_mov_b32_e32 v65, v49
	v_readlane_b32 s11, v167, 57
	s_and_saveexec_b64 s[2:3], s[10:11]
	s_cbranch_execz .LBB62_200
; %bb.197:                              ;   in Loop: Header=BB62_110 Depth=2
	ds_read_b64 v[64:65], v17 offset:8456
	s_and_saveexec_b64 vcc, s[22:23]
	s_cbranch_execz .LBB62_199
; %bb.198:                              ;   in Loop: Header=BB62_110 Depth=2
	ds_write_b64 v17, v[48:49] offset:8456
.LBB62_199:                             ;   in Loop: Header=BB62_110 Depth=2
	s_or_b64 exec, exec, vcc
	s_waitcnt lgkmcnt(0)
	v_fmac_f32_e32 v65, v49, v64
	v_mul_f32_e32 v48, v48, v64
	v_mov_b32_e32 v49, v65
.LBB62_200:                             ;   in Loop: Header=BB62_110 Depth=2
	s_or_b64 exec, exec, s[2:3]
	s_waitcnt lgkmcnt(0)
	s_barrier
	ds_read_b32 v61, v17 offset:8460
	s_and_saveexec_b64 s[2:3], s[22:23]
	s_cbranch_execz .LBB62_109
; %bb.201:                              ;   in Loop: Header=BB62_110 Depth=2
	v_mov_b32_e32 v64, s9
	s_andn2_b64 vcc, exec, s[96:97]
	ds_write_b64 v64, v[48:49]
	s_cbranch_vccnz .LBB62_109
; %bb.202:                              ;   in Loop: Header=BB62_110 Depth=2
	s_mov_b32 s5, s7
	s_lshl_b64 s[10:11], s[4:5], 2
	v_readlane_b32 s5, v167, 28
	s_add_u32 s10, s5, s10
	v_readlane_b32 s5, v167, 29
	s_addc_u32 s11, s5, s11
	global_store_dword v17, v65, s[10:11]
	s_branch .LBB62_109
.LBB62_203:                             ;   in Loop: Header=BB62_13 Depth=1
	s_mov_b32 s6, 0x41a00000
	s_mov_b32 s10, 0x3fb8aa3b
	s_mov_b32 s11, 0xc2ce8ed0
	s_mov_b32 s12, 0x42b17218
	s_mov_b32 s13, 0x7f800000
	s_mov_b32 s14, 0x3f2aaaab
	s_mov_b32 s15, 0x3f317218
	s_mov_b32 s16, 0x33800000
.LBB62_204:                             ;   in Loop: Header=BB62_13 Depth=1
	v_bfe_u32 v0, v42, 16, 1
	s_movk_i32 s2, 0x7fff
	v_bfe_u32 v1, v43, 16, 1
	v_add3_u32 v0, v42, v0, s2
	v_bfe_u32 v2, v40, 16, 1
	v_add3_u32 v1, v43, v1, s2
	v_lshrrev_b32_e32 v0, 16, v0
	v_cmp_o_f32_e32 vcc, v42, v42
	v_bfe_u32 v3, v41, 16, 1
	v_add3_u32 v2, v40, v2, s2
	v_lshrrev_b32_e32 v1, 16, v1
	v_cndmask_b32_e32 v0, v139, v0, vcc
	v_cmp_o_f32_e32 vcc, v43, v43
	v_add3_u32 v3, v41, v3, s2
	v_lshrrev_b32_e32 v2, 16, v2
	v_cndmask_b32_e32 v4, v139, v1, vcc
	v_cmp_o_f32_e32 vcc, v40, v40
	v_lshrrev_b32_e32 v3, 16, v3
	v_bfe_u32 v6, v36, 16, 1
	v_cndmask_b32_e32 v1, v139, v2, vcc
	v_cmp_o_f32_e32 vcc, v41, v41
	v_bfe_u32 v2, v38, 16, 1
	v_add3_u32 v2, v38, v2, s2
	v_cndmask_b32_e32 v5, v139, v3, vcc
	v_bfe_u32 v3, v39, 16, 1
	v_add3_u32 v3, v39, v3, s2
	v_lshrrev_b32_e32 v2, 16, v2
	v_cmp_o_f32_e32 vcc, v38, v38
	v_bfe_u32 v7, v37, 16, 1
	v_add3_u32 v6, v36, v6, s2
	v_lshrrev_b32_e32 v3, 16, v3
	v_cndmask_b32_e32 v2, v139, v2, vcc
	v_cmp_o_f32_e32 vcc, v39, v39
	v_add3_u32 v7, v37, v7, s2
	v_lshrrev_b32_e32 v6, 16, v6
	v_cndmask_b32_e32 v8, v139, v3, vcc
	v_cmp_o_f32_e32 vcc, v36, v36
	v_lshrrev_b32_e32 v7, 16, v7
	s_mov_b32 s3, 0x5040100
	v_cndmask_b32_e32 v3, v139, v6, vcc
	v_cmp_o_f32_e32 vcc, v37, v37
	v_perm_b32 v2, v8, v2, s3
	v_perm_b32 v1, v5, v1, s3
	v_cndmask_b32_e32 v6, v139, v7, vcc
	v_perm_b32 v3, v6, v3, s3
	v_perm_b32 v0, v4, v0, s3
	s_barrier
	ds_write_b128 v100, v[0:3]
	v_bfe_u32 v0, v34, 16, 1
	v_bfe_u32 v1, v35, 16, 1
	v_add3_u32 v0, v34, v0, s2
	v_bfe_u32 v2, v32, 16, 1
	v_add3_u32 v1, v35, v1, s2
	v_lshrrev_b32_e32 v0, 16, v0
	v_cmp_o_f32_e32 vcc, v34, v34
	v_bfe_u32 v3, v33, 16, 1
	v_add3_u32 v2, v32, v2, s2
	v_lshrrev_b32_e32 v1, 16, v1
	v_cndmask_b32_e32 v0, v139, v0, vcc
	v_cmp_o_f32_e32 vcc, v35, v35
	v_add3_u32 v3, v33, v3, s2
	v_lshrrev_b32_e32 v2, 16, v2
	v_cndmask_b32_e32 v4, v139, v1, vcc
	v_cmp_o_f32_e32 vcc, v32, v32
	v_lshrrev_b32_e32 v3, 16, v3
	v_bfe_u32 v6, v28, 16, 1
	v_cndmask_b32_e32 v1, v139, v2, vcc
	v_cmp_o_f32_e32 vcc, v33, v33
	v_bfe_u32 v2, v30, 16, 1
	v_add3_u32 v2, v30, v2, s2
	v_cndmask_b32_e32 v5, v139, v3, vcc
	v_bfe_u32 v3, v31, 16, 1
	v_add3_u32 v3, v31, v3, s2
	v_lshrrev_b32_e32 v2, 16, v2
	v_cmp_o_f32_e32 vcc, v30, v30
	v_bfe_u32 v7, v29, 16, 1
	v_add3_u32 v6, v28, v6, s2
	v_lshrrev_b32_e32 v3, 16, v3
	v_cndmask_b32_e32 v2, v139, v2, vcc
	v_cmp_o_f32_e32 vcc, v31, v31
	v_add3_u32 v7, v29, v7, s2
	v_lshrrev_b32_e32 v6, 16, v6
	v_cndmask_b32_e32 v8, v139, v3, vcc
	v_cmp_o_f32_e32 vcc, v28, v28
	v_lshrrev_b32_e32 v7, 16, v7
	v_perm_b32 v2, v8, v2, s3
	v_cndmask_b32_e32 v3, v139, v6, vcc
	v_cmp_o_f32_e32 vcc, v29, v29
	v_perm_b32 v1, v5, v1, s3
	v_perm_b32 v0, v4, v0, s3
	v_cndmask_b32_e32 v6, v139, v7, vcc
	v_perm_b32 v3, v6, v3, s3
	ds_write_b128 v100, v[0:3] offset:16
	; wave barrier
	ds_read_u16 v16, v85 offset:128
	ds_read_u16 v15, v86 offset:256
	;; [unrolled: 1-line block ×15, first 2 shown]
	v_readlane_b32 s2, v167, 60
	v_readlane_b32 s3, v167, 61
	s_mov_b32 s3, s7
	s_nop 0
	v_lshl_add_u64 v[0:1], s[2:3], 1, v[20:21]
	s_and_saveexec_b64 s[2:3], s[26:27]
	s_cbranch_execz .LBB62_206
; %bb.205:                              ;   in Loop: Header=BB62_13 Depth=1
	ds_read_u16 v23, v84
	s_waitcnt lgkmcnt(0)
	global_store_short v[0:1], v23, off
.LBB62_206:                             ;   in Loop: Header=BB62_13 Depth=1
	s_or_b64 exec, exec, s[2:3]
	s_and_saveexec_b64 s[2:3], s[28:29]
	v_readlane_b32 s8, v167, 62
	v_readlane_b32 s9, v167, 63
	s_cbranch_execnz .LBB62_223
; %bb.207:                              ;   in Loop: Header=BB62_13 Depth=1
	s_or_b64 exec, exec, s[2:3]
	s_and_saveexec_b64 s[2:3], s[30:31]
	s_cbranch_execnz .LBB62_224
.LBB62_208:                             ;   in Loop: Header=BB62_13 Depth=1
	s_or_b64 exec, exec, s[2:3]
	s_and_saveexec_b64 s[2:3], s[34:35]
	s_cbranch_execnz .LBB62_225
.LBB62_209:                             ;   in Loop: Header=BB62_13 Depth=1
	s_or_b64 exec, exec, s[2:3]
	s_and_saveexec_b64 s[2:3], s[36:37]
	s_cbranch_execnz .LBB62_226
.LBB62_210:                             ;   in Loop: Header=BB62_13 Depth=1
	s_or_b64 exec, exec, s[2:3]
	s_and_saveexec_b64 s[2:3], s[38:39]
	s_cbranch_execnz .LBB62_227
.LBB62_211:                             ;   in Loop: Header=BB62_13 Depth=1
	s_or_b64 exec, exec, s[2:3]
	s_and_saveexec_b64 s[2:3], s[40:41]
	s_cbranch_execnz .LBB62_228
.LBB62_212:                             ;   in Loop: Header=BB62_13 Depth=1
	s_or_b64 exec, exec, s[2:3]
	s_and_saveexec_b64 s[2:3], s[42:43]
	s_cbranch_execnz .LBB62_229
.LBB62_213:                             ;   in Loop: Header=BB62_13 Depth=1
	s_or_b64 exec, exec, s[2:3]
	s_and_saveexec_b64 s[2:3], s[44:45]
	s_cbranch_execnz .LBB62_230
.LBB62_214:                             ;   in Loop: Header=BB62_13 Depth=1
	s_or_b64 exec, exec, s[2:3]
	s_and_saveexec_b64 s[2:3], s[46:47]
	s_cbranch_execnz .LBB62_231
.LBB62_215:                             ;   in Loop: Header=BB62_13 Depth=1
	s_or_b64 exec, exec, s[2:3]
	s_and_saveexec_b64 s[2:3], s[48:49]
	s_cbranch_execnz .LBB62_232
.LBB62_216:                             ;   in Loop: Header=BB62_13 Depth=1
	s_or_b64 exec, exec, s[2:3]
	s_and_saveexec_b64 s[2:3], s[50:51]
	s_cbranch_execnz .LBB62_233
.LBB62_217:                             ;   in Loop: Header=BB62_13 Depth=1
	s_or_b64 exec, exec, s[2:3]
	s_and_saveexec_b64 s[2:3], s[52:53]
	s_cbranch_execnz .LBB62_234
.LBB62_218:                             ;   in Loop: Header=BB62_13 Depth=1
	s_or_b64 exec, exec, s[2:3]
	s_and_saveexec_b64 s[2:3], s[54:55]
	s_cbranch_execnz .LBB62_235
.LBB62_219:                             ;   in Loop: Header=BB62_13 Depth=1
	s_or_b64 exec, exec, s[2:3]
	s_and_saveexec_b64 s[2:3], s[56:57]
	s_cbranch_execnz .LBB62_236
.LBB62_220:                             ;   in Loop: Header=BB62_13 Depth=1
	s_or_b64 exec, exec, s[2:3]
	s_and_saveexec_b64 s[2:3], s[58:59]
	s_cbranch_execz .LBB62_12
	s_branch .LBB62_237
.LBB62_221:                             ;   in Loop: Header=BB62_13 Depth=1
	global_load_ushort v32, v[8:9], off offset:1664
	s_or_b64 exec, exec, s[2:3]
	s_and_saveexec_b64 s[2:3], s[56:57]
	s_cbranch_execz .LBB62_73
.LBB62_222:                             ;   in Loop: Header=BB62_13 Depth=1
	global_load_ushort v31, v[8:9], off offset:1792
	s_or_b64 exec, exec, s[2:3]
	v_mov_b32_e32 v33, 0
	s_and_saveexec_b64 s[2:3], s[58:59]
	s_cbranch_execnz .LBB62_74
	s_branch .LBB62_75
.LBB62_223:                             ;   in Loop: Header=BB62_13 Depth=1
	s_waitcnt lgkmcnt(14)
	global_store_short v[0:1], v16, off offset:128
	s_or_b64 exec, exec, s[2:3]
	s_and_saveexec_b64 s[2:3], s[30:31]
	s_cbranch_execz .LBB62_208
.LBB62_224:                             ;   in Loop: Header=BB62_13 Depth=1
	s_waitcnt lgkmcnt(13)
	global_store_short v[0:1], v15, off offset:256
	s_or_b64 exec, exec, s[2:3]
	s_and_saveexec_b64 s[2:3], s[34:35]
	s_cbranch_execz .LBB62_209
.LBB62_225:                             ;   in Loop: Header=BB62_13 Depth=1
	s_waitcnt lgkmcnt(12)
	global_store_short v[0:1], v14, off offset:384
	s_or_b64 exec, exec, s[2:3]
	s_and_saveexec_b64 s[2:3], s[36:37]
	s_cbranch_execz .LBB62_210
.LBB62_226:                             ;   in Loop: Header=BB62_13 Depth=1
	s_waitcnt lgkmcnt(11)
	global_store_short v[0:1], v13, off offset:512
	s_or_b64 exec, exec, s[2:3]
	s_and_saveexec_b64 s[2:3], s[38:39]
	s_cbranch_execz .LBB62_211
.LBB62_227:                             ;   in Loop: Header=BB62_13 Depth=1
	s_waitcnt lgkmcnt(10)
	global_store_short v[0:1], v12, off offset:640
	s_or_b64 exec, exec, s[2:3]
	s_and_saveexec_b64 s[2:3], s[40:41]
	s_cbranch_execz .LBB62_212
.LBB62_228:                             ;   in Loop: Header=BB62_13 Depth=1
	s_waitcnt lgkmcnt(9)
	global_store_short v[0:1], v11, off offset:768
	s_or_b64 exec, exec, s[2:3]
	s_and_saveexec_b64 s[2:3], s[42:43]
	s_cbranch_execz .LBB62_213
.LBB62_229:                             ;   in Loop: Header=BB62_13 Depth=1
	s_waitcnt lgkmcnt(8)
	global_store_short v[0:1], v10, off offset:896
	s_or_b64 exec, exec, s[2:3]
	s_and_saveexec_b64 s[2:3], s[44:45]
	s_cbranch_execz .LBB62_214
.LBB62_230:                             ;   in Loop: Header=BB62_13 Depth=1
	s_waitcnt lgkmcnt(7)
	global_store_short v[0:1], v9, off offset:1024
	s_or_b64 exec, exec, s[2:3]
	s_and_saveexec_b64 s[2:3], s[46:47]
	s_cbranch_execz .LBB62_215
.LBB62_231:                             ;   in Loop: Header=BB62_13 Depth=1
	s_waitcnt lgkmcnt(6)
	global_store_short v[0:1], v8, off offset:1152
	s_or_b64 exec, exec, s[2:3]
	s_and_saveexec_b64 s[2:3], s[48:49]
	s_cbranch_execz .LBB62_216
.LBB62_232:                             ;   in Loop: Header=BB62_13 Depth=1
	s_waitcnt lgkmcnt(5)
	global_store_short v[0:1], v7, off offset:1280
	s_or_b64 exec, exec, s[2:3]
	s_and_saveexec_b64 s[2:3], s[50:51]
	s_cbranch_execz .LBB62_217
.LBB62_233:                             ;   in Loop: Header=BB62_13 Depth=1
	s_waitcnt lgkmcnt(4)
	global_store_short v[0:1], v6, off offset:1408
	s_or_b64 exec, exec, s[2:3]
	s_and_saveexec_b64 s[2:3], s[52:53]
	s_cbranch_execz .LBB62_218
.LBB62_234:                             ;   in Loop: Header=BB62_13 Depth=1
	s_waitcnt lgkmcnt(3)
	global_store_short v[0:1], v5, off offset:1536
	s_or_b64 exec, exec, s[2:3]
	s_and_saveexec_b64 s[2:3], s[54:55]
	s_cbranch_execz .LBB62_219
.LBB62_235:                             ;   in Loop: Header=BB62_13 Depth=1
	s_waitcnt lgkmcnt(2)
	global_store_short v[0:1], v4, off offset:1664
	s_or_b64 exec, exec, s[2:3]
	s_and_saveexec_b64 s[2:3], s[56:57]
	s_cbranch_execz .LBB62_220
.LBB62_236:                             ;   in Loop: Header=BB62_13 Depth=1
	s_waitcnt lgkmcnt(1)
	global_store_short v[0:1], v3, off offset:1792
	s_or_b64 exec, exec, s[2:3]
	s_and_saveexec_b64 s[2:3], s[58:59]
	s_cbranch_execz .LBB62_12
.LBB62_237:                             ;   in Loop: Header=BB62_13 Depth=1
	s_waitcnt lgkmcnt(0)
	global_store_short v[0:1], v2, off offset:1920
	s_branch .LBB62_12
.LBB62_238:
	s_endpgm
	.section	.rodata,"a",@progbits
	.p2align	6, 0x0
	.amdhsa_kernel _Z25selective_scan_fwd_kernelI32Selective_Scan_fwd_kernel_traitsILi128ELi16ELi1ELb0ELb1ELb1ELb0ELb1EN3c108BFloat16EffEEv13SSMParamsBase
		.amdhsa_group_segment_fixed_size 0
		.amdhsa_private_segment_fixed_size 0
		.amdhsa_kernarg_size 248
		.amdhsa_user_sgpr_count 2
		.amdhsa_user_sgpr_dispatch_ptr 0
		.amdhsa_user_sgpr_queue_ptr 0
		.amdhsa_user_sgpr_kernarg_segment_ptr 1
		.amdhsa_user_sgpr_dispatch_id 0
		.amdhsa_user_sgpr_kernarg_preload_length 0
		.amdhsa_user_sgpr_kernarg_preload_offset 0
		.amdhsa_user_sgpr_private_segment_size 0
		.amdhsa_uses_dynamic_stack 0
		.amdhsa_enable_private_segment 0
		.amdhsa_system_sgpr_workgroup_id_x 1
		.amdhsa_system_sgpr_workgroup_id_y 1
		.amdhsa_system_sgpr_workgroup_id_z 0
		.amdhsa_system_sgpr_workgroup_info 0
		.amdhsa_system_vgpr_workitem_id 0
		.amdhsa_next_free_vgpr 168
		.amdhsa_next_free_sgpr 100
		.amdhsa_accum_offset 168
		.amdhsa_reserve_vcc 1
		.amdhsa_float_round_mode_32 0
		.amdhsa_float_round_mode_16_64 0
		.amdhsa_float_denorm_mode_32 3
		.amdhsa_float_denorm_mode_16_64 3
		.amdhsa_dx10_clamp 1
		.amdhsa_ieee_mode 1
		.amdhsa_fp16_overflow 0
		.amdhsa_tg_split 0
		.amdhsa_exception_fp_ieee_invalid_op 0
		.amdhsa_exception_fp_denorm_src 0
		.amdhsa_exception_fp_ieee_div_zero 0
		.amdhsa_exception_fp_ieee_overflow 0
		.amdhsa_exception_fp_ieee_underflow 0
		.amdhsa_exception_fp_ieee_inexact 0
		.amdhsa_exception_int_div_zero 0
	.end_amdhsa_kernel
	.section	.text._Z25selective_scan_fwd_kernelI32Selective_Scan_fwd_kernel_traitsILi128ELi16ELi1ELb0ELb1ELb1ELb0ELb1EN3c108BFloat16EffEEv13SSMParamsBase,"axG",@progbits,_Z25selective_scan_fwd_kernelI32Selective_Scan_fwd_kernel_traitsILi128ELi16ELi1ELb0ELb1ELb1ELb0ELb1EN3c108BFloat16EffEEv13SSMParamsBase,comdat
.Lfunc_end62:
	.size	_Z25selective_scan_fwd_kernelI32Selective_Scan_fwd_kernel_traitsILi128ELi16ELi1ELb0ELb1ELb1ELb0ELb1EN3c108BFloat16EffEEv13SSMParamsBase, .Lfunc_end62-_Z25selective_scan_fwd_kernelI32Selective_Scan_fwd_kernel_traitsILi128ELi16ELi1ELb0ELb1ELb1ELb0ELb1EN3c108BFloat16EffEEv13SSMParamsBase
                                        ; -- End function
	.section	.AMDGPU.csdata,"",@progbits
; Kernel info:
; codeLenInByte = 20804
; NumSgprs: 106
; NumVgprs: 168
; NumAgprs: 0
; TotalNumVgprs: 168
; ScratchSize: 0
; MemoryBound: 0
; FloatMode: 240
; IeeeMode: 1
; LDSByteSize: 0 bytes/workgroup (compile time only)
; SGPRBlocks: 13
; VGPRBlocks: 20
; NumSGPRsForWavesPerEU: 106
; NumVGPRsForWavesPerEU: 168
; AccumOffset: 168
; Occupancy: 3
; WaveLimiterHint : 1
; COMPUTE_PGM_RSRC2:SCRATCH_EN: 0
; COMPUTE_PGM_RSRC2:USER_SGPR: 2
; COMPUTE_PGM_RSRC2:TRAP_HANDLER: 0
; COMPUTE_PGM_RSRC2:TGID_X_EN: 1
; COMPUTE_PGM_RSRC2:TGID_Y_EN: 1
; COMPUTE_PGM_RSRC2:TGID_Z_EN: 0
; COMPUTE_PGM_RSRC2:TIDIG_COMP_CNT: 0
; COMPUTE_PGM_RSRC3_GFX90A:ACCUM_OFFSET: 41
; COMPUTE_PGM_RSRC3_GFX90A:TG_SPLIT: 0
	.section	.text._Z25selective_scan_fwd_kernelI32Selective_Scan_fwd_kernel_traitsILi128ELi16ELi1ELb0ELb1ELb1ELb0ELb0EN3c108BFloat16EffEEv13SSMParamsBase,"axG",@progbits,_Z25selective_scan_fwd_kernelI32Selective_Scan_fwd_kernel_traitsILi128ELi16ELi1ELb0ELb1ELb1ELb0ELb0EN3c108BFloat16EffEEv13SSMParamsBase,comdat
	.protected	_Z25selective_scan_fwd_kernelI32Selective_Scan_fwd_kernel_traitsILi128ELi16ELi1ELb0ELb1ELb1ELb0ELb0EN3c108BFloat16EffEEv13SSMParamsBase ; -- Begin function _Z25selective_scan_fwd_kernelI32Selective_Scan_fwd_kernel_traitsILi128ELi16ELi1ELb0ELb1ELb1ELb0ELb0EN3c108BFloat16EffEEv13SSMParamsBase
	.globl	_Z25selective_scan_fwd_kernelI32Selective_Scan_fwd_kernel_traitsILi128ELi16ELi1ELb0ELb1ELb1ELb0ELb0EN3c108BFloat16EffEEv13SSMParamsBase
	.p2align	8
	.type	_Z25selective_scan_fwd_kernelI32Selective_Scan_fwd_kernel_traitsILi128ELi16ELi1ELb0ELb1ELb1ELb0ELb0EN3c108BFloat16EffEEv13SSMParamsBase,@function
_Z25selective_scan_fwd_kernelI32Selective_Scan_fwd_kernel_traitsILi128ELi16ELi1ELb0ELb1ELb1ELb0ELb0EN3c108BFloat16EffEEv13SSMParamsBase: ; @_Z25selective_scan_fwd_kernelI32Selective_Scan_fwd_kernel_traitsILi128ELi16ELi1ELb0ELb1ELb1ELb0ELb0EN3c108BFloat16EffEEv13SSMParamsBase
; %bb.0:
	s_load_dword s29, s[0:1], 0x18
	s_load_dwordx4 s[4:7], s[0:1], 0xe8
	s_mov_b32 s24, s3
                                        ; implicit-def: $vgpr167 : SGPR spill to VGPR lane
	s_waitcnt lgkmcnt(0)
	s_abs_i32 s28, s29
	v_cvt_f32_u32_e32 v1, s28
	s_cmp_eq_u64 s[6:7], 0
	v_rcp_iflag_f32_e32 v1, v1
	s_nop 0
	v_mul_f32_e32 v1, 0x4f7ffffe, v1
	v_cvt_u32_f32_e32 v1, v1
	s_nop 0
	v_readfirstlane_b32 s30, v1
	s_cbranch_scc1 .LBB63_2
; %bb.1:
	s_ashr_i32 s3, s2, 31
	s_add_u32 s6, s6, s2
	s_addc_u32 s7, s7, s3
	v_mov_b32_e32 v1, 0
	global_load_ubyte v1, v1, s[6:7]
	s_waitcnt vmcnt(0)
	v_and_b32_e32 v1, 1, v1
	v_cmp_eq_u32_e64 s[6:7], 1, v1
	s_branch .LBB63_3
.LBB63_2:
	s_mov_b64 s[6:7], 0
.LBB63_3:
	s_nop 0
	v_writelane_b32 v167, s6, 0
	s_cmp_eq_u64 s[4:5], 0
	s_nop 0
	v_writelane_b32 v167, s7, 1
	s_load_dwordx2 s[6:7], s[0:1], 0x20
	s_cbranch_scc1 .LBB63_5
; %bb.4:
	s_ashr_i32 s3, s2, 31
	s_lshl_b64 s[8:9], s[2:3], 2
	s_add_u32 s4, s4, s8
	s_addc_u32 s5, s5, s9
	s_load_dword s26, s[4:5], 0x0
	s_waitcnt lgkmcnt(0)
	s_ashr_i32 s27, s26, 31
	s_cmp_eq_u64 s[6:7], s[26:27]
	s_cbranch_scc0 .LBB63_6
	s_branch .LBB63_238
.LBB63_5:
	s_mov_b32 s26, s2
	s_ashr_i32 s27, s26, 31
	s_waitcnt lgkmcnt(0)
	s_cmp_eq_u64 s[6:7], s[26:27]
	s_cbranch_scc1 .LBB63_238
.LBB63_6:
	s_load_dwordx16 s[36:51], s[0:1], 0x88
	s_load_dwordx2 s[34:35], s[0:1], 0x8
	s_mov_b32 s3, 0
	v_writelane_b32 v167, s3, 2
	v_writelane_b32 v167, s3, 3
	s_waitcnt lgkmcnt(0)
	s_cmp_eq_u64 s[42:43], 0
	s_cbranch_scc1 .LBB63_8
; %bb.7:
	s_ashr_i32 s25, s24, 31
	s_lshl_b64 s[4:5], s[24:25], 2
	s_add_u32 s4, s42, s4
	s_addc_u32 s5, s43, s5
	s_load_dword s3, s[4:5], 0x0
	s_waitcnt lgkmcnt(0)
	v_writelane_b32 v167, s3, 3
.LBB63_8:
	s_cmp_eq_u64 s[48:49], 0
	s_cbranch_scc1 .LBB63_10
; %bb.9:
	s_ashr_i32 s25, s24, 31
	s_lshl_b64 s[4:5], s[24:25], 2
	s_add_u32 s4, s48, s4
	s_addc_u32 s5, s49, s5
	s_load_dword s3, s[4:5], 0x0
	s_waitcnt lgkmcnt(0)
	v_writelane_b32 v167, s3, 2
.LBB63_10:
	s_cmp_lt_i32 s34, 1
	s_cbranch_scc1 .LBB63_238
; %bb.11:
	s_sub_i32 s3, 0, s28
	s_mul_i32 s3, s3, s30
	s_mul_hi_u32 s3, s30, s3
	s_abs_i32 s6, s24
	s_add_i32 s30, s30, s3
	s_load_dwordx8 s[52:59], s[0:1], 0x2c
	s_load_dwordx2 s[14:15], s[0:1], 0x5c
	s_load_dwordx4 s[60:63], s[0:1], 0x4c
	s_load_dwordx4 s[64:67], s[0:1], 0x7c
	s_load_dwordx2 s[4:5], s[0:1], 0x6c
	s_load_dwordx2 s[20:21], s[0:1], 0xc8
	s_mul_hi_u32 s3, s6, s30
	s_load_dword s25, s[0:1], 0x28
	s_ashr_i32 s0, s24, 31
	s_ashr_i32 s1, s29, 31
	s_xor_b32 s0, s0, s1
	s_mul_i32 s1, s3, s28
	s_sub_i32 s1, s6, s1
	s_add_i32 s6, s3, 1
	s_sub_i32 s7, s1, s28
	s_cmp_ge_u32 s1, s28
	s_cselect_b32 s3, s6, s3
	s_cselect_b32 s1, s7, s1
	s_add_i32 s6, s3, 1
	s_cmp_ge_u32 s1, s28
	s_cselect_b32 s1, s6, s3
	s_xor_b32 s1, s1, s0
	s_waitcnt lgkmcnt(0)
	s_mul_i32 s6, s62, s2
	s_mov_b32 s7, 0
	s_sub_i32 s3, s1, s0
	s_lshl_b64 s[0:1], s[6:7], 1
	s_add_u32 s16, s44, s0
	s_mul_i32 s6, s63, s24
	s_addc_u32 s17, s45, s1
	s_lshl_b64 s[0:1], s[6:7], 1
	s_add_u32 s10, s16, s0
	s_mul_i32 s6, s14, s2
	s_addc_u32 s11, s17, s1
	s_lshl_b64 s[0:1], s[6:7], 1
	s_add_u32 s14, s46, s0
	s_mul_i32 s6, s15, s24
	s_addc_u32 s16, s47, s1
	s_lshl_b64 s[0:1], s[6:7], 1
	s_add_u32 s0, s14, s0
	s_addc_u32 s1, s16, s1
	v_writelane_b32 v167, s0, 4
	s_mul_i32 s6, s52, s24
	v_mbcnt_lo_u32_b32 v1, -1, 0
	v_writelane_b32 v167, s1, 5
	s_lshl_b64 s[0:1], s[6:7], 2
	s_add_u32 s0, s36, s0
	v_writelane_b32 v167, s0, 6
	s_addc_u32 s0, s37, s1
	s_mul_i32 s6, s54, s2
	v_writelane_b32 v167, s0, 7
	s_lshl_b64 s[0:1], s[6:7], 1
	s_add_u32 s8, s38, s0
	s_mul_i32 s6, s3, s57
	s_addc_u32 s9, s39, s1
	s_lshl_b64 s[0:1], s[6:7], 1
	s_add_u32 s0, s8, s0
	s_addc_u32 s1, s9, s1
	v_writelane_b32 v167, s0, 8
	v_lshlrev_b32_e32 v19, 4, v0
	v_mbcnt_hi_u32_b32 v18, -1, v1
	v_writelane_b32 v167, s1, 9
	v_writelane_b32 v167, s52, 10
	s_mul_i32 s6, s58, s2
	s_lshl_b64 s[0:1], s[6:7], 1
	v_writelane_b32 v167, s53, 11
	v_writelane_b32 v167, s54, 12
	;; [unrolled: 1-line block ×7, first 2 shown]
	s_add_u32 s8, s40, s0
	v_writelane_b32 v167, s60, 18
	s_mul_i32 s6, s3, s61
	s_addc_u32 s9, s41, s1
	v_writelane_b32 v167, s61, 19
	s_lshl_b64 s[0:1], s[6:7], 1
	v_writelane_b32 v167, s62, 20
	s_add_u32 s0, s8, s0
	v_writelane_b32 v167, s63, 21
	s_addc_u32 s1, s9, s1
	v_writelane_b32 v167, s0, 22
	s_mul_i32 s6, s26, s64
	v_and_b32_e32 v2, 0x400, v19
	v_writelane_b32 v167, s1, 23
	s_lshl_b64 s[0:1], s[6:7], 2
	v_writelane_b32 v167, s64, 24
	s_add_u32 s3, s20, s0
	s_mul_i32 s6, s65, s24
	v_writelane_b32 v167, s65, 25
	s_addc_u32 s8, s21, s1
	v_writelane_b32 v167, s66, 26
	s_lshl_b64 s[0:1], s[6:7], 2
	v_writelane_b32 v167, s67, 27
	s_add_u32 s0, s3, s0
	v_writelane_b32 v167, s0, 28
	s_addc_u32 s0, s8, s1
	v_writelane_b32 v167, s0, 29
	s_add_i32 s0, s34, 0x7ff
	s_lshr_b32 s1, s0, 11
	s_bitcmp1_b32 s25, 0
	v_or_b32_e32 v68, v18, v2
	s_cselect_b64 s[8:9], -1, 0
	v_lshrrev_b32_e32 v1, 5, v68
	v_writelane_b32 v167, s8, 30
	s_cmp_gt_i32 s35, 0
	v_and_b32_e32 v1, 34, v1
	v_and_b32_e32 v20, 64, v0
	v_writelane_b32 v167, s9, 31
	s_cselect_b64 s[8:9], -1, 0
	v_add_u32_e32 v69, 64, v68
	v_or_b32_e32 v133, 0x80, v68
	v_add_u32_e32 v134, 0xc0, v68
	v_or_b32_e32 v72, 0x100, v68
	;; [unrolled: 2-line block ×7, first 2 shown]
	v_add_u32_e32 v83, 0x3c0, v68
	v_add_u32_e32 v1, v1, v68
	v_add_u16_e32 v22, v18, v20
	v_writelane_b32 v167, s8, 32
	v_lshl_add_u32 v84, v1, 1, 0
	v_lshrrev_b32_e32 v1, 5, v69
	v_lshrrev_b32_e32 v3, 5, v133
	;; [unrolled: 1-line block ×15, first 2 shown]
	v_lshrrev_b16_e32 v22, 1, v22
	v_writelane_b32 v167, s9, 33
	v_and_b32_e32 v1, 38, v1
	v_and_b32_e32 v3, 38, v3
	;; [unrolled: 1-line block ×15, first 2 shown]
	v_add_lshl_u32 v21, v18, v20, 4
	v_and_b32_e32 v22, 0x7e, v22
	v_writelane_b32 v167, s34, 34
	v_add_lshl_u32 v1, v1, v68, 1
	v_add_lshl_u32 v3, v3, v68, 1
	;; [unrolled: 1-line block ×16, first 2 shown]
	s_add_i32 s0, 0, 0x1080
	v_writelane_b32 v167, s35, 35
	v_add_u32_e32 v101, s0, v1
	v_add_u32_e32 v102, s0, v3
	;; [unrolled: 1-line block ×16, first 2 shown]
	v_writelane_b32 v167, s1, 36
	s_add_i32 s0, s1, -1
	s_mul_i32 s6, s4, s2
	s_and_b32 s8, s34, 0x7ff
	v_writelane_b32 v167, s0, 37
	s_lshl_b64 s[0:1], s[6:7], 1
	s_add_u32 s2, s50, s0
	s_mul_i32 s6, s5, s24
	s_addc_u32 s3, s51, s1
	s_lshl_b64 s[0:1], s[6:7], 1
	s_add_u32 s2, s2, s0
	s_addc_u32 s3, s3, s1
	s_cmp_eq_u32 s8, 0
	s_cselect_b64 s[0:1], -1, 0
	v_add_u32_e32 v85, 0, v1
	v_writelane_b32 v167, s0, 38
	v_and_b32_e32 v1, 15, v18
	v_cmp_lt_u32_e64 s[4:5], 1, v1
	v_writelane_b32 v167, s1, 39
	v_cmp_eq_u32_e64 s[0:1], 0, v1
	v_writelane_b32 v167, s4, 40
	v_add_u32_e32 v86, 0, v3
	v_and_b32_e32 v3, 64, v18
	v_writelane_b32 v167, s5, 41
	v_cmp_lt_u32_e64 s[4:5], 3, v1
	v_mov_b32_e32 v17, 0
	v_add_u32_e32 v99, 0, v16
	v_writelane_b32 v167, s4, 42
	v_lshlrev_b32_e32 v16, 1, v18
	v_lshl_add_u32 v118, v0, 3, 0
	v_writelane_b32 v167, s5, 43
	v_cmp_lt_u32_e64 s[4:5], 7, v1
	v_and_b32_e32 v1, 16, v18
	v_cmp_lt_u32_e64 s[20:21], 63, v0
	v_writelane_b32 v167, s4, 44
	v_cmp_eq_u32_e64 s[22:23], 0, v0
	v_add_u32_e32 v87, 0, v4
	v_writelane_b32 v167, s5, 45
	v_cmp_ne_u32_e64 s[4:5], 0, v1
	v_or_b32_e32 v1, 63, v20
	v_add_u32_e32 v88, 0, v5
	v_writelane_b32 v167, s4, 46
	v_add_u32_e32 v89, 0, v6
	v_add_u32_e32 v90, 0, v7
	v_writelane_b32 v167, s5, 47
	v_cmp_lt_u32_e64 s[4:5], 31, v18
	v_add_u32_e32 v91, 0, v8
	v_add_u32_e32 v92, 0, v9
	v_writelane_b32 v167, s4, 48
	v_add_u32_e32 v93, 0, v10
	v_add_u32_e32 v94, 0, v11
	v_writelane_b32 v167, s5, 49
	v_cmp_eq_u32_e64 s[4:5], v1, v0
	v_lshrrev_b32_e32 v1, 3, v0
	v_and_b32_e32 v1, 8, v1
	v_writelane_b32 v167, s4, 50
	v_add_u32_e32 v117, 0, v1
	v_and_b32_e32 v1, 1, v18
	v_writelane_b32 v167, s5, 51
	v_cmp_gt_u32_e64 s[4:5], 2, v0
	v_add_u32_e32 v95, 0, v12
	v_add_u32_e32 v96, 0, v13
	v_writelane_b32 v167, s4, 52
	v_add_u32_e32 v97, 0, v14
	v_add_u32_e32 v98, 0, v15
	v_writelane_b32 v167, s5, 53
	v_cmp_eq_u32_e64 s[4:5], 0, v1
	v_add_u32_e32 v1, -1, v18
	v_cmp_lt_i32_e32 vcc, v1, v3
	v_writelane_b32 v167, s4, 54
	v_add_u32_e32 v100, 0, v21
	v_cndmask_b32_e32 v1, v1, v18, vcc
	v_writelane_b32 v167, s5, 55
	v_cmp_gt_u32_e64 s[4:5], 64, v0
	v_lshlrev_b32_e32 v119, 2, v1
	v_lshl_add_u64 v[0:1], s[2:3], 0, v[16:17]
	v_writelane_b32 v167, s4, 56
	v_lshlrev_b32_e32 v16, 1, v2
	s_add_i32 s2, 0, 0x2110
	v_writelane_b32 v167, s5, 57
	v_cmp_eq_u32_e64 s[24:25], 0, v18
	v_lshl_add_u64 v[20:21], v[0:1], 0, v[16:17]
	v_lshlrev_b32_e32 v22, 1, v2
	s_mov_b32 s6, 0x41a00000
	s_mov_b32 s8, 0x3fb8aa3b
	s_mov_b32 s9, 0xc2ce8ed0
	s_mov_b32 s12, 0x42b17218
	s_mov_b32 s13, 0x7f800000
	s_mov_b32 s14, 0x3f2aaaab
	s_mov_b32 s15, 0x3f317218
	s_mov_b32 s16, 0x33800000
	v_writelane_b32 v167, s2, 58
	s_mov_b32 s33, 0xc2fc0000
	s_mov_b32 s3, 0
	v_mov_b32_e32 v135, 0x3ecc95a3
	v_mov_b32_e32 v136, 0x7f800000
	;; [unrolled: 1-line block ×6, first 2 shown]
                                        ; implicit-def: $vgpr0
	s_branch .LBB63_13
.LBB63_12:                              ;   in Loop: Header=BB63_13 Depth=1
	s_or_b64 exec, exec, s[2:3]
	v_readlane_b32 s2, v167, 4
	v_readlane_b32 s3, v167, 5
	s_add_u32 s2, s2, 0x1000
	s_addc_u32 s3, s3, 0
	v_writelane_b32 v167, s2, 4
	s_add_u32 s10, s10, 0x1000
	s_addc_u32 s11, s11, 0
	v_writelane_b32 v167, s3, 5
	s_nop 0
	v_readlane_b32 s2, v167, 8
	v_readlane_b32 s3, v167, 9
	s_add_u32 s2, s2, 0x1000
	s_addc_u32 s3, s3, 0
	v_writelane_b32 v167, s2, 8
	s_nop 1
	v_writelane_b32 v167, s3, 9
	s_nop 0
	v_readlane_b32 s2, v167, 22
	v_readlane_b32 s3, v167, 23
	s_add_u32 s2, s2, 0x1000
	s_addc_u32 s3, s3, 0
	v_writelane_b32 v167, s2, 22
	s_nop 1
	v_writelane_b32 v167, s3, 23
	s_nop 0
	v_readlane_b32 s3, v167, 59
	s_add_i32 s3, s3, 1
	v_readlane_b32 s2, v167, 36
	s_cmp_eq_u32 s3, s2
	s_cbranch_scc1 .LBB63_238
.LBB63_13:                              ; =>This Loop Header: Depth=1
                                        ;     Child Loop BB63_110 Depth 2
	v_writelane_b32 v167, s3, 59
	s_lshl_b32 s18, s3, 11
	v_readlane_b32 s2, v167, 34
	s_mov_b32 s4, s18
	v_readlane_b32 s3, v167, 35
	v_writelane_b32 v167, s4, 60
	s_waitcnt lgkmcnt(14)
	v_lshlrev_b32_e32 v16, 1, v18
	s_sub_i32 s88, s2, s18
	v_writelane_b32 v167, s5, 61
	v_writelane_b32 v167, s10, 62
	v_mov_b32_e32 v23, v17
	v_cmp_gt_u32_e64 s[26:27], s88, v68
	v_lshl_add_u64 v[0:1], s[10:11], 0, v[16:17]
	v_writelane_b32 v167, s11, 63
	v_lshl_add_u64 v[0:1], v[0:1], 0, v[22:23]
	s_waitcnt lgkmcnt(0)
	v_mov_b32_e32 v2, 0
	s_barrier
	s_and_saveexec_b64 s[2:3], s[26:27]
	s_cbranch_execz .LBB63_15
; %bb.14:                               ;   in Loop: Header=BB63_13 Depth=1
	global_load_ushort v2, v[0:1], off
.LBB63_15:                              ;   in Loop: Header=BB63_13 Depth=1
	s_or_b64 exec, exec, s[2:3]
	v_cmp_gt_u32_e64 s[28:29], s88, v69
	v_mov_b32_e32 v3, 0
	v_mov_b32_e32 v4, 0
	s_and_saveexec_b64 s[2:3], s[28:29]
	s_cbranch_execz .LBB63_17
; %bb.16:                               ;   in Loop: Header=BB63_13 Depth=1
	global_load_ushort v4, v[0:1], off offset:128
.LBB63_17:                              ;   in Loop: Header=BB63_13 Depth=1
	s_or_b64 exec, exec, s[2:3]
	v_cmp_gt_u32_e64 s[30:31], s88, v133
	s_and_saveexec_b64 s[2:3], s[30:31]
	s_cbranch_execz .LBB63_19
; %bb.18:                               ;   in Loop: Header=BB63_13 Depth=1
	global_load_ushort v3, v[0:1], off offset:256
.LBB63_19:                              ;   in Loop: Header=BB63_13 Depth=1
	s_or_b64 exec, exec, s[2:3]
	v_cmp_gt_u32_e64 s[34:35], s88, v134
	v_mov_b32_e32 v5, 0
	v_mov_b32_e32 v6, 0
	s_and_saveexec_b64 s[2:3], s[34:35]
	s_cbranch_execz .LBB63_21
; %bb.20:                               ;   in Loop: Header=BB63_13 Depth=1
	global_load_ushort v6, v[0:1], off offset:384
.LBB63_21:                              ;   in Loop: Header=BB63_13 Depth=1
	s_or_b64 exec, exec, s[2:3]
	v_cmp_gt_u32_e64 s[36:37], s88, v72
	s_and_saveexec_b64 s[2:3], s[36:37]
	s_cbranch_execz .LBB63_23
; %bb.22:                               ;   in Loop: Header=BB63_13 Depth=1
	global_load_ushort v5, v[0:1], off offset:512
.LBB63_23:                              ;   in Loop: Header=BB63_13 Depth=1
	;; [unrolled: 16-line block ×7, first 2 shown]
	s_or_b64 exec, exec, s[2:3]
	v_cmp_gt_u32_e64 s[58:59], s88, v83
	v_mov_b32_e32 v10, 0
	v_mov_b32_e32 v26, 0
	s_and_saveexec_b64 s[2:3], s[58:59]
	s_cbranch_execz .LBB63_45
; %bb.44:                               ;   in Loop: Header=BB63_13 Depth=1
	global_load_ushort v26, v[0:1], off offset:1920
.LBB63_45:                              ;   in Loop: Header=BB63_13 Depth=1
	s_or_b64 exec, exec, s[2:3]
	s_waitcnt vmcnt(0)
	ds_write_b16 v84, v2
	ds_write_b16 v85, v4 offset:128
	ds_write_b16 v86, v3 offset:256
	;; [unrolled: 1-line block ×15, first 2 shown]
	; wave barrier
	ds_read_b128 v[0:3], v100
	ds_read_b128 v[4:7], v100 offset:16
	v_readlane_b32 s2, v167, 4
	v_readlane_b32 s3, v167, 5
	v_mov_b32_e32 v23, v17
	s_waitcnt lgkmcnt(0)
	v_lshl_add_u64 v[8:9], s[2:3], 0, v[16:17]
	v_lshl_add_u64 v[8:9], v[8:9], 0, v[22:23]
	s_barrier
	s_and_saveexec_b64 s[2:3], s[26:27]
	s_cbranch_execz .LBB63_47
; %bb.46:                               ;   in Loop: Header=BB63_13 Depth=1
	global_load_ushort v10, v[8:9], off
.LBB63_47:                              ;   in Loop: Header=BB63_13 Depth=1
	s_or_b64 exec, exec, s[2:3]
	v_mov_b32_e32 v11, 0
	v_mov_b32_e32 v12, 0
	s_and_saveexec_b64 s[2:3], s[28:29]
	s_cbranch_execz .LBB63_49
; %bb.48:                               ;   in Loop: Header=BB63_13 Depth=1
	global_load_ushort v12, v[8:9], off offset:128
.LBB63_49:                              ;   in Loop: Header=BB63_13 Depth=1
	s_or_b64 exec, exec, s[2:3]
	s_and_saveexec_b64 s[2:3], s[30:31]
	s_cbranch_execz .LBB63_51
; %bb.50:                               ;   in Loop: Header=BB63_13 Depth=1
	global_load_ushort v11, v[8:9], off offset:256
.LBB63_51:                              ;   in Loop: Header=BB63_13 Depth=1
	s_or_b64 exec, exec, s[2:3]
	v_mov_b32_e32 v13, 0
	v_mov_b32_e32 v14, 0
	s_and_saveexec_b64 s[2:3], s[34:35]
	s_cbranch_execz .LBB63_53
; %bb.52:                               ;   in Loop: Header=BB63_13 Depth=1
	global_load_ushort v14, v[8:9], off offset:384
.LBB63_53:                              ;   in Loop: Header=BB63_13 Depth=1
	s_or_b64 exec, exec, s[2:3]
	s_and_saveexec_b64 s[2:3], s[36:37]
	s_cbranch_execz .LBB63_55
; %bb.54:                               ;   in Loop: Header=BB63_13 Depth=1
	global_load_ushort v13, v[8:9], off offset:512
.LBB63_55:                              ;   in Loop: Header=BB63_13 Depth=1
	;; [unrolled: 14-line block ×6, first 2 shown]
	s_or_b64 exec, exec, s[2:3]
	v_mov_b32_e32 v31, 0
	v_mov_b32_e32 v32, 0
	s_and_saveexec_b64 s[2:3], s[54:55]
	s_cbranch_execnz .LBB63_221
; %bb.72:                               ;   in Loop: Header=BB63_13 Depth=1
	s_or_b64 exec, exec, s[2:3]
	s_and_saveexec_b64 s[2:3], s[56:57]
	s_cbranch_execnz .LBB63_222
.LBB63_73:                              ;   in Loop: Header=BB63_13 Depth=1
	s_or_b64 exec, exec, s[2:3]
	v_mov_b32_e32 v33, 0
	s_and_saveexec_b64 s[2:3], s[58:59]
	s_cbranch_execz .LBB63_75
.LBB63_74:                              ;   in Loop: Header=BB63_13 Depth=1
	global_load_ushort v33, v[8:9], off offset:1920
.LBB63_75:                              ;   in Loop: Header=BB63_13 Depth=1
	s_or_b64 exec, exec, s[2:3]
	s_waitcnt vmcnt(0)
	ds_write_b16 v84, v10
	ds_write_b16 v85, v12 offset:128
	ds_write_b16 v86, v11 offset:256
	;; [unrolled: 1-line block ×15, first 2 shown]
	; wave barrier
	ds_read_b128 v[12:15], v100
	ds_read_b128 v[8:11], v100 offset:16
	v_readlane_b32 s2, v167, 2
	s_waitcnt lgkmcnt(1)
	v_lshlrev_b32_e32 v23, 16, v12
	v_add_f32_e32 v140, s2, v23
	v_readlane_b32 s2, v167, 30
	v_cmp_ge_f32_e32 vcc, s6, v140
	v_readlane_b32 s3, v167, 31
	s_and_b64 s[2:3], s[2:3], vcc
	s_and_saveexec_b64 s[4:5], s[2:3]
	s_cbranch_execz .LBB63_77
; %bb.76:                               ;   in Loop: Header=BB63_13 Depth=1
	v_mul_f32_e32 v23, 0x3fb8aa3b, v140
	v_rndne_f32_e32 v25, v23
	v_sub_f32_e32 v26, v23, v25
	v_fma_f32 v23, v140, s8, -v23
	v_fmac_f32_e32 v23, 0x32a5705f, v140
	v_add_f32_e32 v23, v26, v23
	v_cvt_i32_f32_e32 v25, v25
	v_exp_f32_e32 v23, v23
	v_cmp_ngt_f32_e32 vcc, s9, v140
	v_ldexp_f32 v23, v23, v25
	s_nop 0
	v_cndmask_b32_e32 v23, 0, v23, vcc
	v_cmp_nlt_f32_e32 vcc, s12, v140
	s_nop 1
	v_cndmask_b32_e32 v42, v136, v23, vcc
	v_add_f32_e32 v23, 1.0, v42
	v_add_f32_e32 v25, -1.0, v23
	v_sub_f32_e32 v26, v25, v23
	v_add_f32_e32 v26, 1.0, v26
	v_sub_f32_e32 v25, v42, v25
	v_add_f32_e32 v25, v25, v26
	v_frexp_mant_f32_e32 v28, v23
	v_cvt_f64_f32_e32 v[26:27], v23
	v_frexp_exp_i32_f64_e32 v26, v[26:27]
	v_cmp_gt_f32_e32 vcc, s14, v28
	v_cmp_gt_f32_e64 s[60:61], s16, v42
	s_nop 0
	v_subbrev_co_u32_e32 v34, vcc, 0, v26, vcc
	v_sub_u32_e32 v26, 0, v34
	v_ldexp_f32 v23, v23, v26
	v_ldexp_f32 v25, v25, v26
	v_add_f32_e32 v26, -1.0, v23
	v_add_f32_e32 v27, 1.0, v26
	v_sub_f32_e32 v27, v23, v27
	v_add_f32_e32 v28, v25, v27
	v_add_f32_e32 v27, 1.0, v23
	v_add_f32_e32 v29, -1.0, v27
	v_sub_f32_e32 v23, v23, v29
	v_add_f32_e32 v23, v25, v23
	v_add_f32_e32 v25, v27, v23
	v_rcp_f32_e32 v35, v25
	v_sub_f32_e32 v27, v27, v25
	v_add_f32_e32 v23, v23, v27
	v_add_f32_e32 v27, v26, v28
	v_sub_f32_e32 v26, v26, v27
	v_mul_f32_e32 v37, v27, v35
	v_add_f32_e32 v36, v28, v26
	v_mul_f32_e32 v28, v25, v37
	v_fma_f32 v30, v37, v25, -v28
	v_fmac_f32_e32 v30, v37, v23
	v_add_f32_e32 v26, v28, v30
	v_sub_f32_e32 v29, v27, v26
	v_pk_add_f32 v[32:33], v[26:27], v[28:29] neg_lo:[0,1] neg_hi:[0,1]
	v_mov_b32_e32 v31, v26
	v_pk_add_f32 v[26:27], v[32:33], v[30:31] neg_lo:[0,1] neg_hi:[0,1]
	v_cmp_eq_f32_e32 vcc, s13, v42
	v_add_f32_e32 v27, v36, v27
	v_add_f32_e32 v26, v26, v27
	;; [unrolled: 1-line block ×3, first 2 shown]
	v_mul_f32_e32 v36, v35, v27
	v_mul_f32_e32 v28, v25, v36
	v_fma_f32 v30, v36, v25, -v28
	v_fmac_f32_e32 v30, v36, v23
	v_sub_f32_e32 v23, v29, v27
	v_add_f32_e32 v23, v26, v23
	v_add_f32_e32 v26, v28, v30
	v_sub_f32_e32 v29, v27, v26
	v_pk_add_f32 v[32:33], v[26:27], v[28:29] neg_lo:[0,1] neg_hi:[0,1]
	v_mov_b32_e32 v31, v26
	v_pk_add_f32 v[26:27], v[32:33], v[30:31] neg_lo:[0,1] neg_hi:[0,1]
	s_or_b64 vcc, s[60:61], vcc
	v_add_f32_e32 v23, v23, v27
	v_add_f32_e32 v23, v26, v23
	;; [unrolled: 1-line block ×4, first 2 shown]
	v_sub_f32_e32 v25, v27, v37
	v_mul_f32_e32 v23, v35, v23
	v_sub_f32_e32 v25, v36, v25
	v_add_f32_e32 v23, v25, v23
	v_add_f32_e32 v28, v27, v23
	v_cvt_f32_i32_e32 v26, v34
	v_mul_f32_e32 v30, v28, v28
	v_fmamk_f32 v25, v30, 0x3e9b6dac, v135
	v_sub_f32_e32 v27, v28, v27
	v_fmaak_f32 v25, v30, v25, 0x3f2aaada
	v_sub_f32_e32 v23, v23, v27
	v_mul_f32_e32 v27, v28, v30
	v_pk_mul_f32 v[30:31], v[26:27], v[24:25]
	v_ldexp_f32 v29, v28, 1
	v_fma_f32 v28, v26, s15, -v30
	v_fmac_f32_e32 v28, 0xb102e308, v26
	v_pk_add_f32 v[26:27], v[30:31], v[28:29]
	v_ldexp_f32 v23, v23, 1
	v_sub_f32_e32 v25, v27, v29
	v_sub_f32_e32 v25, v31, v25
	v_add_f32_e32 v33, v23, v25
	v_mov_b32_e32 v32, v30
	v_pk_add_f32 v[30:31], v[26:27], v[30:31] neg_lo:[0,1] neg_hi:[0,1]
	v_pk_add_f32 v[34:35], v[26:27], v[32:33]
	v_mov_b32_e32 v29, v26
	v_mov_b32_e32 v31, v35
	v_pk_add_f32 v[36:37], v[28:29], v[30:31] neg_lo:[0,1] neg_hi:[0,1]
	v_pk_add_f32 v[28:29], v[28:29], v[30:31]
	v_mov_b32_e32 v32, v33
	v_mov_b32_e32 v30, v29
	v_pk_add_f32 v[38:39], v[30:31], v[26:27] neg_lo:[0,1] neg_hi:[0,1]
	v_mov_b32_e32 v28, v35
	v_mov_b32_e32 v23, v38
	v_pk_add_f32 v[40:41], v[34:35], v[22:23] neg_lo:[0,1] neg_hi:[0,1]
	v_mov_b32_e32 v34, v27
	v_mov_b32_e32 v35, v38
	;; [unrolled: 1-line block ×3, first 2 shown]
	v_pk_add_f32 v[28:29], v[28:29], v[34:35] neg_lo:[0,1] neg_hi:[0,1]
	v_mov_b32_e32 v33, v26
	v_pk_add_f32 v[26:27], v[32:33], v[28:29] neg_lo:[0,1] neg_hi:[0,1]
	v_mov_b32_e32 v40, v36
	v_pk_add_f32 v[28:29], v[40:41], v[26:27]
	s_nop 0
	v_mov_b32_e32 v32, v29
	v_pk_add_f32 v[32:33], v[28:29], v[32:33]
	s_nop 0
	v_pk_add_f32 v[30:31], v[30:31], v[32:33]
	v_mov_b32_e32 v27, v32
	v_mov_b32_e32 v29, v30
	v_pk_add_f32 v[34:35], v[28:29], v[36:37] neg_lo:[0,1] neg_hi:[0,1]
	s_nop 0
	v_sub_f32_e32 v23, v28, v34
	v_pk_add_f32 v[26:27], v[26:27], v[34:35] neg_lo:[0,1] neg_hi:[0,1]
	v_sub_f32_e32 v23, v36, v23
	v_add_f32_e32 v23, v26, v23
	v_add_f32_e32 v23, v23, v27
	;; [unrolled: 1-line block ×3, first 2 shown]
	v_cndmask_b32_e32 v140, v23, v42, vcc
.LBB63_77:                              ;   in Loop: Header=BB63_13 Depth=1
	s_or_b64 exec, exec, s[4:5]
	v_and_b32_e32 v12, 0xffff0000, v12
	v_readlane_b32 s2, v167, 2
	s_nop 1
	v_add_f32_e32 v141, s2, v12
	v_readlane_b32 s2, v167, 30
	v_cmp_ge_f32_e32 vcc, s6, v141
	v_readlane_b32 s3, v167, 31
	s_and_b64 s[2:3], s[2:3], vcc
	s_and_saveexec_b64 s[4:5], s[2:3]
	s_cbranch_execz .LBB63_79
; %bb.78:                               ;   in Loop: Header=BB63_13 Depth=1
	v_mul_f32_e32 v12, 0x3fb8aa3b, v141
	v_rndne_f32_e32 v23, v12
	v_sub_f32_e32 v25, v12, v23
	v_fma_f32 v12, v141, s8, -v12
	v_fmac_f32_e32 v12, 0x32a5705f, v141
	v_add_f32_e32 v12, v25, v12
	v_cvt_i32_f32_e32 v23, v23
	v_exp_f32_e32 v12, v12
	v_cmp_ngt_f32_e32 vcc, s9, v141
	v_ldexp_f32 v12, v12, v23
	s_nop 0
	v_cndmask_b32_e32 v12, 0, v12, vcc
	v_cmp_nlt_f32_e32 vcc, s12, v141
	s_nop 1
	v_cndmask_b32_e32 v40, v136, v12, vcc
	v_add_f32_e32 v12, 1.0, v40
	v_add_f32_e32 v23, -1.0, v12
	v_sub_f32_e32 v25, v23, v12
	v_add_f32_e32 v25, 1.0, v25
	v_sub_f32_e32 v23, v40, v23
	v_add_f32_e32 v23, v23, v25
	v_frexp_mant_f32_e32 v25, v12
	v_cvt_f64_f32_e32 v[26:27], v12
	v_frexp_exp_i32_f64_e32 v26, v[26:27]
	v_cmp_gt_f32_e32 vcc, s14, v25
	v_cmp_gt_f32_e64 s[60:61], s16, v40
	s_nop 0
	v_subbrev_co_u32_e32 v34, vcc, 0, v26, vcc
	v_sub_u32_e32 v25, 0, v34
	v_ldexp_f32 v12, v12, v25
	v_ldexp_f32 v23, v23, v25
	v_add_f32_e32 v25, -1.0, v12
	v_add_f32_e32 v27, 1.0, v12
	v_add_f32_e32 v26, 1.0, v25
	v_add_f32_e32 v28, -1.0, v27
	v_sub_f32_e32 v26, v12, v26
	v_sub_f32_e32 v12, v12, v28
	v_add_f32_e32 v12, v23, v12
	v_add_f32_e32 v26, v23, v26
	;; [unrolled: 1-line block ×3, first 2 shown]
	v_rcp_f32_e32 v35, v23
	v_sub_f32_e32 v27, v27, v23
	v_add_f32_e32 v12, v12, v27
	v_add_f32_e32 v27, v25, v26
	v_mul_f32_e32 v36, v27, v35
	v_mul_f32_e32 v28, v23, v36
	v_fma_f32 v30, v36, v23, -v28
	v_sub_f32_e32 v25, v25, v27
	v_fmac_f32_e32 v30, v36, v12
	v_add_f32_e32 v25, v26, v25
	v_add_f32_e32 v26, v28, v30
	v_sub_f32_e32 v29, v27, v26
	v_pk_add_f32 v[32:33], v[26:27], v[28:29] neg_lo:[0,1] neg_hi:[0,1]
	v_mov_b32_e32 v31, v26
	v_pk_add_f32 v[26:27], v[32:33], v[30:31] neg_lo:[0,1] neg_hi:[0,1]
	v_cmp_eq_f32_e32 vcc, s13, v40
	v_add_f32_e32 v25, v25, v27
	v_add_f32_e32 v25, v26, v25
	;; [unrolled: 1-line block ×3, first 2 shown]
	v_mul_f32_e32 v37, v35, v27
	v_mul_f32_e32 v28, v23, v37
	v_fma_f32 v30, v37, v23, -v28
	v_fmac_f32_e32 v30, v37, v12
	v_add_f32_e32 v26, v28, v30
	v_sub_f32_e32 v12, v29, v27
	v_sub_f32_e32 v29, v27, v26
	v_pk_add_f32 v[32:33], v[26:27], v[28:29] neg_lo:[0,1] neg_hi:[0,1]
	v_mov_b32_e32 v31, v26
	v_add_f32_e32 v12, v25, v12
	v_pk_add_f32 v[26:27], v[32:33], v[30:31] neg_lo:[0,1] neg_hi:[0,1]
	v_add_f32_e32 v23, v36, v37
	v_add_f32_e32 v12, v12, v27
	;; [unrolled: 1-line block ×4, first 2 shown]
	v_sub_f32_e32 v25, v23, v36
	v_mul_f32_e32 v12, v35, v12
	v_sub_f32_e32 v25, v37, v25
	v_add_f32_e32 v12, v25, v12
	v_add_f32_e32 v27, v23, v12
	v_cvt_f32_i32_e32 v26, v34
	v_mul_f32_e32 v28, v27, v27
	v_fmamk_f32 v25, v28, 0x3e9b6dac, v135
	v_fmaak_f32 v25, v28, v25, 0x3f2aaada
	v_sub_f32_e32 v23, v27, v23
	v_ldexp_f32 v29, v27, 1
	v_mul_f32_e32 v27, v27, v28
	v_pk_mul_f32 v[30:31], v[26:27], v[24:25]
	v_sub_f32_e32 v12, v12, v23
	v_fma_f32 v28, v26, s15, -v30
	v_fmac_f32_e32 v28, 0xb102e308, v26
	v_pk_add_f32 v[26:27], v[30:31], v[28:29]
	v_ldexp_f32 v12, v12, 1
	v_sub_f32_e32 v23, v27, v29
	v_sub_f32_e32 v23, v31, v23
	v_add_f32_e32 v33, v12, v23
	v_mov_b32_e32 v32, v30
	v_pk_add_f32 v[30:31], v[26:27], v[30:31] neg_lo:[0,1] neg_hi:[0,1]
	v_pk_add_f32 v[34:35], v[26:27], v[32:33]
	v_mov_b32_e32 v29, v26
	v_mov_b32_e32 v31, v35
	v_pk_add_f32 v[36:37], v[28:29], v[30:31] neg_lo:[0,1] neg_hi:[0,1]
	v_pk_add_f32 v[28:29], v[28:29], v[30:31]
	s_or_b64 vcc, s[60:61], vcc
	v_mov_b32_e32 v12, v29
	v_pk_add_f32 v[30:31], v[12:13], v[26:27] neg_lo:[0,1] neg_hi:[0,1]
	v_mov_b32_e32 v28, v35
	v_mov_b32_e32 v23, v30
	v_pk_add_f32 v[38:39], v[34:35], v[22:23] neg_lo:[0,1] neg_hi:[0,1]
	v_mov_b32_e32 v34, v27
	v_mov_b32_e32 v35, v30
	;; [unrolled: 1-line block ×3, first 2 shown]
	v_pk_add_f32 v[28:29], v[28:29], v[34:35] neg_lo:[0,1] neg_hi:[0,1]
	v_mov_b32_e32 v30, v33
	v_mov_b32_e32 v31, v26
	v_pk_add_f32 v[26:27], v[30:31], v[28:29] neg_lo:[0,1] neg_hi:[0,1]
	v_mov_b32_e32 v38, v36
	v_pk_add_f32 v[28:29], v[38:39], v[26:27]
	s_nop 0
	v_mov_b32_e32 v30, v29
	v_pk_add_f32 v[30:31], v[28:29], v[30:31]
	s_nop 0
	v_pk_add_f32 v[32:33], v[12:13], v[30:31]
	v_mov_b32_e32 v27, v30
	v_mov_b32_e32 v29, v32
	v_pk_add_f32 v[34:35], v[28:29], v[36:37] neg_lo:[0,1] neg_hi:[0,1]
	s_nop 0
	v_sub_f32_e32 v12, v28, v34
	v_pk_add_f32 v[26:27], v[26:27], v[34:35] neg_lo:[0,1] neg_hi:[0,1]
	v_sub_f32_e32 v12, v36, v12
	v_add_f32_e32 v12, v26, v12
	v_add_f32_e32 v12, v12, v27
	;; [unrolled: 1-line block ×3, first 2 shown]
	v_cndmask_b32_e32 v141, v12, v40, vcc
.LBB63_79:                              ;   in Loop: Header=BB63_13 Depth=1
	s_or_b64 exec, exec, s[4:5]
	v_lshlrev_b32_e32 v12, 16, v13
	v_readlane_b32 s2, v167, 2
	s_nop 1
	v_add_f32_e32 v142, s2, v12
	v_readlane_b32 s2, v167, 30
	v_cmp_ge_f32_e32 vcc, s6, v142
	v_readlane_b32 s3, v167, 31
	s_and_b64 s[2:3], s[2:3], vcc
	s_and_saveexec_b64 s[4:5], s[2:3]
	s_cbranch_execz .LBB63_81
; %bb.80:                               ;   in Loop: Header=BB63_13 Depth=1
	v_mul_f32_e32 v12, 0x3fb8aa3b, v142
	v_rndne_f32_e32 v23, v12
	v_sub_f32_e32 v25, v12, v23
	v_fma_f32 v12, v142, s8, -v12
	v_fmac_f32_e32 v12, 0x32a5705f, v142
	v_add_f32_e32 v12, v25, v12
	v_cvt_i32_f32_e32 v23, v23
	v_exp_f32_e32 v12, v12
	v_cmp_ngt_f32_e32 vcc, s9, v142
	v_ldexp_f32 v12, v12, v23
	s_nop 0
	v_cndmask_b32_e32 v12, 0, v12, vcc
	v_cmp_nlt_f32_e32 vcc, s12, v142
	s_nop 1
	v_cndmask_b32_e32 v40, v136, v12, vcc
	v_add_f32_e32 v12, 1.0, v40
	v_add_f32_e32 v23, -1.0, v12
	v_sub_f32_e32 v25, v23, v12
	v_add_f32_e32 v25, 1.0, v25
	v_sub_f32_e32 v23, v40, v23
	v_add_f32_e32 v23, v23, v25
	v_frexp_mant_f32_e32 v25, v12
	v_cvt_f64_f32_e32 v[26:27], v12
	v_frexp_exp_i32_f64_e32 v26, v[26:27]
	v_cmp_gt_f32_e32 vcc, s14, v25
	v_cmp_gt_f32_e64 s[60:61], s16, v40
	s_nop 0
	v_subbrev_co_u32_e32 v34, vcc, 0, v26, vcc
	v_sub_u32_e32 v25, 0, v34
	v_ldexp_f32 v12, v12, v25
	v_ldexp_f32 v23, v23, v25
	v_add_f32_e32 v25, -1.0, v12
	v_add_f32_e32 v27, 1.0, v12
	v_add_f32_e32 v26, 1.0, v25
	v_add_f32_e32 v28, -1.0, v27
	v_sub_f32_e32 v26, v12, v26
	v_sub_f32_e32 v12, v12, v28
	v_add_f32_e32 v12, v23, v12
	v_add_f32_e32 v26, v23, v26
	;; [unrolled: 1-line block ×3, first 2 shown]
	v_rcp_f32_e32 v35, v23
	v_sub_f32_e32 v27, v27, v23
	v_add_f32_e32 v12, v12, v27
	v_add_f32_e32 v27, v25, v26
	v_mul_f32_e32 v36, v27, v35
	v_mul_f32_e32 v28, v23, v36
	v_fma_f32 v30, v36, v23, -v28
	v_sub_f32_e32 v25, v25, v27
	v_fmac_f32_e32 v30, v36, v12
	v_add_f32_e32 v25, v26, v25
	v_add_f32_e32 v26, v28, v30
	v_sub_f32_e32 v29, v27, v26
	v_pk_add_f32 v[32:33], v[26:27], v[28:29] neg_lo:[0,1] neg_hi:[0,1]
	v_mov_b32_e32 v31, v26
	v_pk_add_f32 v[26:27], v[32:33], v[30:31] neg_lo:[0,1] neg_hi:[0,1]
	v_cmp_eq_f32_e32 vcc, s13, v40
	v_add_f32_e32 v25, v25, v27
	v_add_f32_e32 v25, v26, v25
	;; [unrolled: 1-line block ×3, first 2 shown]
	v_mul_f32_e32 v37, v35, v27
	v_mul_f32_e32 v28, v23, v37
	v_fma_f32 v30, v37, v23, -v28
	v_fmac_f32_e32 v30, v37, v12
	v_add_f32_e32 v26, v28, v30
	v_sub_f32_e32 v12, v29, v27
	v_sub_f32_e32 v29, v27, v26
	v_pk_add_f32 v[32:33], v[26:27], v[28:29] neg_lo:[0,1] neg_hi:[0,1]
	v_mov_b32_e32 v31, v26
	v_add_f32_e32 v12, v25, v12
	v_pk_add_f32 v[26:27], v[32:33], v[30:31] neg_lo:[0,1] neg_hi:[0,1]
	v_add_f32_e32 v23, v36, v37
	v_add_f32_e32 v12, v12, v27
	;; [unrolled: 1-line block ×4, first 2 shown]
	v_sub_f32_e32 v25, v23, v36
	v_mul_f32_e32 v12, v35, v12
	v_sub_f32_e32 v25, v37, v25
	v_add_f32_e32 v12, v25, v12
	v_add_f32_e32 v27, v23, v12
	v_cvt_f32_i32_e32 v26, v34
	v_mul_f32_e32 v28, v27, v27
	v_fmamk_f32 v25, v28, 0x3e9b6dac, v135
	v_fmaak_f32 v25, v28, v25, 0x3f2aaada
	v_sub_f32_e32 v23, v27, v23
	v_ldexp_f32 v29, v27, 1
	v_mul_f32_e32 v27, v27, v28
	v_pk_mul_f32 v[30:31], v[26:27], v[24:25]
	v_sub_f32_e32 v12, v12, v23
	v_fma_f32 v28, v26, s15, -v30
	v_fmac_f32_e32 v28, 0xb102e308, v26
	v_pk_add_f32 v[26:27], v[30:31], v[28:29]
	v_ldexp_f32 v12, v12, 1
	v_sub_f32_e32 v23, v27, v29
	v_sub_f32_e32 v23, v31, v23
	v_add_f32_e32 v33, v12, v23
	v_mov_b32_e32 v32, v30
	v_pk_add_f32 v[30:31], v[26:27], v[30:31] neg_lo:[0,1] neg_hi:[0,1]
	v_pk_add_f32 v[34:35], v[26:27], v[32:33]
	v_mov_b32_e32 v29, v26
	v_mov_b32_e32 v31, v35
	v_pk_add_f32 v[36:37], v[28:29], v[30:31] neg_lo:[0,1] neg_hi:[0,1]
	v_pk_add_f32 v[28:29], v[28:29], v[30:31]
	s_or_b64 vcc, s[60:61], vcc
	v_mov_b32_e32 v12, v29
	v_pk_add_f32 v[30:31], v[12:13], v[26:27] neg_lo:[0,1] neg_hi:[0,1]
	v_mov_b32_e32 v28, v35
	v_mov_b32_e32 v23, v30
	v_pk_add_f32 v[38:39], v[34:35], v[22:23] neg_lo:[0,1] neg_hi:[0,1]
	v_mov_b32_e32 v34, v27
	v_mov_b32_e32 v35, v30
	;; [unrolled: 1-line block ×3, first 2 shown]
	v_pk_add_f32 v[28:29], v[28:29], v[34:35] neg_lo:[0,1] neg_hi:[0,1]
	v_mov_b32_e32 v30, v33
	v_mov_b32_e32 v31, v26
	v_pk_add_f32 v[26:27], v[30:31], v[28:29] neg_lo:[0,1] neg_hi:[0,1]
	v_mov_b32_e32 v38, v36
	v_pk_add_f32 v[28:29], v[38:39], v[26:27]
	s_nop 0
	v_mov_b32_e32 v30, v29
	v_pk_add_f32 v[30:31], v[28:29], v[30:31]
	s_nop 0
	v_pk_add_f32 v[32:33], v[12:13], v[30:31]
	v_mov_b32_e32 v27, v30
	v_mov_b32_e32 v29, v32
	v_pk_add_f32 v[34:35], v[28:29], v[36:37] neg_lo:[0,1] neg_hi:[0,1]
	s_nop 0
	v_sub_f32_e32 v12, v28, v34
	v_pk_add_f32 v[26:27], v[26:27], v[34:35] neg_lo:[0,1] neg_hi:[0,1]
	v_sub_f32_e32 v12, v36, v12
	v_add_f32_e32 v12, v26, v12
	v_add_f32_e32 v12, v12, v27
	;; [unrolled: 1-line block ×3, first 2 shown]
	v_cndmask_b32_e32 v142, v12, v40, vcc
.LBB63_81:                              ;   in Loop: Header=BB63_13 Depth=1
	s_or_b64 exec, exec, s[4:5]
	v_and_b32_e32 v12, 0xffff0000, v13
	v_readlane_b32 s2, v167, 2
	s_nop 1
	v_add_f32_e32 v143, s2, v12
	v_readlane_b32 s2, v167, 30
	v_cmp_ge_f32_e32 vcc, s6, v143
	v_readlane_b32 s3, v167, 31
	s_and_b64 s[2:3], s[2:3], vcc
	s_and_saveexec_b64 s[4:5], s[2:3]
	s_cbranch_execz .LBB63_83
; %bb.82:                               ;   in Loop: Header=BB63_13 Depth=1
	v_mul_f32_e32 v12, 0x3fb8aa3b, v143
	v_rndne_f32_e32 v13, v12
	v_sub_f32_e32 v23, v12, v13
	v_fma_f32 v12, v143, s8, -v12
	v_fmac_f32_e32 v12, 0x32a5705f, v143
	v_add_f32_e32 v12, v23, v12
	v_cvt_i32_f32_e32 v13, v13
	v_exp_f32_e32 v12, v12
	v_cmp_ngt_f32_e32 vcc, s9, v143
	v_ldexp_f32 v12, v12, v13
	s_nop 0
	v_cndmask_b32_e32 v12, 0, v12, vcc
	v_cmp_nlt_f32_e32 vcc, s12, v143
	s_nop 1
	v_cndmask_b32_e32 v40, v136, v12, vcc
	v_add_f32_e32 v23, 1.0, v40
	v_add_f32_e32 v12, -1.0, v23
	v_sub_f32_e32 v13, v12, v23
	v_add_f32_e32 v13, 1.0, v13
	v_sub_f32_e32 v12, v40, v12
	v_add_f32_e32 v25, v12, v13
	v_frexp_mant_f32_e32 v26, v23
	v_cvt_f64_f32_e32 v[12:13], v23
	v_frexp_exp_i32_f64_e32 v12, v[12:13]
	v_cmp_gt_f32_e32 vcc, s14, v26
	v_cmp_gt_f32_e64 s[60:61], s16, v40
	s_nop 0
	v_subbrev_co_u32_e32 v32, vcc, 0, v12, vcc
	v_sub_u32_e32 v12, 0, v32
	v_ldexp_f32 v13, v23, v12
	v_add_f32_e32 v23, -1.0, v13
	v_add_f32_e32 v26, 1.0, v13
	v_ldexp_f32 v12, v25, v12
	v_add_f32_e32 v25, 1.0, v23
	v_add_f32_e32 v27, -1.0, v26
	v_sub_f32_e32 v25, v13, v25
	v_sub_f32_e32 v13, v13, v27
	v_add_f32_e32 v25, v12, v25
	v_add_f32_e32 v12, v12, v13
	;; [unrolled: 1-line block ×3, first 2 shown]
	v_rcp_f32_e32 v35, v33
	v_sub_f32_e32 v13, v26, v33
	v_add_f32_e32 v34, v12, v13
	v_add_f32_e32 v13, v23, v25
	v_sub_f32_e32 v12, v23, v13
	v_add_f32_e32 v23, v25, v12
	v_mul_f32_e32 v25, v13, v35
	v_mul_f32_e32 v26, v33, v25
	v_fma_f32 v28, v25, v33, -v26
	v_fmac_f32_e32 v28, v25, v34
	v_add_f32_e32 v12, v26, v28
	v_sub_f32_e32 v27, v13, v12
	v_pk_add_f32 v[30:31], v[12:13], v[26:27] neg_lo:[0,1] neg_hi:[0,1]
	v_mov_b32_e32 v29, v12
	v_pk_add_f32 v[12:13], v[30:31], v[28:29] neg_lo:[0,1] neg_hi:[0,1]
	v_cmp_eq_f32_e32 vcc, s13, v40
	v_add_f32_e32 v13, v23, v13
	v_add_f32_e32 v12, v12, v13
	;; [unrolled: 1-line block ×3, first 2 shown]
	v_mul_f32_e32 v23, v35, v13
	v_mul_f32_e32 v26, v33, v23
	v_fma_f32 v28, v23, v33, -v26
	v_fmac_f32_e32 v28, v23, v34
	v_sub_f32_e32 v27, v27, v13
	v_add_f32_e32 v33, v12, v27
	v_add_f32_e32 v12, v26, v28
	v_sub_f32_e32 v27, v13, v12
	v_pk_add_f32 v[30:31], v[12:13], v[26:27] neg_lo:[0,1] neg_hi:[0,1]
	v_mov_b32_e32 v29, v12
	v_pk_add_f32 v[12:13], v[30:31], v[28:29] neg_lo:[0,1] neg_hi:[0,1]
	s_or_b64 vcc, s[60:61], vcc
	v_add_f32_e32 v13, v33, v13
	v_add_f32_e32 v12, v12, v13
	;; [unrolled: 1-line block ×4, first 2 shown]
	v_sub_f32_e32 v25, v13, v25
	v_mul_f32_e32 v12, v35, v12
	v_sub_f32_e32 v23, v23, v25
	v_add_f32_e32 v23, v23, v12
	v_add_f32_e32 v26, v13, v23
	v_mul_f32_e32 v28, v26, v26
	v_fmamk_f32 v12, v28, 0x3e9b6dac, v135
	v_fmaak_f32 v25, v28, v12, 0x3f2aaada
	v_cvt_f32_i32_e32 v12, v32
	v_sub_f32_e32 v13, v26, v13
	v_sub_f32_e32 v13, v23, v13
	v_ldexp_f32 v23, v13, 1
	v_mul_f32_e32 v13, v26, v28
	v_pk_mul_f32 v[28:29], v[12:13], v[24:25]
	v_ldexp_f32 v27, v26, 1
	v_fma_f32 v26, v12, s15, -v28
	v_fmac_f32_e32 v26, 0xb102e308, v12
	v_pk_add_f32 v[12:13], v[28:29], v[26:27]
	v_mov_b32_e32 v30, v28
	v_sub_f32_e32 v25, v13, v27
	v_sub_f32_e32 v25, v29, v25
	v_add_f32_e32 v31, v23, v25
	v_pk_add_f32 v[28:29], v[12:13], v[28:29] neg_lo:[0,1] neg_hi:[0,1]
	v_pk_add_f32 v[32:33], v[12:13], v[30:31]
	v_mov_b32_e32 v27, v12
	v_mov_b32_e32 v29, v33
	v_pk_add_f32 v[34:35], v[26:27], v[28:29] neg_lo:[0,1] neg_hi:[0,1]
	v_pk_add_f32 v[26:27], v[26:27], v[28:29]
	v_mov_b32_e32 v30, v31
	v_mov_b32_e32 v28, v27
	v_pk_add_f32 v[36:37], v[28:29], v[12:13] neg_lo:[0,1] neg_hi:[0,1]
	v_mov_b32_e32 v26, v33
	v_mov_b32_e32 v23, v36
	v_pk_add_f32 v[38:39], v[32:33], v[22:23] neg_lo:[0,1] neg_hi:[0,1]
	v_mov_b32_e32 v32, v13
	v_mov_b32_e32 v33, v36
	;; [unrolled: 1-line block ×3, first 2 shown]
	v_pk_add_f32 v[26:27], v[26:27], v[32:33] neg_lo:[0,1] neg_hi:[0,1]
	v_mov_b32_e32 v31, v12
	v_pk_add_f32 v[12:13], v[30:31], v[26:27] neg_lo:[0,1] neg_hi:[0,1]
	v_mov_b32_e32 v38, v34
	v_pk_add_f32 v[26:27], v[38:39], v[12:13]
	s_nop 0
	v_mov_b32_e32 v30, v27
	v_pk_add_f32 v[30:31], v[26:27], v[30:31]
	s_nop 0
	v_pk_add_f32 v[28:29], v[28:29], v[30:31]
	v_mov_b32_e32 v13, v30
	v_mov_b32_e32 v27, v28
	v_pk_add_f32 v[32:33], v[26:27], v[34:35] neg_lo:[0,1] neg_hi:[0,1]
	s_nop 0
	v_sub_f32_e32 v23, v26, v32
	v_pk_add_f32 v[12:13], v[12:13], v[32:33] neg_lo:[0,1] neg_hi:[0,1]
	v_sub_f32_e32 v23, v34, v23
	v_add_f32_e32 v12, v12, v23
	v_add_f32_e32 v12, v12, v13
	;; [unrolled: 1-line block ×3, first 2 shown]
	v_cndmask_b32_e32 v143, v12, v40, vcc
.LBB63_83:                              ;   in Loop: Header=BB63_13 Depth=1
	s_or_b64 exec, exec, s[4:5]
	v_lshlrev_b32_e32 v12, 16, v14
	v_readlane_b32 s2, v167, 2
	s_nop 1
	v_add_f32_e32 v144, s2, v12
	v_readlane_b32 s2, v167, 30
	v_cmp_ge_f32_e32 vcc, s6, v144
	v_readlane_b32 s3, v167, 31
	s_and_b64 s[2:3], s[2:3], vcc
	s_and_saveexec_b64 s[4:5], s[2:3]
	s_cbranch_execz .LBB63_85
; %bb.84:                               ;   in Loop: Header=BB63_13 Depth=1
	v_mul_f32_e32 v12, 0x3fb8aa3b, v144
	v_rndne_f32_e32 v13, v12
	v_sub_f32_e32 v23, v12, v13
	v_fma_f32 v12, v144, s8, -v12
	v_fmac_f32_e32 v12, 0x32a5705f, v144
	v_add_f32_e32 v12, v23, v12
	v_cvt_i32_f32_e32 v13, v13
	v_exp_f32_e32 v12, v12
	v_cmp_ngt_f32_e32 vcc, s9, v144
	v_ldexp_f32 v12, v12, v13
	s_nop 0
	v_cndmask_b32_e32 v12, 0, v12, vcc
	v_cmp_nlt_f32_e32 vcc, s12, v144
	s_nop 1
	v_cndmask_b32_e32 v40, v136, v12, vcc
	v_add_f32_e32 v23, 1.0, v40
	v_add_f32_e32 v12, -1.0, v23
	v_sub_f32_e32 v13, v12, v23
	v_add_f32_e32 v13, 1.0, v13
	v_sub_f32_e32 v12, v40, v12
	v_add_f32_e32 v25, v12, v13
	v_frexp_mant_f32_e32 v26, v23
	v_cvt_f64_f32_e32 v[12:13], v23
	v_frexp_exp_i32_f64_e32 v12, v[12:13]
	v_cmp_gt_f32_e32 vcc, s14, v26
	v_cmp_gt_f32_e64 s[60:61], s16, v40
	s_nop 0
	v_subbrev_co_u32_e32 v32, vcc, 0, v12, vcc
	v_sub_u32_e32 v12, 0, v32
	v_ldexp_f32 v13, v23, v12
	v_add_f32_e32 v23, -1.0, v13
	v_add_f32_e32 v26, 1.0, v13
	v_ldexp_f32 v12, v25, v12
	v_add_f32_e32 v25, 1.0, v23
	v_add_f32_e32 v27, -1.0, v26
	v_sub_f32_e32 v25, v13, v25
	v_sub_f32_e32 v13, v13, v27
	v_add_f32_e32 v25, v12, v25
	v_add_f32_e32 v12, v12, v13
	;; [unrolled: 1-line block ×3, first 2 shown]
	v_rcp_f32_e32 v35, v33
	v_sub_f32_e32 v13, v26, v33
	v_add_f32_e32 v34, v12, v13
	v_add_f32_e32 v13, v23, v25
	v_sub_f32_e32 v12, v23, v13
	v_add_f32_e32 v23, v25, v12
	v_mul_f32_e32 v25, v13, v35
	v_mul_f32_e32 v26, v33, v25
	v_fma_f32 v28, v25, v33, -v26
	v_fmac_f32_e32 v28, v25, v34
	v_add_f32_e32 v12, v26, v28
	v_sub_f32_e32 v27, v13, v12
	v_pk_add_f32 v[30:31], v[12:13], v[26:27] neg_lo:[0,1] neg_hi:[0,1]
	v_mov_b32_e32 v29, v12
	v_pk_add_f32 v[12:13], v[30:31], v[28:29] neg_lo:[0,1] neg_hi:[0,1]
	v_cmp_eq_f32_e32 vcc, s13, v40
	v_add_f32_e32 v13, v23, v13
	v_add_f32_e32 v12, v12, v13
	;; [unrolled: 1-line block ×3, first 2 shown]
	v_mul_f32_e32 v23, v35, v13
	v_mul_f32_e32 v26, v33, v23
	v_fma_f32 v28, v23, v33, -v26
	v_fmac_f32_e32 v28, v23, v34
	v_sub_f32_e32 v27, v27, v13
	v_add_f32_e32 v33, v12, v27
	v_add_f32_e32 v12, v26, v28
	v_sub_f32_e32 v27, v13, v12
	v_pk_add_f32 v[30:31], v[12:13], v[26:27] neg_lo:[0,1] neg_hi:[0,1]
	v_mov_b32_e32 v29, v12
	v_pk_add_f32 v[12:13], v[30:31], v[28:29] neg_lo:[0,1] neg_hi:[0,1]
	s_or_b64 vcc, s[60:61], vcc
	v_add_f32_e32 v13, v33, v13
	v_add_f32_e32 v12, v12, v13
	;; [unrolled: 1-line block ×4, first 2 shown]
	v_sub_f32_e32 v25, v13, v25
	v_mul_f32_e32 v12, v35, v12
	v_sub_f32_e32 v23, v23, v25
	v_add_f32_e32 v23, v23, v12
	v_add_f32_e32 v26, v13, v23
	v_mul_f32_e32 v28, v26, v26
	v_fmamk_f32 v12, v28, 0x3e9b6dac, v135
	v_fmaak_f32 v25, v28, v12, 0x3f2aaada
	v_cvt_f32_i32_e32 v12, v32
	v_sub_f32_e32 v13, v26, v13
	v_sub_f32_e32 v13, v23, v13
	v_ldexp_f32 v23, v13, 1
	v_mul_f32_e32 v13, v26, v28
	v_pk_mul_f32 v[28:29], v[12:13], v[24:25]
	v_ldexp_f32 v27, v26, 1
	v_fma_f32 v26, v12, s15, -v28
	v_fmac_f32_e32 v26, 0xb102e308, v12
	v_pk_add_f32 v[12:13], v[28:29], v[26:27]
	v_mov_b32_e32 v30, v28
	v_sub_f32_e32 v25, v13, v27
	v_sub_f32_e32 v25, v29, v25
	v_add_f32_e32 v31, v23, v25
	v_pk_add_f32 v[28:29], v[12:13], v[28:29] neg_lo:[0,1] neg_hi:[0,1]
	v_pk_add_f32 v[32:33], v[12:13], v[30:31]
	v_mov_b32_e32 v27, v12
	v_mov_b32_e32 v29, v33
	v_pk_add_f32 v[34:35], v[26:27], v[28:29] neg_lo:[0,1] neg_hi:[0,1]
	v_pk_add_f32 v[26:27], v[26:27], v[28:29]
	v_mov_b32_e32 v30, v31
	v_mov_b32_e32 v28, v27
	v_pk_add_f32 v[36:37], v[28:29], v[12:13] neg_lo:[0,1] neg_hi:[0,1]
	v_mov_b32_e32 v26, v33
	v_mov_b32_e32 v23, v36
	v_pk_add_f32 v[38:39], v[32:33], v[22:23] neg_lo:[0,1] neg_hi:[0,1]
	v_mov_b32_e32 v32, v13
	v_mov_b32_e32 v33, v36
	;; [unrolled: 1-line block ×3, first 2 shown]
	v_pk_add_f32 v[26:27], v[26:27], v[32:33] neg_lo:[0,1] neg_hi:[0,1]
	v_mov_b32_e32 v31, v12
	v_pk_add_f32 v[12:13], v[30:31], v[26:27] neg_lo:[0,1] neg_hi:[0,1]
	v_mov_b32_e32 v38, v34
	v_pk_add_f32 v[26:27], v[38:39], v[12:13]
	s_nop 0
	v_mov_b32_e32 v30, v27
	v_pk_add_f32 v[30:31], v[26:27], v[30:31]
	s_nop 0
	v_pk_add_f32 v[28:29], v[28:29], v[30:31]
	v_mov_b32_e32 v13, v30
	v_mov_b32_e32 v27, v28
	v_pk_add_f32 v[32:33], v[26:27], v[34:35] neg_lo:[0,1] neg_hi:[0,1]
	s_nop 0
	v_sub_f32_e32 v23, v26, v32
	v_pk_add_f32 v[12:13], v[12:13], v[32:33] neg_lo:[0,1] neg_hi:[0,1]
	v_sub_f32_e32 v23, v34, v23
	v_add_f32_e32 v12, v12, v23
	v_add_f32_e32 v12, v12, v13
	;; [unrolled: 1-line block ×3, first 2 shown]
	v_cndmask_b32_e32 v144, v12, v40, vcc
.LBB63_85:                              ;   in Loop: Header=BB63_13 Depth=1
	s_or_b64 exec, exec, s[4:5]
	v_and_b32_e32 v12, 0xffff0000, v14
	v_readlane_b32 s2, v167, 2
	s_nop 1
	v_add_f32_e32 v145, s2, v12
	v_readlane_b32 s2, v167, 30
	v_cmp_ge_f32_e32 vcc, s6, v145
	v_readlane_b32 s3, v167, 31
	s_and_b64 s[2:3], s[2:3], vcc
	s_and_saveexec_b64 s[4:5], s[2:3]
	s_cbranch_execz .LBB63_87
; %bb.86:                               ;   in Loop: Header=BB63_13 Depth=1
	v_mul_f32_e32 v12, 0x3fb8aa3b, v145
	v_rndne_f32_e32 v13, v12
	v_sub_f32_e32 v14, v12, v13
	v_fma_f32 v12, v145, s8, -v12
	v_fmac_f32_e32 v12, 0x32a5705f, v145
	v_add_f32_e32 v12, v14, v12
	v_cvt_i32_f32_e32 v13, v13
	v_exp_f32_e32 v12, v12
	v_cmp_ngt_f32_e32 vcc, s9, v145
	v_ldexp_f32 v12, v12, v13
	s_nop 0
	v_cndmask_b32_e32 v12, 0, v12, vcc
	v_cmp_nlt_f32_e32 vcc, s12, v145
	s_nop 1
	v_cndmask_b32_e32 v38, v136, v12, vcc
	v_add_f32_e32 v14, 1.0, v38
	v_add_f32_e32 v12, -1.0, v14
	v_sub_f32_e32 v13, v12, v14
	v_add_f32_e32 v13, 1.0, v13
	v_sub_f32_e32 v12, v38, v12
	v_add_f32_e32 v23, v12, v13
	v_frexp_mant_f32_e32 v25, v14
	v_cvt_f64_f32_e32 v[12:13], v14
	v_frexp_exp_i32_f64_e32 v12, v[12:13]
	v_cmp_gt_f32_e32 vcc, s14, v25
	v_cmp_gt_f32_e64 s[60:61], s16, v38
	s_nop 0
	v_subbrev_co_u32_e32 v32, vcc, 0, v12, vcc
	v_sub_u32_e32 v12, 0, v32
	v_ldexp_f32 v13, v14, v12
	v_add_f32_e32 v14, -1.0, v13
	v_add_f32_e32 v25, 1.0, v13
	v_ldexp_f32 v12, v23, v12
	v_add_f32_e32 v23, 1.0, v14
	v_add_f32_e32 v26, -1.0, v25
	v_sub_f32_e32 v23, v13, v23
	v_sub_f32_e32 v13, v13, v26
	v_add_f32_e32 v23, v12, v23
	v_add_f32_e32 v12, v12, v13
	;; [unrolled: 1-line block ×3, first 2 shown]
	v_rcp_f32_e32 v34, v33
	v_sub_f32_e32 v13, v25, v33
	v_add_f32_e32 v25, v12, v13
	v_add_f32_e32 v13, v14, v23
	v_sub_f32_e32 v12, v14, v13
	v_add_f32_e32 v14, v23, v12
	v_mul_f32_e32 v23, v13, v34
	v_mul_f32_e32 v26, v33, v23
	v_fma_f32 v28, v23, v33, -v26
	v_fmac_f32_e32 v28, v23, v25
	v_add_f32_e32 v12, v26, v28
	v_sub_f32_e32 v27, v13, v12
	v_pk_add_f32 v[30:31], v[12:13], v[26:27] neg_lo:[0,1] neg_hi:[0,1]
	v_mov_b32_e32 v29, v12
	v_pk_add_f32 v[12:13], v[30:31], v[28:29] neg_lo:[0,1] neg_hi:[0,1]
	v_cmp_eq_f32_e32 vcc, s13, v38
	v_add_f32_e32 v13, v14, v13
	v_add_f32_e32 v12, v12, v13
	;; [unrolled: 1-line block ×3, first 2 shown]
	v_mul_f32_e32 v14, v34, v13
	v_mul_f32_e32 v26, v33, v14
	v_fma_f32 v28, v14, v33, -v26
	v_fmac_f32_e32 v28, v14, v25
	v_sub_f32_e32 v25, v27, v13
	v_add_f32_e32 v25, v12, v25
	v_add_f32_e32 v12, v26, v28
	v_sub_f32_e32 v27, v13, v12
	v_pk_add_f32 v[30:31], v[12:13], v[26:27] neg_lo:[0,1] neg_hi:[0,1]
	v_mov_b32_e32 v29, v12
	v_pk_add_f32 v[12:13], v[30:31], v[28:29] neg_lo:[0,1] neg_hi:[0,1]
	s_or_b64 vcc, s[60:61], vcc
	v_add_f32_e32 v13, v25, v13
	v_add_f32_e32 v12, v12, v13
	v_add_f32_e32 v13, v23, v14
	v_add_f32_e32 v12, v27, v12
	v_sub_f32_e32 v23, v13, v23
	v_mul_f32_e32 v12, v34, v12
	v_sub_f32_e32 v14, v14, v23
	v_add_f32_e32 v14, v14, v12
	v_add_f32_e32 v23, v13, v14
	v_mul_f32_e32 v26, v23, v23
	v_fmamk_f32 v12, v26, 0x3e9b6dac, v135
	v_fmaak_f32 v25, v26, v12, 0x3f2aaada
	v_cvt_f32_i32_e32 v12, v32
	v_sub_f32_e32 v13, v23, v13
	v_sub_f32_e32 v13, v14, v13
	v_ldexp_f32 v14, v13, 1
	v_mul_f32_e32 v13, v23, v26
	v_pk_mul_f32 v[28:29], v[12:13], v[24:25]
	v_ldexp_f32 v27, v23, 1
	v_fma_f32 v26, v12, s15, -v28
	v_fmac_f32_e32 v26, 0xb102e308, v12
	v_pk_add_f32 v[12:13], v[28:29], v[26:27]
	v_mov_b32_e32 v30, v28
	v_sub_f32_e32 v23, v13, v27
	v_sub_f32_e32 v23, v29, v23
	v_add_f32_e32 v31, v14, v23
	v_pk_add_f32 v[28:29], v[12:13], v[28:29] neg_lo:[0,1] neg_hi:[0,1]
	v_pk_add_f32 v[32:33], v[12:13], v[30:31]
	v_mov_b32_e32 v27, v12
	v_mov_b32_e32 v29, v33
	v_pk_add_f32 v[34:35], v[26:27], v[28:29] neg_lo:[0,1] neg_hi:[0,1]
	v_pk_add_f32 v[26:27], v[26:27], v[28:29]
	s_nop 0
	v_mov_b32_e32 v14, v27
	v_pk_add_f32 v[28:29], v[14:15], v[12:13] neg_lo:[0,1] neg_hi:[0,1]
	v_mov_b32_e32 v26, v33
	v_mov_b32_e32 v23, v28
	v_pk_add_f32 v[36:37], v[32:33], v[22:23] neg_lo:[0,1] neg_hi:[0,1]
	v_mov_b32_e32 v32, v13
	v_mov_b32_e32 v33, v28
	;; [unrolled: 1-line block ×3, first 2 shown]
	v_pk_add_f32 v[26:27], v[26:27], v[32:33] neg_lo:[0,1] neg_hi:[0,1]
	v_mov_b32_e32 v28, v31
	v_mov_b32_e32 v29, v12
	v_pk_add_f32 v[12:13], v[28:29], v[26:27] neg_lo:[0,1] neg_hi:[0,1]
	v_mov_b32_e32 v36, v34
	v_pk_add_f32 v[26:27], v[36:37], v[12:13]
	s_nop 0
	v_mov_b32_e32 v28, v27
	v_pk_add_f32 v[28:29], v[26:27], v[28:29]
	s_nop 0
	v_pk_add_f32 v[30:31], v[14:15], v[28:29]
	v_mov_b32_e32 v13, v28
	v_mov_b32_e32 v27, v30
	v_pk_add_f32 v[32:33], v[26:27], v[34:35] neg_lo:[0,1] neg_hi:[0,1]
	s_nop 0
	v_sub_f32_e32 v14, v26, v32
	v_pk_add_f32 v[12:13], v[12:13], v[32:33] neg_lo:[0,1] neg_hi:[0,1]
	v_sub_f32_e32 v14, v34, v14
	v_add_f32_e32 v12, v12, v14
	v_add_f32_e32 v12, v12, v13
	;; [unrolled: 1-line block ×3, first 2 shown]
	v_cndmask_b32_e32 v145, v12, v38, vcc
.LBB63_87:                              ;   in Loop: Header=BB63_13 Depth=1
	s_or_b64 exec, exec, s[4:5]
	v_lshlrev_b32_e32 v12, 16, v15
	v_readlane_b32 s2, v167, 2
	s_nop 1
	v_add_f32_e32 v146, s2, v12
	v_readlane_b32 s2, v167, 30
	v_cmp_ge_f32_e32 vcc, s6, v146
	v_readlane_b32 s3, v167, 31
	s_and_b64 s[2:3], s[2:3], vcc
	s_and_saveexec_b64 s[4:5], s[2:3]
	s_cbranch_execz .LBB63_89
; %bb.88:                               ;   in Loop: Header=BB63_13 Depth=1
	v_mul_f32_e32 v12, 0x3fb8aa3b, v146
	v_rndne_f32_e32 v13, v12
	v_sub_f32_e32 v14, v12, v13
	v_fma_f32 v12, v146, s8, -v12
	v_fmac_f32_e32 v12, 0x32a5705f, v146
	v_add_f32_e32 v12, v14, v12
	v_cvt_i32_f32_e32 v13, v13
	v_exp_f32_e32 v12, v12
	v_cmp_ngt_f32_e32 vcc, s9, v146
	v_ldexp_f32 v12, v12, v13
	s_nop 0
	v_cndmask_b32_e32 v12, 0, v12, vcc
	v_cmp_nlt_f32_e32 vcc, s12, v146
	s_nop 1
	v_cndmask_b32_e32 v38, v136, v12, vcc
	v_add_f32_e32 v14, 1.0, v38
	v_add_f32_e32 v12, -1.0, v14
	v_sub_f32_e32 v13, v12, v14
	v_add_f32_e32 v13, 1.0, v13
	v_sub_f32_e32 v12, v38, v12
	v_add_f32_e32 v23, v12, v13
	v_frexp_mant_f32_e32 v25, v14
	v_cvt_f64_f32_e32 v[12:13], v14
	v_frexp_exp_i32_f64_e32 v12, v[12:13]
	v_cmp_gt_f32_e32 vcc, s14, v25
	v_cmp_gt_f32_e64 s[60:61], s16, v38
	s_nop 0
	v_subbrev_co_u32_e32 v32, vcc, 0, v12, vcc
	v_sub_u32_e32 v12, 0, v32
	v_ldexp_f32 v13, v14, v12
	v_add_f32_e32 v14, -1.0, v13
	v_add_f32_e32 v25, 1.0, v13
	v_ldexp_f32 v12, v23, v12
	v_add_f32_e32 v23, 1.0, v14
	v_add_f32_e32 v26, -1.0, v25
	v_sub_f32_e32 v23, v13, v23
	v_sub_f32_e32 v13, v13, v26
	v_add_f32_e32 v23, v12, v23
	v_add_f32_e32 v12, v12, v13
	;; [unrolled: 1-line block ×3, first 2 shown]
	v_rcp_f32_e32 v34, v33
	v_sub_f32_e32 v13, v25, v33
	v_add_f32_e32 v25, v12, v13
	v_add_f32_e32 v13, v14, v23
	v_sub_f32_e32 v12, v14, v13
	v_add_f32_e32 v14, v23, v12
	v_mul_f32_e32 v23, v13, v34
	v_mul_f32_e32 v26, v33, v23
	v_fma_f32 v28, v23, v33, -v26
	v_fmac_f32_e32 v28, v23, v25
	v_add_f32_e32 v12, v26, v28
	v_sub_f32_e32 v27, v13, v12
	v_pk_add_f32 v[30:31], v[12:13], v[26:27] neg_lo:[0,1] neg_hi:[0,1]
	v_mov_b32_e32 v29, v12
	v_pk_add_f32 v[12:13], v[30:31], v[28:29] neg_lo:[0,1] neg_hi:[0,1]
	v_cmp_eq_f32_e32 vcc, s13, v38
	v_add_f32_e32 v13, v14, v13
	v_add_f32_e32 v12, v12, v13
	;; [unrolled: 1-line block ×3, first 2 shown]
	v_mul_f32_e32 v14, v34, v13
	v_mul_f32_e32 v26, v33, v14
	v_fma_f32 v28, v14, v33, -v26
	v_fmac_f32_e32 v28, v14, v25
	v_sub_f32_e32 v25, v27, v13
	v_add_f32_e32 v25, v12, v25
	v_add_f32_e32 v12, v26, v28
	v_sub_f32_e32 v27, v13, v12
	v_pk_add_f32 v[30:31], v[12:13], v[26:27] neg_lo:[0,1] neg_hi:[0,1]
	v_mov_b32_e32 v29, v12
	v_pk_add_f32 v[12:13], v[30:31], v[28:29] neg_lo:[0,1] neg_hi:[0,1]
	s_or_b64 vcc, s[60:61], vcc
	v_add_f32_e32 v13, v25, v13
	v_add_f32_e32 v12, v12, v13
	;; [unrolled: 1-line block ×4, first 2 shown]
	v_sub_f32_e32 v23, v13, v23
	v_mul_f32_e32 v12, v34, v12
	v_sub_f32_e32 v14, v14, v23
	v_add_f32_e32 v14, v14, v12
	v_add_f32_e32 v23, v13, v14
	v_mul_f32_e32 v26, v23, v23
	v_fmamk_f32 v12, v26, 0x3e9b6dac, v135
	v_fmaak_f32 v25, v26, v12, 0x3f2aaada
	v_cvt_f32_i32_e32 v12, v32
	v_sub_f32_e32 v13, v23, v13
	v_sub_f32_e32 v13, v14, v13
	v_ldexp_f32 v14, v13, 1
	v_mul_f32_e32 v13, v23, v26
	v_pk_mul_f32 v[28:29], v[12:13], v[24:25]
	v_ldexp_f32 v27, v23, 1
	v_fma_f32 v26, v12, s15, -v28
	v_fmac_f32_e32 v26, 0xb102e308, v12
	v_pk_add_f32 v[12:13], v[28:29], v[26:27]
	v_mov_b32_e32 v30, v28
	v_sub_f32_e32 v23, v13, v27
	v_sub_f32_e32 v23, v29, v23
	v_add_f32_e32 v31, v14, v23
	v_pk_add_f32 v[28:29], v[12:13], v[28:29] neg_lo:[0,1] neg_hi:[0,1]
	v_pk_add_f32 v[32:33], v[12:13], v[30:31]
	v_mov_b32_e32 v27, v12
	v_mov_b32_e32 v29, v33
	v_pk_add_f32 v[34:35], v[26:27], v[28:29] neg_lo:[0,1] neg_hi:[0,1]
	v_pk_add_f32 v[26:27], v[26:27], v[28:29]
	s_nop 0
	v_mov_b32_e32 v14, v27
	v_pk_add_f32 v[28:29], v[14:15], v[12:13] neg_lo:[0,1] neg_hi:[0,1]
	v_mov_b32_e32 v26, v33
	v_mov_b32_e32 v23, v28
	v_pk_add_f32 v[36:37], v[32:33], v[22:23] neg_lo:[0,1] neg_hi:[0,1]
	v_mov_b32_e32 v32, v13
	v_mov_b32_e32 v33, v28
	;; [unrolled: 1-line block ×3, first 2 shown]
	v_pk_add_f32 v[26:27], v[26:27], v[32:33] neg_lo:[0,1] neg_hi:[0,1]
	v_mov_b32_e32 v28, v31
	v_mov_b32_e32 v29, v12
	v_pk_add_f32 v[12:13], v[28:29], v[26:27] neg_lo:[0,1] neg_hi:[0,1]
	v_mov_b32_e32 v36, v34
	v_pk_add_f32 v[26:27], v[36:37], v[12:13]
	s_nop 0
	v_mov_b32_e32 v28, v27
	v_pk_add_f32 v[28:29], v[26:27], v[28:29]
	s_nop 0
	v_pk_add_f32 v[30:31], v[14:15], v[28:29]
	v_mov_b32_e32 v13, v28
	v_mov_b32_e32 v27, v30
	v_pk_add_f32 v[32:33], v[26:27], v[34:35] neg_lo:[0,1] neg_hi:[0,1]
	s_nop 0
	v_sub_f32_e32 v14, v26, v32
	v_pk_add_f32 v[12:13], v[12:13], v[32:33] neg_lo:[0,1] neg_hi:[0,1]
	v_sub_f32_e32 v14, v34, v14
	v_add_f32_e32 v12, v12, v14
	v_add_f32_e32 v12, v12, v13
	;; [unrolled: 1-line block ×3, first 2 shown]
	v_cndmask_b32_e32 v146, v12, v38, vcc
.LBB63_89:                              ;   in Loop: Header=BB63_13 Depth=1
	s_or_b64 exec, exec, s[4:5]
	v_and_b32_e32 v12, 0xffff0000, v15
	v_readlane_b32 s2, v167, 2
	s_nop 1
	v_add_f32_e32 v147, s2, v12
	v_readlane_b32 s2, v167, 30
	v_cmp_ge_f32_e32 vcc, s6, v147
	v_readlane_b32 s3, v167, 31
	s_and_b64 s[2:3], s[2:3], vcc
	s_and_saveexec_b64 s[4:5], s[2:3]
	s_cbranch_execz .LBB63_91
; %bb.90:                               ;   in Loop: Header=BB63_13 Depth=1
	v_mul_f32_e32 v12, 0x3fb8aa3b, v147
	v_rndne_f32_e32 v13, v12
	v_sub_f32_e32 v14, v12, v13
	v_fma_f32 v12, v147, s8, -v12
	v_fmac_f32_e32 v12, 0x32a5705f, v147
	v_add_f32_e32 v12, v14, v12
	v_cvt_i32_f32_e32 v13, v13
	v_exp_f32_e32 v12, v12
	v_cmp_ngt_f32_e32 vcc, s9, v147
	v_ldexp_f32 v12, v12, v13
	s_nop 0
	v_cndmask_b32_e32 v12, 0, v12, vcc
	v_cmp_nlt_f32_e32 vcc, s12, v147
	s_nop 1
	v_cndmask_b32_e32 v38, v136, v12, vcc
	v_add_f32_e32 v14, 1.0, v38
	v_add_f32_e32 v12, -1.0, v14
	v_sub_f32_e32 v13, v12, v14
	v_add_f32_e32 v13, 1.0, v13
	v_sub_f32_e32 v12, v38, v12
	v_add_f32_e32 v15, v12, v13
	v_frexp_mant_f32_e32 v23, v14
	v_cvt_f64_f32_e32 v[12:13], v14
	v_frexp_exp_i32_f64_e32 v12, v[12:13]
	v_cmp_gt_f32_e32 vcc, s14, v23
	v_cmp_gt_f32_e64 s[60:61], s16, v38
	s_nop 0
	v_subbrev_co_u32_e32 v23, vcc, 0, v12, vcc
	v_sub_u32_e32 v12, 0, v23
	v_ldexp_f32 v13, v14, v12
	v_add_f32_e32 v14, -1.0, v13
	v_add_f32_e32 v25, 1.0, v13
	v_ldexp_f32 v12, v15, v12
	v_add_f32_e32 v15, 1.0, v14
	v_add_f32_e32 v26, -1.0, v25
	v_sub_f32_e32 v15, v13, v15
	v_sub_f32_e32 v13, v13, v26
	v_add_f32_e32 v15, v12, v15
	v_add_f32_e32 v12, v12, v13
	;; [unrolled: 1-line block ×3, first 2 shown]
	v_rcp_f32_e32 v31, v30
	v_sub_f32_e32 v13, v25, v30
	v_add_f32_e32 v25, v12, v13
	v_add_f32_e32 v13, v14, v15
	v_mul_f32_e32 v33, v13, v31
	v_sub_f32_e32 v12, v14, v13
	v_mul_f32_e32 v14, v30, v33
	v_fma_f32 v26, v33, v30, -v14
	v_fmac_f32_e32 v26, v33, v25
	v_add_f32_e32 v32, v15, v12
	v_add_f32_e32 v12, v14, v26
	v_sub_f32_e32 v15, v13, v12
	v_pk_add_f32 v[28:29], v[12:13], v[14:15] neg_lo:[0,1] neg_hi:[0,1]
	v_mov_b32_e32 v27, v12
	v_pk_add_f32 v[12:13], v[28:29], v[26:27] neg_lo:[0,1] neg_hi:[0,1]
	v_cmp_eq_f32_e32 vcc, s13, v38
	v_add_f32_e32 v13, v32, v13
	v_add_f32_e32 v12, v12, v13
	;; [unrolled: 1-line block ×3, first 2 shown]
	v_mul_f32_e32 v32, v31, v13
	v_mul_f32_e32 v14, v30, v32
	v_fma_f32 v26, v32, v30, -v14
	v_fmac_f32_e32 v26, v32, v25
	v_sub_f32_e32 v15, v15, v13
	v_add_f32_e32 v25, v12, v15
	v_add_f32_e32 v12, v14, v26
	v_sub_f32_e32 v15, v13, v12
	v_pk_add_f32 v[28:29], v[12:13], v[14:15] neg_lo:[0,1] neg_hi:[0,1]
	v_mov_b32_e32 v27, v12
	v_pk_add_f32 v[12:13], v[28:29], v[26:27] neg_lo:[0,1] neg_hi:[0,1]
	s_or_b64 vcc, s[60:61], vcc
	v_add_f32_e32 v13, v25, v13
	v_add_f32_e32 v12, v12, v13
	;; [unrolled: 1-line block ×4, first 2 shown]
	v_sub_f32_e32 v14, v13, v33
	v_mul_f32_e32 v12, v31, v12
	v_sub_f32_e32 v14, v32, v14
	v_add_f32_e32 v14, v14, v12
	v_add_f32_e32 v26, v13, v14
	v_mul_f32_e32 v27, v26, v26
	v_fmamk_f32 v12, v27, 0x3e9b6dac, v135
	v_fmaak_f32 v25, v27, v12, 0x3f2aaada
	v_cvt_f32_i32_e32 v12, v23
	v_sub_f32_e32 v13, v26, v13
	v_sub_f32_e32 v13, v14, v13
	v_ldexp_f32 v23, v13, 1
	v_mul_f32_e32 v13, v26, v27
	v_ldexp_f32 v15, v26, 1
	v_pk_mul_f32 v[26:27], v[12:13], v[24:25]
	s_nop 0
	v_fma_f32 v14, v12, s15, -v26
	v_fmac_f32_e32 v14, 0xb102e308, v12
	v_pk_add_f32 v[12:13], v[26:27], v[14:15]
	v_mov_b32_e32 v28, v26
	v_sub_f32_e32 v15, v13, v15
	v_sub_f32_e32 v15, v27, v15
	v_add_f32_e32 v29, v23, v15
	v_pk_add_f32 v[26:27], v[12:13], v[26:27] neg_lo:[0,1] neg_hi:[0,1]
	v_pk_add_f32 v[30:31], v[12:13], v[28:29]
	v_mov_b32_e32 v15, v12
	v_mov_b32_e32 v27, v31
	v_pk_add_f32 v[32:33], v[14:15], v[26:27] neg_lo:[0,1] neg_hi:[0,1]
	v_pk_add_f32 v[14:15], v[14:15], v[26:27]
	v_mov_b32_e32 v28, v29
	v_mov_b32_e32 v26, v15
	v_pk_add_f32 v[34:35], v[26:27], v[12:13] neg_lo:[0,1] neg_hi:[0,1]
	v_mov_b32_e32 v14, v31
	v_mov_b32_e32 v23, v34
	v_pk_add_f32 v[36:37], v[30:31], v[22:23] neg_lo:[0,1] neg_hi:[0,1]
	v_mov_b32_e32 v30, v13
	v_mov_b32_e32 v31, v34
	;; [unrolled: 1-line block ×3, first 2 shown]
	v_pk_add_f32 v[14:15], v[14:15], v[30:31] neg_lo:[0,1] neg_hi:[0,1]
	v_mov_b32_e32 v29, v12
	v_pk_add_f32 v[12:13], v[28:29], v[14:15] neg_lo:[0,1] neg_hi:[0,1]
	v_mov_b32_e32 v36, v32
	v_pk_add_f32 v[14:15], v[36:37], v[12:13]
	s_nop 0
	v_mov_b32_e32 v28, v15
	v_pk_add_f32 v[28:29], v[14:15], v[28:29]
	s_nop 0
	v_pk_add_f32 v[26:27], v[26:27], v[28:29]
	v_mov_b32_e32 v13, v28
	v_mov_b32_e32 v15, v26
	v_pk_add_f32 v[30:31], v[14:15], v[32:33] neg_lo:[0,1] neg_hi:[0,1]
	s_nop 0
	v_sub_f32_e32 v14, v14, v30
	v_pk_add_f32 v[12:13], v[12:13], v[30:31] neg_lo:[0,1] neg_hi:[0,1]
	v_sub_f32_e32 v14, v32, v14
	v_add_f32_e32 v12, v12, v14
	v_add_f32_e32 v12, v12, v13
	;; [unrolled: 1-line block ×3, first 2 shown]
	v_cndmask_b32_e32 v147, v12, v38, vcc
.LBB63_91:                              ;   in Loop: Header=BB63_13 Depth=1
	s_or_b64 exec, exec, s[4:5]
	s_waitcnt lgkmcnt(0)
	v_lshlrev_b32_e32 v12, 16, v8
	v_readlane_b32 s2, v167, 2
	s_nop 1
	v_add_f32_e32 v148, s2, v12
	v_readlane_b32 s2, v167, 30
	v_cmp_ge_f32_e32 vcc, s6, v148
	v_readlane_b32 s3, v167, 31
	s_and_b64 s[2:3], s[2:3], vcc
	s_and_saveexec_b64 s[4:5], s[2:3]
	s_cbranch_execz .LBB63_93
; %bb.92:                               ;   in Loop: Header=BB63_13 Depth=1
	v_mul_f32_e32 v12, 0x3fb8aa3b, v148
	v_rndne_f32_e32 v13, v12
	v_sub_f32_e32 v14, v12, v13
	v_fma_f32 v12, v148, s8, -v12
	v_fmac_f32_e32 v12, 0x32a5705f, v148
	v_add_f32_e32 v12, v14, v12
	v_cvt_i32_f32_e32 v13, v13
	v_exp_f32_e32 v12, v12
	v_cmp_ngt_f32_e32 vcc, s9, v148
	v_ldexp_f32 v12, v12, v13
	s_nop 0
	v_cndmask_b32_e32 v12, 0, v12, vcc
	v_cmp_nlt_f32_e32 vcc, s12, v148
	s_nop 1
	v_cndmask_b32_e32 v38, v136, v12, vcc
	v_add_f32_e32 v14, 1.0, v38
	v_add_f32_e32 v12, -1.0, v14
	v_sub_f32_e32 v13, v12, v14
	v_add_f32_e32 v13, 1.0, v13
	v_sub_f32_e32 v12, v38, v12
	v_add_f32_e32 v15, v12, v13
	v_frexp_mant_f32_e32 v23, v14
	v_cvt_f64_f32_e32 v[12:13], v14
	v_frexp_exp_i32_f64_e32 v12, v[12:13]
	v_cmp_gt_f32_e32 vcc, s14, v23
	v_cmp_gt_f32_e64 s[60:61], s16, v38
	s_nop 0
	v_subbrev_co_u32_e32 v23, vcc, 0, v12, vcc
	v_sub_u32_e32 v12, 0, v23
	v_ldexp_f32 v13, v14, v12
	v_add_f32_e32 v14, -1.0, v13
	v_add_f32_e32 v25, 1.0, v13
	v_ldexp_f32 v12, v15, v12
	v_add_f32_e32 v15, 1.0, v14
	v_add_f32_e32 v26, -1.0, v25
	v_sub_f32_e32 v15, v13, v15
	v_sub_f32_e32 v13, v13, v26
	v_add_f32_e32 v15, v12, v15
	v_add_f32_e32 v12, v12, v13
	;; [unrolled: 1-line block ×3, first 2 shown]
	v_rcp_f32_e32 v31, v30
	v_sub_f32_e32 v13, v25, v30
	v_add_f32_e32 v25, v12, v13
	v_add_f32_e32 v13, v14, v15
	v_mul_f32_e32 v33, v13, v31
	v_sub_f32_e32 v12, v14, v13
	v_mul_f32_e32 v14, v30, v33
	v_fma_f32 v26, v33, v30, -v14
	v_fmac_f32_e32 v26, v33, v25
	v_add_f32_e32 v32, v15, v12
	v_add_f32_e32 v12, v14, v26
	v_sub_f32_e32 v15, v13, v12
	v_pk_add_f32 v[28:29], v[12:13], v[14:15] neg_lo:[0,1] neg_hi:[0,1]
	v_mov_b32_e32 v27, v12
	v_pk_add_f32 v[12:13], v[28:29], v[26:27] neg_lo:[0,1] neg_hi:[0,1]
	v_cmp_eq_f32_e32 vcc, s13, v38
	v_add_f32_e32 v13, v32, v13
	v_add_f32_e32 v12, v12, v13
	v_add_f32_e32 v13, v15, v12
	v_mul_f32_e32 v32, v31, v13
	v_mul_f32_e32 v14, v30, v32
	v_fma_f32 v26, v32, v30, -v14
	v_fmac_f32_e32 v26, v32, v25
	v_sub_f32_e32 v15, v15, v13
	v_add_f32_e32 v25, v12, v15
	v_add_f32_e32 v12, v14, v26
	v_sub_f32_e32 v15, v13, v12
	v_pk_add_f32 v[28:29], v[12:13], v[14:15] neg_lo:[0,1] neg_hi:[0,1]
	v_mov_b32_e32 v27, v12
	v_pk_add_f32 v[12:13], v[28:29], v[26:27] neg_lo:[0,1] neg_hi:[0,1]
	s_or_b64 vcc, s[60:61], vcc
	v_add_f32_e32 v13, v25, v13
	v_add_f32_e32 v12, v12, v13
	;; [unrolled: 1-line block ×4, first 2 shown]
	v_sub_f32_e32 v14, v13, v33
	v_mul_f32_e32 v12, v31, v12
	v_sub_f32_e32 v14, v32, v14
	v_add_f32_e32 v14, v14, v12
	v_add_f32_e32 v26, v13, v14
	v_mul_f32_e32 v27, v26, v26
	v_fmamk_f32 v12, v27, 0x3e9b6dac, v135
	v_fmaak_f32 v25, v27, v12, 0x3f2aaada
	v_cvt_f32_i32_e32 v12, v23
	v_sub_f32_e32 v13, v26, v13
	v_sub_f32_e32 v13, v14, v13
	v_ldexp_f32 v23, v13, 1
	v_mul_f32_e32 v13, v26, v27
	v_ldexp_f32 v15, v26, 1
	v_pk_mul_f32 v[26:27], v[12:13], v[24:25]
	s_nop 0
	v_fma_f32 v14, v12, s15, -v26
	v_fmac_f32_e32 v14, 0xb102e308, v12
	v_pk_add_f32 v[12:13], v[26:27], v[14:15]
	v_mov_b32_e32 v28, v26
	v_sub_f32_e32 v15, v13, v15
	v_sub_f32_e32 v15, v27, v15
	v_add_f32_e32 v29, v23, v15
	v_pk_add_f32 v[26:27], v[12:13], v[26:27] neg_lo:[0,1] neg_hi:[0,1]
	v_pk_add_f32 v[30:31], v[12:13], v[28:29]
	v_mov_b32_e32 v15, v12
	v_mov_b32_e32 v27, v31
	v_pk_add_f32 v[32:33], v[14:15], v[26:27] neg_lo:[0,1] neg_hi:[0,1]
	v_pk_add_f32 v[14:15], v[14:15], v[26:27]
	v_mov_b32_e32 v28, v29
	v_mov_b32_e32 v26, v15
	v_pk_add_f32 v[34:35], v[26:27], v[12:13] neg_lo:[0,1] neg_hi:[0,1]
	v_mov_b32_e32 v14, v31
	v_mov_b32_e32 v23, v34
	v_pk_add_f32 v[36:37], v[30:31], v[22:23] neg_lo:[0,1] neg_hi:[0,1]
	v_mov_b32_e32 v30, v13
	v_mov_b32_e32 v31, v34
	;; [unrolled: 1-line block ×3, first 2 shown]
	v_pk_add_f32 v[14:15], v[14:15], v[30:31] neg_lo:[0,1] neg_hi:[0,1]
	v_mov_b32_e32 v29, v12
	v_pk_add_f32 v[12:13], v[28:29], v[14:15] neg_lo:[0,1] neg_hi:[0,1]
	v_mov_b32_e32 v36, v32
	v_pk_add_f32 v[14:15], v[36:37], v[12:13]
	s_nop 0
	v_mov_b32_e32 v28, v15
	v_pk_add_f32 v[28:29], v[14:15], v[28:29]
	s_nop 0
	v_pk_add_f32 v[26:27], v[26:27], v[28:29]
	v_mov_b32_e32 v13, v28
	v_mov_b32_e32 v15, v26
	v_pk_add_f32 v[30:31], v[14:15], v[32:33] neg_lo:[0,1] neg_hi:[0,1]
	s_nop 0
	v_sub_f32_e32 v14, v14, v30
	v_pk_add_f32 v[12:13], v[12:13], v[30:31] neg_lo:[0,1] neg_hi:[0,1]
	v_sub_f32_e32 v14, v32, v14
	v_add_f32_e32 v12, v12, v14
	v_add_f32_e32 v12, v12, v13
	;; [unrolled: 1-line block ×3, first 2 shown]
	v_cndmask_b32_e32 v148, v12, v38, vcc
.LBB63_93:                              ;   in Loop: Header=BB63_13 Depth=1
	s_or_b64 exec, exec, s[4:5]
	v_and_b32_e32 v8, 0xffff0000, v8
	v_readlane_b32 s2, v167, 2
	s_nop 1
	v_add_f32_e32 v149, s2, v8
	v_readlane_b32 s2, v167, 30
	v_cmp_ge_f32_e32 vcc, s6, v149
	v_readlane_b32 s3, v167, 31
	s_and_b64 s[2:3], s[2:3], vcc
	s_and_saveexec_b64 s[4:5], s[2:3]
	s_cbranch_execz .LBB63_95
; %bb.94:                               ;   in Loop: Header=BB63_13 Depth=1
	v_mul_f32_e32 v8, 0x3fb8aa3b, v149
	v_rndne_f32_e32 v12, v8
	v_sub_f32_e32 v13, v8, v12
	v_fma_f32 v8, v149, s8, -v8
	v_fmac_f32_e32 v8, 0x32a5705f, v149
	v_add_f32_e32 v8, v13, v8
	v_cvt_i32_f32_e32 v12, v12
	v_exp_f32_e32 v8, v8
	v_cmp_ngt_f32_e32 vcc, s9, v149
	v_ldexp_f32 v8, v8, v12
	s_nop 0
	v_cndmask_b32_e32 v8, 0, v8, vcc
	v_cmp_nlt_f32_e32 vcc, s12, v149
	s_nop 1
	v_cndmask_b32_e32 v36, v136, v8, vcc
	v_add_f32_e32 v8, 1.0, v36
	v_add_f32_e32 v12, -1.0, v8
	v_sub_f32_e32 v13, v12, v8
	v_add_f32_e32 v13, 1.0, v13
	v_sub_f32_e32 v12, v36, v12
	v_add_f32_e32 v14, v12, v13
	v_frexp_mant_f32_e32 v15, v8
	v_cvt_f64_f32_e32 v[12:13], v8
	v_frexp_exp_i32_f64_e32 v12, v[12:13]
	v_cmp_gt_f32_e32 vcc, s14, v15
	v_cmp_gt_f32_e64 s[60:61], s16, v36
	s_nop 0
	v_subbrev_co_u32_e32 v23, vcc, 0, v12, vcc
	v_sub_u32_e32 v12, 0, v23
	v_ldexp_f32 v8, v8, v12
	v_ldexp_f32 v12, v14, v12
	v_add_f32_e32 v14, -1.0, v8
	v_add_f32_e32 v13, 1.0, v14
	v_sub_f32_e32 v13, v8, v13
	v_add_f32_e32 v15, v12, v13
	v_add_f32_e32 v13, 1.0, v8
	v_add_f32_e32 v25, -1.0, v13
	v_sub_f32_e32 v8, v8, v25
	v_add_f32_e32 v8, v12, v8
	v_add_f32_e32 v25, v13, v8
	v_rcp_f32_e32 v30, v25
	v_sub_f32_e32 v12, v13, v25
	v_add_f32_e32 v13, v14, v15
	v_add_f32_e32 v8, v8, v12
	v_mul_f32_e32 v32, v13, v30
	v_sub_f32_e32 v12, v14, v13
	v_mul_f32_e32 v14, v25, v32
	v_fma_f32 v26, v32, v25, -v14
	v_fmac_f32_e32 v26, v32, v8
	v_add_f32_e32 v31, v15, v12
	v_add_f32_e32 v12, v14, v26
	v_sub_f32_e32 v15, v13, v12
	v_pk_add_f32 v[28:29], v[12:13], v[14:15] neg_lo:[0,1] neg_hi:[0,1]
	v_mov_b32_e32 v27, v12
	v_pk_add_f32 v[12:13], v[28:29], v[26:27] neg_lo:[0,1] neg_hi:[0,1]
	v_cmp_eq_f32_e32 vcc, s13, v36
	v_add_f32_e32 v13, v31, v13
	v_add_f32_e32 v12, v12, v13
	v_add_f32_e32 v13, v15, v12
	v_mul_f32_e32 v31, v30, v13
	v_mul_f32_e32 v14, v25, v31
	v_fma_f32 v26, v31, v25, -v14
	v_fmac_f32_e32 v26, v31, v8
	v_sub_f32_e32 v8, v15, v13
	v_add_f32_e32 v8, v12, v8
	v_add_f32_e32 v12, v14, v26
	v_sub_f32_e32 v15, v13, v12
	v_pk_add_f32 v[28:29], v[12:13], v[14:15] neg_lo:[0,1] neg_hi:[0,1]
	v_mov_b32_e32 v27, v12
	v_pk_add_f32 v[12:13], v[28:29], v[26:27] neg_lo:[0,1] neg_hi:[0,1]
	s_or_b64 vcc, s[60:61], vcc
	v_add_f32_e32 v8, v8, v13
	v_add_f32_e32 v8, v12, v8
	v_add_f32_e32 v13, v32, v31
	v_add_f32_e32 v8, v15, v8
	v_sub_f32_e32 v12, v13, v32
	v_mul_f32_e32 v8, v30, v8
	v_sub_f32_e32 v12, v31, v12
	v_add_f32_e32 v8, v12, v8
	v_add_f32_e32 v14, v13, v8
	v_mul_f32_e32 v26, v14, v14
	v_fmamk_f32 v12, v26, 0x3e9b6dac, v135
	v_fmaak_f32 v25, v26, v12, 0x3f2aaada
	v_cvt_f32_i32_e32 v12, v23
	v_sub_f32_e32 v13, v14, v13
	v_sub_f32_e32 v8, v8, v13
	v_mul_f32_e32 v13, v14, v26
	v_pk_mul_f32 v[26:27], v[12:13], v[24:25]
	v_ldexp_f32 v15, v14, 1
	v_fma_f32 v14, v12, s15, -v26
	v_fmac_f32_e32 v14, 0xb102e308, v12
	v_pk_add_f32 v[12:13], v[26:27], v[14:15]
	v_ldexp_f32 v8, v8, 1
	v_sub_f32_e32 v15, v13, v15
	v_sub_f32_e32 v15, v27, v15
	v_add_f32_e32 v29, v8, v15
	v_mov_b32_e32 v28, v26
	v_pk_add_f32 v[26:27], v[12:13], v[26:27] neg_lo:[0,1] neg_hi:[0,1]
	v_pk_add_f32 v[30:31], v[12:13], v[28:29]
	v_mov_b32_e32 v15, v12
	v_mov_b32_e32 v27, v31
	v_pk_add_f32 v[32:33], v[14:15], v[26:27] neg_lo:[0,1] neg_hi:[0,1]
	v_pk_add_f32 v[14:15], v[14:15], v[26:27]
	s_nop 0
	v_mov_b32_e32 v8, v15
	v_pk_add_f32 v[26:27], v[8:9], v[12:13] neg_lo:[0,1] neg_hi:[0,1]
	v_mov_b32_e32 v14, v31
	v_mov_b32_e32 v23, v26
	v_pk_add_f32 v[34:35], v[30:31], v[22:23] neg_lo:[0,1] neg_hi:[0,1]
	v_mov_b32_e32 v30, v13
	v_mov_b32_e32 v31, v26
	;; [unrolled: 1-line block ×3, first 2 shown]
	v_pk_add_f32 v[14:15], v[14:15], v[30:31] neg_lo:[0,1] neg_hi:[0,1]
	v_mov_b32_e32 v26, v29
	v_mov_b32_e32 v27, v12
	v_pk_add_f32 v[12:13], v[26:27], v[14:15] neg_lo:[0,1] neg_hi:[0,1]
	v_mov_b32_e32 v34, v32
	v_pk_add_f32 v[14:15], v[34:35], v[12:13]
	s_nop 0
	v_mov_b32_e32 v26, v15
	v_pk_add_f32 v[26:27], v[14:15], v[26:27]
	s_nop 0
	v_pk_add_f32 v[28:29], v[8:9], v[26:27]
	v_mov_b32_e32 v13, v26
	v_mov_b32_e32 v15, v28
	v_pk_add_f32 v[30:31], v[14:15], v[32:33] neg_lo:[0,1] neg_hi:[0,1]
	s_nop 0
	v_sub_f32_e32 v8, v14, v30
	v_pk_add_f32 v[12:13], v[12:13], v[30:31] neg_lo:[0,1] neg_hi:[0,1]
	v_sub_f32_e32 v8, v32, v8
	v_add_f32_e32 v8, v12, v8
	v_add_f32_e32 v8, v8, v13
	;; [unrolled: 1-line block ×3, first 2 shown]
	v_cndmask_b32_e32 v149, v8, v36, vcc
.LBB63_95:                              ;   in Loop: Header=BB63_13 Depth=1
	s_or_b64 exec, exec, s[4:5]
	v_lshlrev_b32_e32 v8, 16, v9
	v_readlane_b32 s2, v167, 2
	s_nop 1
	v_add_f32_e32 v150, s2, v8
	v_readlane_b32 s2, v167, 30
	v_cmp_ge_f32_e32 vcc, s6, v150
	v_readlane_b32 s3, v167, 31
	s_and_b64 s[2:3], s[2:3], vcc
	s_and_saveexec_b64 s[4:5], s[2:3]
	s_cbranch_execz .LBB63_97
; %bb.96:                               ;   in Loop: Header=BB63_13 Depth=1
	v_mul_f32_e32 v8, 0x3fb8aa3b, v150
	v_rndne_f32_e32 v12, v8
	v_sub_f32_e32 v13, v8, v12
	v_fma_f32 v8, v150, s8, -v8
	v_fmac_f32_e32 v8, 0x32a5705f, v150
	v_add_f32_e32 v8, v13, v8
	v_cvt_i32_f32_e32 v12, v12
	v_exp_f32_e32 v8, v8
	v_cmp_ngt_f32_e32 vcc, s9, v150
	v_ldexp_f32 v8, v8, v12
	s_nop 0
	v_cndmask_b32_e32 v8, 0, v8, vcc
	v_cmp_nlt_f32_e32 vcc, s12, v150
	s_nop 1
	v_cndmask_b32_e32 v36, v136, v8, vcc
	v_add_f32_e32 v8, 1.0, v36
	v_add_f32_e32 v12, -1.0, v8
	v_sub_f32_e32 v13, v12, v8
	v_add_f32_e32 v13, 1.0, v13
	v_sub_f32_e32 v12, v36, v12
	v_add_f32_e32 v14, v12, v13
	v_frexp_mant_f32_e32 v15, v8
	v_cvt_f64_f32_e32 v[12:13], v8
	v_frexp_exp_i32_f64_e32 v12, v[12:13]
	v_cmp_gt_f32_e32 vcc, s14, v15
	v_cmp_gt_f32_e64 s[60:61], s16, v36
	s_nop 0
	v_subbrev_co_u32_e32 v23, vcc, 0, v12, vcc
	v_sub_u32_e32 v12, 0, v23
	v_ldexp_f32 v8, v8, v12
	v_ldexp_f32 v12, v14, v12
	v_add_f32_e32 v14, -1.0, v8
	v_add_f32_e32 v13, 1.0, v14
	v_sub_f32_e32 v13, v8, v13
	v_add_f32_e32 v15, v12, v13
	v_add_f32_e32 v13, 1.0, v8
	v_add_f32_e32 v25, -1.0, v13
	v_sub_f32_e32 v8, v8, v25
	v_add_f32_e32 v8, v12, v8
	v_add_f32_e32 v25, v13, v8
	v_rcp_f32_e32 v30, v25
	v_sub_f32_e32 v12, v13, v25
	v_add_f32_e32 v13, v14, v15
	v_add_f32_e32 v8, v8, v12
	v_mul_f32_e32 v32, v13, v30
	v_sub_f32_e32 v12, v14, v13
	v_mul_f32_e32 v14, v25, v32
	v_fma_f32 v26, v32, v25, -v14
	v_fmac_f32_e32 v26, v32, v8
	v_add_f32_e32 v31, v15, v12
	v_add_f32_e32 v12, v14, v26
	v_sub_f32_e32 v15, v13, v12
	v_pk_add_f32 v[28:29], v[12:13], v[14:15] neg_lo:[0,1] neg_hi:[0,1]
	v_mov_b32_e32 v27, v12
	v_pk_add_f32 v[12:13], v[28:29], v[26:27] neg_lo:[0,1] neg_hi:[0,1]
	v_cmp_eq_f32_e32 vcc, s13, v36
	v_add_f32_e32 v13, v31, v13
	v_add_f32_e32 v12, v12, v13
	v_add_f32_e32 v13, v15, v12
	v_mul_f32_e32 v31, v30, v13
	v_mul_f32_e32 v14, v25, v31
	v_fma_f32 v26, v31, v25, -v14
	v_fmac_f32_e32 v26, v31, v8
	v_sub_f32_e32 v8, v15, v13
	v_add_f32_e32 v8, v12, v8
	v_add_f32_e32 v12, v14, v26
	v_sub_f32_e32 v15, v13, v12
	v_pk_add_f32 v[28:29], v[12:13], v[14:15] neg_lo:[0,1] neg_hi:[0,1]
	v_mov_b32_e32 v27, v12
	v_pk_add_f32 v[12:13], v[28:29], v[26:27] neg_lo:[0,1] neg_hi:[0,1]
	s_or_b64 vcc, s[60:61], vcc
	v_add_f32_e32 v8, v8, v13
	v_add_f32_e32 v8, v12, v8
	;; [unrolled: 1-line block ×4, first 2 shown]
	v_sub_f32_e32 v12, v13, v32
	v_mul_f32_e32 v8, v30, v8
	v_sub_f32_e32 v12, v31, v12
	v_add_f32_e32 v8, v12, v8
	v_add_f32_e32 v14, v13, v8
	v_mul_f32_e32 v26, v14, v14
	v_fmamk_f32 v12, v26, 0x3e9b6dac, v135
	v_fmaak_f32 v25, v26, v12, 0x3f2aaada
	v_cvt_f32_i32_e32 v12, v23
	v_sub_f32_e32 v13, v14, v13
	v_sub_f32_e32 v8, v8, v13
	v_mul_f32_e32 v13, v14, v26
	v_pk_mul_f32 v[26:27], v[12:13], v[24:25]
	v_ldexp_f32 v15, v14, 1
	v_fma_f32 v14, v12, s15, -v26
	v_fmac_f32_e32 v14, 0xb102e308, v12
	v_pk_add_f32 v[12:13], v[26:27], v[14:15]
	v_ldexp_f32 v8, v8, 1
	v_sub_f32_e32 v15, v13, v15
	v_sub_f32_e32 v15, v27, v15
	v_add_f32_e32 v29, v8, v15
	v_mov_b32_e32 v28, v26
	v_pk_add_f32 v[26:27], v[12:13], v[26:27] neg_lo:[0,1] neg_hi:[0,1]
	v_pk_add_f32 v[30:31], v[12:13], v[28:29]
	v_mov_b32_e32 v15, v12
	v_mov_b32_e32 v27, v31
	v_pk_add_f32 v[32:33], v[14:15], v[26:27] neg_lo:[0,1] neg_hi:[0,1]
	v_pk_add_f32 v[14:15], v[14:15], v[26:27]
	s_nop 0
	v_mov_b32_e32 v8, v15
	v_pk_add_f32 v[26:27], v[8:9], v[12:13] neg_lo:[0,1] neg_hi:[0,1]
	v_mov_b32_e32 v14, v31
	v_mov_b32_e32 v23, v26
	v_pk_add_f32 v[34:35], v[30:31], v[22:23] neg_lo:[0,1] neg_hi:[0,1]
	v_mov_b32_e32 v30, v13
	v_mov_b32_e32 v31, v26
	;; [unrolled: 1-line block ×3, first 2 shown]
	v_pk_add_f32 v[14:15], v[14:15], v[30:31] neg_lo:[0,1] neg_hi:[0,1]
	v_mov_b32_e32 v26, v29
	v_mov_b32_e32 v27, v12
	v_pk_add_f32 v[12:13], v[26:27], v[14:15] neg_lo:[0,1] neg_hi:[0,1]
	v_mov_b32_e32 v34, v32
	v_pk_add_f32 v[14:15], v[34:35], v[12:13]
	s_nop 0
	v_mov_b32_e32 v26, v15
	v_pk_add_f32 v[26:27], v[14:15], v[26:27]
	s_nop 0
	v_pk_add_f32 v[28:29], v[8:9], v[26:27]
	v_mov_b32_e32 v13, v26
	v_mov_b32_e32 v15, v28
	v_pk_add_f32 v[30:31], v[14:15], v[32:33] neg_lo:[0,1] neg_hi:[0,1]
	s_nop 0
	v_sub_f32_e32 v8, v14, v30
	v_pk_add_f32 v[12:13], v[12:13], v[30:31] neg_lo:[0,1] neg_hi:[0,1]
	v_sub_f32_e32 v8, v32, v8
	v_add_f32_e32 v8, v12, v8
	v_add_f32_e32 v8, v8, v13
	;; [unrolled: 1-line block ×3, first 2 shown]
	v_cndmask_b32_e32 v150, v8, v36, vcc
.LBB63_97:                              ;   in Loop: Header=BB63_13 Depth=1
	s_or_b64 exec, exec, s[4:5]
	v_and_b32_e32 v8, 0xffff0000, v9
	v_readlane_b32 s2, v167, 2
	s_nop 1
	v_add_f32_e32 v151, s2, v8
	v_readlane_b32 s2, v167, 30
	v_cmp_ge_f32_e32 vcc, s6, v151
	v_readlane_b32 s3, v167, 31
	s_and_b64 s[2:3], s[2:3], vcc
	s_and_saveexec_b64 s[4:5], s[2:3]
	s_cbranch_execz .LBB63_99
; %bb.98:                               ;   in Loop: Header=BB63_13 Depth=1
	v_mul_f32_e32 v8, 0x3fb8aa3b, v151
	v_rndne_f32_e32 v9, v8
	v_sub_f32_e32 v12, v8, v9
	v_fma_f32 v8, v151, s8, -v8
	v_fmac_f32_e32 v8, 0x32a5705f, v151
	v_add_f32_e32 v8, v12, v8
	v_cvt_i32_f32_e32 v9, v9
	v_exp_f32_e32 v8, v8
	v_cmp_ngt_f32_e32 vcc, s9, v151
	v_ldexp_f32 v8, v8, v9
	s_nop 0
	v_cndmask_b32_e32 v8, 0, v8, vcc
	v_cmp_nlt_f32_e32 vcc, s12, v151
	s_nop 1
	v_cndmask_b32_e32 v23, v136, v8, vcc
	v_add_f32_e32 v12, 1.0, v23
	v_add_f32_e32 v8, -1.0, v12
	v_sub_f32_e32 v9, v8, v12
	v_add_f32_e32 v9, 1.0, v9
	v_sub_f32_e32 v8, v23, v8
	v_add_f32_e32 v13, v8, v9
	v_frexp_mant_f32_e32 v14, v12
	v_cvt_f64_f32_e32 v[8:9], v12
	v_frexp_exp_i32_f64_e32 v8, v[8:9]
	v_cmp_gt_f32_e32 vcc, s14, v14
	v_cmp_gt_f32_e64 s[60:61], s16, v23
	s_nop 0
	v_subbrev_co_u32_e32 v28, vcc, 0, v8, vcc
	v_sub_u32_e32 v8, 0, v28
	v_ldexp_f32 v9, v12, v8
	v_add_f32_e32 v12, -1.0, v9
	v_add_f32_e32 v14, 1.0, v9
	v_ldexp_f32 v8, v13, v8
	v_add_f32_e32 v13, 1.0, v12
	v_add_f32_e32 v15, -1.0, v14
	v_sub_f32_e32 v13, v9, v13
	v_sub_f32_e32 v9, v9, v15
	v_add_f32_e32 v13, v8, v13
	v_add_f32_e32 v8, v8, v9
	;; [unrolled: 1-line block ×3, first 2 shown]
	v_rcp_f32_e32 v30, v25
	v_sub_f32_e32 v9, v14, v25
	v_add_f32_e32 v29, v8, v9
	v_add_f32_e32 v9, v12, v13
	v_mul_f32_e32 v32, v9, v30
	v_sub_f32_e32 v8, v12, v9
	v_mul_f32_e32 v12, v25, v32
	v_fma_f32 v14, v32, v25, -v12
	v_fmac_f32_e32 v14, v32, v29
	v_add_f32_e32 v31, v13, v8
	v_add_f32_e32 v8, v12, v14
	v_sub_f32_e32 v13, v9, v8
	v_pk_add_f32 v[26:27], v[8:9], v[12:13] neg_lo:[0,1] neg_hi:[0,1]
	v_mov_b32_e32 v15, v8
	v_pk_add_f32 v[8:9], v[26:27], v[14:15] neg_lo:[0,1] neg_hi:[0,1]
	v_cmp_eq_f32_e32 vcc, s13, v23
	v_add_f32_e32 v9, v31, v9
	v_add_f32_e32 v8, v8, v9
	;; [unrolled: 1-line block ×3, first 2 shown]
	v_mul_f32_e32 v31, v30, v9
	v_mul_f32_e32 v12, v25, v31
	v_fma_f32 v14, v31, v25, -v12
	v_fmac_f32_e32 v14, v31, v29
	v_sub_f32_e32 v13, v13, v9
	v_add_f32_e32 v25, v8, v13
	v_add_f32_e32 v8, v12, v14
	v_sub_f32_e32 v13, v9, v8
	v_pk_add_f32 v[26:27], v[8:9], v[12:13] neg_lo:[0,1] neg_hi:[0,1]
	v_mov_b32_e32 v15, v8
	v_pk_add_f32 v[8:9], v[26:27], v[14:15] neg_lo:[0,1] neg_hi:[0,1]
	s_or_b64 vcc, s[60:61], vcc
	v_add_f32_e32 v9, v25, v9
	v_add_f32_e32 v8, v8, v9
	;; [unrolled: 1-line block ×4, first 2 shown]
	v_sub_f32_e32 v12, v9, v32
	v_mul_f32_e32 v8, v30, v8
	v_sub_f32_e32 v12, v31, v12
	v_add_f32_e32 v12, v12, v8
	v_add_f32_e32 v14, v9, v12
	v_mul_f32_e32 v15, v14, v14
	v_fmamk_f32 v8, v15, 0x3e9b6dac, v135
	v_fmaak_f32 v25, v15, v8, 0x3f2aaada
	v_cvt_f32_i32_e32 v8, v28
	v_sub_f32_e32 v9, v14, v9
	v_sub_f32_e32 v9, v12, v9
	v_ldexp_f32 v26, v9, 1
	v_mul_f32_e32 v9, v14, v15
	v_ldexp_f32 v13, v14, 1
	v_pk_mul_f32 v[14:15], v[8:9], v[24:25]
	s_nop 0
	v_fma_f32 v12, v8, s15, -v14
	v_fmac_f32_e32 v12, 0xb102e308, v8
	v_pk_add_f32 v[8:9], v[14:15], v[12:13]
	s_nop 0
	v_sub_f32_e32 v13, v9, v13
	v_sub_f32_e32 v13, v15, v13
	v_add_f32_e32 v27, v26, v13
	v_mov_b32_e32 v26, v14
	v_pk_add_f32 v[14:15], v[8:9], v[14:15] neg_lo:[0,1] neg_hi:[0,1]
	v_pk_add_f32 v[28:29], v[8:9], v[26:27]
	v_mov_b32_e32 v13, v8
	v_mov_b32_e32 v15, v29
	v_pk_add_f32 v[30:31], v[12:13], v[14:15] neg_lo:[0,1] neg_hi:[0,1]
	v_pk_add_f32 v[12:13], v[12:13], v[14:15]
	v_mov_b32_e32 v26, v27
	v_mov_b32_e32 v14, v13
	v_pk_add_f32 v[32:33], v[14:15], v[8:9] neg_lo:[0,1] neg_hi:[0,1]
	v_mov_b32_e32 v12, v29
	v_mov_b32_e32 v15, v32
	v_pk_add_f32 v[34:35], v[28:29], v[14:15] neg_lo:[0,1] neg_hi:[0,1]
	v_mov_b32_e32 v28, v9
	v_mov_b32_e32 v29, v32
	;; [unrolled: 1-line block ×3, first 2 shown]
	v_pk_add_f32 v[12:13], v[12:13], v[28:29] neg_lo:[0,1] neg_hi:[0,1]
	v_mov_b32_e32 v27, v8
	v_pk_add_f32 v[8:9], v[26:27], v[12:13] neg_lo:[0,1] neg_hi:[0,1]
	v_mov_b32_e32 v34, v30
	v_pk_add_f32 v[12:13], v[34:35], v[8:9]
	s_nop 0
	v_mov_b32_e32 v26, v13
	v_pk_add_f32 v[26:27], v[12:13], v[26:27]
	s_nop 0
	v_pk_add_f32 v[14:15], v[14:15], v[26:27]
	v_mov_b32_e32 v9, v26
	v_mov_b32_e32 v13, v14
	v_pk_add_f32 v[28:29], v[12:13], v[30:31] neg_lo:[0,1] neg_hi:[0,1]
	s_nop 0
	v_sub_f32_e32 v12, v12, v28
	v_pk_add_f32 v[8:9], v[8:9], v[28:29] neg_lo:[0,1] neg_hi:[0,1]
	v_sub_f32_e32 v12, v30, v12
	v_add_f32_e32 v8, v8, v12
	v_add_f32_e32 v8, v8, v9
	;; [unrolled: 1-line block ×3, first 2 shown]
	v_cndmask_b32_e32 v151, v8, v23, vcc
.LBB63_99:                              ;   in Loop: Header=BB63_13 Depth=1
	s_or_b64 exec, exec, s[4:5]
	v_lshlrev_b32_e32 v8, 16, v10
	v_readlane_b32 s2, v167, 2
	s_nop 1
	v_add_f32_e32 v152, s2, v8
	v_readlane_b32 s2, v167, 30
	v_cmp_ge_f32_e32 vcc, s6, v152
	v_readlane_b32 s3, v167, 31
	s_and_b64 s[2:3], s[2:3], vcc
	s_and_saveexec_b64 s[4:5], s[2:3]
	s_cbranch_execz .LBB63_101
; %bb.100:                              ;   in Loop: Header=BB63_13 Depth=1
	v_mul_f32_e32 v8, 0x3fb8aa3b, v152
	v_rndne_f32_e32 v9, v8
	v_sub_f32_e32 v12, v8, v9
	v_fma_f32 v8, v152, s8, -v8
	v_fmac_f32_e32 v8, 0x32a5705f, v152
	v_add_f32_e32 v8, v12, v8
	v_cvt_i32_f32_e32 v9, v9
	v_exp_f32_e32 v8, v8
	v_cmp_ngt_f32_e32 vcc, s9, v152
	v_ldexp_f32 v8, v8, v9
	s_nop 0
	v_cndmask_b32_e32 v8, 0, v8, vcc
	v_cmp_nlt_f32_e32 vcc, s12, v152
	s_nop 1
	v_cndmask_b32_e32 v23, v136, v8, vcc
	v_add_f32_e32 v12, 1.0, v23
	v_add_f32_e32 v8, -1.0, v12
	v_sub_f32_e32 v9, v8, v12
	v_add_f32_e32 v9, 1.0, v9
	v_sub_f32_e32 v8, v23, v8
	v_add_f32_e32 v13, v8, v9
	v_frexp_mant_f32_e32 v14, v12
	v_cvt_f64_f32_e32 v[8:9], v12
	v_frexp_exp_i32_f64_e32 v8, v[8:9]
	v_cmp_gt_f32_e32 vcc, s14, v14
	v_cmp_gt_f32_e64 s[60:61], s16, v23
	s_nop 0
	v_subbrev_co_u32_e32 v28, vcc, 0, v8, vcc
	v_sub_u32_e32 v8, 0, v28
	v_ldexp_f32 v9, v12, v8
	v_add_f32_e32 v12, -1.0, v9
	v_add_f32_e32 v14, 1.0, v9
	v_ldexp_f32 v8, v13, v8
	v_add_f32_e32 v13, 1.0, v12
	v_add_f32_e32 v15, -1.0, v14
	v_sub_f32_e32 v13, v9, v13
	v_sub_f32_e32 v9, v9, v15
	v_add_f32_e32 v13, v8, v13
	v_add_f32_e32 v8, v8, v9
	v_add_f32_e32 v25, v14, v8
	v_rcp_f32_e32 v30, v25
	v_sub_f32_e32 v9, v14, v25
	v_add_f32_e32 v29, v8, v9
	v_add_f32_e32 v9, v12, v13
	v_mul_f32_e32 v32, v9, v30
	v_sub_f32_e32 v8, v12, v9
	v_mul_f32_e32 v12, v25, v32
	v_fma_f32 v14, v32, v25, -v12
	v_fmac_f32_e32 v14, v32, v29
	v_add_f32_e32 v31, v13, v8
	v_add_f32_e32 v8, v12, v14
	v_sub_f32_e32 v13, v9, v8
	v_pk_add_f32 v[26:27], v[8:9], v[12:13] neg_lo:[0,1] neg_hi:[0,1]
	v_mov_b32_e32 v15, v8
	v_pk_add_f32 v[8:9], v[26:27], v[14:15] neg_lo:[0,1] neg_hi:[0,1]
	v_cmp_eq_f32_e32 vcc, s13, v23
	v_add_f32_e32 v9, v31, v9
	v_add_f32_e32 v8, v8, v9
	v_add_f32_e32 v9, v13, v8
	v_mul_f32_e32 v31, v30, v9
	v_mul_f32_e32 v12, v25, v31
	v_fma_f32 v14, v31, v25, -v12
	v_fmac_f32_e32 v14, v31, v29
	v_sub_f32_e32 v13, v13, v9
	v_add_f32_e32 v25, v8, v13
	v_add_f32_e32 v8, v12, v14
	v_sub_f32_e32 v13, v9, v8
	v_pk_add_f32 v[26:27], v[8:9], v[12:13] neg_lo:[0,1] neg_hi:[0,1]
	v_mov_b32_e32 v15, v8
	v_pk_add_f32 v[8:9], v[26:27], v[14:15] neg_lo:[0,1] neg_hi:[0,1]
	s_or_b64 vcc, s[60:61], vcc
	v_add_f32_e32 v9, v25, v9
	v_add_f32_e32 v8, v8, v9
	;; [unrolled: 1-line block ×4, first 2 shown]
	v_sub_f32_e32 v12, v9, v32
	v_mul_f32_e32 v8, v30, v8
	v_sub_f32_e32 v12, v31, v12
	v_add_f32_e32 v12, v12, v8
	v_add_f32_e32 v14, v9, v12
	v_mul_f32_e32 v15, v14, v14
	v_fmamk_f32 v8, v15, 0x3e9b6dac, v135
	v_fmaak_f32 v25, v15, v8, 0x3f2aaada
	v_cvt_f32_i32_e32 v8, v28
	v_sub_f32_e32 v9, v14, v9
	v_sub_f32_e32 v9, v12, v9
	v_ldexp_f32 v26, v9, 1
	v_mul_f32_e32 v9, v14, v15
	v_ldexp_f32 v13, v14, 1
	v_pk_mul_f32 v[14:15], v[8:9], v[24:25]
	s_nop 0
	v_fma_f32 v12, v8, s15, -v14
	v_fmac_f32_e32 v12, 0xb102e308, v8
	v_pk_add_f32 v[8:9], v[14:15], v[12:13]
	s_nop 0
	v_sub_f32_e32 v13, v9, v13
	v_sub_f32_e32 v13, v15, v13
	v_add_f32_e32 v27, v26, v13
	v_mov_b32_e32 v26, v14
	v_pk_add_f32 v[14:15], v[8:9], v[14:15] neg_lo:[0,1] neg_hi:[0,1]
	v_pk_add_f32 v[28:29], v[8:9], v[26:27]
	v_mov_b32_e32 v13, v8
	v_mov_b32_e32 v15, v29
	v_pk_add_f32 v[30:31], v[12:13], v[14:15] neg_lo:[0,1] neg_hi:[0,1]
	v_pk_add_f32 v[12:13], v[12:13], v[14:15]
	v_mov_b32_e32 v26, v27
	v_mov_b32_e32 v14, v13
	v_pk_add_f32 v[32:33], v[14:15], v[8:9] neg_lo:[0,1] neg_hi:[0,1]
	v_mov_b32_e32 v12, v29
	v_mov_b32_e32 v15, v32
	v_pk_add_f32 v[34:35], v[28:29], v[14:15] neg_lo:[0,1] neg_hi:[0,1]
	v_mov_b32_e32 v28, v9
	v_mov_b32_e32 v29, v32
	;; [unrolled: 1-line block ×3, first 2 shown]
	v_pk_add_f32 v[12:13], v[12:13], v[28:29] neg_lo:[0,1] neg_hi:[0,1]
	v_mov_b32_e32 v27, v8
	v_pk_add_f32 v[8:9], v[26:27], v[12:13] neg_lo:[0,1] neg_hi:[0,1]
	v_mov_b32_e32 v34, v30
	v_pk_add_f32 v[12:13], v[34:35], v[8:9]
	s_nop 0
	v_mov_b32_e32 v26, v13
	v_pk_add_f32 v[26:27], v[12:13], v[26:27]
	s_nop 0
	v_pk_add_f32 v[14:15], v[14:15], v[26:27]
	v_mov_b32_e32 v9, v26
	v_mov_b32_e32 v13, v14
	v_pk_add_f32 v[28:29], v[12:13], v[30:31] neg_lo:[0,1] neg_hi:[0,1]
	s_nop 0
	v_sub_f32_e32 v12, v12, v28
	v_pk_add_f32 v[8:9], v[8:9], v[28:29] neg_lo:[0,1] neg_hi:[0,1]
	v_sub_f32_e32 v12, v30, v12
	v_add_f32_e32 v8, v8, v12
	v_add_f32_e32 v8, v8, v9
	;; [unrolled: 1-line block ×3, first 2 shown]
	v_cndmask_b32_e32 v152, v8, v23, vcc
.LBB63_101:                             ;   in Loop: Header=BB63_13 Depth=1
	s_or_b64 exec, exec, s[4:5]
	v_and_b32_e32 v8, 0xffff0000, v10
	v_readlane_b32 s2, v167, 2
	s_nop 1
	v_add_f32_e32 v153, s2, v8
	v_readlane_b32 s2, v167, 30
	v_cmp_ge_f32_e32 vcc, s6, v153
	v_readlane_b32 s3, v167, 31
	s_and_b64 s[2:3], s[2:3], vcc
	s_and_saveexec_b64 s[4:5], s[2:3]
	s_cbranch_execz .LBB63_103
; %bb.102:                              ;   in Loop: Header=BB63_13 Depth=1
	v_mul_f32_e32 v8, 0x3fb8aa3b, v153
	v_rndne_f32_e32 v9, v8
	v_sub_f32_e32 v10, v8, v9
	v_fma_f32 v8, v153, s8, -v8
	v_fmac_f32_e32 v8, 0x32a5705f, v153
	v_add_f32_e32 v8, v10, v8
	v_cvt_i32_f32_e32 v9, v9
	v_exp_f32_e32 v8, v8
	v_cmp_ngt_f32_e32 vcc, s9, v153
	v_ldexp_f32 v8, v8, v9
	s_nop 0
	v_cndmask_b32_e32 v8, 0, v8, vcc
	v_cmp_nlt_f32_e32 vcc, s12, v153
	s_nop 1
	v_cndmask_b32_e32 v23, v136, v8, vcc
	v_add_f32_e32 v10, 1.0, v23
	v_add_f32_e32 v8, -1.0, v10
	v_sub_f32_e32 v9, v8, v10
	v_add_f32_e32 v9, 1.0, v9
	v_sub_f32_e32 v8, v23, v8
	v_add_f32_e32 v12, v8, v9
	v_frexp_mant_f32_e32 v13, v10
	v_cvt_f64_f32_e32 v[8:9], v10
	v_frexp_exp_i32_f64_e32 v8, v[8:9]
	v_cmp_gt_f32_e32 vcc, s14, v13
	v_cmp_gt_f32_e64 s[60:61], s16, v23
	s_nop 0
	v_subbrev_co_u32_e32 v28, vcc, 0, v8, vcc
	v_sub_u32_e32 v8, 0, v28
	v_ldexp_f32 v9, v10, v8
	v_add_f32_e32 v10, -1.0, v9
	v_add_f32_e32 v13, 1.0, v9
	v_ldexp_f32 v8, v12, v8
	v_add_f32_e32 v12, 1.0, v10
	v_add_f32_e32 v14, -1.0, v13
	v_sub_f32_e32 v12, v9, v12
	v_sub_f32_e32 v9, v9, v14
	v_add_f32_e32 v12, v8, v12
	v_add_f32_e32 v8, v8, v9
	;; [unrolled: 1-line block ×3, first 2 shown]
	v_rcp_f32_e32 v30, v25
	v_sub_f32_e32 v9, v13, v25
	v_add_f32_e32 v29, v8, v9
	v_add_f32_e32 v9, v10, v12
	v_sub_f32_e32 v8, v10, v9
	v_mul_f32_e32 v31, v9, v30
	v_add_f32_e32 v10, v12, v8
	v_mul_f32_e32 v12, v25, v31
	v_fma_f32 v14, v31, v25, -v12
	v_fmac_f32_e32 v14, v31, v29
	v_add_f32_e32 v8, v12, v14
	v_sub_f32_e32 v13, v9, v8
	v_pk_add_f32 v[26:27], v[8:9], v[12:13] neg_lo:[0,1] neg_hi:[0,1]
	v_mov_b32_e32 v15, v8
	v_pk_add_f32 v[8:9], v[26:27], v[14:15] neg_lo:[0,1] neg_hi:[0,1]
	v_cmp_eq_f32_e32 vcc, s13, v23
	v_add_f32_e32 v9, v10, v9
	v_add_f32_e32 v8, v8, v9
	;; [unrolled: 1-line block ×3, first 2 shown]
	v_mul_f32_e32 v10, v30, v9
	v_mul_f32_e32 v12, v25, v10
	v_fma_f32 v14, v10, v25, -v12
	v_fmac_f32_e32 v14, v10, v29
	v_sub_f32_e32 v13, v13, v9
	v_add_f32_e32 v25, v8, v13
	v_add_f32_e32 v8, v12, v14
	v_sub_f32_e32 v13, v9, v8
	v_pk_add_f32 v[26:27], v[8:9], v[12:13] neg_lo:[0,1] neg_hi:[0,1]
	v_mov_b32_e32 v15, v8
	v_pk_add_f32 v[8:9], v[26:27], v[14:15] neg_lo:[0,1] neg_hi:[0,1]
	s_or_b64 vcc, s[60:61], vcc
	v_add_f32_e32 v9, v25, v9
	v_add_f32_e32 v8, v8, v9
	;; [unrolled: 1-line block ×4, first 2 shown]
	v_sub_f32_e32 v12, v9, v31
	v_mul_f32_e32 v8, v30, v8
	v_sub_f32_e32 v10, v10, v12
	v_add_f32_e32 v10, v10, v8
	v_add_f32_e32 v12, v9, v10
	v_mul_f32_e32 v14, v12, v12
	v_fmamk_f32 v8, v14, 0x3e9b6dac, v135
	v_fmaak_f32 v25, v14, v8, 0x3f2aaada
	v_cvt_f32_i32_e32 v8, v28
	v_sub_f32_e32 v9, v12, v9
	v_sub_f32_e32 v9, v10, v9
	v_ldexp_f32 v10, v9, 1
	v_mul_f32_e32 v9, v12, v14
	v_pk_mul_f32 v[14:15], v[8:9], v[24:25]
	v_ldexp_f32 v13, v12, 1
	v_fma_f32 v12, v8, s15, -v14
	v_fmac_f32_e32 v12, 0xb102e308, v8
	v_pk_add_f32 v[8:9], v[14:15], v[12:13]
	v_mov_b32_e32 v26, v14
	v_sub_f32_e32 v13, v9, v13
	v_sub_f32_e32 v13, v15, v13
	v_add_f32_e32 v27, v10, v13
	v_pk_add_f32 v[14:15], v[8:9], v[14:15] neg_lo:[0,1] neg_hi:[0,1]
	v_pk_add_f32 v[28:29], v[8:9], v[26:27]
	v_mov_b32_e32 v13, v8
	v_mov_b32_e32 v15, v29
	v_pk_add_f32 v[30:31], v[12:13], v[14:15] neg_lo:[0,1] neg_hi:[0,1]
	v_pk_add_f32 v[12:13], v[12:13], v[14:15]
	s_nop 0
	v_mov_b32_e32 v10, v13
	v_pk_add_f32 v[14:15], v[10:11], v[8:9] neg_lo:[0,1] neg_hi:[0,1]
	v_mov_b32_e32 v12, v29
	v_mov_b32_e32 v15, v14
	v_pk_add_f32 v[32:33], v[28:29], v[14:15] neg_lo:[0,1] neg_hi:[0,1]
	v_mov_b32_e32 v28, v9
	v_mov_b32_e32 v29, v14
	;; [unrolled: 1-line block ×3, first 2 shown]
	v_pk_add_f32 v[12:13], v[12:13], v[28:29] neg_lo:[0,1] neg_hi:[0,1]
	v_mov_b32_e32 v14, v27
	v_mov_b32_e32 v15, v8
	v_pk_add_f32 v[8:9], v[14:15], v[12:13] neg_lo:[0,1] neg_hi:[0,1]
	v_mov_b32_e32 v32, v30
	v_pk_add_f32 v[12:13], v[32:33], v[8:9]
	s_nop 0
	v_mov_b32_e32 v14, v13
	v_pk_add_f32 v[14:15], v[12:13], v[14:15]
	s_nop 0
	v_pk_add_f32 v[26:27], v[10:11], v[14:15]
	v_mov_b32_e32 v9, v14
	v_mov_b32_e32 v13, v26
	v_pk_add_f32 v[28:29], v[12:13], v[30:31] neg_lo:[0,1] neg_hi:[0,1]
	s_nop 0
	v_sub_f32_e32 v10, v12, v28
	v_pk_add_f32 v[8:9], v[8:9], v[28:29] neg_lo:[0,1] neg_hi:[0,1]
	v_sub_f32_e32 v10, v30, v10
	v_add_f32_e32 v8, v8, v10
	v_add_f32_e32 v8, v8, v9
	;; [unrolled: 1-line block ×3, first 2 shown]
	v_cndmask_b32_e32 v153, v8, v23, vcc
.LBB63_103:                             ;   in Loop: Header=BB63_13 Depth=1
	s_or_b64 exec, exec, s[4:5]
	v_lshlrev_b32_e32 v8, 16, v11
	v_readlane_b32 s2, v167, 2
	s_nop 1
	v_add_f32_e32 v26, s2, v8
	v_readlane_b32 s2, v167, 30
	v_cmp_ge_f32_e32 vcc, s6, v26
	v_readlane_b32 s3, v167, 31
	s_and_b64 s[2:3], s[2:3], vcc
	s_and_saveexec_b64 s[4:5], s[2:3]
	s_cbranch_execz .LBB63_105
; %bb.104:                              ;   in Loop: Header=BB63_13 Depth=1
	v_mul_f32_e32 v8, 0x3fb8aa3b, v26
	v_rndne_f32_e32 v9, v8
	v_sub_f32_e32 v10, v8, v9
	v_fma_f32 v8, v26, s8, -v8
	v_fmac_f32_e32 v8, 0x32a5705f, v26
	v_add_f32_e32 v8, v10, v8
	v_cvt_i32_f32_e32 v9, v9
	v_exp_f32_e32 v8, v8
	v_cmp_ngt_f32_e32 vcc, s9, v26
	v_ldexp_f32 v8, v8, v9
	s_nop 0
	v_cndmask_b32_e32 v8, 0, v8, vcc
	v_cmp_nlt_f32_e32 vcc, s12, v26
	s_nop 1
	v_cndmask_b32_e32 v23, v136, v8, vcc
	v_add_f32_e32 v10, 1.0, v23
	v_add_f32_e32 v8, -1.0, v10
	v_sub_f32_e32 v9, v8, v10
	v_add_f32_e32 v9, 1.0, v9
	v_sub_f32_e32 v8, v23, v8
	v_add_f32_e32 v12, v8, v9
	v_frexp_mant_f32_e32 v13, v10
	v_cvt_f64_f32_e32 v[8:9], v10
	v_frexp_exp_i32_f64_e32 v8, v[8:9]
	v_cmp_gt_f32_e32 vcc, s14, v13
	v_cmp_gt_f32_e64 s[60:61], s16, v23
	s_nop 0
	v_subbrev_co_u32_e32 v28, vcc, 0, v8, vcc
	v_sub_u32_e32 v8, 0, v28
	v_ldexp_f32 v9, v10, v8
	v_add_f32_e32 v10, -1.0, v9
	v_add_f32_e32 v13, 1.0, v9
	v_ldexp_f32 v8, v12, v8
	v_add_f32_e32 v12, 1.0, v10
	v_add_f32_e32 v14, -1.0, v13
	v_sub_f32_e32 v12, v9, v12
	v_sub_f32_e32 v9, v9, v14
	v_add_f32_e32 v12, v8, v12
	v_add_f32_e32 v8, v8, v9
	;; [unrolled: 1-line block ×3, first 2 shown]
	v_rcp_f32_e32 v30, v25
	v_sub_f32_e32 v9, v13, v25
	v_add_f32_e32 v29, v8, v9
	v_add_f32_e32 v9, v10, v12
	v_sub_f32_e32 v8, v10, v9
	v_mul_f32_e32 v31, v9, v30
	v_add_f32_e32 v10, v12, v8
	v_mul_f32_e32 v12, v25, v31
	v_fma_f32 v14, v31, v25, -v12
	v_fmac_f32_e32 v14, v31, v29
	v_add_f32_e32 v8, v12, v14
	v_sub_f32_e32 v13, v9, v8
	v_pk_add_f32 v[26:27], v[8:9], v[12:13] neg_lo:[0,1] neg_hi:[0,1]
	v_mov_b32_e32 v15, v8
	v_pk_add_f32 v[8:9], v[26:27], v[14:15] neg_lo:[0,1] neg_hi:[0,1]
	v_cmp_eq_f32_e32 vcc, s13, v23
	v_add_f32_e32 v9, v10, v9
	v_add_f32_e32 v8, v8, v9
	v_add_f32_e32 v9, v13, v8
	v_mul_f32_e32 v10, v30, v9
	v_mul_f32_e32 v12, v25, v10
	v_fma_f32 v14, v10, v25, -v12
	v_fmac_f32_e32 v14, v10, v29
	v_sub_f32_e32 v13, v13, v9
	v_add_f32_e32 v25, v8, v13
	v_add_f32_e32 v8, v12, v14
	v_sub_f32_e32 v13, v9, v8
	v_pk_add_f32 v[26:27], v[8:9], v[12:13] neg_lo:[0,1] neg_hi:[0,1]
	v_mov_b32_e32 v15, v8
	v_pk_add_f32 v[8:9], v[26:27], v[14:15] neg_lo:[0,1] neg_hi:[0,1]
	s_or_b64 vcc, s[60:61], vcc
	v_add_f32_e32 v9, v25, v9
	v_add_f32_e32 v8, v8, v9
	;; [unrolled: 1-line block ×4, first 2 shown]
	v_sub_f32_e32 v12, v9, v31
	v_mul_f32_e32 v8, v30, v8
	v_sub_f32_e32 v10, v10, v12
	v_add_f32_e32 v10, v10, v8
	v_add_f32_e32 v12, v9, v10
	v_mul_f32_e32 v14, v12, v12
	v_fmamk_f32 v8, v14, 0x3e9b6dac, v135
	v_fmaak_f32 v25, v14, v8, 0x3f2aaada
	v_cvt_f32_i32_e32 v8, v28
	v_sub_f32_e32 v9, v12, v9
	v_sub_f32_e32 v9, v10, v9
	v_ldexp_f32 v10, v9, 1
	v_mul_f32_e32 v9, v12, v14
	v_pk_mul_f32 v[14:15], v[8:9], v[24:25]
	v_ldexp_f32 v13, v12, 1
	v_fma_f32 v12, v8, s15, -v14
	v_fmac_f32_e32 v12, 0xb102e308, v8
	v_pk_add_f32 v[8:9], v[14:15], v[12:13]
	v_mov_b32_e32 v26, v14
	v_sub_f32_e32 v13, v9, v13
	v_sub_f32_e32 v13, v15, v13
	v_add_f32_e32 v27, v10, v13
	v_pk_add_f32 v[14:15], v[8:9], v[14:15] neg_lo:[0,1] neg_hi:[0,1]
	v_pk_add_f32 v[28:29], v[8:9], v[26:27]
	v_mov_b32_e32 v13, v8
	v_mov_b32_e32 v15, v29
	v_pk_add_f32 v[30:31], v[12:13], v[14:15] neg_lo:[0,1] neg_hi:[0,1]
	v_pk_add_f32 v[12:13], v[12:13], v[14:15]
	s_nop 0
	v_mov_b32_e32 v10, v13
	v_pk_add_f32 v[14:15], v[10:11], v[8:9] neg_lo:[0,1] neg_hi:[0,1]
	v_mov_b32_e32 v12, v29
	v_mov_b32_e32 v15, v14
	v_pk_add_f32 v[32:33], v[28:29], v[14:15] neg_lo:[0,1] neg_hi:[0,1]
	v_mov_b32_e32 v28, v9
	v_mov_b32_e32 v29, v14
	;; [unrolled: 1-line block ×3, first 2 shown]
	v_pk_add_f32 v[12:13], v[12:13], v[28:29] neg_lo:[0,1] neg_hi:[0,1]
	v_mov_b32_e32 v14, v27
	v_mov_b32_e32 v15, v8
	v_pk_add_f32 v[8:9], v[14:15], v[12:13] neg_lo:[0,1] neg_hi:[0,1]
	v_mov_b32_e32 v32, v30
	v_pk_add_f32 v[12:13], v[32:33], v[8:9]
	s_nop 0
	v_mov_b32_e32 v14, v13
	v_pk_add_f32 v[14:15], v[12:13], v[14:15]
	s_nop 0
	v_pk_add_f32 v[26:27], v[10:11], v[14:15]
	v_mov_b32_e32 v9, v14
	v_mov_b32_e32 v13, v26
	v_pk_add_f32 v[28:29], v[12:13], v[30:31] neg_lo:[0,1] neg_hi:[0,1]
	s_nop 0
	v_sub_f32_e32 v10, v12, v28
	v_pk_add_f32 v[8:9], v[8:9], v[28:29] neg_lo:[0,1] neg_hi:[0,1]
	v_sub_f32_e32 v10, v30, v10
	v_add_f32_e32 v8, v8, v10
	v_add_f32_e32 v8, v8, v9
	;; [unrolled: 1-line block ×3, first 2 shown]
	v_cndmask_b32_e32 v26, v8, v23, vcc
.LBB63_105:                             ;   in Loop: Header=BB63_13 Depth=1
	s_or_b64 exec, exec, s[4:5]
	v_and_b32_e32 v8, 0xffff0000, v11
	v_readlane_b32 s2, v167, 2
	s_nop 1
	v_add_f32_e32 v27, s2, v8
	v_readlane_b32 s2, v167, 30
	v_cmp_ge_f32_e32 vcc, s6, v27
	v_readlane_b32 s3, v167, 31
	s_and_b64 s[2:3], s[2:3], vcc
	s_and_saveexec_b64 s[4:5], s[2:3]
	s_cbranch_execz .LBB63_107
; %bb.106:                              ;   in Loop: Header=BB63_13 Depth=1
	v_mul_f32_e32 v8, 0x3fb8aa3b, v27
	v_rndne_f32_e32 v9, v8
	v_sub_f32_e32 v10, v8, v9
	v_fma_f32 v8, v27, s8, -v8
	v_fmac_f32_e32 v8, 0x32a5705f, v27
	v_add_f32_e32 v8, v10, v8
	v_cvt_i32_f32_e32 v9, v9
	v_exp_f32_e32 v8, v8
	v_cmp_ngt_f32_e32 vcc, s9, v27
	v_ldexp_f32 v8, v8, v9
	s_nop 0
	v_cndmask_b32_e32 v8, 0, v8, vcc
	v_cmp_nlt_f32_e32 vcc, s12, v27
	s_nop 1
	v_cndmask_b32_e32 v23, v136, v8, vcc
	v_add_f32_e32 v10, 1.0, v23
	v_add_f32_e32 v8, -1.0, v10
	v_sub_f32_e32 v9, v8, v10
	v_add_f32_e32 v9, 1.0, v9
	v_sub_f32_e32 v8, v23, v8
	v_add_f32_e32 v11, v8, v9
	v_frexp_mant_f32_e32 v12, v10
	v_cvt_f64_f32_e32 v[8:9], v10
	v_frexp_exp_i32_f64_e32 v8, v[8:9]
	v_cmp_gt_f32_e32 vcc, s14, v12
	v_cmp_gt_f32_e64 s[60:61], s16, v23
	s_nop 0
	v_subbrev_co_u32_e32 v27, vcc, 0, v8, vcc
	v_sub_u32_e32 v8, 0, v27
	v_ldexp_f32 v9, v10, v8
	v_add_f32_e32 v10, -1.0, v9
	v_add_f32_e32 v12, 1.0, v9
	v_ldexp_f32 v8, v11, v8
	v_add_f32_e32 v11, 1.0, v10
	v_add_f32_e32 v13, -1.0, v12
	v_sub_f32_e32 v11, v9, v11
	v_sub_f32_e32 v9, v9, v13
	v_add_f32_e32 v11, v8, v11
	v_add_f32_e32 v8, v8, v9
	;; [unrolled: 1-line block ×3, first 2 shown]
	v_rcp_f32_e32 v29, v25
	v_sub_f32_e32 v9, v12, v25
	v_add_f32_e32 v28, v8, v9
	v_add_f32_e32 v9, v10, v11
	v_mul_f32_e32 v31, v9, v29
	v_sub_f32_e32 v8, v10, v9
	v_mul_f32_e32 v10, v25, v31
	v_fma_f32 v12, v31, v25, -v10
	v_fmac_f32_e32 v12, v31, v28
	v_add_f32_e32 v30, v11, v8
	v_add_f32_e32 v8, v10, v12
	v_sub_f32_e32 v11, v9, v8
	v_pk_add_f32 v[14:15], v[8:9], v[10:11] neg_lo:[0,1] neg_hi:[0,1]
	v_mov_b32_e32 v13, v8
	v_pk_add_f32 v[8:9], v[14:15], v[12:13] neg_lo:[0,1] neg_hi:[0,1]
	v_cmp_eq_f32_e32 vcc, s13, v23
	v_add_f32_e32 v9, v30, v9
	v_add_f32_e32 v8, v8, v9
	;; [unrolled: 1-line block ×3, first 2 shown]
	v_mul_f32_e32 v30, v29, v9
	v_mul_f32_e32 v10, v25, v30
	v_fma_f32 v12, v30, v25, -v10
	v_fmac_f32_e32 v12, v30, v28
	v_sub_f32_e32 v11, v11, v9
	v_add_f32_e32 v25, v8, v11
	v_add_f32_e32 v8, v10, v12
	v_sub_f32_e32 v11, v9, v8
	v_pk_add_f32 v[14:15], v[8:9], v[10:11] neg_lo:[0,1] neg_hi:[0,1]
	v_mov_b32_e32 v13, v8
	v_pk_add_f32 v[8:9], v[14:15], v[12:13] neg_lo:[0,1] neg_hi:[0,1]
	s_or_b64 vcc, s[60:61], vcc
	v_add_f32_e32 v9, v25, v9
	v_add_f32_e32 v8, v8, v9
	;; [unrolled: 1-line block ×4, first 2 shown]
	v_sub_f32_e32 v10, v9, v31
	v_mul_f32_e32 v8, v29, v8
	v_sub_f32_e32 v10, v30, v10
	v_add_f32_e32 v10, v10, v8
	v_add_f32_e32 v12, v9, v10
	v_mul_f32_e32 v13, v12, v12
	v_fmamk_f32 v8, v13, 0x3e9b6dac, v135
	v_fmaak_f32 v25, v13, v8, 0x3f2aaada
	v_cvt_f32_i32_e32 v8, v27
	v_sub_f32_e32 v9, v12, v9
	v_sub_f32_e32 v9, v10, v9
	v_ldexp_f32 v14, v9, 1
	v_mul_f32_e32 v9, v12, v13
	v_ldexp_f32 v11, v12, 1
	v_pk_mul_f32 v[12:13], v[8:9], v[24:25]
	s_nop 0
	v_fma_f32 v10, v8, s15, -v12
	v_fmac_f32_e32 v10, 0xb102e308, v8
	v_pk_add_f32 v[8:9], v[12:13], v[10:11]
	s_nop 0
	v_sub_f32_e32 v11, v9, v11
	v_sub_f32_e32 v11, v13, v11
	v_add_f32_e32 v15, v14, v11
	v_mov_b32_e32 v14, v12
	v_pk_add_f32 v[12:13], v[8:9], v[12:13] neg_lo:[0,1] neg_hi:[0,1]
	v_pk_add_f32 v[28:29], v[8:9], v[14:15]
	v_mov_b32_e32 v11, v8
	v_mov_b32_e32 v13, v29
	v_pk_add_f32 v[30:31], v[10:11], v[12:13] neg_lo:[0,1] neg_hi:[0,1]
	v_pk_add_f32 v[10:11], v[10:11], v[12:13]
	v_mov_b32_e32 v14, v15
	v_mov_b32_e32 v12, v11
	v_pk_add_f32 v[32:33], v[12:13], v[8:9] neg_lo:[0,1] neg_hi:[0,1]
	v_mov_b32_e32 v10, v29
	v_mov_b32_e32 v13, v32
	v_pk_add_f32 v[34:35], v[28:29], v[12:13] neg_lo:[0,1] neg_hi:[0,1]
	v_mov_b32_e32 v28, v9
	v_mov_b32_e32 v29, v32
	;; [unrolled: 1-line block ×3, first 2 shown]
	v_pk_add_f32 v[10:11], v[10:11], v[28:29] neg_lo:[0,1] neg_hi:[0,1]
	v_mov_b32_e32 v15, v8
	v_pk_add_f32 v[8:9], v[14:15], v[10:11] neg_lo:[0,1] neg_hi:[0,1]
	v_mov_b32_e32 v34, v30
	v_pk_add_f32 v[10:11], v[34:35], v[8:9]
	s_nop 0
	v_mov_b32_e32 v14, v11
	v_pk_add_f32 v[14:15], v[10:11], v[14:15]
	s_nop 0
	v_pk_add_f32 v[12:13], v[12:13], v[14:15]
	v_mov_b32_e32 v9, v14
	v_mov_b32_e32 v11, v12
	v_pk_add_f32 v[28:29], v[10:11], v[30:31] neg_lo:[0,1] neg_hi:[0,1]
	s_nop 0
	v_sub_f32_e32 v10, v10, v28
	v_pk_add_f32 v[8:9], v[8:9], v[28:29] neg_lo:[0,1] neg_hi:[0,1]
	v_sub_f32_e32 v10, v30, v10
	v_add_f32_e32 v8, v8, v10
	v_add_f32_e32 v8, v8, v9
	;; [unrolled: 1-line block ×3, first 2 shown]
	v_cndmask_b32_e32 v27, v8, v23, vcc
.LBB63_107:                             ;   in Loop: Header=BB63_13 Depth=1
	s_or_b64 exec, exec, s[4:5]
	v_lshlrev_b32_e32 v8, 16, v7
	v_readlane_b32 s2, v167, 3
	v_and_b32_e32 v15, 0xffff0000, v7
	v_and_b32_e32 v7, 0xffff0000, v6
	v_lshlrev_b32_e32 v6, 16, v6
	v_and_b32_e32 v9, 0xffff0000, v5
	v_lshlrev_b32_e32 v5, 16, v5
	;; [unrolled: 2-line block ×7, first 2 shown]
	v_mul_f32_e32 v28, s2, v8
	v_mul_f32_e32 v31, s2, v7
	;; [unrolled: 1-line block ×16, first 2 shown]
	v_readlane_b32 s2, v167, 32
	v_readlane_b32 s3, v167, 33
	s_and_b64 vcc, exec, s[2:3]
	s_barrier
	s_cbranch_vccz .LBB63_204
; %bb.108:                              ;   in Loop: Header=BB63_13 Depth=1
	v_readlane_b32 s2, v167, 8
	v_readlane_b32 s3, v167, 9
	v_mul_f32_e32 v166, v140, v0
	v_cmp_gt_u32_e32 vcc, s88, v19
	v_lshl_add_u64 v[44:45], s[2:3], 0, v[16:17]
	v_readlane_b32 s2, v167, 22
	v_readlane_b32 s3, v167, 23
	v_or_b32_e32 v0, 1, v19
	v_mov_b32_e32 v23, v17
	v_lshl_add_u64 v[46:47], s[2:3], 0, v[16:17]
	v_readlane_b32 s3, v167, 59
	s_cmp_lg_u32 s3, 0
	v_readlane_b32 s2, v167, 37
	s_cselect_b64 s[94:95], -1, 0
	s_cmp_eq_u32 s3, s2
	v_readlane_b32 s2, v167, 38
	v_readlane_b32 s3, v167, 39
	s_cselect_b64 s[96:97], -1, 0
	s_or_b64 s[60:61], s[2:3], vcc
	v_cmp_gt_u32_e32 vcc, s88, v0
	v_or_b32_e32 v0, 2, v19
	s_or_b64 s[62:63], s[2:3], vcc
	v_cmp_gt_u32_e32 vcc, s88, v0
	v_or_b32_e32 v0, 3, v19
	;; [unrolled: 3-line block ×14, first 2 shown]
	v_cmp_gt_u32_e64 s[88:89], s88, v0
	s_or_b64 s[88:89], s[2:3], s[88:89]
	s_or_b64 s[90:91], s[2:3], vcc
	v_readlane_b32 s2, v167, 34
	s_mov_b32 s6, 0
	v_readlane_b32 s3, v167, 35
	v_mul_f32_e32 v25, v27, v15
	v_lshl_add_u64 v[44:45], v[44:45], 0, v[22:23]
	v_lshl_add_u64 v[46:47], v[46:47], 0, v[22:23]
	v_mul_f32_e32 v16, v26, v8
	v_mul_f32_e32 v23, v153, v7
	;; [unrolled: 1-line block ×14, first 2 shown]
	s_mov_b32 s92, s6
	s_mov_b32 s98, s6
	;; [unrolled: 1-line block ×4, first 2 shown]
	v_readlane_b32 s9, v167, 58
	s_branch .LBB63_110
.LBB63_109:                             ;   in Loop: Header=BB63_110 Depth=2
	s_or_b64 exec, exec, s[2:3]
	v_cndmask_b32_e64 v8, v8, v67, s[24:25]
	v_cndmask_b32_e64 v48, v58, v66, s[24:25]
	v_mul_f32_e32 v48, v48, v121
	v_fma_f32 v8, v8, v121, v120
	v_cndmask_b32_e64 v8, v8, v120, s[22:23]
	v_cndmask_b32_e64 v48, v48, v121, s[22:23]
	s_waitcnt lgkmcnt(0)
	v_fmac_f32_e32 v8, v61, v48
	v_fmac_f32_e32 v9, v8, v122
	v_fmac_f32_e32 v10, v9, v123
	v_fmac_f32_e32 v11, v10, v124
	v_fmac_f32_e32 v12, v11, v125
	v_fmac_f32_e32 v13, v12, v126
	v_fmac_f32_e32 v14, v13, v127
	v_fmac_f32_e32 v15, v14, v128
	v_fmac_f32_e32 v50, v15, v129
	v_fmac_f32_e32 v51, v50, v130
	v_readlane_b32 s12, v167, 24
	v_fmac_f32_e32 v54, v51, v131
	v_readlane_b32 s13, v167, 25
	v_readlane_b32 s14, v167, 26
	;; [unrolled: 1-line block ×3, first 2 shown]
	v_fmac_f32_e32 v55, v54, v132
	s_add_i32 s4, s4, s14
	v_readlane_b32 s12, v167, 18
	v_fmac_f32_e32 v52, v55, v60
	v_readlane_b32 s13, v167, 19
	v_readlane_b32 s14, v167, 20
	;; [unrolled: 1-line block ×3, first 2 shown]
	v_fmac_f32_e32 v53, v52, v56
	s_add_i32 s98, s98, s12
	v_readlane_b32 s12, v167, 10
	v_fmac_f32_e32 v57, v53, v62
	v_readlane_b32 s13, v167, 11
	v_readlane_b32 s16, v167, 14
	v_fmac_f32_e32 v59, v57, v63
	v_and_b32_e32 v49, 0xffff0000, v4
	v_and_b32_e32 v61, 0xffff0000, v5
	v_lshlrev_b32_e32 v48, 16, v4
	v_lshlrev_b32_e32 v60, 16, v5
	v_and_b32_e32 v5, 0xffff0000, v6
	v_and_b32_e32 v63, 0xffff0000, v7
	v_lshlrev_b32_e32 v4, 16, v6
	v_lshlrev_b32_e32 v62, 16, v7
	;; [unrolled: 4-line block ×4, first 2 shown]
	v_mov_b32_e32 v58, v57
	s_add_i32 s9, s9, 8
	s_add_i32 s8, s8, -1
	s_add_i32 s92, s92, s16
	s_add_i32 s6, s6, s13
	v_pk_fma_f32 v[40:41], v[10:11], v[60:61], v[40:41]
	v_pk_fma_f32 v[42:43], v[8:9], v[48:49], v[42:43]
	;; [unrolled: 1-line block ×7, first 2 shown]
	s_cmp_eq_u32 s8, 0
	v_pk_fma_f32 v[30:31], v[52:53], v[0:1], v[30:31]
	v_readlane_b32 s14, v167, 12
	v_readlane_b32 s15, v167, 13
	;; [unrolled: 1-line block ×5, first 2 shown]
	s_cbranch_scc1 .LBB63_203
.LBB63_110:                             ;   Parent Loop BB63_13 Depth=1
                                        ; =>  This Inner Loop Header: Depth=2
	s_lshl_b64 s[2:3], s[6:7], 2
	v_readlane_b32 s5, v167, 6
	s_add_u32 s2, s5, s2
	v_readlane_b32 s5, v167, 7
	s_addc_u32 s3, s5, s3
	global_load_dword v50, v17, s[2:3]
	s_mov_b32 s93, s7
	v_lshl_add_u64 v[0:1], s[92:93], 1, v[44:45]
	v_mov_b32_e32 v2, 0
	v_mov_b32_e32 v3, 0
	s_and_saveexec_b64 s[2:3], s[26:27]
	s_cbranch_execz .LBB63_112
; %bb.111:                              ;   in Loop: Header=BB63_110 Depth=2
	global_load_ushort v3, v[0:1], off
.LBB63_112:                             ;   in Loop: Header=BB63_110 Depth=2
	s_or_b64 exec, exec, s[2:3]
	s_and_saveexec_b64 s[2:3], s[28:29]
	s_cbranch_execz .LBB63_114
; %bb.113:                              ;   in Loop: Header=BB63_110 Depth=2
	global_load_ushort v2, v[0:1], off offset:128
.LBB63_114:                             ;   in Loop: Header=BB63_110 Depth=2
	s_or_b64 exec, exec, s[2:3]
	v_mov_b32_e32 v4, 0
	v_mov_b32_e32 v5, 0
	s_and_saveexec_b64 s[2:3], s[30:31]
	s_cbranch_execz .LBB63_116
; %bb.115:                              ;   in Loop: Header=BB63_110 Depth=2
	global_load_ushort v5, v[0:1], off offset:256
.LBB63_116:                             ;   in Loop: Header=BB63_110 Depth=2
	s_or_b64 exec, exec, s[2:3]
	s_and_saveexec_b64 s[2:3], s[34:35]
	s_cbranch_execz .LBB63_118
; %bb.117:                              ;   in Loop: Header=BB63_110 Depth=2
	global_load_ushort v4, v[0:1], off offset:384
.LBB63_118:                             ;   in Loop: Header=BB63_110 Depth=2
	s_or_b64 exec, exec, s[2:3]
	v_mov_b32_e32 v6, 0
	v_mov_b32_e32 v7, 0
	s_and_saveexec_b64 s[2:3], s[36:37]
	s_cbranch_execz .LBB63_120
; %bb.119:                              ;   in Loop: Header=BB63_110 Depth=2
	global_load_ushort v7, v[0:1], off offset:512
.LBB63_120:                             ;   in Loop: Header=BB63_110 Depth=2
	;; [unrolled: 14-line block ×7, first 2 shown]
	s_or_b64 exec, exec, s[2:3]
	s_and_saveexec_b64 s[2:3], s[58:59]
	s_cbranch_execz .LBB63_142
; %bb.141:                              ;   in Loop: Header=BB63_110 Depth=2
	global_load_ushort v48, v[0:1], off offset:1920
.LBB63_142:                             ;   in Loop: Header=BB63_110 Depth=2
	s_or_b64 exec, exec, s[2:3]
	s_waitcnt vmcnt(0)
	ds_write_b16 v84, v3
	ds_write_b16 v85, v2 offset:128
	ds_write_b16 v86, v5 offset:256
	;; [unrolled: 1-line block ×15, first 2 shown]
	; wave barrier
	ds_read_b128 v[12:15], v100
	ds_read_b128 v[8:11], v100 offset:16
	s_mov_b32 s99, s7
	v_lshl_add_u64 v[0:1], s[98:99], 1, v[46:47]
	v_mov_b32_e32 v2, 0
	v_mov_b32_e32 v3, 0
	s_and_saveexec_b64 s[2:3], s[26:27]
	s_cbranch_execz .LBB63_144
; %bb.143:                              ;   in Loop: Header=BB63_110 Depth=2
	global_load_ushort v3, v[0:1], off
.LBB63_144:                             ;   in Loop: Header=BB63_110 Depth=2
	s_or_b64 exec, exec, s[2:3]
	s_and_saveexec_b64 s[2:3], s[28:29]
	s_cbranch_execz .LBB63_146
; %bb.145:                              ;   in Loop: Header=BB63_110 Depth=2
	global_load_ushort v2, v[0:1], off offset:128
.LBB63_146:                             ;   in Loop: Header=BB63_110 Depth=2
	s_or_b64 exec, exec, s[2:3]
	v_mov_b32_e32 v4, 0
	v_mov_b32_e32 v5, 0
	s_and_saveexec_b64 s[2:3], s[30:31]
	s_cbranch_execz .LBB63_148
; %bb.147:                              ;   in Loop: Header=BB63_110 Depth=2
	global_load_ushort v5, v[0:1], off offset:256
.LBB63_148:                             ;   in Loop: Header=BB63_110 Depth=2
	s_or_b64 exec, exec, s[2:3]
	s_and_saveexec_b64 s[2:3], s[34:35]
	s_cbranch_execz .LBB63_150
; %bb.149:                              ;   in Loop: Header=BB63_110 Depth=2
	global_load_ushort v4, v[0:1], off offset:384
.LBB63_150:                             ;   in Loop: Header=BB63_110 Depth=2
	s_or_b64 exec, exec, s[2:3]
	v_mov_b32_e32 v6, 0
	v_mov_b32_e32 v7, 0
	s_and_saveexec_b64 s[2:3], s[36:37]
	s_cbranch_execz .LBB63_152
; %bb.151:                              ;   in Loop: Header=BB63_110 Depth=2
	global_load_ushort v7, v[0:1], off offset:512
.LBB63_152:                             ;   in Loop: Header=BB63_110 Depth=2
	;; [unrolled: 14-line block ×7, first 2 shown]
	s_or_b64 exec, exec, s[2:3]
	s_and_saveexec_b64 s[2:3], s[58:59]
	s_cbranch_execz .LBB63_174
; %bb.173:                              ;   in Loop: Header=BB63_110 Depth=2
	global_load_ushort v57, v[0:1], off offset:1920
.LBB63_174:                             ;   in Loop: Header=BB63_110 Depth=2
	s_or_b64 exec, exec, s[2:3]
	s_waitcnt vmcnt(0)
	ds_write_b16 v84, v3 offset:4224
	ds_write_b16 v101, v2 offset:128
	;; [unrolled: 1-line block ×16, first 2 shown]
	; wave barrier
	ds_read_b128 v[4:7], v100 offset:4224
	ds_read_b128 v[0:3], v116 offset:16
	s_andn2_b64 vcc, exec, s[94:95]
	s_cbranch_vccnz .LBB63_176
; %bb.175:                              ;   in Loop: Header=BB63_110 Depth=2
	v_mov_b32_e32 v48, s9
	ds_read_b64 v[48:49], v48
	s_cbranch_execz .LBB63_177
	s_branch .LBB63_180
.LBB63_176:                             ;   in Loop: Header=BB63_110 Depth=2
                                        ; implicit-def: $vgpr49
.LBB63_177:                             ;   in Loop: Header=BB63_110 Depth=2
	v_readlane_b32 s2, v167, 0
	v_readlane_b32 s3, v167, 1
	s_andn2_b64 vcc, exec, s[2:3]
	s_waitcnt lgkmcnt(0)
	v_mov_b32_e32 v49, 0
	s_cbranch_vccnz .LBB63_179
; %bb.178:                              ;   in Loop: Header=BB63_110 Depth=2
	s_mov_b32 s5, s7
	s_lshl_b64 s[2:3], s[4:5], 2
	v_readlane_b32 s5, v167, 28
	s_add_u32 s2, s5, s2
	v_readlane_b32 s5, v167, 29
	s_addc_u32 s3, s5, s3
	global_load_dword v49, v17, s[2:3]
.LBB63_179:                             ;   in Loop: Header=BB63_110 Depth=2
	v_mov_b32_e32 v48, 1.0
.LBB63_180:                             ;   in Loop: Header=BB63_110 Depth=2
	s_waitcnt lgkmcnt(14)
	v_lshlrev_b32_e32 v55, 16, v8
	v_and_b32_e32 v56, 0xffff0000, v8
	v_mul_f32_e32 v8, 0x3fb8aa3b, v50
	v_lshlrev_b32_e32 v57, 16, v9
	v_and_b32_e32 v59, 0xffff0000, v9
	v_mul_f32_e32 v9, v8, v140
	v_cmp_gt_f32_e32 vcc, s33, v9
	v_lshlrev_b32_e32 v60, 16, v10
	v_and_b32_e32 v61, 0xffff0000, v10
	v_cndmask_b32_e32 v9, 0, v137, vcc
	v_fmac_f32_e32 v9, v8, v140
	v_exp_f32_e32 v9, v9
	v_cndmask_b32_e32 v10, 1.0, v138, vcc
	v_lshlrev_b32_e32 v51, 16, v12
	v_lshlrev_b32_e32 v64, 16, v11
	v_mul_f32_e32 v9, v9, v10
	v_cndmask_b32_e64 v121, 1.0, v9, s[60:61]
	v_mul_f32_e32 v9, v8, v141
	v_cmp_gt_f32_e32 vcc, s33, v9
	v_mul_f32_e32 v10, v166, v51
	v_cndmask_b32_e64 v120, 0, v10, s[60:61]
	v_cndmask_b32_e32 v9, 0, v137, vcc
	v_fmac_f32_e32 v9, v8, v141
	v_exp_f32_e32 v9, v9
	v_cndmask_b32_e32 v10, 1.0, v138, vcc
	v_and_b32_e32 v58, 0xffff0000, v11
	v_and_b32_e32 v12, 0xffff0000, v12
	v_mul_f32_e32 v10, v9, v10
	v_cndmask_b32_e64 v122, 1.0, v10, s[62:63]
	v_mul_f32_e32 v10, v8, v142
	v_cmp_gt_f32_e32 vcc, s33, v10
	v_mul_f32_e32 v9, v165, v12
	v_lshlrev_b32_e32 v52, 16, v13
	v_cndmask_b32_e32 v10, 0, v137, vcc
	v_fmac_f32_e32 v10, v8, v142
	v_exp_f32_e32 v10, v10
	v_cndmask_b32_e32 v11, 1.0, v138, vcc
	v_and_b32_e32 v13, 0xffff0000, v13
	v_lshlrev_b32_e32 v53, 16, v14
	v_mul_f32_e32 v11, v10, v11
	v_cndmask_b32_e64 v123, 1.0, v11, s[64:65]
	v_mul_f32_e32 v11, v8, v143
	v_cmp_gt_f32_e32 vcc, s33, v11
	v_and_b32_e32 v14, 0xffff0000, v14
	v_mul_f32_e32 v10, v164, v52
	v_cndmask_b32_e32 v11, 0, v137, vcc
	v_fmac_f32_e32 v11, v8, v143
	v_exp_f32_e32 v11, v11
	v_cndmask_b32_e32 v12, 1.0, v138, vcc
	v_lshlrev_b32_e32 v54, 16, v15
	v_cndmask_b32_e64 v9, 0, v9, s[62:63]
	v_mul_f32_e32 v12, v11, v12
	v_cndmask_b32_e64 v124, 1.0, v12, s[66:67]
	v_mul_f32_e32 v12, v8, v144
	v_cmp_gt_f32_e32 vcc, s33, v12
	v_mul_f32_e32 v11, v163, v13
	v_pk_mul_f32 v[62:63], v[8:9], v[26:27] op_sel_hi:[0,1]
	v_cndmask_b32_e32 v12, 0, v137, vcc
	v_fmac_f32_e32 v12, v8, v144
	v_exp_f32_e32 v12, v12
	v_cndmask_b32_e32 v13, 1.0, v138, vcc
	v_mul_f32_e32 v58, v25, v58
	v_cndmask_b32_e64 v10, 0, v10, s[64:65]
	v_mul_f32_e32 v13, v12, v13
	v_cndmask_b32_e64 v125, 1.0, v13, s[68:69]
	v_mul_f32_e32 v13, v8, v145
	v_cmp_gt_f32_e32 vcc, s33, v13
	v_mul_f32_e32 v12, v162, v53
	v_cndmask_b32_e64 v11, 0, v11, s[66:67]
	v_cndmask_b32_e32 v13, 0, v137, vcc
	v_fmac_f32_e32 v13, v8, v145
	v_exp_f32_e32 v13, v13
	v_cndmask_b32_e32 v50, 1.0, v138, vcc
	v_cndmask_b32_e64 v12, 0, v12, s[68:69]
	v_and_b32_e32 v15, 0xffff0000, v15
	v_mul_f32_e32 v50, v13, v50
	v_mul_f32_e32 v13, v161, v14
	;; [unrolled: 1-line block ×3, first 2 shown]
	v_cmp_gt_f32_e32 vcc, s33, v14
	v_cndmask_b32_e64 v126, 1.0, v50, s[70:71]
	v_cndmask_b32_e64 v13, 0, v13, s[70:71]
	v_cndmask_b32_e32 v14, 0, v137, vcc
	v_fmac_f32_e32 v14, v8, v146
	v_exp_f32_e32 v14, v14
	v_cndmask_b32_e32 v50, 1.0, v138, vcc
	v_mul_f32_e32 v15, v159, v15
	v_cndmask_b32_e64 v15, 0, v15, s[74:75]
	v_mul_f32_e32 v50, v14, v50
	v_cndmask_b32_e64 v127, 1.0, v50, s[72:73]
	v_mul_f32_e32 v50, v8, v147
	v_cmp_gt_f32_e32 vcc, s33, v50
	v_mul_f32_e32 v14, v160, v54
	v_cndmask_b32_e64 v14, 0, v14, s[72:73]
	v_cndmask_b32_e32 v50, 0, v137, vcc
	v_fmac_f32_e32 v50, v8, v147
	v_exp_f32_e32 v50, v50
	v_cndmask_b32_e32 v51, 1.0, v138, vcc
	v_readlane_b32 s10, v167, 40
	v_readlane_b32 s11, v167, 41
	v_mul_f32_e32 v50, v50, v51
	v_cndmask_b32_e64 v128, 1.0, v50, s[74:75]
	v_mul_f32_e32 v50, v8, v148
	v_cmp_gt_f32_e32 vcc, s33, v50
	s_nop 1
	v_cndmask_b32_e32 v50, 0, v137, vcc
	v_fmac_f32_e32 v50, v8, v148
	v_exp_f32_e32 v50, v50
	v_cndmask_b32_e32 v51, 1.0, v138, vcc
	v_mul_f32_e32 v51, v50, v51
	v_cndmask_b32_e64 v129, 1.0, v51, s[76:77]
	v_mul_f32_e32 v51, v8, v149
	v_cmp_gt_f32_e32 vcc, s33, v51
	v_mul_f32_e32 v50, v158, v55
	v_cndmask_b32_e64 v50, 0, v50, s[76:77]
	v_cndmask_b32_e32 v51, 0, v137, vcc
	v_fmac_f32_e32 v51, v8, v149
	v_exp_f32_e32 v51, v51
	v_cndmask_b32_e32 v52, 1.0, v138, vcc
	v_mul_f32_e32 v52, v51, v52
	v_cndmask_b32_e64 v130, 1.0, v52, s[78:79]
	v_mul_f32_e32 v52, v8, v150
	v_cmp_gt_f32_e32 vcc, s33, v52
	v_mul_f32_e32 v51, v157, v56
	v_cndmask_b32_e64 v51, 0, v51, s[78:79]
	;; [unrolled: 10-line block ×4, first 2 shown]
	v_cndmask_b32_e32 v52, 0, v137, vcc
	v_fmac_f32_e32 v52, v8, v152
	v_exp_f32_e32 v52, v52
	v_cndmask_b32_e32 v53, 1.0, v138, vcc
	v_mul_f32_e32 v53, v52, v53
	v_mul_f32_e32 v52, v154, v60
	v_cndmask_b32_e64 v60, 1.0, v53, s[84:85]
	v_mul_f32_e32 v53, v8, v153
	v_cmp_gt_f32_e32 vcc, s33, v53
	v_cndmask_b32_e64 v52, 0, v52, s[84:85]
	s_nop 0
	v_cndmask_b32_e32 v53, 0, v137, vcc
	v_fmac_f32_e32 v53, v8, v153
	v_cndmask_b32_e32 v56, 1.0, v138, vcc
	v_mul_f32_e32 v8, v16, v64
	v_cmp_gt_f32_e32 vcc, s33, v62
	v_cndmask_b32_e64 v57, 0, v8, s[90:91]
	v_exp_f32_e32 v53, v53
	v_cndmask_b32_e32 v8, 0, v137, vcc
	v_add_f32_e32 v8, v62, v8
	v_exp_f32_e32 v8, v8
	v_cndmask_b32_e32 v59, 1.0, v138, vcc
	v_cmp_gt_f32_e32 vcc, s33, v63
	v_mul_f32_e32 v56, v53, v56
	v_mul_f32_e32 v8, v8, v59
	v_cndmask_b32_e32 v59, 0, v137, vcc
	v_add_f32_e32 v59, v63, v59
	v_exp_f32_e32 v59, v59
	v_mul_f32_e32 v53, v23, v61
	v_cndmask_b32_e32 v61, 1.0, v138, vcc
	v_cndmask_b32_e64 v62, 1.0, v8, s[90:91]
	v_mul_f32_e32 v61, v59, v61
	v_cndmask_b32_e64 v59, 0, v58, s[88:89]
	v_mul_f32_e32 v8, v122, v121
	v_fma_f32 v58, v122, v120, v9
	v_mul_f32_e32 v8, v8, v123
	v_fma_f32 v58, v58, v123, v10
	;; [unrolled: 2-line block ×11, first 2 shown]
	v_cndmask_b32_e64 v53, 0, v53, s[86:87]
	v_cndmask_b32_e64 v56, 1.0, v56, s[86:87]
	v_fma_f32 v8, v8, v60, v52
	v_cndmask_b32_e64 v63, 1.0, v61, s[88:89]
	v_fma_f32 v65, v8, v56, v53
	v_mov_b32_e32 v61, v62
	v_pk_mul_f32 v[70:71], v[64:65], v[60:61]
	v_pk_fma_f32 v[64:65], v[64:65], v[60:61], v[56:57]
	v_pk_mul_f32 v[70:71], v[70:71], v[56:57]
	v_mov_b32_e32 v66, v63
	v_mov_b32_e32 v71, v65
	;; [unrolled: 1-line block ×3, first 2 shown]
	v_pk_mul_f32 v[64:65], v[70:71], v[62:63]
	v_mov_b32_e32 v58, v63
	v_pk_mul_f32 v[66:67], v[64:65], v[66:67]
	v_pk_fma_f32 v[64:65], v[70:71], v[62:63], v[58:59]
	s_nop 0
	v_mov_b32_dpp v8, v66 row_shr:1 row_mask:0xf bank_mask:0xf
	v_mov_b32_dpp v58, v65 row_shr:1 row_mask:0xf bank_mask:0xf
	v_mul_f32_e32 v61, v66, v8
	v_fma_f32 v58, v66, v58, v65
	v_cndmask_b32_e64 v64, v61, v66, s[0:1]
	v_cndmask_b32_e64 v67, v58, v65, s[0:1]
	;; [unrolled: 1-line block ×4, first 2 shown]
	v_mov_b32_dpp v61, v67 row_shr:2 row_mask:0xf bank_mask:0xf
	v_mov_b32_dpp v58, v66 row_shr:2 row_mask:0xf bank_mask:0xf
	s_and_saveexec_b64 s[2:3], s[10:11]
; %bb.181:                              ;   in Loop: Header=BB63_110 Depth=2
	v_fmac_f32_e32 v67, v66, v61
	v_mul_f32_e32 v66, v66, v58
	v_mov_b32_e32 v64, v66
	v_mov_b32_e32 v8, v67
; %bb.182:                              ;   in Loop: Header=BB63_110 Depth=2
	s_or_b64 exec, exec, s[2:3]
	v_readlane_b32 s10, v167, 42
	v_mov_b32_dpp v58, v66 row_shr:4 row_mask:0xf bank_mask:0xf
	v_mov_b32_dpp v61, v67 row_shr:4 row_mask:0xf bank_mask:0xf
	v_readlane_b32 s11, v167, 43
	s_and_saveexec_b64 s[2:3], s[10:11]
; %bb.183:                              ;   in Loop: Header=BB63_110 Depth=2
	v_fmac_f32_e32 v67, v66, v61
	v_mul_f32_e32 v66, v66, v58
	v_mov_b32_e32 v64, v66
	v_mov_b32_e32 v8, v67
; %bb.184:                              ;   in Loop: Header=BB63_110 Depth=2
	s_or_b64 exec, exec, s[2:3]
	v_readlane_b32 s10, v167, 44
	v_mov_b32_dpp v58, v66 row_shr:8 row_mask:0xf bank_mask:0xf
	v_mov_b32_dpp v61, v67 row_shr:8 row_mask:0xf bank_mask:0xf
	v_readlane_b32 s11, v167, 45
	s_and_saveexec_b64 s[2:3], s[10:11]
; %bb.185:                              ;   in Loop: Header=BB63_110 Depth=2
	v_fmac_f32_e32 v67, v66, v61
	v_mul_f32_e32 v66, v66, v58
	v_mov_b32_e32 v64, v66
	v_mov_b32_e32 v8, v67
; %bb.186:                              ;   in Loop: Header=BB63_110 Depth=2
	s_or_b64 exec, exec, s[2:3]
	v_readlane_b32 s10, v167, 46
	v_mov_b32_dpp v58, v66 row_bcast:15 row_mask:0xf bank_mask:0xf
	v_mov_b32_dpp v61, v67 row_bcast:15 row_mask:0xf bank_mask:0xf
	v_readlane_b32 s11, v167, 47
	s_and_saveexec_b64 s[2:3], s[10:11]
; %bb.187:                              ;   in Loop: Header=BB63_110 Depth=2
	v_fmac_f32_e32 v67, v66, v61
	v_mul_f32_e32 v66, v66, v58
	v_mov_b32_e32 v64, v66
	v_mov_b32_e32 v8, v67
; %bb.188:                              ;   in Loop: Header=BB63_110 Depth=2
	s_or_b64 exec, exec, s[2:3]
	v_readlane_b32 s10, v167, 48
	v_mov_b32_dpp v61, v66 row_bcast:31 row_mask:0xf bank_mask:0xf
	v_mov_b32_dpp v58, v67 row_bcast:31 row_mask:0xf bank_mask:0xf
	v_readlane_b32 s11, v167, 49
	s_and_saveexec_b64 s[2:3], s[10:11]
; %bb.189:                              ;   in Loop: Header=BB63_110 Depth=2
	v_fmac_f32_e32 v67, v66, v58
	v_mul_f32_e32 v64, v66, v61
	v_mov_b32_e32 v65, v67
	v_mov_b32_e32 v8, v67
	v_mov_b64_e32 v[66:67], v[64:65]
; %bb.190:                              ;   in Loop: Header=BB63_110 Depth=2
	s_or_b64 exec, exec, s[2:3]
	v_readlane_b32 s10, v167, 50
	v_readlane_b32 s11, v167, 51
	s_and_saveexec_b64 s[2:3], s[10:11]
	s_cbranch_execz .LBB63_192
; %bb.191:                              ;   in Loop: Header=BB63_110 Depth=2
	ds_write_b64 v117, v[66:67] offset:8448
.LBB63_192:                             ;   in Loop: Header=BB63_110 Depth=2
	s_or_b64 exec, exec, s[2:3]
	v_readlane_b32 s10, v167, 52
	v_readlane_b32 s11, v167, 53
	s_waitcnt lgkmcnt(0)
	s_barrier
	s_and_saveexec_b64 s[2:3], s[10:11]
	s_cbranch_execz .LBB63_194
; %bb.193:                              ;   in Loop: Header=BB63_110 Depth=2
	ds_read_b64 v[66:67], v118 offset:8448
	v_readlane_b32 s10, v167, 54
	v_readlane_b32 s11, v167, 55
	s_waitcnt lgkmcnt(0)
	v_mov_b32_dpp v58, v66 row_shr:1 row_mask:0xf bank_mask:0xf
	v_mov_b32_dpp v61, v67 row_shr:1 row_mask:0xf bank_mask:0xf
	v_fma_f32 v61, v66, v61, v67
	v_mul_f32_e32 v58, v66, v58
	v_cndmask_b32_e64 v66, v58, v66, s[10:11]
	v_cndmask_b32_e64 v67, v61, v67, s[10:11]
	ds_write_b64 v118, v[66:67] offset:8448
.LBB63_194:                             ;   in Loop: Header=BB63_110 Depth=2
	s_or_b64 exec, exec, s[2:3]
	s_waitcnt lgkmcnt(0)
	s_barrier
	s_waitcnt lgkmcnt(0)
                                        ; implicit-def: $vgpr66
	s_and_saveexec_b64 s[2:3], s[20:21]
	s_cbranch_execz .LBB63_196
; %bb.195:                              ;   in Loop: Header=BB63_110 Depth=2
	ds_read_b64 v[66:67], v117 offset:8440
	s_waitcnt lgkmcnt(0)
	v_mul_f32_e32 v58, v64, v66
	v_fmac_f32_e32 v8, v64, v67
	v_mov_b32_e32 v64, v58
.LBB63_196:                             ;   in Loop: Header=BB63_110 Depth=2
	s_or_b64 exec, exec, s[2:3]
	ds_bpermute_b32 v58, v119, v64
	ds_bpermute_b32 v8, v119, v8
	v_readlane_b32 s10, v167, 56
	s_waitcnt vmcnt(0)
	v_mov_b32_e32 v65, v49
	v_readlane_b32 s11, v167, 57
	s_and_saveexec_b64 s[2:3], s[10:11]
	s_cbranch_execz .LBB63_200
; %bb.197:                              ;   in Loop: Header=BB63_110 Depth=2
	ds_read_b64 v[64:65], v17 offset:8456
	s_and_saveexec_b64 vcc, s[22:23]
	s_cbranch_execz .LBB63_199
; %bb.198:                              ;   in Loop: Header=BB63_110 Depth=2
	ds_write_b64 v17, v[48:49] offset:8456
.LBB63_199:                             ;   in Loop: Header=BB63_110 Depth=2
	s_or_b64 exec, exec, vcc
	s_waitcnt lgkmcnt(0)
	v_fmac_f32_e32 v65, v49, v64
	v_mul_f32_e32 v48, v48, v64
	v_mov_b32_e32 v49, v65
.LBB63_200:                             ;   in Loop: Header=BB63_110 Depth=2
	s_or_b64 exec, exec, s[2:3]
	s_waitcnt lgkmcnt(0)
	s_barrier
	ds_read_b32 v61, v17 offset:8460
	s_and_saveexec_b64 s[2:3], s[22:23]
	s_cbranch_execz .LBB63_109
; %bb.201:                              ;   in Loop: Header=BB63_110 Depth=2
	v_mov_b32_e32 v64, s9
	s_andn2_b64 vcc, exec, s[96:97]
	ds_write_b64 v64, v[48:49]
	s_cbranch_vccnz .LBB63_109
; %bb.202:                              ;   in Loop: Header=BB63_110 Depth=2
	s_mov_b32 s5, s7
	s_lshl_b64 s[10:11], s[4:5], 2
	v_readlane_b32 s5, v167, 28
	s_add_u32 s10, s5, s10
	v_readlane_b32 s5, v167, 29
	s_addc_u32 s11, s5, s11
	global_store_dword v17, v65, s[10:11]
	s_branch .LBB63_109
.LBB63_203:                             ;   in Loop: Header=BB63_13 Depth=1
	s_mov_b32 s6, 0x41a00000
	s_mov_b32 s8, 0x3fb8aa3b
	;; [unrolled: 1-line block ×8, first 2 shown]
.LBB63_204:                             ;   in Loop: Header=BB63_13 Depth=1
	v_bfe_u32 v0, v42, 16, 1
	s_movk_i32 s2, 0x7fff
	v_bfe_u32 v1, v43, 16, 1
	v_add3_u32 v0, v42, v0, s2
	v_bfe_u32 v2, v40, 16, 1
	v_add3_u32 v1, v43, v1, s2
	v_lshrrev_b32_e32 v0, 16, v0
	v_cmp_o_f32_e32 vcc, v42, v42
	v_bfe_u32 v3, v41, 16, 1
	v_add3_u32 v2, v40, v2, s2
	v_lshrrev_b32_e32 v1, 16, v1
	v_cndmask_b32_e32 v0, v139, v0, vcc
	v_cmp_o_f32_e32 vcc, v43, v43
	v_add3_u32 v3, v41, v3, s2
	v_lshrrev_b32_e32 v2, 16, v2
	v_cndmask_b32_e32 v4, v139, v1, vcc
	v_cmp_o_f32_e32 vcc, v40, v40
	v_lshrrev_b32_e32 v3, 16, v3
	v_bfe_u32 v6, v36, 16, 1
	v_cndmask_b32_e32 v1, v139, v2, vcc
	v_cmp_o_f32_e32 vcc, v41, v41
	v_bfe_u32 v2, v38, 16, 1
	v_add3_u32 v2, v38, v2, s2
	v_cndmask_b32_e32 v5, v139, v3, vcc
	v_bfe_u32 v3, v39, 16, 1
	v_add3_u32 v3, v39, v3, s2
	v_lshrrev_b32_e32 v2, 16, v2
	v_cmp_o_f32_e32 vcc, v38, v38
	v_bfe_u32 v7, v37, 16, 1
	v_add3_u32 v6, v36, v6, s2
	v_lshrrev_b32_e32 v3, 16, v3
	v_cndmask_b32_e32 v2, v139, v2, vcc
	v_cmp_o_f32_e32 vcc, v39, v39
	v_add3_u32 v7, v37, v7, s2
	v_lshrrev_b32_e32 v6, 16, v6
	v_cndmask_b32_e32 v8, v139, v3, vcc
	v_cmp_o_f32_e32 vcc, v36, v36
	v_lshrrev_b32_e32 v7, 16, v7
	s_mov_b32 s3, 0x5040100
	v_cndmask_b32_e32 v3, v139, v6, vcc
	v_cmp_o_f32_e32 vcc, v37, v37
	v_perm_b32 v2, v8, v2, s3
	v_perm_b32 v1, v5, v1, s3
	v_cndmask_b32_e32 v6, v139, v7, vcc
	v_perm_b32 v3, v6, v3, s3
	v_perm_b32 v0, v4, v0, s3
	s_barrier
	ds_write_b128 v100, v[0:3]
	v_bfe_u32 v0, v34, 16, 1
	v_bfe_u32 v1, v35, 16, 1
	v_add3_u32 v0, v34, v0, s2
	v_bfe_u32 v2, v32, 16, 1
	v_add3_u32 v1, v35, v1, s2
	v_lshrrev_b32_e32 v0, 16, v0
	v_cmp_o_f32_e32 vcc, v34, v34
	v_bfe_u32 v3, v33, 16, 1
	v_add3_u32 v2, v32, v2, s2
	v_lshrrev_b32_e32 v1, 16, v1
	v_cndmask_b32_e32 v0, v139, v0, vcc
	v_cmp_o_f32_e32 vcc, v35, v35
	v_add3_u32 v3, v33, v3, s2
	v_lshrrev_b32_e32 v2, 16, v2
	v_cndmask_b32_e32 v4, v139, v1, vcc
	v_cmp_o_f32_e32 vcc, v32, v32
	v_lshrrev_b32_e32 v3, 16, v3
	v_bfe_u32 v6, v28, 16, 1
	v_cndmask_b32_e32 v1, v139, v2, vcc
	v_cmp_o_f32_e32 vcc, v33, v33
	v_bfe_u32 v2, v30, 16, 1
	v_add3_u32 v2, v30, v2, s2
	v_cndmask_b32_e32 v5, v139, v3, vcc
	v_bfe_u32 v3, v31, 16, 1
	v_add3_u32 v3, v31, v3, s2
	v_lshrrev_b32_e32 v2, 16, v2
	v_cmp_o_f32_e32 vcc, v30, v30
	v_bfe_u32 v7, v29, 16, 1
	v_add3_u32 v6, v28, v6, s2
	v_lshrrev_b32_e32 v3, 16, v3
	v_cndmask_b32_e32 v2, v139, v2, vcc
	v_cmp_o_f32_e32 vcc, v31, v31
	v_add3_u32 v7, v29, v7, s2
	v_lshrrev_b32_e32 v6, 16, v6
	v_cndmask_b32_e32 v8, v139, v3, vcc
	v_cmp_o_f32_e32 vcc, v28, v28
	v_lshrrev_b32_e32 v7, 16, v7
	v_perm_b32 v2, v8, v2, s3
	v_cndmask_b32_e32 v3, v139, v6, vcc
	v_cmp_o_f32_e32 vcc, v29, v29
	v_perm_b32 v1, v5, v1, s3
	v_perm_b32 v0, v4, v0, s3
	v_cndmask_b32_e32 v6, v139, v7, vcc
	v_perm_b32 v3, v6, v3, s3
	ds_write_b128 v100, v[0:3] offset:16
	; wave barrier
	ds_read_u16 v16, v85 offset:128
	ds_read_u16 v15, v86 offset:256
	ds_read_u16 v14, v87 offset:384
	ds_read_u16 v13, v88 offset:512
	ds_read_u16 v12, v89 offset:640
	ds_read_u16 v11, v90 offset:768
	ds_read_u16 v10, v91 offset:896
	ds_read_u16 v9, v92 offset:1024
	ds_read_u16 v8, v93 offset:1152
	ds_read_u16 v7, v94 offset:1280
	ds_read_u16 v6, v95 offset:1408
	ds_read_u16 v5, v96 offset:1536
	ds_read_u16 v4, v97 offset:1664
	ds_read_u16 v3, v98 offset:1792
	ds_read_u16 v2, v99 offset:1920
	v_readlane_b32 s2, v167, 60
	v_readlane_b32 s3, v167, 61
	s_mov_b32 s3, s7
	s_nop 0
	v_lshl_add_u64 v[0:1], s[2:3], 1, v[20:21]
	s_and_saveexec_b64 s[2:3], s[26:27]
	s_cbranch_execz .LBB63_206
; %bb.205:                              ;   in Loop: Header=BB63_13 Depth=1
	ds_read_u16 v23, v84
	s_waitcnt lgkmcnt(0)
	global_store_short v[0:1], v23, off
.LBB63_206:                             ;   in Loop: Header=BB63_13 Depth=1
	s_or_b64 exec, exec, s[2:3]
	s_and_saveexec_b64 s[2:3], s[28:29]
	v_readlane_b32 s10, v167, 62
	v_readlane_b32 s11, v167, 63
	s_cbranch_execnz .LBB63_223
; %bb.207:                              ;   in Loop: Header=BB63_13 Depth=1
	s_or_b64 exec, exec, s[2:3]
	s_and_saveexec_b64 s[2:3], s[30:31]
	s_cbranch_execnz .LBB63_224
.LBB63_208:                             ;   in Loop: Header=BB63_13 Depth=1
	s_or_b64 exec, exec, s[2:3]
	s_and_saveexec_b64 s[2:3], s[34:35]
	s_cbranch_execnz .LBB63_225
.LBB63_209:                             ;   in Loop: Header=BB63_13 Depth=1
	s_or_b64 exec, exec, s[2:3]
	s_and_saveexec_b64 s[2:3], s[36:37]
	s_cbranch_execnz .LBB63_226
.LBB63_210:                             ;   in Loop: Header=BB63_13 Depth=1
	s_or_b64 exec, exec, s[2:3]
	s_and_saveexec_b64 s[2:3], s[38:39]
	s_cbranch_execnz .LBB63_227
.LBB63_211:                             ;   in Loop: Header=BB63_13 Depth=1
	s_or_b64 exec, exec, s[2:3]
	s_and_saveexec_b64 s[2:3], s[40:41]
	s_cbranch_execnz .LBB63_228
.LBB63_212:                             ;   in Loop: Header=BB63_13 Depth=1
	s_or_b64 exec, exec, s[2:3]
	s_and_saveexec_b64 s[2:3], s[42:43]
	s_cbranch_execnz .LBB63_229
.LBB63_213:                             ;   in Loop: Header=BB63_13 Depth=1
	s_or_b64 exec, exec, s[2:3]
	s_and_saveexec_b64 s[2:3], s[44:45]
	s_cbranch_execnz .LBB63_230
.LBB63_214:                             ;   in Loop: Header=BB63_13 Depth=1
	s_or_b64 exec, exec, s[2:3]
	s_and_saveexec_b64 s[2:3], s[46:47]
	s_cbranch_execnz .LBB63_231
.LBB63_215:                             ;   in Loop: Header=BB63_13 Depth=1
	s_or_b64 exec, exec, s[2:3]
	s_and_saveexec_b64 s[2:3], s[48:49]
	s_cbranch_execnz .LBB63_232
.LBB63_216:                             ;   in Loop: Header=BB63_13 Depth=1
	s_or_b64 exec, exec, s[2:3]
	s_and_saveexec_b64 s[2:3], s[50:51]
	s_cbranch_execnz .LBB63_233
.LBB63_217:                             ;   in Loop: Header=BB63_13 Depth=1
	s_or_b64 exec, exec, s[2:3]
	s_and_saveexec_b64 s[2:3], s[52:53]
	s_cbranch_execnz .LBB63_234
.LBB63_218:                             ;   in Loop: Header=BB63_13 Depth=1
	s_or_b64 exec, exec, s[2:3]
	s_and_saveexec_b64 s[2:3], s[54:55]
	s_cbranch_execnz .LBB63_235
.LBB63_219:                             ;   in Loop: Header=BB63_13 Depth=1
	s_or_b64 exec, exec, s[2:3]
	s_and_saveexec_b64 s[2:3], s[56:57]
	s_cbranch_execnz .LBB63_236
.LBB63_220:                             ;   in Loop: Header=BB63_13 Depth=1
	s_or_b64 exec, exec, s[2:3]
	s_and_saveexec_b64 s[2:3], s[58:59]
	s_cbranch_execz .LBB63_12
	s_branch .LBB63_237
.LBB63_221:                             ;   in Loop: Header=BB63_13 Depth=1
	global_load_ushort v32, v[8:9], off offset:1664
	s_or_b64 exec, exec, s[2:3]
	s_and_saveexec_b64 s[2:3], s[56:57]
	s_cbranch_execz .LBB63_73
.LBB63_222:                             ;   in Loop: Header=BB63_13 Depth=1
	global_load_ushort v31, v[8:9], off offset:1792
	s_or_b64 exec, exec, s[2:3]
	v_mov_b32_e32 v33, 0
	s_and_saveexec_b64 s[2:3], s[58:59]
	s_cbranch_execnz .LBB63_74
	s_branch .LBB63_75
.LBB63_223:                             ;   in Loop: Header=BB63_13 Depth=1
	s_waitcnt lgkmcnt(14)
	global_store_short v[0:1], v16, off offset:128
	s_or_b64 exec, exec, s[2:3]
	s_and_saveexec_b64 s[2:3], s[30:31]
	s_cbranch_execz .LBB63_208
.LBB63_224:                             ;   in Loop: Header=BB63_13 Depth=1
	s_waitcnt lgkmcnt(13)
	global_store_short v[0:1], v15, off offset:256
	s_or_b64 exec, exec, s[2:3]
	s_and_saveexec_b64 s[2:3], s[34:35]
	s_cbranch_execz .LBB63_209
.LBB63_225:                             ;   in Loop: Header=BB63_13 Depth=1
	s_waitcnt lgkmcnt(12)
	global_store_short v[0:1], v14, off offset:384
	s_or_b64 exec, exec, s[2:3]
	s_and_saveexec_b64 s[2:3], s[36:37]
	s_cbranch_execz .LBB63_210
.LBB63_226:                             ;   in Loop: Header=BB63_13 Depth=1
	s_waitcnt lgkmcnt(11)
	global_store_short v[0:1], v13, off offset:512
	s_or_b64 exec, exec, s[2:3]
	s_and_saveexec_b64 s[2:3], s[38:39]
	s_cbranch_execz .LBB63_211
.LBB63_227:                             ;   in Loop: Header=BB63_13 Depth=1
	s_waitcnt lgkmcnt(10)
	global_store_short v[0:1], v12, off offset:640
	s_or_b64 exec, exec, s[2:3]
	s_and_saveexec_b64 s[2:3], s[40:41]
	s_cbranch_execz .LBB63_212
.LBB63_228:                             ;   in Loop: Header=BB63_13 Depth=1
	s_waitcnt lgkmcnt(9)
	global_store_short v[0:1], v11, off offset:768
	s_or_b64 exec, exec, s[2:3]
	s_and_saveexec_b64 s[2:3], s[42:43]
	s_cbranch_execz .LBB63_213
.LBB63_229:                             ;   in Loop: Header=BB63_13 Depth=1
	s_waitcnt lgkmcnt(8)
	global_store_short v[0:1], v10, off offset:896
	s_or_b64 exec, exec, s[2:3]
	s_and_saveexec_b64 s[2:3], s[44:45]
	s_cbranch_execz .LBB63_214
.LBB63_230:                             ;   in Loop: Header=BB63_13 Depth=1
	s_waitcnt lgkmcnt(7)
	global_store_short v[0:1], v9, off offset:1024
	s_or_b64 exec, exec, s[2:3]
	s_and_saveexec_b64 s[2:3], s[46:47]
	s_cbranch_execz .LBB63_215
.LBB63_231:                             ;   in Loop: Header=BB63_13 Depth=1
	s_waitcnt lgkmcnt(6)
	global_store_short v[0:1], v8, off offset:1152
	s_or_b64 exec, exec, s[2:3]
	s_and_saveexec_b64 s[2:3], s[48:49]
	s_cbranch_execz .LBB63_216
.LBB63_232:                             ;   in Loop: Header=BB63_13 Depth=1
	s_waitcnt lgkmcnt(5)
	global_store_short v[0:1], v7, off offset:1280
	s_or_b64 exec, exec, s[2:3]
	s_and_saveexec_b64 s[2:3], s[50:51]
	s_cbranch_execz .LBB63_217
.LBB63_233:                             ;   in Loop: Header=BB63_13 Depth=1
	s_waitcnt lgkmcnt(4)
	global_store_short v[0:1], v6, off offset:1408
	s_or_b64 exec, exec, s[2:3]
	s_and_saveexec_b64 s[2:3], s[52:53]
	s_cbranch_execz .LBB63_218
.LBB63_234:                             ;   in Loop: Header=BB63_13 Depth=1
	s_waitcnt lgkmcnt(3)
	global_store_short v[0:1], v5, off offset:1536
	s_or_b64 exec, exec, s[2:3]
	s_and_saveexec_b64 s[2:3], s[54:55]
	s_cbranch_execz .LBB63_219
.LBB63_235:                             ;   in Loop: Header=BB63_13 Depth=1
	s_waitcnt lgkmcnt(2)
	global_store_short v[0:1], v4, off offset:1664
	s_or_b64 exec, exec, s[2:3]
	s_and_saveexec_b64 s[2:3], s[56:57]
	s_cbranch_execz .LBB63_220
.LBB63_236:                             ;   in Loop: Header=BB63_13 Depth=1
	s_waitcnt lgkmcnt(1)
	global_store_short v[0:1], v3, off offset:1792
	s_or_b64 exec, exec, s[2:3]
	s_and_saveexec_b64 s[2:3], s[58:59]
	s_cbranch_execz .LBB63_12
.LBB63_237:                             ;   in Loop: Header=BB63_13 Depth=1
	s_waitcnt lgkmcnt(0)
	global_store_short v[0:1], v2, off offset:1920
	s_branch .LBB63_12
.LBB63_238:
	s_endpgm
	.section	.rodata,"a",@progbits
	.p2align	6, 0x0
	.amdhsa_kernel _Z25selective_scan_fwd_kernelI32Selective_Scan_fwd_kernel_traitsILi128ELi16ELi1ELb0ELb1ELb1ELb0ELb0EN3c108BFloat16EffEEv13SSMParamsBase
		.amdhsa_group_segment_fixed_size 0
		.amdhsa_private_segment_fixed_size 0
		.amdhsa_kernarg_size 248
		.amdhsa_user_sgpr_count 2
		.amdhsa_user_sgpr_dispatch_ptr 0
		.amdhsa_user_sgpr_queue_ptr 0
		.amdhsa_user_sgpr_kernarg_segment_ptr 1
		.amdhsa_user_sgpr_dispatch_id 0
		.amdhsa_user_sgpr_kernarg_preload_length 0
		.amdhsa_user_sgpr_kernarg_preload_offset 0
		.amdhsa_user_sgpr_private_segment_size 0
		.amdhsa_uses_dynamic_stack 0
		.amdhsa_enable_private_segment 0
		.amdhsa_system_sgpr_workgroup_id_x 1
		.amdhsa_system_sgpr_workgroup_id_y 1
		.amdhsa_system_sgpr_workgroup_id_z 0
		.amdhsa_system_sgpr_workgroup_info 0
		.amdhsa_system_vgpr_workitem_id 0
		.amdhsa_next_free_vgpr 168
		.amdhsa_next_free_sgpr 100
		.amdhsa_accum_offset 168
		.amdhsa_reserve_vcc 1
		.amdhsa_float_round_mode_32 0
		.amdhsa_float_round_mode_16_64 0
		.amdhsa_float_denorm_mode_32 3
		.amdhsa_float_denorm_mode_16_64 3
		.amdhsa_dx10_clamp 1
		.amdhsa_ieee_mode 1
		.amdhsa_fp16_overflow 0
		.amdhsa_tg_split 0
		.amdhsa_exception_fp_ieee_invalid_op 0
		.amdhsa_exception_fp_denorm_src 0
		.amdhsa_exception_fp_ieee_div_zero 0
		.amdhsa_exception_fp_ieee_overflow 0
		.amdhsa_exception_fp_ieee_underflow 0
		.amdhsa_exception_fp_ieee_inexact 0
		.amdhsa_exception_int_div_zero 0
	.end_amdhsa_kernel
	.section	.text._Z25selective_scan_fwd_kernelI32Selective_Scan_fwd_kernel_traitsILi128ELi16ELi1ELb0ELb1ELb1ELb0ELb0EN3c108BFloat16EffEEv13SSMParamsBase,"axG",@progbits,_Z25selective_scan_fwd_kernelI32Selective_Scan_fwd_kernel_traitsILi128ELi16ELi1ELb0ELb1ELb1ELb0ELb0EN3c108BFloat16EffEEv13SSMParamsBase,comdat
.Lfunc_end63:
	.size	_Z25selective_scan_fwd_kernelI32Selective_Scan_fwd_kernel_traitsILi128ELi16ELi1ELb0ELb1ELb1ELb0ELb0EN3c108BFloat16EffEEv13SSMParamsBase, .Lfunc_end63-_Z25selective_scan_fwd_kernelI32Selective_Scan_fwd_kernel_traitsILi128ELi16ELi1ELb0ELb1ELb1ELb0ELb0EN3c108BFloat16EffEEv13SSMParamsBase
                                        ; -- End function
	.section	.AMDGPU.csdata,"",@progbits
; Kernel info:
; codeLenInByte = 20816
; NumSgprs: 106
; NumVgprs: 168
; NumAgprs: 0
; TotalNumVgprs: 168
; ScratchSize: 0
; MemoryBound: 0
; FloatMode: 240
; IeeeMode: 1
; LDSByteSize: 0 bytes/workgroup (compile time only)
; SGPRBlocks: 13
; VGPRBlocks: 20
; NumSGPRsForWavesPerEU: 106
; NumVGPRsForWavesPerEU: 168
; AccumOffset: 168
; Occupancy: 3
; WaveLimiterHint : 0
; COMPUTE_PGM_RSRC2:SCRATCH_EN: 0
; COMPUTE_PGM_RSRC2:USER_SGPR: 2
; COMPUTE_PGM_RSRC2:TRAP_HANDLER: 0
; COMPUTE_PGM_RSRC2:TGID_X_EN: 1
; COMPUTE_PGM_RSRC2:TGID_Y_EN: 1
; COMPUTE_PGM_RSRC2:TGID_Z_EN: 0
; COMPUTE_PGM_RSRC2:TIDIG_COMP_CNT: 0
; COMPUTE_PGM_RSRC3_GFX90A:ACCUM_OFFSET: 41
; COMPUTE_PGM_RSRC3_GFX90A:TG_SPLIT: 0
	.section	.text._Z25selective_scan_fwd_kernelI32Selective_Scan_fwd_kernel_traitsILi64ELi4ELi1ELb1ELb1ELb1ELb1ELb1EN3c104HalfEfS2_EEv13SSMParamsBase,"axG",@progbits,_Z25selective_scan_fwd_kernelI32Selective_Scan_fwd_kernel_traitsILi64ELi4ELi1ELb1ELb1ELb1ELb1ELb1EN3c104HalfEfS2_EEv13SSMParamsBase,comdat
	.protected	_Z25selective_scan_fwd_kernelI32Selective_Scan_fwd_kernel_traitsILi64ELi4ELi1ELb1ELb1ELb1ELb1ELb1EN3c104HalfEfS2_EEv13SSMParamsBase ; -- Begin function _Z25selective_scan_fwd_kernelI32Selective_Scan_fwd_kernel_traitsILi64ELi4ELi1ELb1ELb1ELb1ELb1ELb1EN3c104HalfEfS2_EEv13SSMParamsBase
	.globl	_Z25selective_scan_fwd_kernelI32Selective_Scan_fwd_kernel_traitsILi64ELi4ELi1ELb1ELb1ELb1ELb1ELb1EN3c104HalfEfS2_EEv13SSMParamsBase
	.p2align	8
	.type	_Z25selective_scan_fwd_kernelI32Selective_Scan_fwd_kernel_traitsILi64ELi4ELi1ELb1ELb1ELb1ELb1ELb1EN3c104HalfEfS2_EEv13SSMParamsBase,@function
_Z25selective_scan_fwd_kernelI32Selective_Scan_fwd_kernel_traitsILi64ELi4ELi1ELb1ELb1ELb1ELb1ELb1EN3c104HalfEfS2_EEv13SSMParamsBase: ; @_Z25selective_scan_fwd_kernelI32Selective_Scan_fwd_kernel_traitsILi64ELi4ELi1ELb1ELb1ELb1ELb1ELb1EN3c104HalfEfS2_EEv13SSMParamsBase
; %bb.0:
	s_load_dword s37, s[0:1], 0x18
	s_load_dwordx4 s[4:7], s[0:1], 0xe8
	s_load_dwordx8 s[20:27], s[0:1], 0xc8
	s_mov_b32 s34, s3
	s_ashr_i32 s3, s2, 31
	s_lshl_b64 s[8:9], s[2:3], 2
	s_waitcnt lgkmcnt(0)
	s_abs_i32 s36, s37
	v_cvt_f32_u32_e32 v1, s36
	s_add_u32 s28, s26, s8
	s_addc_u32 s29, s27, s9
	s_cmp_eq_u64 s[6:7], 0
	v_rcp_iflag_f32_e32 v1, v1
	s_nop 0
	v_mul_f32_e32 v1, 0x4f7ffffe, v1
	v_cvt_u32_f32_e32 v1, v1
	s_nop 0
	v_readfirstlane_b32 s56, v1
	s_cbranch_scc1 .LBB64_102
; %bb.1:
	s_add_u32 s6, s6, s2
	s_addc_u32 s7, s7, s3
	v_mov_b32_e32 v1, 0
	global_load_ubyte v1, v1, s[6:7]
	s_waitcnt vmcnt(0)
	v_and_b32_e32 v1, 1, v1
	v_cmp_eq_u32_e64 s[38:39], 1, v1
	s_load_dwordx2 s[6:7], s[0:1], 0x20
	s_cmp_eq_u64 s[4:5], 0
	s_cbranch_scc1 .LBB64_3
.LBB64_2:
	s_add_u32 s2, s4, s8
	s_addc_u32 s3, s5, s9
	s_load_dword s2, s[2:3], 0x0
	s_waitcnt lgkmcnt(0)
	s_ashr_i32 s3, s2, 31
.LBB64_3:
	s_waitcnt lgkmcnt(0)
	s_cmp_eq_u64 s[6:7], s[2:3]
	s_cbranch_scc1 .LBB64_101
; %bb.4:
	s_load_dwordx16 s[4:19], s[0:1], 0x88
	s_load_dwordx2 s[26:27], s[28:29], 0x0
	s_mov_b32 s33, 0
	s_mov_b32 s76, 0
	s_waitcnt lgkmcnt(0)
	s_cmp_eq_u64 s[10:11], 0
	s_cbranch_scc1 .LBB64_6
; %bb.5:
	s_ashr_i32 s35, s34, 31
	s_lshl_b64 s[28:29], s[34:35], 2
	s_add_u32 s10, s10, s28
	s_addc_u32 s11, s11, s29
	s_load_dword s76, s[10:11], 0x0
.LBB64_6:
	s_cmp_eq_u64 s[16:17], 0
	s_cbranch_scc1 .LBB64_8
; %bb.7:
	s_ashr_i32 s35, s34, 31
	s_lshl_b64 s[10:11], s[34:35], 2
	s_add_u32 s10, s16, s10
	s_addc_u32 s11, s17, s11
	s_load_dword s33, s[10:11], 0x0
.LBB64_8:
	s_sub_i32 s77, s27, s26
	s_cmp_lt_i32 s77, 1
	s_cbranch_scc1 .LBB64_101
; %bb.9:
	s_sub_i32 s3, 0, s36
	s_mul_i32 s3, s3, s56
	s_mul_hi_u32 s3, s56, s3
	s_abs_i32 s16, s34
	s_add_i32 s56, s56, s3
	s_load_dwordx8 s[40:47], s[0:1], 0x2c
	s_load_dwordx2 s[10:11], s[0:1], 0x7c
	s_load_dwordx4 s[28:31], s[0:1], 0x6c
	s_load_dwordx8 s[48:55], s[0:1], 0x4c
	s_load_dword s78, s[0:1], 0x84
	s_mul_hi_u32 s3, s16, s56
	s_load_dword s79, s[0:1], 0xc
	s_load_dword s17, s[0:1], 0x28
	s_ashr_i32 s0, s34, 31
	s_ashr_i32 s1, s37, 31
	s_xor_b32 s0, s0, s1
	s_mul_i32 s1, s3, s36
	s_sub_i32 s1, s16, s1
	s_add_i32 s16, s3, 1
	s_sub_i32 s27, s1, s36
	s_cmp_ge_u32 s1, s36
	s_cselect_b32 s3, s16, s3
	s_cselect_b32 s1, s27, s1
	s_add_i32 s16, s3, 1
	s_cmp_ge_u32 s1, s36
	s_cselect_b32 s1, s16, s3
	s_xor_b32 s1, s1, s0
	s_waitcnt lgkmcnt(0)
	s_mul_i32 s56, s26, s50
	s_mov_b32 s57, 0
	s_sub_i32 s3, s1, s0
	s_lshl_b64 s[0:1], s[56:57], 1
	s_add_u32 s12, s12, s0
	s_mul_i32 s56, s51, s34
	s_addc_u32 s13, s13, s1
	s_lshl_b64 s[0:1], s[56:57], 1
	s_add_u32 s50, s12, s0
	s_mul_i32 s56, s26, s52
	s_addc_u32 s51, s13, s1
	;; [unrolled: 4-line block ×9, first 2 shown]
	s_lshl_b64 s[0:1], s[56:57], 1
	s_add_u32 s2, s20, s0
	s_mul_i32 s56, s11, s34
	v_mbcnt_lo_u32_b32 v2, -1, 0
	s_addc_u32 s3, s21, s1
	s_lshl_b64 s[0:1], s[56:57], 1
	v_mbcnt_hi_u32_b32 v2, -1, v2
	s_add_u32 s45, s2, s0
	v_lshrrev_b32_e32 v3, 5, v2
	s_addc_u32 s49, s3, s1
	s_add_i32 s0, s77, 0x7ff
	v_and_b32_e32 v3, 2, v3
	s_lshr_b32 s81, s0, 11
	v_add_u32_e32 v40, 64, v2
	v_or_b32_e32 v41, 0x80, v2
	v_add_u32_e32 v42, 0xc0, v2
	v_add_u32_e32 v3, v3, v2
	v_lshl_add_u32 v43, v3, 1, 0
	v_lshrrev_b32_e32 v3, 5, v40
	v_lshrrev_b32_e32 v4, 5, v41
	;; [unrolled: 1-line block ×3, first 2 shown]
	s_bitcmp1_b32 s17, 0
	v_and_b32_e32 v3, 6, v3
	v_and_b32_e32 v4, 6, v4
	v_and_b32_e32 v5, 14, v5
	s_cselect_b64 s[58:59], -1, 0
	s_cmp_gt_i32 s79, 0
	v_add_lshl_u32 v3, v3, v2, 1
	v_add_lshl_u32 v4, v4, v2, 1
	;; [unrolled: 1-line block ×3, first 2 shown]
	s_cselect_b64 s[60:61], -1, 0
	s_add_i32 s0, 0, 0x210
	s_mul_i32 s56, s26, s28
	v_add_u32_e32 v48, s0, v3
	v_add_u32_e32 v49, s0, v4
	;; [unrolled: 1-line block ×3, first 2 shown]
	s_and_b32 s2, s77, 0xff
	s_add_i32 s82, s81, -1
	s_lshl_b64 s[0:1], s[56:57], 1
	s_add_u32 s3, s18, s0
	s_mul_i32 s56, s29, s34
	s_addc_u32 s4, s19, s1
	s_lshl_b64 s[0:1], s[56:57], 1
	s_add_u32 s18, s3, s0
	s_mul_i32 s56, s26, s54
	s_addc_u32 s19, s4, s1
	;; [unrolled: 4-line block ×5, first 2 shown]
	s_lshl_b64 s[0:1], s[56:57], 1
	s_add_u32 s22, s3, s0
	v_add_u32_e32 v44, 0, v3
	s_addc_u32 s23, s4, s1
	v_and_b32_e32 v3, 15, v2
	s_cmp_eq_u32 s2, 0
	v_cmp_eq_u32_e64 s[0:1], 0, v3
	v_cmp_lt_u32_e64 s[2:3], 1, v3
	v_cmp_lt_u32_e64 s[4:5], 3, v3
	;; [unrolled: 1-line block ×3, first 2 shown]
	v_and_b32_e32 v3, 16, v2
	v_add_u32_e32 v45, 0, v4
	v_lshrrev_b32_e32 v6, 3, v2
	v_cmp_ne_u32_e64 s[8:9], 0, v3
	v_add_u32_e32 v3, -1, v2
	v_and_b32_e32 v4, 64, v2
	v_and_b32_e32 v6, 14, v6
	v_cmp_lt_i32_e32 vcc, v3, v4
	v_mov_b32_e32 v1, 0
	v_lshlrev_b32_e32 v11, 2, v0
	v_lshl_add_u32 v6, v2, 2, v6
	v_cmp_eq_u32_e64 s[12:13], 63, v0
	v_cndmask_b32_e32 v3, v3, v2, vcc
	v_cmp_gt_u32_e64 s[14:15], 64, v0
	v_cmp_eq_u32_e64 s[16:17], 0, v0
	v_lshlrev_b32_e32 v0, 1, v2
                                        ; implicit-def: $vgpr12
	v_add_u32_e32 v46, 0, v5
	v_lshl_add_u32 v47, v6, 1, 0
	s_cselect_b64 s[54:55], -1, 0
	v_cmp_lt_u32_e64 s[10:11], 31, v2
	v_lshlrev_b32_e32 v51, 2, v3
	v_lshl_add_u64 v[4:5], s[18:19], 0, v[0:1]
	v_lshl_add_u64 v[6:7], s[20:21], 0, v[0:1]
	;; [unrolled: 1-line block ×3, first 2 shown]
	v_or_b32_e32 v3, 1, v11
	v_or_b32_e32 v10, 2, v11
	;; [unrolled: 1-line block ×3, first 2 shown]
	v_lshlrev_b32_e32 v0, 1, v2
	s_mov_b32 s83, 0x41a00000
	s_mov_b32 s84, 0x3fb8aa3b
	s_mov_b32 s85, 0xc2ce8ed0
	s_mov_b32 s86, 0x42b17218
	s_mov_b32 s87, 0x7f800000
	s_mov_b32 s88, 0x3f2aaaab
	v_mov_b32_e32 v53, 0x3ecc95a3
	s_mov_b32 s89, 0x3f317218
	s_mov_b32 s90, 0x33800000
	s_add_i32 s91, 0, 0x428
	s_mov_b32 s92, 0xc2fc0000
	s_mov_b32 s93, 0xbfb8aa3b
	;; [unrolled: 1-line block ×5, first 2 shown]
	v_mov_b32_e32 v54, 0x7f800000
	v_mov_b32_e32 v12, 0x3f317218
	;; [unrolled: 1-line block ×4, first 2 shown]
	s_mov_b32 s97, 0
	s_branch .LBB64_11
.LBB64_10:                              ;   in Loop: Header=BB64_11 Depth=1
	s_or_b64 exec, exec, s[18:19]
	s_add_u32 s52, s52, 0x200
	s_addc_u32 s53, s53, 0
	s_add_u32 s50, s50, 0x200
	s_addc_u32 s51, s51, 0
	;; [unrolled: 2-line block ×4, first 2 shown]
	s_add_i32 s97, s97, 1
	s_cmp_lg_u32 s97, s81
	s_cbranch_scc0 .LBB64_101
.LBB64_11:                              ; =>This Loop Header: Depth=1
                                        ;     Child Loop BB64_36 Depth 2
	s_lshl_b32 s62, s97, 8
	s_sub_i32 s34, s77, s62
	v_lshl_add_u64 v[14:15], s[50:51], 0, v[0:1]
	v_cmp_gt_u32_e64 s[18:19], s34, v2
	s_waitcnt lgkmcnt(1)
	v_mov_b32_e32 v16, 0
	s_waitcnt lgkmcnt(0)
	; wave barrier
	s_and_saveexec_b64 s[20:21], s[18:19]
	s_cbranch_execz .LBB64_13
; %bb.12:                               ;   in Loop: Header=BB64_11 Depth=1
	global_load_ushort v16, v[14:15], off
.LBB64_13:                              ;   in Loop: Header=BB64_11 Depth=1
	s_or_b64 exec, exec, s[20:21]
	v_cmp_gt_u32_e64 s[20:21], s34, v40
	v_mov_b32_e32 v17, 0
	v_mov_b32_e32 v18, 0
	s_and_saveexec_b64 s[22:23], s[20:21]
	s_cbranch_execz .LBB64_15
; %bb.14:                               ;   in Loop: Header=BB64_11 Depth=1
	global_load_ushort v18, v[14:15], off offset:128
.LBB64_15:                              ;   in Loop: Header=BB64_11 Depth=1
	s_or_b64 exec, exec, s[22:23]
	v_cmp_gt_u32_e64 s[22:23], s34, v41
	s_and_saveexec_b64 s[24:25], s[22:23]
	s_cbranch_execz .LBB64_17
; %bb.16:                               ;   in Loop: Header=BB64_11 Depth=1
	global_load_ushort v17, v[14:15], off offset:256
.LBB64_17:                              ;   in Loop: Header=BB64_11 Depth=1
	s_or_b64 exec, exec, s[24:25]
	v_cmp_gt_u32_e64 s[24:25], s34, v42
	s_waitcnt lgkmcnt(0)
	v_mov_b32_e32 v13, 0
	v_mov_b32_e32 v19, 0
	s_and_saveexec_b64 s[26:27], s[24:25]
	s_cbranch_execz .LBB64_19
; %bb.18:                               ;   in Loop: Header=BB64_11 Depth=1
	global_load_ushort v19, v[14:15], off offset:384
.LBB64_19:                              ;   in Loop: Header=BB64_11 Depth=1
	s_or_b64 exec, exec, s[26:27]
	s_waitcnt vmcnt(0)
	ds_write_b16 v43, v16
	ds_write_b16 v44, v18 offset:128
	ds_write_b16 v45, v17 offset:256
	;; [unrolled: 1-line block ×3, first 2 shown]
	; wave barrier
	ds_read_b64 v[14:15], v47
	v_lshl_add_u64 v[16:17], s[52:53], 0, v[0:1]
	s_waitcnt lgkmcnt(0)
	; wave barrier
	s_waitcnt lgkmcnt(0)
	s_and_saveexec_b64 s[26:27], s[18:19]
	s_cbranch_execz .LBB64_21
; %bb.20:                               ;   in Loop: Header=BB64_11 Depth=1
	global_load_ushort v13, v[16:17], off
.LBB64_21:                              ;   in Loop: Header=BB64_11 Depth=1
	s_or_b64 exec, exec, s[26:27]
	v_mov_b32_e32 v18, 0
	v_mov_b32_e32 v19, 0
	s_and_saveexec_b64 s[26:27], s[20:21]
	s_cbranch_execnz .LBB64_92
; %bb.22:                               ;   in Loop: Header=BB64_11 Depth=1
	s_or_b64 exec, exec, s[26:27]
	s_and_saveexec_b64 s[26:27], s[22:23]
	s_cbranch_execnz .LBB64_93
.LBB64_23:                              ;   in Loop: Header=BB64_11 Depth=1
	s_or_b64 exec, exec, s[26:27]
	v_mov_b32_e32 v20, 0
	s_and_saveexec_b64 s[26:27], s[24:25]
	s_cbranch_execz .LBB64_25
.LBB64_24:                              ;   in Loop: Header=BB64_11 Depth=1
	global_load_ushort v20, v[16:17], off offset:384
.LBB64_25:                              ;   in Loop: Header=BB64_11 Depth=1
	s_or_b64 exec, exec, s[26:27]
	s_waitcnt vmcnt(0)
	ds_write_b16 v43, v13
	ds_write_b16 v44, v19 offset:128
	ds_write_b16 v45, v18 offset:256
	;; [unrolled: 1-line block ×3, first 2 shown]
	; wave barrier
	ds_read_b64 v[16:17], v47
	s_waitcnt lgkmcnt(0)
	v_cvt_f32_f16_e32 v13, v16
	v_add_f32_e32 v57, s33, v13
	v_cmp_ge_f32_e32 vcc, s83, v57
	s_and_b64 s[26:27], s[58:59], vcc
	s_and_saveexec_b64 s[28:29], s[26:27]
	s_cbranch_execz .LBB64_27
; %bb.26:                               ;   in Loop: Header=BB64_11 Depth=1
	v_mul_f32_e32 v13, 0x3fb8aa3b, v57
	v_rndne_f32_e32 v18, v13
	v_sub_f32_e32 v19, v13, v18
	v_fma_f32 v13, v57, s84, -v13
	v_fmac_f32_e32 v13, 0x32a5705f, v57
	v_add_f32_e32 v13, v19, v13
	v_cvt_i32_f32_e32 v18, v18
	v_exp_f32_e32 v13, v13
	v_cmp_ngt_f32_e32 vcc, s85, v57
	v_ldexp_f32 v13, v13, v18
	s_nop 0
	v_cndmask_b32_e32 v13, 0, v13, vcc
	v_cmp_nlt_f32_e32 vcc, s86, v57
	s_nop 1
	v_cndmask_b32_e32 v34, v54, v13, vcc
	v_add_f32_e32 v13, 1.0, v34
	v_add_f32_e32 v18, -1.0, v13
	v_sub_f32_e32 v19, v18, v13
	v_add_f32_e32 v19, 1.0, v19
	v_sub_f32_e32 v18, v34, v18
	v_add_f32_e32 v20, v18, v19
	v_frexp_mant_f32_e32 v21, v13
	v_cvt_f64_f32_e32 v[18:19], v13
	v_frexp_exp_i32_f64_e32 v18, v[18:19]
	v_cmp_gt_f32_e32 vcc, s88, v21
	v_cmp_gt_f32_e64 s[26:27], s90, v34
	s_nop 0
	v_subbrev_co_u32_e32 v26, vcc, 0, v18, vcc
	v_sub_u32_e32 v18, 0, v26
	v_ldexp_f32 v13, v13, v18
	v_ldexp_f32 v18, v20, v18
	v_add_f32_e32 v20, -1.0, v13
	v_add_f32_e32 v19, 1.0, v20
	v_sub_f32_e32 v19, v13, v19
	v_add_f32_e32 v21, v18, v19
	v_add_f32_e32 v19, 1.0, v13
	v_add_f32_e32 v22, -1.0, v19
	v_sub_f32_e32 v13, v13, v22
	v_add_f32_e32 v13, v18, v13
	v_add_f32_e32 v27, v19, v13
	v_rcp_f32_e32 v28, v27
	v_sub_f32_e32 v18, v19, v27
	v_add_f32_e32 v19, v20, v21
	v_add_f32_e32 v13, v13, v18
	v_mul_f32_e32 v30, v19, v28
	v_sub_f32_e32 v18, v20, v19
	v_mul_f32_e32 v20, v27, v30
	v_fma_f32 v22, v30, v27, -v20
	v_fmac_f32_e32 v22, v30, v13
	v_add_f32_e32 v29, v21, v18
	v_add_f32_e32 v18, v20, v22
	v_sub_f32_e32 v21, v19, v18
	v_pk_add_f32 v[24:25], v[18:19], v[20:21] neg_lo:[0,1] neg_hi:[0,1]
	v_mov_b32_e32 v23, v18
	v_pk_add_f32 v[18:19], v[24:25], v[22:23] neg_lo:[0,1] neg_hi:[0,1]
	v_cmp_eq_f32_e32 vcc, s87, v34
	v_add_f32_e32 v19, v29, v19
	v_add_f32_e32 v18, v18, v19
	v_add_f32_e32 v19, v21, v18
	v_mul_f32_e32 v29, v28, v19
	v_mul_f32_e32 v20, v27, v29
	v_fma_f32 v22, v29, v27, -v20
	v_fmac_f32_e32 v22, v29, v13
	v_sub_f32_e32 v13, v21, v19
	v_add_f32_e32 v13, v18, v13
	v_add_f32_e32 v18, v20, v22
	v_sub_f32_e32 v21, v19, v18
	v_pk_add_f32 v[24:25], v[18:19], v[20:21] neg_lo:[0,1] neg_hi:[0,1]
	v_mov_b32_e32 v23, v18
	v_pk_add_f32 v[18:19], v[24:25], v[22:23] neg_lo:[0,1] neg_hi:[0,1]
	s_or_b64 vcc, s[26:27], vcc
	v_add_f32_e32 v13, v13, v19
	v_add_f32_e32 v13, v18, v13
	;; [unrolled: 1-line block ×4, first 2 shown]
	v_sub_f32_e32 v18, v19, v30
	v_mul_f32_e32 v13, v28, v13
	v_sub_f32_e32 v18, v29, v18
	v_add_f32_e32 v20, v18, v13
	v_add_f32_e32 v22, v19, v20
	v_cvt_f32_i32_e32 v18, v26
	v_mul_f32_e32 v23, v22, v22
	v_sub_f32_e32 v19, v22, v19
	v_fmamk_f32 v13, v23, 0x3e9b6dac, v53
	v_sub_f32_e32 v19, v20, v19
	v_fmaak_f32 v13, v23, v13, 0x3f2aaada
	v_ldexp_f32 v24, v19, 1
	v_mul_f32_e32 v19, v22, v23
	v_ldexp_f32 v21, v22, 1
	v_pk_mul_f32 v[22:23], v[18:19], v[12:13]
	s_nop 0
	v_fma_f32 v20, v18, s89, -v22
	v_fmac_f32_e32 v20, 0xb102e308, v18
	v_pk_add_f32 v[18:19], v[22:23], v[20:21]
	s_nop 0
	v_sub_f32_e32 v13, v19, v21
	v_sub_f32_e32 v13, v23, v13
	v_add_f32_e32 v25, v24, v13
	v_mov_b32_e32 v24, v22
	v_pk_add_f32 v[22:23], v[18:19], v[22:23] neg_lo:[0,1] neg_hi:[0,1]
	v_pk_add_f32 v[26:27], v[18:19], v[24:25]
	v_mov_b32_e32 v21, v18
	v_mov_b32_e32 v23, v27
	v_pk_add_f32 v[28:29], v[20:21], v[22:23] neg_lo:[0,1] neg_hi:[0,1]
	v_pk_add_f32 v[20:21], v[20:21], v[22:23]
	v_mov_b32_e32 v24, v25
	v_mov_b32_e32 v22, v21
	v_pk_add_f32 v[30:31], v[22:23], v[18:19] neg_lo:[0,1] neg_hi:[0,1]
	v_mov_b32_e32 v20, v27
	v_mov_b32_e32 v13, v30
	v_pk_add_f32 v[32:33], v[26:27], v[12:13] neg_lo:[0,1] neg_hi:[0,1]
	v_mov_b32_e32 v26, v19
	v_mov_b32_e32 v27, v30
	;; [unrolled: 1-line block ×3, first 2 shown]
	v_pk_add_f32 v[20:21], v[20:21], v[26:27] neg_lo:[0,1] neg_hi:[0,1]
	v_mov_b32_e32 v25, v18
	v_pk_add_f32 v[18:19], v[24:25], v[20:21] neg_lo:[0,1] neg_hi:[0,1]
	v_mov_b32_e32 v32, v28
	v_pk_add_f32 v[20:21], v[32:33], v[18:19]
	s_nop 0
	v_mov_b32_e32 v24, v21
	v_pk_add_f32 v[24:25], v[20:21], v[24:25]
	s_nop 0
	v_pk_add_f32 v[22:23], v[22:23], v[24:25]
	v_mov_b32_e32 v19, v24
	v_mov_b32_e32 v21, v22
	v_pk_add_f32 v[26:27], v[20:21], v[28:29] neg_lo:[0,1] neg_hi:[0,1]
	s_nop 0
	v_sub_f32_e32 v13, v20, v26
	v_pk_add_f32 v[18:19], v[18:19], v[26:27] neg_lo:[0,1] neg_hi:[0,1]
	v_sub_f32_e32 v13, v28, v13
	v_add_f32_e32 v13, v18, v13
	v_add_f32_e32 v13, v13, v19
	;; [unrolled: 1-line block ×3, first 2 shown]
	v_cndmask_b32_e32 v57, v13, v34, vcc
.LBB64_27:                              ;   in Loop: Header=BB64_11 Depth=1
	s_or_b64 exec, exec, s[28:29]
	v_cvt_f32_f16_sdwa v13, v16 dst_sel:DWORD dst_unused:UNUSED_PAD src0_sel:WORD_1
	v_add_f32_e32 v58, s33, v13
	v_cmp_ge_f32_e32 vcc, s83, v58
	s_and_b64 s[26:27], s[58:59], vcc
	s_and_saveexec_b64 s[28:29], s[26:27]
	s_cbranch_execz .LBB64_29
; %bb.28:                               ;   in Loop: Header=BB64_11 Depth=1
	v_mul_f32_e32 v13, 0x3fb8aa3b, v58
	v_rndne_f32_e32 v16, v13
	v_sub_f32_e32 v18, v13, v16
	v_fma_f32 v13, v58, s84, -v13
	v_fmac_f32_e32 v13, 0x32a5705f, v58
	v_add_f32_e32 v13, v18, v13
	v_cvt_i32_f32_e32 v16, v16
	v_exp_f32_e32 v13, v13
	v_cmp_ngt_f32_e32 vcc, s85, v58
	v_ldexp_f32 v13, v13, v16
	s_nop 0
	v_cndmask_b32_e32 v13, 0, v13, vcc
	v_cmp_nlt_f32_e32 vcc, s86, v58
	s_nop 1
	v_cndmask_b32_e32 v32, v54, v13, vcc
	v_add_f32_e32 v13, 1.0, v32
	v_add_f32_e32 v16, -1.0, v13
	v_sub_f32_e32 v18, v16, v13
	v_add_f32_e32 v18, 1.0, v18
	v_sub_f32_e32 v16, v32, v16
	v_add_f32_e32 v16, v16, v18
	v_frexp_mant_f32_e32 v20, v13
	v_cvt_f64_f32_e32 v[18:19], v13
	v_frexp_exp_i32_f64_e32 v18, v[18:19]
	v_cmp_gt_f32_e32 vcc, s88, v20
	v_cmp_gt_f32_e64 s[26:27], s90, v32
	s_nop 0
	v_subbrev_co_u32_e32 v26, vcc, 0, v18, vcc
	v_sub_u32_e32 v18, 0, v26
	v_ldexp_f32 v13, v13, v18
	v_ldexp_f32 v16, v16, v18
	v_add_f32_e32 v18, -1.0, v13
	v_add_f32_e32 v19, 1.0, v18
	v_sub_f32_e32 v19, v13, v19
	v_add_f32_e32 v20, v16, v19
	v_add_f32_e32 v19, 1.0, v13
	v_add_f32_e32 v21, -1.0, v19
	v_sub_f32_e32 v13, v13, v21
	v_add_f32_e32 v13, v16, v13
	v_add_f32_e32 v16, v19, v13
	v_rcp_f32_e32 v27, v16
	v_sub_f32_e32 v19, v19, v16
	v_add_f32_e32 v13, v13, v19
	v_add_f32_e32 v19, v18, v20
	v_sub_f32_e32 v18, v18, v19
	v_mul_f32_e32 v29, v19, v27
	v_add_f32_e32 v28, v20, v18
	v_mul_f32_e32 v20, v16, v29
	v_fma_f32 v22, v29, v16, -v20
	v_fmac_f32_e32 v22, v29, v13
	v_add_f32_e32 v18, v20, v22
	v_sub_f32_e32 v21, v19, v18
	v_pk_add_f32 v[24:25], v[18:19], v[20:21] neg_lo:[0,1] neg_hi:[0,1]
	v_mov_b32_e32 v23, v18
	v_pk_add_f32 v[18:19], v[24:25], v[22:23] neg_lo:[0,1] neg_hi:[0,1]
	v_cmp_eq_f32_e32 vcc, s87, v32
	v_add_f32_e32 v19, v28, v19
	v_add_f32_e32 v18, v18, v19
	v_add_f32_e32 v19, v21, v18
	v_mul_f32_e32 v28, v27, v19
	v_mul_f32_e32 v20, v16, v28
	v_fma_f32 v22, v28, v16, -v20
	v_fmac_f32_e32 v22, v28, v13
	v_sub_f32_e32 v13, v21, v19
	v_add_f32_e32 v13, v18, v13
	v_add_f32_e32 v18, v20, v22
	v_sub_f32_e32 v21, v19, v18
	v_pk_add_f32 v[24:25], v[18:19], v[20:21] neg_lo:[0,1] neg_hi:[0,1]
	v_mov_b32_e32 v23, v18
	v_pk_add_f32 v[18:19], v[24:25], v[22:23] neg_lo:[0,1] neg_hi:[0,1]
	v_add_f32_e32 v16, v29, v28
	v_add_f32_e32 v13, v13, v19
	;; [unrolled: 1-line block ×4, first 2 shown]
	v_sub_f32_e32 v18, v16, v29
	v_mul_f32_e32 v13, v27, v13
	v_sub_f32_e32 v18, v28, v18
	v_add_f32_e32 v19, v18, v13
	v_add_f32_e32 v20, v16, v19
	v_cvt_f32_i32_e32 v18, v26
	v_mul_f32_e32 v22, v20, v20
	v_fmamk_f32 v13, v22, 0x3e9b6dac, v53
	v_sub_f32_e32 v16, v20, v16
	v_fmaak_f32 v13, v22, v13, 0x3f2aaada
	v_sub_f32_e32 v16, v19, v16
	v_mul_f32_e32 v19, v20, v22
	v_pk_mul_f32 v[22:23], v[18:19], v[12:13]
	v_ldexp_f32 v21, v20, 1
	v_fma_f32 v20, v18, s89, -v22
	v_fmac_f32_e32 v20, 0xb102e308, v18
	v_pk_add_f32 v[18:19], v[22:23], v[20:21]
	v_ldexp_f32 v16, v16, 1
	v_sub_f32_e32 v13, v19, v21
	v_sub_f32_e32 v13, v23, v13
	v_add_f32_e32 v25, v16, v13
	v_mov_b32_e32 v24, v22
	v_pk_add_f32 v[22:23], v[18:19], v[22:23] neg_lo:[0,1] neg_hi:[0,1]
	v_pk_add_f32 v[26:27], v[18:19], v[24:25]
	v_mov_b32_e32 v21, v18
	v_mov_b32_e32 v23, v27
	v_pk_add_f32 v[28:29], v[20:21], v[22:23] neg_lo:[0,1] neg_hi:[0,1]
	v_pk_add_f32 v[20:21], v[20:21], v[22:23]
	s_or_b64 vcc, s[26:27], vcc
	v_mov_b32_e32 v16, v21
	v_pk_add_f32 v[22:23], v[16:17], v[18:19] neg_lo:[0,1] neg_hi:[0,1]
	v_mov_b32_e32 v20, v27
	v_mov_b32_e32 v13, v22
	v_pk_add_f32 v[30:31], v[26:27], v[12:13] neg_lo:[0,1] neg_hi:[0,1]
	v_mov_b32_e32 v26, v19
	v_mov_b32_e32 v27, v22
	;; [unrolled: 1-line block ×3, first 2 shown]
	v_pk_add_f32 v[20:21], v[20:21], v[26:27] neg_lo:[0,1] neg_hi:[0,1]
	v_mov_b32_e32 v22, v25
	v_mov_b32_e32 v23, v18
	v_pk_add_f32 v[18:19], v[22:23], v[20:21] neg_lo:[0,1] neg_hi:[0,1]
	v_mov_b32_e32 v30, v28
	v_pk_add_f32 v[20:21], v[30:31], v[18:19]
	s_nop 0
	v_mov_b32_e32 v22, v21
	v_pk_add_f32 v[22:23], v[20:21], v[22:23]
	s_nop 0
	v_pk_add_f32 v[24:25], v[16:17], v[22:23]
	v_mov_b32_e32 v19, v22
	v_mov_b32_e32 v21, v24
	v_pk_add_f32 v[26:27], v[20:21], v[28:29] neg_lo:[0,1] neg_hi:[0,1]
	s_nop 0
	v_sub_f32_e32 v13, v20, v26
	v_pk_add_f32 v[18:19], v[18:19], v[26:27] neg_lo:[0,1] neg_hi:[0,1]
	v_sub_f32_e32 v13, v28, v13
	v_add_f32_e32 v13, v18, v13
	v_add_f32_e32 v13, v13, v19
	;; [unrolled: 1-line block ×3, first 2 shown]
	v_cndmask_b32_e32 v58, v13, v32, vcc
.LBB64_29:                              ;   in Loop: Header=BB64_11 Depth=1
	s_or_b64 exec, exec, s[28:29]
	v_cvt_f32_f16_e32 v13, v17
	v_add_f32_e32 v19, s33, v13
	v_cmp_ge_f32_e32 vcc, s83, v19
	s_and_b64 s[26:27], s[58:59], vcc
	s_and_saveexec_b64 s[28:29], s[26:27]
	s_cbranch_execz .LBB64_31
; %bb.30:                               ;   in Loop: Header=BB64_11 Depth=1
	v_mul_f32_e32 v13, 0x3fb8aa3b, v19
	v_rndne_f32_e32 v16, v13
	v_sub_f32_e32 v18, v13, v16
	v_fma_f32 v13, v19, s84, -v13
	v_fmac_f32_e32 v13, 0x32a5705f, v19
	v_add_f32_e32 v13, v18, v13
	v_cvt_i32_f32_e32 v16, v16
	v_exp_f32_e32 v13, v13
	v_cmp_ngt_f32_e32 vcc, s85, v19
	v_ldexp_f32 v13, v13, v16
	s_nop 0
	v_cndmask_b32_e32 v13, 0, v13, vcc
	v_cmp_nlt_f32_e32 vcc, s86, v19
	s_nop 1
	v_cndmask_b32_e32 v32, v54, v13, vcc
	v_add_f32_e32 v13, 1.0, v32
	v_add_f32_e32 v16, -1.0, v13
	v_sub_f32_e32 v18, v16, v13
	v_add_f32_e32 v18, 1.0, v18
	v_sub_f32_e32 v16, v32, v16
	v_add_f32_e32 v16, v16, v18
	v_frexp_mant_f32_e32 v20, v13
	v_cvt_f64_f32_e32 v[18:19], v13
	v_frexp_exp_i32_f64_e32 v18, v[18:19]
	v_cmp_gt_f32_e32 vcc, s88, v20
	v_cmp_gt_f32_e64 s[26:27], s90, v32
	s_nop 0
	v_subbrev_co_u32_e32 v26, vcc, 0, v18, vcc
	v_sub_u32_e32 v18, 0, v26
	v_ldexp_f32 v13, v13, v18
	v_ldexp_f32 v16, v16, v18
	v_add_f32_e32 v18, -1.0, v13
	v_add_f32_e32 v19, 1.0, v18
	v_sub_f32_e32 v19, v13, v19
	v_add_f32_e32 v20, v16, v19
	v_add_f32_e32 v19, 1.0, v13
	v_add_f32_e32 v21, -1.0, v19
	v_sub_f32_e32 v13, v13, v21
	v_add_f32_e32 v13, v16, v13
	v_add_f32_e32 v16, v19, v13
	v_rcp_f32_e32 v27, v16
	v_sub_f32_e32 v19, v19, v16
	v_add_f32_e32 v13, v13, v19
	v_add_f32_e32 v19, v18, v20
	v_sub_f32_e32 v18, v18, v19
	v_mul_f32_e32 v29, v19, v27
	v_add_f32_e32 v28, v20, v18
	v_mul_f32_e32 v20, v16, v29
	v_fma_f32 v22, v29, v16, -v20
	v_fmac_f32_e32 v22, v29, v13
	v_add_f32_e32 v18, v20, v22
	v_sub_f32_e32 v21, v19, v18
	v_pk_add_f32 v[24:25], v[18:19], v[20:21] neg_lo:[0,1] neg_hi:[0,1]
	v_mov_b32_e32 v23, v18
	v_pk_add_f32 v[18:19], v[24:25], v[22:23] neg_lo:[0,1] neg_hi:[0,1]
	v_cmp_eq_f32_e32 vcc, s87, v32
	v_add_f32_e32 v19, v28, v19
	v_add_f32_e32 v18, v18, v19
	;; [unrolled: 1-line block ×3, first 2 shown]
	v_mul_f32_e32 v28, v27, v19
	v_mul_f32_e32 v20, v16, v28
	v_fma_f32 v22, v28, v16, -v20
	v_fmac_f32_e32 v22, v28, v13
	v_sub_f32_e32 v13, v21, v19
	v_add_f32_e32 v13, v18, v13
	v_add_f32_e32 v18, v20, v22
	v_sub_f32_e32 v21, v19, v18
	v_pk_add_f32 v[24:25], v[18:19], v[20:21] neg_lo:[0,1] neg_hi:[0,1]
	v_mov_b32_e32 v23, v18
	v_pk_add_f32 v[18:19], v[24:25], v[22:23] neg_lo:[0,1] neg_hi:[0,1]
	v_add_f32_e32 v16, v29, v28
	v_add_f32_e32 v13, v13, v19
	;; [unrolled: 1-line block ×4, first 2 shown]
	v_sub_f32_e32 v18, v16, v29
	v_mul_f32_e32 v13, v27, v13
	v_sub_f32_e32 v18, v28, v18
	v_add_f32_e32 v19, v18, v13
	v_add_f32_e32 v20, v16, v19
	v_cvt_f32_i32_e32 v18, v26
	v_mul_f32_e32 v22, v20, v20
	v_fmamk_f32 v13, v22, 0x3e9b6dac, v53
	v_sub_f32_e32 v16, v20, v16
	v_fmaak_f32 v13, v22, v13, 0x3f2aaada
	v_sub_f32_e32 v16, v19, v16
	v_mul_f32_e32 v19, v20, v22
	v_pk_mul_f32 v[22:23], v[18:19], v[12:13]
	v_ldexp_f32 v21, v20, 1
	v_fma_f32 v20, v18, s89, -v22
	v_fmac_f32_e32 v20, 0xb102e308, v18
	v_pk_add_f32 v[18:19], v[22:23], v[20:21]
	v_ldexp_f32 v16, v16, 1
	v_sub_f32_e32 v13, v19, v21
	v_sub_f32_e32 v13, v23, v13
	v_add_f32_e32 v25, v16, v13
	v_mov_b32_e32 v24, v22
	v_pk_add_f32 v[22:23], v[18:19], v[22:23] neg_lo:[0,1] neg_hi:[0,1]
	v_pk_add_f32 v[26:27], v[18:19], v[24:25]
	v_mov_b32_e32 v21, v18
	v_mov_b32_e32 v23, v27
	v_pk_add_f32 v[28:29], v[20:21], v[22:23] neg_lo:[0,1] neg_hi:[0,1]
	v_pk_add_f32 v[20:21], v[20:21], v[22:23]
	s_or_b64 vcc, s[26:27], vcc
	v_mov_b32_e32 v16, v21
	v_pk_add_f32 v[22:23], v[16:17], v[18:19] neg_lo:[0,1] neg_hi:[0,1]
	v_mov_b32_e32 v20, v27
	v_mov_b32_e32 v13, v22
	v_pk_add_f32 v[30:31], v[26:27], v[12:13] neg_lo:[0,1] neg_hi:[0,1]
	v_mov_b32_e32 v26, v19
	v_mov_b32_e32 v27, v22
	;; [unrolled: 1-line block ×3, first 2 shown]
	v_pk_add_f32 v[20:21], v[20:21], v[26:27] neg_lo:[0,1] neg_hi:[0,1]
	v_mov_b32_e32 v22, v25
	v_mov_b32_e32 v23, v18
	v_pk_add_f32 v[18:19], v[22:23], v[20:21] neg_lo:[0,1] neg_hi:[0,1]
	v_mov_b32_e32 v30, v28
	v_pk_add_f32 v[20:21], v[30:31], v[18:19]
	s_nop 0
	v_mov_b32_e32 v22, v21
	v_pk_add_f32 v[22:23], v[20:21], v[22:23]
	s_nop 0
	v_pk_add_f32 v[24:25], v[16:17], v[22:23]
	v_mov_b32_e32 v19, v22
	v_mov_b32_e32 v21, v24
	v_pk_add_f32 v[26:27], v[20:21], v[28:29] neg_lo:[0,1] neg_hi:[0,1]
	s_nop 0
	v_sub_f32_e32 v13, v20, v26
	v_pk_add_f32 v[18:19], v[18:19], v[26:27] neg_lo:[0,1] neg_hi:[0,1]
	v_sub_f32_e32 v13, v28, v13
	v_add_f32_e32 v13, v18, v13
	v_add_f32_e32 v13, v13, v19
	;; [unrolled: 1-line block ×3, first 2 shown]
	v_cndmask_b32_e32 v19, v13, v32, vcc
.LBB64_31:                              ;   in Loop: Header=BB64_11 Depth=1
	s_or_b64 exec, exec, s[28:29]
	v_cvt_f32_f16_sdwa v13, v17 dst_sel:DWORD dst_unused:UNUSED_PAD src0_sel:WORD_1
	v_add_f32_e32 v18, s33, v13
	v_cmp_ge_f32_e32 vcc, s83, v18
	s_and_b64 s[26:27], s[58:59], vcc
	s_and_saveexec_b64 s[28:29], s[26:27]
	s_cbranch_execz .LBB64_33
; %bb.32:                               ;   in Loop: Header=BB64_11 Depth=1
	v_mul_f32_e32 v13, 0x3fb8aa3b, v18
	v_rndne_f32_e32 v16, v13
	v_sub_f32_e32 v17, v13, v16
	v_fma_f32 v13, v18, s84, -v13
	v_fmac_f32_e32 v13, 0x32a5705f, v18
	v_add_f32_e32 v13, v17, v13
	v_cvt_i32_f32_e32 v16, v16
	v_exp_f32_e32 v13, v13
	v_cmp_ngt_f32_e32 vcc, s85, v18
	v_ldexp_f32 v13, v13, v16
	s_nop 0
	v_cndmask_b32_e32 v13, 0, v13, vcc
	v_cmp_nlt_f32_e32 vcc, s86, v18
	s_nop 1
	v_cndmask_b32_e32 v32, v54, v13, vcc
	v_add_f32_e32 v13, 1.0, v32
	v_add_f32_e32 v16, -1.0, v13
	v_sub_f32_e32 v17, v16, v13
	v_add_f32_e32 v17, 1.0, v17
	v_sub_f32_e32 v16, v32, v16
	v_add_f32_e32 v18, v16, v17
	v_frexp_mant_f32_e32 v20, v13
	v_cvt_f64_f32_e32 v[16:17], v13
	v_frexp_exp_i32_f64_e32 v16, v[16:17]
	v_cmp_gt_f32_e32 vcc, s88, v20
	v_cmp_gt_f32_e64 s[26:27], s90, v32
	s_nop 0
	v_subbrev_co_u32_e32 v26, vcc, 0, v16, vcc
	v_sub_u32_e32 v16, 0, v26
	v_ldexp_f32 v13, v13, v16
	v_ldexp_f32 v16, v18, v16
	v_add_f32_e32 v18, -1.0, v13
	v_add_f32_e32 v17, 1.0, v18
	v_sub_f32_e32 v17, v13, v17
	v_add_f32_e32 v20, v16, v17
	v_add_f32_e32 v17, 1.0, v13
	v_add_f32_e32 v21, -1.0, v17
	v_sub_f32_e32 v13, v13, v21
	v_add_f32_e32 v13, v16, v13
	v_add_f32_e32 v27, v17, v13
	v_rcp_f32_e32 v28, v27
	v_sub_f32_e32 v16, v17, v27
	v_add_f32_e32 v17, v18, v20
	v_add_f32_e32 v13, v13, v16
	v_sub_f32_e32 v16, v18, v17
	v_mul_f32_e32 v29, v17, v28
	v_add_f32_e32 v18, v20, v16
	v_mul_f32_e32 v20, v27, v29
	v_fma_f32 v22, v29, v27, -v20
	v_fmac_f32_e32 v22, v29, v13
	v_add_f32_e32 v16, v20, v22
	v_sub_f32_e32 v21, v17, v16
	v_pk_add_f32 v[24:25], v[16:17], v[20:21] neg_lo:[0,1] neg_hi:[0,1]
	v_mov_b32_e32 v23, v16
	v_pk_add_f32 v[16:17], v[24:25], v[22:23] neg_lo:[0,1] neg_hi:[0,1]
	v_cmp_eq_f32_e32 vcc, s87, v32
	v_add_f32_e32 v17, v18, v17
	v_add_f32_e32 v16, v16, v17
	v_add_f32_e32 v17, v21, v16
	v_mul_f32_e32 v18, v28, v17
	v_mul_f32_e32 v20, v27, v18
	v_fma_f32 v22, v18, v27, -v20
	v_fmac_f32_e32 v22, v18, v13
	v_sub_f32_e32 v13, v21, v17
	v_add_f32_e32 v13, v16, v13
	v_add_f32_e32 v16, v20, v22
	v_sub_f32_e32 v21, v17, v16
	v_pk_add_f32 v[24:25], v[16:17], v[20:21] neg_lo:[0,1] neg_hi:[0,1]
	v_mov_b32_e32 v23, v16
	v_pk_add_f32 v[16:17], v[24:25], v[22:23] neg_lo:[0,1] neg_hi:[0,1]
	s_or_b64 vcc, s[26:27], vcc
	v_add_f32_e32 v13, v13, v17
	v_add_f32_e32 v13, v16, v13
	;; [unrolled: 1-line block ×4, first 2 shown]
	v_sub_f32_e32 v16, v17, v29
	v_mul_f32_e32 v13, v28, v13
	v_sub_f32_e32 v16, v18, v16
	v_add_f32_e32 v18, v16, v13
	v_add_f32_e32 v20, v17, v18
	v_cvt_f32_i32_e32 v16, v26
	v_mul_f32_e32 v22, v20, v20
	v_sub_f32_e32 v17, v20, v17
	v_fmamk_f32 v13, v22, 0x3e9b6dac, v53
	v_sub_f32_e32 v17, v18, v17
	v_fmaak_f32 v13, v22, v13, 0x3f2aaada
	v_ldexp_f32 v18, v17, 1
	v_mul_f32_e32 v17, v20, v22
	v_pk_mul_f32 v[22:23], v[16:17], v[12:13]
	v_ldexp_f32 v21, v20, 1
	v_fma_f32 v20, v16, s89, -v22
	v_fmac_f32_e32 v20, 0xb102e308, v16
	v_pk_add_f32 v[16:17], v[22:23], v[20:21]
	v_mov_b32_e32 v24, v22
	v_sub_f32_e32 v13, v17, v21
	v_sub_f32_e32 v13, v23, v13
	v_add_f32_e32 v25, v18, v13
	v_pk_add_f32 v[22:23], v[16:17], v[22:23] neg_lo:[0,1] neg_hi:[0,1]
	v_pk_add_f32 v[26:27], v[16:17], v[24:25]
	v_mov_b32_e32 v21, v16
	v_mov_b32_e32 v23, v27
	v_pk_add_f32 v[28:29], v[20:21], v[22:23] neg_lo:[0,1] neg_hi:[0,1]
	v_pk_add_f32 v[20:21], v[20:21], v[22:23]
	s_nop 0
	v_mov_b32_e32 v18, v21
	v_pk_add_f32 v[22:23], v[18:19], v[16:17] neg_lo:[0,1] neg_hi:[0,1]
	v_mov_b32_e32 v20, v27
	v_mov_b32_e32 v13, v22
	v_pk_add_f32 v[30:31], v[26:27], v[12:13] neg_lo:[0,1] neg_hi:[0,1]
	v_mov_b32_e32 v26, v17
	v_mov_b32_e32 v27, v22
	;; [unrolled: 1-line block ×3, first 2 shown]
	v_pk_add_f32 v[20:21], v[20:21], v[26:27] neg_lo:[0,1] neg_hi:[0,1]
	v_mov_b32_e32 v22, v25
	v_mov_b32_e32 v23, v16
	v_pk_add_f32 v[16:17], v[22:23], v[20:21] neg_lo:[0,1] neg_hi:[0,1]
	v_mov_b32_e32 v30, v28
	v_pk_add_f32 v[20:21], v[30:31], v[16:17]
	s_nop 0
	v_mov_b32_e32 v22, v21
	v_pk_add_f32 v[22:23], v[20:21], v[22:23]
	s_nop 0
	v_pk_add_f32 v[24:25], v[18:19], v[22:23]
	v_mov_b32_e32 v17, v22
	v_mov_b32_e32 v21, v24
	v_pk_add_f32 v[26:27], v[20:21], v[28:29] neg_lo:[0,1] neg_hi:[0,1]
	s_nop 0
	v_sub_f32_e32 v13, v20, v26
	v_pk_add_f32 v[16:17], v[16:17], v[26:27] neg_lo:[0,1] neg_hi:[0,1]
	v_sub_f32_e32 v13, v28, v13
	v_add_f32_e32 v13, v16, v13
	v_add_f32_e32 v13, v13, v17
	;; [unrolled: 1-line block ×3, first 2 shown]
	v_cndmask_b32_e32 v18, v13, v32, vcc
.LBB64_33:                              ;   in Loop: Header=BB64_11 Depth=1
	s_or_b64 exec, exec, s[28:29]
	v_cvt_f32_f16_e32 v24, v15
	v_cvt_f32_f16_sdwa v25, v14 dst_sel:DWORD dst_unused:UNUSED_PAD src0_sel:WORD_1
	v_cvt_f32_f16_e32 v26, v14
	v_cvt_f32_f16_sdwa v13, v15 dst_sel:DWORD dst_unused:UNUSED_PAD src0_sel:WORD_1
	v_mul_f32_e32 v14, s76, v24
	v_mul_f32_e32 v17, s76, v25
	;; [unrolled: 1-line block ×4, first 2 shown]
	s_and_b64 vcc, exec, s[60:61]
	s_waitcnt lgkmcnt(0)
	; wave barrier
	s_cbranch_vccz .LBB64_75
; %bb.34:                               ;   in Loop: Header=BB64_11 Depth=1
	s_cmp_lg_u32 s97, 0
	s_cselect_b64 s[64:65], -1, 0
	s_cmp_eq_u32 s97, s82
	v_cmp_gt_u32_e32 vcc, s34, v11
	s_cselect_b64 s[66:67], -1, 0
	s_or_b64 s[26:27], s[54:55], vcc
	v_cmp_gt_u32_e32 vcc, s34, v10
	s_mov_b32 s56, 0
	v_cmp_gt_u32_e64 s[28:29], s34, v3
	s_or_b64 s[30:31], s[54:55], vcc
	v_cmp_gt_u32_e32 vcc, s34, v52
	v_mul_f32_e32 v13, v18, v13
	v_lshl_add_u64 v[20:21], s[42:43], 0, v[0:1]
	v_lshl_add_u64 v[22:23], s[46:47], 0, v[0:1]
	v_mul_f32_e32 v59, v19, v24
	v_mul_f32_e32 v60, v58, v25
	;; [unrolled: 1-line block ×3, first 2 shown]
	s_or_b64 s[28:29], s[54:55], s[28:29]
	s_or_b64 s[34:35], s[54:55], vcc
	s_mov_b32 s68, s56
	s_mov_b32 s70, s56
	;; [unrolled: 1-line block ×5, first 2 shown]
	s_branch .LBB64_36
.LBB64_35:                              ;   in Loop: Header=BB64_36 Depth=2
	s_or_b64 exec, exec, s[36:37]
	v_mul_f32_e32 v26, v33, v32
	v_fma_f32 v27, v33, v35, v28
	v_cndmask_b32_e64 v28, v27, v28, s[16:17]
	v_cndmask_b32_e64 v26, v26, v33, s[16:17]
	s_waitcnt lgkmcnt(0)
	v_fmac_f32_e32 v28, v38, v26
	v_fmac_f32_e32 v29, v28, v31
	v_cvt_f32_f16_sdwa v27, v25 dst_sel:DWORD dst_unused:UNUSED_PAD src0_sel:WORD_1
	v_cvt_f32_f16_e32 v26, v25
	v_cvt_f32_f16_sdwa v25, v24 dst_sel:DWORD dst_unused:UNUSED_PAD src0_sel:WORD_1
	v_cvt_f32_f16_e32 v24, v24
	v_fmac_f32_e32 v30, v29, v37
	v_fmac_f32_e32 v34, v30, v36
	v_mov_b32_e32 v31, v34
	s_add_i32 s98, s98, 8
	s_add_i32 s63, s63, -1
	s_add_i32 s72, s72, s78
	s_add_i32 s70, s70, s48
	;; [unrolled: 1-line block ×4, first 2 shown]
	v_pk_fma_f32 v[14:15], v[30:31], v[26:27], v[14:15]
	s_cmp_eq_u32 s63, 0
	v_pk_fma_f32 v[16:17], v[28:29], v[24:25], v[16:17]
	s_cbranch_scc1 .LBB64_75
.LBB64_36:                              ;   Parent Loop BB64_11 Depth=1
                                        ; =>  This Inner Loop Header: Depth=2
	s_lshl_b64 s[36:37], s[56:57], 2
	s_add_u32 s36, s40, s36
	s_addc_u32 s37, s80, s37
	global_load_dword v30, v1, s[36:37]
	s_mov_b32 s69, s57
	v_lshl_add_u64 v[24:25], s[68:69], 1, v[20:21]
	v_mov_b32_e32 v26, 0
	v_mov_b32_e32 v27, 0
	s_and_saveexec_b64 s[36:37], s[18:19]
	s_cbranch_execnz .LBB64_48
; %bb.37:                               ;   in Loop: Header=BB64_36 Depth=2
	s_or_b64 exec, exec, s[36:37]
	s_and_saveexec_b64 s[36:37], s[20:21]
	s_cbranch_execnz .LBB64_49
.LBB64_38:                              ;   in Loop: Header=BB64_36 Depth=2
	s_or_b64 exec, exec, s[36:37]
	v_mov_b32_e32 v28, 0
	s_and_saveexec_b64 s[36:37], s[22:23]
	s_cbranch_execnz .LBB64_50
.LBB64_39:                              ;   in Loop: Header=BB64_36 Depth=2
	s_or_b64 exec, exec, s[36:37]
	s_and_saveexec_b64 s[36:37], s[24:25]
	s_cbranch_execz .LBB64_41
.LBB64_40:                              ;   in Loop: Header=BB64_36 Depth=2
	global_load_ushort v24, v[24:25], off offset:384
	s_waitcnt vmcnt(0)
	v_lshl_or_b32 v28, v24, 16, v28
.LBB64_41:                              ;   in Loop: Header=BB64_36 Depth=2
	s_or_b64 exec, exec, s[36:37]
	s_waitcnt vmcnt(0)
	ds_write_b16 v43, v27
	ds_write_b16 v44, v26 offset:128
	ds_write_b16 v45, v28 offset:256
	ds_write_b16_d16_hi v46, v28 offset:384
	; wave barrier
	ds_read_b64 v[28:29], v47
	s_mov_b32 s71, s57
	v_lshl_add_u64 v[24:25], s[70:71], 1, v[22:23]
	v_mov_b32_e32 v26, 0
	v_mov_b32_e32 v27, 0
	s_and_saveexec_b64 s[36:37], s[18:19]
	s_cbranch_execnz .LBB64_51
; %bb.42:                               ;   in Loop: Header=BB64_36 Depth=2
	s_or_b64 exec, exec, s[36:37]
	s_and_saveexec_b64 s[36:37], s[20:21]
	s_cbranch_execnz .LBB64_52
.LBB64_43:                              ;   in Loop: Header=BB64_36 Depth=2
	s_or_b64 exec, exec, s[36:37]
	v_mov_b32_e32 v31, 0
	s_and_saveexec_b64 s[36:37], s[22:23]
	s_cbranch_execnz .LBB64_53
.LBB64_44:                              ;   in Loop: Header=BB64_36 Depth=2
	s_or_b64 exec, exec, s[36:37]
	s_and_saveexec_b64 s[36:37], s[24:25]
	s_cbranch_execz .LBB64_46
.LBB64_45:                              ;   in Loop: Header=BB64_36 Depth=2
	global_load_ushort v24, v[24:25], off offset:384
	s_waitcnt vmcnt(0)
	v_lshl_or_b32 v31, v24, 16, v31
.LBB64_46:                              ;   in Loop: Header=BB64_36 Depth=2
	s_or_b64 exec, exec, s[36:37]
	s_waitcnt vmcnt(0)
	ds_write_b16 v43, v27 offset:528
	ds_write_b16 v48, v26 offset:128
	;; [unrolled: 1-line block ×3, first 2 shown]
	ds_write_b16_d16_hi v50, v31 offset:384
	; wave barrier
	ds_read_b64 v[24:25], v47 offset:528
	s_andn2_b64 vcc, exec, s[64:65]
	s_cbranch_vccnz .LBB64_54
; %bb.47:                               ;   in Loop: Header=BB64_36 Depth=2
	v_mov_b32_e32 v26, s98
	ds_read_b64 v[26:27], v26
	s_cbranch_execz .LBB64_55
	s_branch .LBB64_58
.LBB64_48:                              ;   in Loop: Header=BB64_36 Depth=2
	global_load_ushort v27, v[24:25], off
	s_or_b64 exec, exec, s[36:37]
	s_and_saveexec_b64 s[36:37], s[20:21]
	s_cbranch_execz .LBB64_38
.LBB64_49:                              ;   in Loop: Header=BB64_36 Depth=2
	global_load_ushort v26, v[24:25], off offset:128
	s_or_b64 exec, exec, s[36:37]
	v_mov_b32_e32 v28, 0
	s_and_saveexec_b64 s[36:37], s[22:23]
	s_cbranch_execz .LBB64_39
.LBB64_50:                              ;   in Loop: Header=BB64_36 Depth=2
	global_load_ushort v28, v[24:25], off offset:256
	s_or_b64 exec, exec, s[36:37]
	s_and_saveexec_b64 s[36:37], s[24:25]
	s_cbranch_execnz .LBB64_40
	s_branch .LBB64_41
.LBB64_51:                              ;   in Loop: Header=BB64_36 Depth=2
	global_load_ushort v27, v[24:25], off
	s_or_b64 exec, exec, s[36:37]
	s_and_saveexec_b64 s[36:37], s[20:21]
	s_cbranch_execz .LBB64_43
.LBB64_52:                              ;   in Loop: Header=BB64_36 Depth=2
	global_load_ushort v26, v[24:25], off offset:128
	s_or_b64 exec, exec, s[36:37]
	v_mov_b32_e32 v31, 0
	s_and_saveexec_b64 s[36:37], s[22:23]
	s_cbranch_execz .LBB64_44
.LBB64_53:                              ;   in Loop: Header=BB64_36 Depth=2
	global_load_ushort v31, v[24:25], off offset:256
	s_or_b64 exec, exec, s[36:37]
	s_and_saveexec_b64 s[36:37], s[24:25]
	s_cbranch_execnz .LBB64_45
	s_branch .LBB64_46
.LBB64_54:                              ;   in Loop: Header=BB64_36 Depth=2
                                        ; implicit-def: $vgpr27
.LBB64_55:                              ;   in Loop: Header=BB64_36 Depth=2
	s_andn2_b64 vcc, exec, s[38:39]
	s_waitcnt lgkmcnt(0)
	v_mov_b32_e32 v27, 0
	s_cbranch_vccnz .LBB64_57
; %bb.56:                               ;   in Loop: Header=BB64_36 Depth=2
	s_mov_b32 s73, s57
	s_lshl_b64 s[36:37], s[72:73], 1
	s_add_u32 s36, s45, s36
	s_addc_u32 s37, s49, s37
	global_load_ushort v26, v1, s[36:37]
	s_waitcnt vmcnt(0)
	v_cvt_f32_f16_e32 v27, v26
.LBB64_57:                              ;   in Loop: Header=BB64_36 Depth=2
	v_mov_b32_e32 v26, 1.0
.LBB64_58:                              ;   in Loop: Header=BB64_36 Depth=2
	v_mul_f32_e32 v30, 0x3fb8aa3b, v30
	s_waitcnt lgkmcnt(5)
	v_cvt_f32_f16_e32 v31, v28
	v_cvt_f32_f16_sdwa v32, v28 dst_sel:DWORD dst_unused:UNUSED_PAD src0_sel:WORD_1
	v_mul_f32_e32 v28, v30, v57
	v_cmp_gt_f32_e32 vcc, s92, v28
	v_cvt_f32_f16_e32 v36, v29
	v_cvt_f32_f16_sdwa v37, v29 dst_sel:DWORD dst_unused:UNUSED_PAD src0_sel:WORD_1
	v_cndmask_b32_e32 v28, 0, v55, vcc
	v_fmac_f32_e32 v28, v30, v57
	v_exp_f32_e32 v28, v28
	v_cndmask_b32_e32 v29, 1.0, v56, vcc
	v_mul_f32_e32 v29, v28, v29
	v_mul_f32_e32 v28, v61, v31
	;; [unrolled: 1-line block ×3, first 2 shown]
	v_cmp_gt_f32_e32 vcc, s92, v31
	v_cndmask_b32_e64 v33, 1.0, v29, s[26:27]
	v_cndmask_b32_e64 v28, 0, v28, s[26:27]
	v_cndmask_b32_e32 v31, 0, v55, vcc
	v_fmac_f32_e32 v31, v30, v58
	v_exp_f32_e32 v31, v31
	v_cndmask_b32_e32 v29, 1.0, v56, vcc
	v_mul_f32_e32 v31, v31, v29
	v_pk_mul_f32 v[34:35], v[30:31], v[18:19] op_sel_hi:[0,1]
	v_cmp_gt_f32_e32 vcc, s92, v34
	v_mul_f32_e32 v29, v60, v32
	v_cmp_gt_f32_e64 s[36:37], s92, v35
	v_cndmask_b32_e32 v32, 0, v55, vcc
	v_add_f32_e32 v32, v34, v32
	v_cndmask_b32_e64 v34, 0, v55, s[36:37]
	v_exp_f32_e32 v32, v32
	v_add_f32_e32 v34, v35, v34
	v_exp_f32_e32 v34, v34
	v_cndmask_b32_e32 v35, 1.0, v56, vcc
	v_mul_f32_e32 v32, v32, v35
	v_cndmask_b32_e64 v35, 1.0, v56, s[36:37]
	v_cndmask_b32_e64 v29, 0, v29, s[28:29]
	v_cndmask_b32_e64 v31, 1.0, v31, s[28:29]
	v_mul_f32_e32 v35, v34, v35
	v_mul_f32_e32 v30, v59, v36
	v_mul_f32_e32 v34, v13, v37
	v_cndmask_b32_e64 v37, 1.0, v35, s[30:31]
	v_cndmask_b32_e64 v36, 1.0, v32, s[34:35]
	v_fma_f32 v32, v31, v28, v29
	v_cndmask_b32_e64 v30, 0, v30, s[30:31]
	v_mul_f32_e32 v32, v32, v37
	v_pk_add_f32 v[38:39], v[32:33], v[30:31]
	v_pk_mul_f32 v[62:63], v[32:33], v[30:31]
	v_cndmask_b32_e64 v34, 0, v34, s[34:35]
	v_mov_b32_e32 v39, v63
	v_pk_mul_f32 v[62:63], v[38:39], v[36:37]
	v_mov_b32_e32 v35, v36
	v_pk_fma_f32 v[64:65], v[38:39], v[36:37], v[34:35]
	v_pk_mul_f32 v[62:63], v[62:63], v[34:35]
	s_nop 0
	v_mov_b32_dpp v35, v64 row_shr:1 row_mask:0xf bank_mask:0xf
	v_mov_b32_dpp v32, v63 row_shr:1 row_mask:0xf bank_mask:0xf
	v_mul_f32_e32 v62, v63, v32
	v_fma_f32 v32, v63, v35, v64
	v_cndmask_b32_e64 v39, v32, v64, s[0:1]
	v_cndmask_b32_e64 v32, v32, v64, s[0:1]
	;; [unrolled: 1-line block ×4, first 2 shown]
	v_mov_b32_dpp v63, v32 row_shr:2 row_mask:0xf bank_mask:0xf
	v_mov_b32_dpp v62, v35 row_shr:2 row_mask:0xf bank_mask:0xf
	s_and_saveexec_b64 s[36:37], s[2:3]
; %bb.59:                               ;   in Loop: Header=BB64_36 Depth=2
	v_fmac_f32_e32 v32, v35, v63
	v_mul_f32_e32 v35, v35, v62
	v_mov_b32_e32 v38, v35
	v_mov_b32_e32 v39, v32
; %bb.60:                               ;   in Loop: Header=BB64_36 Depth=2
	s_or_b64 exec, exec, s[36:37]
	v_mov_b32_dpp v62, v35 row_shr:4 row_mask:0xf bank_mask:0xf
	v_mov_b32_dpp v63, v32 row_shr:4 row_mask:0xf bank_mask:0xf
	s_and_saveexec_b64 s[36:37], s[4:5]
; %bb.61:                               ;   in Loop: Header=BB64_36 Depth=2
	v_fmac_f32_e32 v32, v35, v63
	v_mul_f32_e32 v35, v35, v62
	v_mov_b32_e32 v38, v35
	v_mov_b32_e32 v39, v32
; %bb.62:                               ;   in Loop: Header=BB64_36 Depth=2
	s_or_b64 exec, exec, s[36:37]
	;; [unrolled: 10-line block ×3, first 2 shown]
	v_mov_b32_dpp v62, v35 row_bcast:15 row_mask:0xf bank_mask:0xf
	v_mov_b32_dpp v63, v32 row_bcast:15 row_mask:0xf bank_mask:0xf
	s_and_saveexec_b64 s[36:37], s[8:9]
; %bb.65:                               ;   in Loop: Header=BB64_36 Depth=2
	v_fmac_f32_e32 v32, v35, v63
	v_mul_f32_e32 v35, v35, v62
	v_mov_b32_e32 v38, v35
	v_mov_b32_e32 v39, v32
; %bb.66:                               ;   in Loop: Header=BB64_36 Depth=2
	s_or_b64 exec, exec, s[36:37]
	v_mov_b32_dpp v62, v35 row_bcast:31 row_mask:0xf bank_mask:0xf
	v_mov_b32_dpp v63, v32 row_bcast:31 row_mask:0xf bank_mask:0xf
	v_mul_f32_e32 v62, v35, v62
	v_fmac_f32_e32 v32, v35, v63
	v_cndmask_b32_e64 v38, v38, v62, s[10:11]
	v_cndmask_b32_e64 v39, v39, v32, s[10:11]
	s_and_saveexec_b64 s[36:37], s[12:13]
	s_cbranch_execz .LBB64_68
; %bb.67:                               ;   in Loop: Header=BB64_36 Depth=2
	ds_write_b64 v1, v[38:39] offset:1056
.LBB64_68:                              ;   in Loop: Header=BB64_36 Depth=2
	s_or_b64 exec, exec, s[36:37]
	ds_bpermute_b32 v32, v51, v38
	ds_bpermute_b32 v35, v51, v39
	s_waitcnt lgkmcnt(2)
	v_mov_b32_e32 v39, v27
	s_waitcnt lgkmcnt(0)
	; wave barrier
	s_waitcnt lgkmcnt(0)
	s_and_saveexec_b64 s[36:37], s[14:15]
	s_cbranch_execz .LBB64_72
; %bb.69:                               ;   in Loop: Header=BB64_36 Depth=2
	ds_read_b64 v[38:39], v1 offset:1056
	s_and_saveexec_b64 s[74:75], s[16:17]
	s_cbranch_execz .LBB64_71
; %bb.70:                               ;   in Loop: Header=BB64_36 Depth=2
	ds_write_b64 v1, v[26:27] offset:1056
.LBB64_71:                              ;   in Loop: Header=BB64_36 Depth=2
	s_or_b64 exec, exec, s[74:75]
	s_waitcnt lgkmcnt(0)
	v_fmac_f32_e32 v39, v27, v38
	v_mul_f32_e32 v26, v26, v38
	v_mov_b32_e32 v27, v39
.LBB64_72:                              ;   in Loop: Header=BB64_36 Depth=2
	s_or_b64 exec, exec, s[36:37]
	s_waitcnt lgkmcnt(0)
	; wave barrier
	ds_read_b32 v38, v1 offset:1060
	s_and_saveexec_b64 s[36:37], s[16:17]
	s_cbranch_execz .LBB64_35
; %bb.73:                               ;   in Loop: Header=BB64_36 Depth=2
	v_mov_b32_e32 v62, s98
	s_andn2_b64 vcc, exec, s[66:67]
	ds_write_b64 v62, v[26:27]
	s_cbranch_vccnz .LBB64_35
; %bb.74:                               ;   in Loop: Header=BB64_36 Depth=2
	s_mov_b32 s73, s57
	v_cvt_f16_f32_e32 v26, v39
	s_lshl_b64 s[74:75], s[72:73], 1
	s_add_u32 s74, s45, s74
	s_addc_u32 s75, s49, s75
	global_store_short v1, v26, s[74:75]
	s_branch .LBB64_35
.LBB64_75:                              ;   in Loop: Header=BB64_11 Depth=1
	v_cvt_f16_f32_e32 v13, v16
	v_cvt_f16_f32_e32 v18, v14
	v_cvt_f16_f32_e32 v19, v15
	v_cvt_f16_f32_e32 v20, v17
	s_waitcnt lgkmcnt(0)
	; wave barrier
	v_pack_b32_f16 v19, v18, v19
	v_pack_b32_f16 v18, v13, v20
	ds_write_b64 v47, v[18:19]
	; wave barrier
	ds_read_u16 v21, v44 offset:128
	ds_read_u16 v20, v45 offset:256
	;; [unrolled: 1-line block ×3, first 2 shown]
	s_mov_b32 s63, s57
	v_lshl_add_u64 v[18:19], s[62:63], 1, v[4:5]
	s_and_saveexec_b64 s[26:27], s[18:19]
	s_cbranch_execnz .LBB64_94
; %bb.76:                               ;   in Loop: Header=BB64_11 Depth=1
	s_or_b64 exec, exec, s[26:27]
	s_and_saveexec_b64 s[26:27], s[20:21]
	s_cbranch_execnz .LBB64_95
.LBB64_77:                              ;   in Loop: Header=BB64_11 Depth=1
	s_or_b64 exec, exec, s[26:27]
	s_and_saveexec_b64 s[26:27], s[22:23]
	s_cbranch_execnz .LBB64_96
.LBB64_78:                              ;   in Loop: Header=BB64_11 Depth=1
	s_or_b64 exec, exec, s[26:27]
	s_and_saveexec_b64 s[26:27], s[24:25]
	s_cbranch_execz .LBB64_80
.LBB64_79:                              ;   in Loop: Header=BB64_11 Depth=1
	s_waitcnt lgkmcnt(0)
	global_store_short v[18:19], v13, off offset:384
.LBB64_80:                              ;   in Loop: Header=BB64_11 Depth=1
	s_or_b64 exec, exec, s[26:27]
	v_lshl_add_u64 v[18:19], s[62:63], 1, v[6:7]
	s_waitcnt lgkmcnt(0)
	v_mov_b32_e32 v13, 0
	v_mov_b32_e32 v20, 0
	s_waitcnt lgkmcnt(0)
	; wave barrier
	s_and_saveexec_b64 s[26:27], s[18:19]
	s_cbranch_execz .LBB64_82
; %bb.81:                               ;   in Loop: Header=BB64_11 Depth=1
	global_load_ushort v20, v[18:19], off
.LBB64_82:                              ;   in Loop: Header=BB64_11 Depth=1
	s_or_b64 exec, exec, s[26:27]
	s_and_saveexec_b64 s[26:27], s[20:21]
	s_cbranch_execz .LBB64_84
; %bb.83:                               ;   in Loop: Header=BB64_11 Depth=1
	global_load_ushort v13, v[18:19], off offset:128
.LBB64_84:                              ;   in Loop: Header=BB64_11 Depth=1
	s_or_b64 exec, exec, s[26:27]
	v_mov_b32_e32 v21, 0
	v_mov_b32_e32 v22, 0
	s_and_saveexec_b64 s[26:27], s[22:23]
	s_cbranch_execz .LBB64_86
; %bb.85:                               ;   in Loop: Header=BB64_11 Depth=1
	global_load_ushort v22, v[18:19], off offset:256
.LBB64_86:                              ;   in Loop: Header=BB64_11 Depth=1
	s_or_b64 exec, exec, s[26:27]
	s_and_saveexec_b64 s[26:27], s[24:25]
	s_cbranch_execz .LBB64_88
; %bb.87:                               ;   in Loop: Header=BB64_11 Depth=1
	global_load_ushort v21, v[18:19], off offset:384
.LBB64_88:                              ;   in Loop: Header=BB64_11 Depth=1
	s_or_b64 exec, exec, s[26:27]
	s_waitcnt vmcnt(0)
	ds_write_b16 v43, v20
	ds_write_b16 v44, v13 offset:128
	ds_write_b16 v45, v22 offset:256
	;; [unrolled: 1-line block ×3, first 2 shown]
	; wave barrier
	ds_read_b64 v[18:19], v47
	s_waitcnt lgkmcnt(0)
	; wave barrier
	s_waitcnt lgkmcnt(0)
	v_cvt_f32_f16_e32 v13, v19
	v_cvt_f32_f16_e32 v24, v18
	v_cvt_f32_f16_sdwa v23, v18 dst_sel:DWORD dst_unused:UNUSED_PAD src0_sel:WORD_1
	v_mul_f32_e32 v20, 0xbfb8aa3b, v13
	v_rndne_f32_e32 v21, v20
	v_fma_mix_f32 v22, v19, s93, -v20 op_sel_hi:[1,0,0]
	v_sub_f32_e32 v20, v20, v21
	v_fma_mix_f32 v22, v19, s94, v22 op_sel_hi:[1,0,0]
	v_cvt_i32_f32_e32 v21, v21
	v_add_f32_e32 v20, v20, v22
	v_exp_f32_e32 v20, v20
	v_cvt_f32_f16_sdwa v22, v19 dst_sel:DWORD dst_unused:UNUSED_PAD src0_sel:WORD_1
	v_cmp_nlt_f32_e32 vcc, s95, v13
	v_ldexp_f32 v20, v20, v21
	v_mul_f32_e32 v21, 0xbfb8aa3b, v22
	v_rndne_f32_e32 v25, v21
	v_sub_f32_e32 v26, v21, v25
	v_fma_mix_f32 v21, v19, s93, -v21 op_sel:[1,0,0] op_sel_hi:[1,0,0]
	v_cndmask_b32_e32 v20, 0, v20, vcc
	v_fma_mix_f32 v19, v19, s94, v21 op_sel:[1,0,0] op_sel_hi:[1,0,0]
	v_cvt_i32_f32_e32 v21, v25
	v_add_f32_e32 v19, v26, v19
	v_exp_f32_e32 v19, v19
	v_cmp_ngt_f32_e32 vcc, s96, v13
	v_ldexp_f32 v19, v19, v21
	v_mul_f32_e32 v21, 0xbfb8aa3b, v24
	v_rndne_f32_e32 v25, v21
	v_sub_f32_e32 v26, v21, v25
	v_fma_mix_f32 v21, v18, s93, -v21 op_sel_hi:[1,0,0]
	v_cvt_i32_f32_e32 v25, v25
	v_fma_mix_f32 v21, v18, s94, v21 op_sel_hi:[1,0,0]
	v_cndmask_b32_e32 v20, v54, v20, vcc
	v_add_f32_e32 v21, v26, v21
	v_exp_f32_e32 v26, v21
	v_cmp_nlt_f32_e32 vcc, s95, v22
	s_nop 1
	v_cndmask_b32_e32 v19, 0, v19, vcc
	v_cmp_ngt_f32_e32 vcc, s96, v22
	s_nop 1
	v_cndmask_b32_e32 v21, v54, v19, vcc
	v_ldexp_f32 v19, v26, v25
	v_mul_f32_e32 v25, 0xbfb8aa3b, v23
	v_rndne_f32_e32 v26, v25
	v_sub_f32_e32 v27, v25, v26
	v_fma_mix_f32 v25, v18, s93, -v25 op_sel:[1,0,0] op_sel_hi:[1,0,0]
	v_cvt_i32_f32_e32 v26, v26
	v_fma_mix_f32 v18, v18, s94, v25 op_sel:[1,0,0] op_sel_hi:[1,0,0]
	v_cmp_nlt_f32_e32 vcc, s95, v24
	v_add_f32_e32 v18, v27, v18
	v_exp_f32_e32 v25, v18
	v_pk_add_f32 v[20:21], v[20:21], 1.0 op_sel_hi:[1,0]
	v_cndmask_b32_e32 v18, 0, v19, vcc
	v_cmp_ngt_f32_e32 vcc, s96, v24
	v_ldexp_f32 v19, v25, v26
	v_div_scale_f32 v25, s[26:27], v21, v21, v22
	v_rcp_f32_e32 v26, v25
	v_cndmask_b32_e32 v18, v54, v18, vcc
	v_cmp_nlt_f32_e32 vcc, s95, v23
	v_fma_f32 v27, -v25, v26, 1.0
	s_nop 0
	v_cndmask_b32_e32 v19, 0, v19, vcc
	v_cmp_ngt_f32_e32 vcc, s96, v23
	v_fmac_f32_e32 v26, v27, v26
	s_nop 0
	v_cndmask_b32_e32 v19, v54, v19, vcc
	v_div_scale_f32 v27, vcc, v22, v21, v22
	v_mul_f32_e32 v28, v27, v26
	v_fma_f32 v29, -v25, v28, v27
	v_fmac_f32_e32 v28, v29, v26
	v_fma_f32 v25, -v25, v28, v27
	v_div_scale_f32 v27, s[26:27], v20, v20, v13
	v_rcp_f32_e32 v29, v27
	v_div_fmas_f32 v25, v25, v26, v28
	v_div_fixup_f32 v21, v25, v21, v22
	v_pk_add_f32 v[18:19], v[18:19], 1.0 op_sel_hi:[1,0]
	v_fma_f32 v22, -v27, v29, 1.0
	v_fmac_f32_e32 v29, v22, v29
	v_div_scale_f32 v22, vcc, v13, v20, v13
	v_mul_f32_e32 v25, v22, v29
	v_fma_f32 v26, -v27, v25, v22
	v_fmac_f32_e32 v25, v26, v29
	v_div_scale_f32 v26, s[26:27], v19, v19, v23
	v_fma_f32 v22, -v27, v25, v22
	v_rcp_f32_e32 v27, v26
	v_div_fmas_f32 v22, v22, v29, v25
	v_div_fixup_f32 v20, v22, v20, v13
	v_pk_mul_f32 v[14:15], v[14:15], v[20:21]
	v_fma_f32 v13, -v26, v27, 1.0
	v_fmac_f32_e32 v27, v13, v27
	v_div_scale_f32 v13, vcc, v23, v19, v23
	v_mul_f32_e32 v22, v13, v27
	v_fma_f32 v25, -v26, v22, v13
	v_fmac_f32_e32 v22, v25, v27
	v_div_scale_f32 v25, s[26:27], v18, v18, v24
	v_fma_f32 v13, -v26, v22, v13
	v_rcp_f32_e32 v26, v25
	v_div_fmas_f32 v13, v13, v27, v22
	v_div_fixup_f32 v19, v13, v19, v23
	v_cvt_f16_f32_e32 v14, v14
	v_fma_f32 v13, -v25, v26, 1.0
	v_fmac_f32_e32 v26, v13, v26
	v_div_scale_f32 v13, vcc, v24, v18, v24
	v_mul_f32_e32 v22, v13, v26
	v_fma_f32 v23, -v25, v22, v13
	v_fmac_f32_e32 v22, v23, v26
	v_fma_f32 v13, -v25, v22, v13
	v_div_fmas_f32 v13, v13, v26, v22
	v_div_fixup_f32 v18, v13, v18, v24
	v_pk_mul_f32 v[16:17], v[16:17], v[18:19]
	v_cvt_f16_f32_e32 v13, v15
	v_cvt_f16_f32_e32 v17, v17
	;; [unrolled: 1-line block ×3, first 2 shown]
	v_pack_b32_f16 v15, v14, v13
	v_pack_b32_f16 v14, v16, v17
	ds_write_b64 v47, v[14:15]
	; wave barrier
	ds_read_u16 v17, v44 offset:128
	ds_read_u16 v16, v45 offset:256
	;; [unrolled: 1-line block ×3, first 2 shown]
	v_lshl_add_u64 v[14:15], s[62:63], 1, v[8:9]
	s_and_saveexec_b64 s[26:27], s[18:19]
	s_cbranch_execnz .LBB64_97
; %bb.89:                               ;   in Loop: Header=BB64_11 Depth=1
	s_or_b64 exec, exec, s[26:27]
	s_and_saveexec_b64 s[18:19], s[20:21]
	s_cbranch_execnz .LBB64_98
.LBB64_90:                              ;   in Loop: Header=BB64_11 Depth=1
	s_or_b64 exec, exec, s[18:19]
	s_and_saveexec_b64 s[18:19], s[22:23]
	s_cbranch_execnz .LBB64_99
.LBB64_91:                              ;   in Loop: Header=BB64_11 Depth=1
	s_or_b64 exec, exec, s[18:19]
	s_and_saveexec_b64 s[18:19], s[24:25]
	s_cbranch_execz .LBB64_10
	s_branch .LBB64_100
.LBB64_92:                              ;   in Loop: Header=BB64_11 Depth=1
	global_load_ushort v19, v[16:17], off offset:128
	s_or_b64 exec, exec, s[26:27]
	s_and_saveexec_b64 s[26:27], s[22:23]
	s_cbranch_execz .LBB64_23
.LBB64_93:                              ;   in Loop: Header=BB64_11 Depth=1
	global_load_ushort v18, v[16:17], off offset:256
	s_or_b64 exec, exec, s[26:27]
	v_mov_b32_e32 v20, 0
	s_and_saveexec_b64 s[26:27], s[24:25]
	s_cbranch_execnz .LBB64_24
	s_branch .LBB64_25
.LBB64_94:                              ;   in Loop: Header=BB64_11 Depth=1
	ds_read_u16 v22, v43
	s_waitcnt lgkmcnt(0)
	global_store_short v[18:19], v22, off
	s_or_b64 exec, exec, s[26:27]
	s_and_saveexec_b64 s[26:27], s[20:21]
	s_cbranch_execz .LBB64_77
.LBB64_95:                              ;   in Loop: Header=BB64_11 Depth=1
	s_waitcnt lgkmcnt(2)
	global_store_short v[18:19], v21, off offset:128
	s_or_b64 exec, exec, s[26:27]
	s_and_saveexec_b64 s[26:27], s[22:23]
	s_cbranch_execz .LBB64_78
.LBB64_96:                              ;   in Loop: Header=BB64_11 Depth=1
	s_waitcnt lgkmcnt(1)
	global_store_short v[18:19], v20, off offset:256
	s_or_b64 exec, exec, s[26:27]
	s_and_saveexec_b64 s[26:27], s[24:25]
	s_cbranch_execnz .LBB64_79
	s_branch .LBB64_80
.LBB64_97:                              ;   in Loop: Header=BB64_11 Depth=1
	ds_read_u16 v18, v43
	s_waitcnt lgkmcnt(0)
	global_store_short v[14:15], v18, off
	s_or_b64 exec, exec, s[26:27]
	s_and_saveexec_b64 s[18:19], s[20:21]
	s_cbranch_execz .LBB64_90
.LBB64_98:                              ;   in Loop: Header=BB64_11 Depth=1
	s_waitcnt lgkmcnt(2)
	global_store_short v[14:15], v17, off offset:128
	s_or_b64 exec, exec, s[18:19]
	s_and_saveexec_b64 s[18:19], s[22:23]
	s_cbranch_execz .LBB64_91
.LBB64_99:                              ;   in Loop: Header=BB64_11 Depth=1
	s_waitcnt lgkmcnt(1)
	global_store_short v[14:15], v16, off offset:256
	s_or_b64 exec, exec, s[18:19]
	s_and_saveexec_b64 s[18:19], s[24:25]
	s_cbranch_execz .LBB64_10
.LBB64_100:                             ;   in Loop: Header=BB64_11 Depth=1
	s_waitcnt lgkmcnt(0)
	global_store_short v[14:15], v13, off offset:384
	s_branch .LBB64_10
.LBB64_101:
	s_endpgm
.LBB64_102:
	s_mov_b64 s[38:39], 0
	s_load_dwordx2 s[6:7], s[0:1], 0x20
	s_cmp_eq_u64 s[4:5], 0
	s_cbranch_scc0 .LBB64_2
	s_branch .LBB64_3
	.section	.rodata,"a",@progbits
	.p2align	6, 0x0
	.amdhsa_kernel _Z25selective_scan_fwd_kernelI32Selective_Scan_fwd_kernel_traitsILi64ELi4ELi1ELb1ELb1ELb1ELb1ELb1EN3c104HalfEfS2_EEv13SSMParamsBase
		.amdhsa_group_segment_fixed_size 0
		.amdhsa_private_segment_fixed_size 0
		.amdhsa_kernarg_size 248
		.amdhsa_user_sgpr_count 2
		.amdhsa_user_sgpr_dispatch_ptr 0
		.amdhsa_user_sgpr_queue_ptr 0
		.amdhsa_user_sgpr_kernarg_segment_ptr 1
		.amdhsa_user_sgpr_dispatch_id 0
		.amdhsa_user_sgpr_kernarg_preload_length 0
		.amdhsa_user_sgpr_kernarg_preload_offset 0
		.amdhsa_user_sgpr_private_segment_size 0
		.amdhsa_uses_dynamic_stack 0
		.amdhsa_enable_private_segment 0
		.amdhsa_system_sgpr_workgroup_id_x 1
		.amdhsa_system_sgpr_workgroup_id_y 1
		.amdhsa_system_sgpr_workgroup_id_z 0
		.amdhsa_system_sgpr_workgroup_info 0
		.amdhsa_system_vgpr_workitem_id 0
		.amdhsa_next_free_vgpr 66
		.amdhsa_next_free_sgpr 99
		.amdhsa_accum_offset 68
		.amdhsa_reserve_vcc 1
		.amdhsa_float_round_mode_32 0
		.amdhsa_float_round_mode_16_64 0
		.amdhsa_float_denorm_mode_32 3
		.amdhsa_float_denorm_mode_16_64 3
		.amdhsa_dx10_clamp 1
		.amdhsa_ieee_mode 1
		.amdhsa_fp16_overflow 0
		.amdhsa_tg_split 0
		.amdhsa_exception_fp_ieee_invalid_op 0
		.amdhsa_exception_fp_denorm_src 0
		.amdhsa_exception_fp_ieee_div_zero 0
		.amdhsa_exception_fp_ieee_overflow 0
		.amdhsa_exception_fp_ieee_underflow 0
		.amdhsa_exception_fp_ieee_inexact 0
		.amdhsa_exception_int_div_zero 0
	.end_amdhsa_kernel
	.section	.text._Z25selective_scan_fwd_kernelI32Selective_Scan_fwd_kernel_traitsILi64ELi4ELi1ELb1ELb1ELb1ELb1ELb1EN3c104HalfEfS2_EEv13SSMParamsBase,"axG",@progbits,_Z25selective_scan_fwd_kernelI32Selective_Scan_fwd_kernel_traitsILi64ELi4ELi1ELb1ELb1ELb1ELb1ELb1EN3c104HalfEfS2_EEv13SSMParamsBase,comdat
.Lfunc_end64:
	.size	_Z25selective_scan_fwd_kernelI32Selective_Scan_fwd_kernel_traitsILi64ELi4ELi1ELb1ELb1ELb1ELb1ELb1EN3c104HalfEfS2_EEv13SSMParamsBase, .Lfunc_end64-_Z25selective_scan_fwd_kernelI32Selective_Scan_fwd_kernel_traitsILi64ELi4ELi1ELb1ELb1ELb1ELb1ELb1EN3c104HalfEfS2_EEv13SSMParamsBase
                                        ; -- End function
	.section	.AMDGPU.csdata,"",@progbits
; Kernel info:
; codeLenInByte = 7292
; NumSgprs: 105
; NumVgprs: 66
; NumAgprs: 0
; TotalNumVgprs: 66
; ScratchSize: 0
; MemoryBound: 0
; FloatMode: 240
; IeeeMode: 1
; LDSByteSize: 0 bytes/workgroup (compile time only)
; SGPRBlocks: 13
; VGPRBlocks: 8
; NumSGPRsForWavesPerEU: 105
; NumVGPRsForWavesPerEU: 66
; AccumOffset: 68
; Occupancy: 7
; WaveLimiterHint : 1
; COMPUTE_PGM_RSRC2:SCRATCH_EN: 0
; COMPUTE_PGM_RSRC2:USER_SGPR: 2
; COMPUTE_PGM_RSRC2:TRAP_HANDLER: 0
; COMPUTE_PGM_RSRC2:TGID_X_EN: 1
; COMPUTE_PGM_RSRC2:TGID_Y_EN: 1
; COMPUTE_PGM_RSRC2:TGID_Z_EN: 0
; COMPUTE_PGM_RSRC2:TIDIG_COMP_CNT: 0
; COMPUTE_PGM_RSRC3_GFX90A:ACCUM_OFFSET: 16
; COMPUTE_PGM_RSRC3_GFX90A:TG_SPLIT: 0
	.section	.text._Z25selective_scan_fwd_kernelI32Selective_Scan_fwd_kernel_traitsILi64ELi4ELi1ELb1ELb1ELb1ELb1ELb0EN3c104HalfEfS2_EEv13SSMParamsBase,"axG",@progbits,_Z25selective_scan_fwd_kernelI32Selective_Scan_fwd_kernel_traitsILi64ELi4ELi1ELb1ELb1ELb1ELb1ELb0EN3c104HalfEfS2_EEv13SSMParamsBase,comdat
	.protected	_Z25selective_scan_fwd_kernelI32Selective_Scan_fwd_kernel_traitsILi64ELi4ELi1ELb1ELb1ELb1ELb1ELb0EN3c104HalfEfS2_EEv13SSMParamsBase ; -- Begin function _Z25selective_scan_fwd_kernelI32Selective_Scan_fwd_kernel_traitsILi64ELi4ELi1ELb1ELb1ELb1ELb1ELb0EN3c104HalfEfS2_EEv13SSMParamsBase
	.globl	_Z25selective_scan_fwd_kernelI32Selective_Scan_fwd_kernel_traitsILi64ELi4ELi1ELb1ELb1ELb1ELb1ELb0EN3c104HalfEfS2_EEv13SSMParamsBase
	.p2align	8
	.type	_Z25selective_scan_fwd_kernelI32Selective_Scan_fwd_kernel_traitsILi64ELi4ELi1ELb1ELb1ELb1ELb1ELb0EN3c104HalfEfS2_EEv13SSMParamsBase,@function
_Z25selective_scan_fwd_kernelI32Selective_Scan_fwd_kernel_traitsILi64ELi4ELi1ELb1ELb1ELb1ELb1ELb0EN3c104HalfEfS2_EEv13SSMParamsBase: ; @_Z25selective_scan_fwd_kernelI32Selective_Scan_fwd_kernel_traitsILi64ELi4ELi1ELb1ELb1ELb1ELb1ELb0EN3c104HalfEfS2_EEv13SSMParamsBase
; %bb.0:
	s_load_dword s35, s[0:1], 0x18
	s_load_dwordx4 s[4:7], s[0:1], 0xe8
	s_mov_b32 s56, s3
	s_waitcnt lgkmcnt(0)
	s_abs_i32 s34, s35
	v_cvt_f32_u32_e32 v1, s34
	s_cmp_eq_u64 s[6:7], 0
	v_rcp_iflag_f32_e32 v1, v1
	s_nop 0
	v_mul_f32_e32 v1, 0x4f7ffffe, v1
	v_cvt_u32_f32_e32 v1, v1
	s_nop 0
	v_readfirstlane_b32 s20, v1
	s_cbranch_scc1 .LBB65_3
; %bb.1:
	s_ashr_i32 s3, s2, 31
	s_add_u32 s6, s6, s2
	s_addc_u32 s7, s7, s3
	v_mov_b32_e32 v1, 0
	global_load_ubyte v1, v1, s[6:7]
	s_waitcnt vmcnt(0)
	v_and_b32_e32 v1, 1, v1
	v_cmp_eq_u32_e64 s[28:29], 1, v1
	s_load_dwordx2 s[6:7], s[0:1], 0x20
	s_cmp_eq_u64 s[4:5], 0
	s_cbranch_scc1 .LBB65_4
.LBB65_2:
	s_ashr_i32 s3, s2, 31
	s_lshl_b64 s[8:9], s[2:3], 2
	s_add_u32 s4, s4, s8
	s_addc_u32 s5, s5, s9
	s_load_dword s52, s[4:5], 0x0
	s_waitcnt lgkmcnt(0)
	s_ashr_i32 s53, s52, 31
	s_cmp_eq_u64 s[6:7], s[52:53]
	s_cbranch_scc0 .LBB65_5
	s_branch .LBB65_50
.LBB65_3:
	s_mov_b64 s[28:29], 0
	s_load_dwordx2 s[6:7], s[0:1], 0x20
	s_cmp_eq_u64 s[4:5], 0
	s_cbranch_scc0 .LBB65_2
.LBB65_4:
	s_mov_b32 s52, s2
	s_ashr_i32 s53, s52, 31
	s_waitcnt lgkmcnt(0)
	s_cmp_eq_u64 s[6:7], s[52:53]
	s_cbranch_scc1 .LBB65_50
.LBB65_5:
	s_load_dwordx16 s[4:19], s[0:1], 0x88
	s_load_dwordx2 s[30:31], s[0:1], 0x8
	s_mov_b32 s33, 0
	s_mov_b32 s70, 0
	s_waitcnt lgkmcnt(0)
	s_cmp_eq_u64 s[10:11], 0
	s_cbranch_scc1 .LBB65_7
; %bb.6:
	s_ashr_i32 s57, s56, 31
	s_lshl_b64 s[22:23], s[56:57], 2
	s_add_u32 s10, s10, s22
	s_addc_u32 s11, s11, s23
	s_load_dword s70, s[10:11], 0x0
.LBB65_7:
	s_cmp_eq_u64 s[16:17], 0
	s_cbranch_scc1 .LBB65_9
; %bb.8:
	s_ashr_i32 s57, s56, 31
	s_lshl_b64 s[10:11], s[56:57], 2
	s_add_u32 s10, s16, s10
	s_addc_u32 s11, s17, s11
	s_load_dword s33, s[10:11], 0x0
.LBB65_9:
	s_cmp_lt_i32 s30, 1
	s_cbranch_scc1 .LBB65_50
; %bb.10:
	s_sub_i32 s3, 0, s34
	s_mul_i32 s3, s3, s20
	s_mul_hi_u32 s3, s20, s3
	s_load_dwordx8 s[36:43], s[0:1], 0x2c
	s_load_dwordx2 s[16:17], s[0:1], 0x7c
	s_load_dwordx4 s[24:27], s[0:1], 0x6c
	s_load_dwordx8 s[44:51], s[0:1], 0x4c
	s_load_dwordx2 s[10:11], s[0:1], 0xd8
	s_waitcnt lgkmcnt(0)
	s_abs_i32 s39, s56
	s_add_i32 s3, s20, s3
	s_load_dwordx4 s[20:23], s[0:1], 0xc8
	s_load_dword s71, s[0:1], 0x84
	s_mul_hi_u32 s3, s39, s3
	s_load_dword s53, s[0:1], 0x28
	s_ashr_i32 s0, s56, 31
	s_ashr_i32 s1, s35, 31
	s_xor_b32 s0, s0, s1
	s_mul_i32 s1, s3, s34
	s_sub_i32 s1, s39, s1
	s_add_i32 s35, s3, 1
	s_sub_i32 s39, s1, s34
	s_cmp_ge_u32 s1, s34
	s_cselect_b32 s3, s35, s3
	s_cselect_b32 s1, s39, s1
	s_add_i32 s35, s3, 1
	s_cmp_ge_u32 s1, s34
	s_cselect_b32 s1, s35, s3
	s_xor_b32 s1, s1, s0
	s_mul_i32 s34, s46, s2
	s_mov_b32 s35, 0
	s_sub_i32 s3, s1, s0
	s_lshl_b64 s[0:1], s[34:35], 1
	s_add_u32 s12, s12, s0
	s_mul_i32 s34, s47, s56
	s_addc_u32 s13, s13, s1
	s_lshl_b64 s[0:1], s[34:35], 1
	s_add_u32 s46, s12, s0
	s_mul_i32 s34, s48, s2
	s_addc_u32 s47, s13, s1
	;; [unrolled: 4-line block ×9, first 2 shown]
	s_lshl_b64 s[0:1], s[34:35], 1
	s_waitcnt lgkmcnt(0)
	s_add_u32 s3, s20, s0
	s_mul_i32 s34, s17, s56
	s_addc_u32 s4, s21, s1
	s_lshl_b64 s[0:1], s[34:35], 1
	s_add_u32 s41, s3, s0
	s_addc_u32 s45, s4, s1
	s_add_i32 s0, s30, 0x7ff
	s_lshr_b32 s73, s0, 11
	s_bitcmp1_b32 s53, 0
	s_cselect_b64 s[52:53], -1, 0
	s_cmp_gt_i32 s31, 0
	s_mul_i32 s34, s24, s2
	s_cselect_b64 s[54:55], -1, 0
	s_and_b32 s12, s30, 0xff
	s_add_i32 s74, s73, -1
	s_lshl_b64 s[4:5], s[34:35], 1
	s_add_u32 s3, s18, s4
	s_mul_i32 s34, s25, s56
	s_addc_u32 s7, s19, s5
	s_lshl_b64 s[4:5], s[34:35], 1
	s_add_u32 s6, s3, s4
	s_mul_i32 s34, s26, s2
	s_addc_u32 s7, s7, s5
	;; [unrolled: 4-line block ×5, first 2 shown]
	s_lshl_b64 s[2:3], s[34:35], 1
	s_add_u32 s10, s4, s2
	v_mov_b32_e32 v3, 0
	s_addc_u32 s11, s5, s3
	v_lshlrev_b32_e32 v2, 3, v0
	s_cmp_eq_u32 s12, 0
	v_lshlrev_b32_e32 v11, 2, v0
	v_lshl_add_u64 v[4:5], s[6:7], 0, v[2:3]
	v_lshl_add_u64 v[6:7], s[10:11], 0, v[2:3]
	;; [unrolled: 1-line block ×3, first 2 shown]
                                        ; implicit-def: $vgpr2
	v_mbcnt_lo_u32_b32 v13, -1, 0
	v_cmp_gt_u32_e64 s[0:1], 64, v0
	s_cselect_b64 s[50:51], -1, 0
	v_cmp_eq_u32_e64 s[2:3], 63, v0
	v_cmp_eq_u32_e64 s[4:5], 0, v0
	v_or_b32_e32 v1, 1, v11
	v_or_b32_e32 v10, 2, v11
	v_or_b32_e32 v46, 3, v11
	s_mov_b32 s75, 0x41a00000
	s_mov_b32 s76, 0x3fb8aa3b
	;; [unrolled: 1-line block ×6, first 2 shown]
	v_mov_b32_e32 v47, 0x3ecc95a3
	s_mov_b32 s81, 0x3f317218
	s_mov_b32 s82, 0x33800000
	s_add_i32 s83, 0, 0x428
	s_mov_b32 s84, 0xc2fc0000
	s_mov_b32 s85, 0xbfb8aa3b
	s_mov_b32 s86, 0xb2a5705f
	s_mov_b32 s87, 0x42ce8ed0
	s_mov_b32 s88, 0xc2b17218
	v_lshlrev_b32_e32 v2, 3, v0
	v_mov_b32_e32 v0, 0x7f800000
	v_mov_b32_e32 v12, 0x3f317218
	v_mbcnt_hi_u32_b32 v48, -1, v13
	v_mov_b32_e32 v49, 0x42800000
	v_mov_b32_e32 v50, 0x1f800000
	s_mov_b32 s89, 0
                                        ; implicit-def: $vgpr53
                                        ; implicit-def: $vgpr17
                                        ; implicit-def: $vgpr51
                                        ; implicit-def: $vgpr14
                                        ; implicit-def: $vgpr52
                                        ; implicit-def: $vgpr54
                                        ; implicit-def: $vgpr18_vgpr19
	s_branch .LBB65_12
.LBB65_11:                              ;   in Loop: Header=BB65_12 Depth=1
	s_or_b64 exec, exec, s[6:7]
	s_waitcnt vmcnt(0)
	v_cvt_f32_f16_e32 v13, v19
	v_cvt_f32_f16_sdwa v29, v19 dst_sel:DWORD dst_unused:UNUSED_PAD src0_sel:WORD_1
	v_cvt_f32_f16_e32 v30, v18
	v_cvt_f32_f16_sdwa v28, v18 dst_sel:DWORD dst_unused:UNUSED_PAD src0_sel:WORD_1
	v_mul_f32_e32 v24, 0xbfb8aa3b, v13
	v_rndne_f32_e32 v25, v24
	v_sub_f32_e32 v26, v24, v25
	v_fma_mix_f32 v24, v19, s85, -v24 op_sel_hi:[1,0,0]
	v_cvt_i32_f32_e32 v25, v25
	v_fma_mix_f32 v24, v19, s86, v24 op_sel_hi:[1,0,0]
	v_cmp_nlt_f32_e32 vcc, s87, v13
	v_add_f32_e32 v24, v26, v24
	v_exp_f32_e32 v24, v24
	s_add_u32 s48, s48, 0x200
	s_addc_u32 s49, s49, 0
	s_add_u32 s46, s46, 0x200
	v_ldexp_f32 v24, v24, v25
	v_mul_f32_e32 v25, 0xbfb8aa3b, v29
	v_rndne_f32_e32 v26, v25
	v_sub_f32_e32 v27, v25, v26
	v_fma_mix_f32 v25, v19, s85, -v25 op_sel:[1,0,0] op_sel_hi:[1,0,0]
	v_cvt_i32_f32_e32 v26, v26
	v_fma_mix_f32 v25, v19, s86, v25 op_sel:[1,0,0] op_sel_hi:[1,0,0]
	v_cndmask_b32_e32 v24, 0, v24, vcc
	v_add_f32_e32 v25, v27, v25
	v_exp_f32_e32 v25, v25
	v_cmp_ngt_f32_e32 vcc, s88, v13
	s_addc_u32 s47, s47, 0
	s_add_u32 s38, s38, 0x200
	v_ldexp_f32 v25, v25, v26
	v_mul_f32_e32 v26, 0xbfb8aa3b, v30
	v_rndne_f32_e32 v27, v26
	v_sub_f32_e32 v31, v26, v27
	v_fma_mix_f32 v26, v18, s85, -v26 op_sel_hi:[1,0,0]
	v_cvt_i32_f32_e32 v27, v27
	v_fma_mix_f32 v26, v18, s86, v26 op_sel_hi:[1,0,0]
	v_cndmask_b32_e32 v24, v0, v24, vcc
	v_add_f32_e32 v26, v31, v26
	v_exp_f32_e32 v26, v26
	v_cmp_nlt_f32_e32 vcc, s87, v29
	s_addc_u32 s39, s39, 0
	s_add_u32 s42, s42, 0x200
	v_ldexp_f32 v26, v26, v27
	v_mul_f32_e32 v27, 0xbfb8aa3b, v28
	v_rndne_f32_e32 v31, v27
	v_sub_f32_e32 v32, v27, v31
	v_fma_mix_f32 v27, v18, s85, -v27 op_sel:[1,0,0] op_sel_hi:[1,0,0]
	v_cvt_i32_f32_e32 v31, v31
	v_fma_mix_f32 v27, v18, s86, v27 op_sel:[1,0,0] op_sel_hi:[1,0,0]
	v_cndmask_b32_e32 v25, 0, v25, vcc
	v_add_f32_e32 v27, v32, v27
	v_exp_f32_e32 v27, v27
	v_cmp_ngt_f32_e32 vcc, s88, v29
	s_addc_u32 s43, s43, 0
	s_add_i32 s89, s89, 1
	v_cndmask_b32_e32 v25, v0, v25, vcc
	v_pk_add_f32 v[24:25], v[24:25], 1.0 op_sel_hi:[1,0]
	v_ldexp_f32 v27, v27, v31
	v_div_scale_f32 v31, s[6:7], v25, v25, v29
	v_rcp_f32_e32 v32, v31
	v_cmp_nlt_f32_e32 vcc, s87, v30
	s_cmp_eq_u32 s89, s73
	s_nop 0
	v_cndmask_b32_e32 v26, 0, v26, vcc
	v_cmp_ngt_f32_e32 vcc, s88, v30
	v_fma_f32 v33, -v31, v32, 1.0
	v_fmac_f32_e32 v32, v33, v32
	v_cndmask_b32_e32 v26, v0, v26, vcc
	v_cmp_nlt_f32_e32 vcc, s87, v28
	; wave barrier
	s_nop 1
	v_cndmask_b32_e32 v27, 0, v27, vcc
	v_cmp_ngt_f32_e32 vcc, s88, v28
	s_nop 1
	v_cndmask_b32_e32 v27, v0, v27, vcc
	v_div_scale_f32 v33, vcc, v29, v25, v29
	v_mul_f32_e32 v34, v33, v32
	v_fma_f32 v35, -v31, v34, v33
	v_fmac_f32_e32 v34, v35, v32
	v_fma_f32 v31, -v31, v34, v33
	v_div_scale_f32 v33, s[6:7], v24, v24, v13
	v_rcp_f32_e32 v35, v33
	v_div_fmas_f32 v31, v31, v32, v34
	v_div_fixup_f32 v25, v31, v25, v29
	v_pk_add_f32 v[26:27], v[26:27], 1.0 op_sel_hi:[1,0]
	v_fma_f32 v29, -v33, v35, 1.0
	v_fmac_f32_e32 v35, v29, v35
	v_div_scale_f32 v29, vcc, v13, v24, v13
	v_mul_f32_e32 v31, v29, v35
	v_fma_f32 v32, -v33, v31, v29
	v_fmac_f32_e32 v31, v32, v35
	v_div_scale_f32 v32, s[6:7], v27, v27, v28
	v_fma_f32 v29, -v33, v31, v29
	v_rcp_f32_e32 v33, v32
	v_div_fmas_f32 v29, v29, v35, v31
	v_div_fixup_f32 v24, v29, v24, v13
	v_pk_mul_f32 v[20:21], v[20:21], v[24:25]
	v_fma_f32 v13, -v32, v33, 1.0
	v_fmac_f32_e32 v33, v13, v33
	v_div_scale_f32 v13, vcc, v28, v27, v28
	v_mul_f32_e32 v29, v13, v33
	v_fma_f32 v31, -v32, v29, v13
	v_fmac_f32_e32 v29, v31, v33
	v_div_scale_f32 v31, s[6:7], v26, v26, v30
	v_fma_f32 v13, -v32, v29, v13
	v_rcp_f32_e32 v32, v31
	v_div_fmas_f32 v13, v13, v33, v29
	v_div_fixup_f32 v27, v13, v27, v28
	v_cvt_f16_f32_e32 v24, v20
	v_fma_f32 v13, -v31, v32, 1.0
	v_fmac_f32_e32 v32, v13, v32
	v_div_scale_f32 v13, vcc, v30, v26, v30
	v_mul_f32_e32 v28, v13, v32
	v_fma_f32 v29, -v31, v28, v13
	v_fmac_f32_e32 v28, v29, v32
	v_fma_f32 v13, -v31, v28, v13
	v_div_fmas_f32 v13, v13, v32, v28
	v_div_fixup_f32 v26, v13, v26, v30
	v_pk_mul_f32 v[22:23], v[22:23], v[26:27]
	v_cvt_f16_f32_e32 v13, v21
	v_cvt_f16_f32_e32 v25, v23
	;; [unrolled: 1-line block ×3, first 2 shown]
	v_lshl_add_u64 v[20:21], s[56:57], 1, v[8:9]
	v_pack_b32_f16 v23, v24, v13
	v_pack_b32_f16 v22, v22, v25
	global_store_dwordx2 v[20:21], v[22:23], off
	s_cbranch_scc1 .LBB65_50
.LBB65_12:                              ; =>This Loop Header: Depth=1
                                        ;     Child Loop BB65_25 Depth 2
	s_waitcnt lgkmcnt(0)
	; wave barrier
	s_and_saveexec_b64 s[6:7], s[0:1]
	s_cbranch_execz .LBB65_14
; %bb.13:                               ;   in Loop: Header=BB65_12 Depth=1
	global_load_dwordx2 v[14:15], v2, s[46:47]
	global_load_dwordx2 v[16:17], v2, s[48:49]
	s_waitcnt vmcnt(1)
	v_lshrrev_b32_e32 v52, 16, v14
	v_lshrrev_b32_e32 v54, 16, v15
	s_waitcnt vmcnt(0)
	v_lshrrev_b32_e32 v51, 16, v16
	v_lshrrev_b32_e32 v53, 16, v17
.LBB65_14:                              ;   in Loop: Header=BB65_12 Depth=1
	s_or_b64 exec, exec, s[6:7]
	v_cvt_f32_f16_e32 v13, v16
	v_add_f32_e32 v55, s33, v13
	v_cmp_ge_f32_e32 vcc, s75, v55
	s_and_b64 s[6:7], s[52:53], vcc
	s_and_saveexec_b64 s[8:9], s[6:7]
	s_cbranch_execz .LBB65_16
; %bb.15:                               ;   in Loop: Header=BB65_12 Depth=1
	v_mul_f32_e32 v13, 0x3fb8aa3b, v55
	v_rndne_f32_e32 v20, v13
	v_sub_f32_e32 v21, v13, v20
	v_fma_f32 v13, v55, s76, -v13
	v_fmac_f32_e32 v13, 0x32a5705f, v55
	v_add_f32_e32 v13, v21, v13
	v_cvt_i32_f32_e32 v20, v20
	v_exp_f32_e32 v13, v13
	v_cmp_ngt_f32_e32 vcc, s77, v55
	v_ldexp_f32 v13, v13, v20
	s_nop 0
	v_cndmask_b32_e32 v13, 0, v13, vcc
	v_cmp_nlt_f32_e32 vcc, s78, v55
	s_nop 1
	v_cndmask_b32_e32 v36, v0, v13, vcc
	v_add_f32_e32 v13, 1.0, v36
	v_add_f32_e32 v20, -1.0, v13
	v_sub_f32_e32 v21, v20, v13
	v_add_f32_e32 v21, 1.0, v21
	v_sub_f32_e32 v20, v36, v20
	v_add_f32_e32 v22, v20, v21
	v_frexp_mant_f32_e32 v23, v13
	v_cvt_f64_f32_e32 v[20:21], v13
	v_frexp_exp_i32_f64_e32 v20, v[20:21]
	v_cmp_gt_f32_e32 vcc, s80, v23
	v_cmp_gt_f32_e64 s[6:7], s82, v36
	s_nop 0
	v_subbrev_co_u32_e32 v28, vcc, 0, v20, vcc
	v_sub_u32_e32 v20, 0, v28
	v_ldexp_f32 v13, v13, v20
	v_ldexp_f32 v20, v22, v20
	v_add_f32_e32 v22, -1.0, v13
	v_add_f32_e32 v21, 1.0, v22
	v_sub_f32_e32 v21, v13, v21
	v_add_f32_e32 v23, v20, v21
	v_add_f32_e32 v21, 1.0, v13
	v_add_f32_e32 v24, -1.0, v21
	v_sub_f32_e32 v13, v13, v24
	v_add_f32_e32 v13, v20, v13
	v_add_f32_e32 v29, v21, v13
	v_rcp_f32_e32 v30, v29
	v_sub_f32_e32 v20, v21, v29
	v_add_f32_e32 v21, v22, v23
	v_add_f32_e32 v13, v13, v20
	v_mul_f32_e32 v32, v21, v30
	v_sub_f32_e32 v20, v22, v21
	v_mul_f32_e32 v22, v29, v32
	v_fma_f32 v24, v32, v29, -v22
	v_fmac_f32_e32 v24, v32, v13
	v_add_f32_e32 v31, v23, v20
	v_add_f32_e32 v20, v22, v24
	v_sub_f32_e32 v23, v21, v20
	v_pk_add_f32 v[26:27], v[20:21], v[22:23] neg_lo:[0,1] neg_hi:[0,1]
	v_mov_b32_e32 v25, v20
	v_pk_add_f32 v[20:21], v[26:27], v[24:25] neg_lo:[0,1] neg_hi:[0,1]
	v_cmp_eq_f32_e32 vcc, s79, v36
	v_add_f32_e32 v21, v31, v21
	v_add_f32_e32 v20, v20, v21
	;; [unrolled: 1-line block ×3, first 2 shown]
	v_mul_f32_e32 v31, v30, v21
	v_mul_f32_e32 v22, v29, v31
	v_fma_f32 v24, v31, v29, -v22
	v_fmac_f32_e32 v24, v31, v13
	v_sub_f32_e32 v13, v23, v21
	v_add_f32_e32 v13, v20, v13
	v_add_f32_e32 v20, v22, v24
	v_sub_f32_e32 v23, v21, v20
	v_pk_add_f32 v[26:27], v[20:21], v[22:23] neg_lo:[0,1] neg_hi:[0,1]
	v_mov_b32_e32 v25, v20
	v_pk_add_f32 v[20:21], v[26:27], v[24:25] neg_lo:[0,1] neg_hi:[0,1]
	s_or_b64 vcc, s[6:7], vcc
	v_add_f32_e32 v13, v13, v21
	v_add_f32_e32 v13, v20, v13
	;; [unrolled: 1-line block ×4, first 2 shown]
	v_sub_f32_e32 v20, v21, v32
	v_mul_f32_e32 v13, v30, v13
	v_sub_f32_e32 v20, v31, v20
	v_add_f32_e32 v22, v20, v13
	v_add_f32_e32 v24, v21, v22
	v_cvt_f32_i32_e32 v20, v28
	v_mul_f32_e32 v25, v24, v24
	v_sub_f32_e32 v21, v24, v21
	v_fmamk_f32 v13, v25, 0x3e9b6dac, v47
	v_sub_f32_e32 v21, v22, v21
	v_fmaak_f32 v13, v25, v13, 0x3f2aaada
	v_ldexp_f32 v26, v21, 1
	v_mul_f32_e32 v21, v24, v25
	v_ldexp_f32 v23, v24, 1
	v_pk_mul_f32 v[24:25], v[20:21], v[12:13]
	s_nop 0
	v_fma_f32 v22, v20, s81, -v24
	v_fmac_f32_e32 v22, 0xb102e308, v20
	v_pk_add_f32 v[20:21], v[24:25], v[22:23]
	s_nop 0
	v_sub_f32_e32 v13, v21, v23
	v_sub_f32_e32 v13, v25, v13
	v_add_f32_e32 v27, v26, v13
	v_mov_b32_e32 v26, v24
	v_pk_add_f32 v[24:25], v[20:21], v[24:25] neg_lo:[0,1] neg_hi:[0,1]
	v_pk_add_f32 v[28:29], v[20:21], v[26:27]
	v_mov_b32_e32 v23, v20
	v_mov_b32_e32 v25, v29
	v_pk_add_f32 v[30:31], v[22:23], v[24:25] neg_lo:[0,1] neg_hi:[0,1]
	v_pk_add_f32 v[22:23], v[22:23], v[24:25]
	v_mov_b32_e32 v26, v27
	v_mov_b32_e32 v24, v23
	v_pk_add_f32 v[32:33], v[24:25], v[20:21] neg_lo:[0,1] neg_hi:[0,1]
	v_mov_b32_e32 v22, v29
	v_mov_b32_e32 v13, v32
	v_pk_add_f32 v[34:35], v[28:29], v[12:13] neg_lo:[0,1] neg_hi:[0,1]
	v_mov_b32_e32 v28, v21
	v_mov_b32_e32 v29, v32
	;; [unrolled: 1-line block ×3, first 2 shown]
	v_pk_add_f32 v[22:23], v[22:23], v[28:29] neg_lo:[0,1] neg_hi:[0,1]
	v_mov_b32_e32 v27, v20
	v_pk_add_f32 v[20:21], v[26:27], v[22:23] neg_lo:[0,1] neg_hi:[0,1]
	v_mov_b32_e32 v34, v30
	v_pk_add_f32 v[22:23], v[34:35], v[20:21]
	s_nop 0
	v_mov_b32_e32 v26, v23
	v_pk_add_f32 v[26:27], v[22:23], v[26:27]
	s_nop 0
	v_pk_add_f32 v[24:25], v[24:25], v[26:27]
	v_mov_b32_e32 v21, v26
	v_mov_b32_e32 v23, v24
	v_pk_add_f32 v[28:29], v[22:23], v[30:31] neg_lo:[0,1] neg_hi:[0,1]
	s_nop 0
	v_sub_f32_e32 v13, v22, v28
	v_pk_add_f32 v[20:21], v[20:21], v[28:29] neg_lo:[0,1] neg_hi:[0,1]
	v_sub_f32_e32 v13, v30, v13
	v_add_f32_e32 v13, v20, v13
	v_add_f32_e32 v13, v13, v21
	;; [unrolled: 1-line block ×3, first 2 shown]
	v_cndmask_b32_e32 v55, v13, v36, vcc
.LBB65_16:                              ;   in Loop: Header=BB65_12 Depth=1
	s_or_b64 exec, exec, s[8:9]
	v_cvt_f32_f16_e32 v13, v51
	v_add_f32_e32 v56, s33, v13
	v_cmp_ge_f32_e32 vcc, s75, v56
	s_and_b64 s[6:7], s[52:53], vcc
	s_and_saveexec_b64 s[8:9], s[6:7]
	s_cbranch_execz .LBB65_18
; %bb.17:                               ;   in Loop: Header=BB65_12 Depth=1
	v_mul_f32_e32 v13, 0x3fb8aa3b, v56
	v_rndne_f32_e32 v20, v13
	v_sub_f32_e32 v21, v13, v20
	v_fma_f32 v13, v56, s76, -v13
	v_fmac_f32_e32 v13, 0x32a5705f, v56
	v_add_f32_e32 v13, v21, v13
	v_cvt_i32_f32_e32 v20, v20
	v_exp_f32_e32 v13, v13
	v_cmp_ngt_f32_e32 vcc, s77, v56
	v_ldexp_f32 v13, v13, v20
	s_nop 0
	v_cndmask_b32_e32 v13, 0, v13, vcc
	v_cmp_nlt_f32_e32 vcc, s78, v56
	s_nop 1
	v_cndmask_b32_e32 v36, v0, v13, vcc
	v_add_f32_e32 v13, 1.0, v36
	v_add_f32_e32 v20, -1.0, v13
	v_sub_f32_e32 v21, v20, v13
	v_add_f32_e32 v21, 1.0, v21
	v_sub_f32_e32 v20, v36, v20
	v_add_f32_e32 v22, v20, v21
	v_frexp_mant_f32_e32 v23, v13
	v_cvt_f64_f32_e32 v[20:21], v13
	v_frexp_exp_i32_f64_e32 v20, v[20:21]
	v_cmp_gt_f32_e32 vcc, s80, v23
	v_cmp_gt_f32_e64 s[6:7], s82, v36
	s_nop 0
	v_subbrev_co_u32_e32 v28, vcc, 0, v20, vcc
	v_sub_u32_e32 v20, 0, v28
	v_ldexp_f32 v13, v13, v20
	v_ldexp_f32 v20, v22, v20
	v_add_f32_e32 v22, -1.0, v13
	v_add_f32_e32 v21, 1.0, v22
	v_sub_f32_e32 v21, v13, v21
	v_add_f32_e32 v23, v20, v21
	v_add_f32_e32 v21, 1.0, v13
	v_add_f32_e32 v24, -1.0, v21
	v_sub_f32_e32 v13, v13, v24
	v_add_f32_e32 v13, v20, v13
	v_add_f32_e32 v29, v21, v13
	v_rcp_f32_e32 v30, v29
	v_sub_f32_e32 v20, v21, v29
	v_add_f32_e32 v21, v22, v23
	v_add_f32_e32 v13, v13, v20
	v_mul_f32_e32 v32, v21, v30
	v_sub_f32_e32 v20, v22, v21
	v_mul_f32_e32 v22, v29, v32
	v_fma_f32 v24, v32, v29, -v22
	v_fmac_f32_e32 v24, v32, v13
	v_add_f32_e32 v31, v23, v20
	v_add_f32_e32 v20, v22, v24
	v_sub_f32_e32 v23, v21, v20
	v_pk_add_f32 v[26:27], v[20:21], v[22:23] neg_lo:[0,1] neg_hi:[0,1]
	v_mov_b32_e32 v25, v20
	v_pk_add_f32 v[20:21], v[26:27], v[24:25] neg_lo:[0,1] neg_hi:[0,1]
	v_cmp_eq_f32_e32 vcc, s79, v36
	v_add_f32_e32 v21, v31, v21
	v_add_f32_e32 v20, v20, v21
	;; [unrolled: 1-line block ×3, first 2 shown]
	v_mul_f32_e32 v31, v30, v21
	v_mul_f32_e32 v22, v29, v31
	v_fma_f32 v24, v31, v29, -v22
	v_fmac_f32_e32 v24, v31, v13
	v_sub_f32_e32 v13, v23, v21
	v_add_f32_e32 v13, v20, v13
	v_add_f32_e32 v20, v22, v24
	v_sub_f32_e32 v23, v21, v20
	v_pk_add_f32 v[26:27], v[20:21], v[22:23] neg_lo:[0,1] neg_hi:[0,1]
	v_mov_b32_e32 v25, v20
	v_pk_add_f32 v[20:21], v[26:27], v[24:25] neg_lo:[0,1] neg_hi:[0,1]
	s_or_b64 vcc, s[6:7], vcc
	v_add_f32_e32 v13, v13, v21
	v_add_f32_e32 v13, v20, v13
	v_add_f32_e32 v21, v32, v31
	v_add_f32_e32 v13, v23, v13
	v_sub_f32_e32 v20, v21, v32
	v_mul_f32_e32 v13, v30, v13
	v_sub_f32_e32 v20, v31, v20
	v_add_f32_e32 v22, v20, v13
	v_add_f32_e32 v24, v21, v22
	v_cvt_f32_i32_e32 v20, v28
	v_mul_f32_e32 v25, v24, v24
	v_sub_f32_e32 v21, v24, v21
	v_fmamk_f32 v13, v25, 0x3e9b6dac, v47
	v_sub_f32_e32 v21, v22, v21
	v_fmaak_f32 v13, v25, v13, 0x3f2aaada
	v_ldexp_f32 v26, v21, 1
	v_mul_f32_e32 v21, v24, v25
	v_ldexp_f32 v23, v24, 1
	v_pk_mul_f32 v[24:25], v[20:21], v[12:13]
	s_nop 0
	v_fma_f32 v22, v20, s81, -v24
	v_fmac_f32_e32 v22, 0xb102e308, v20
	v_pk_add_f32 v[20:21], v[24:25], v[22:23]
	s_nop 0
	v_sub_f32_e32 v13, v21, v23
	v_sub_f32_e32 v13, v25, v13
	v_add_f32_e32 v27, v26, v13
	v_mov_b32_e32 v26, v24
	v_pk_add_f32 v[24:25], v[20:21], v[24:25] neg_lo:[0,1] neg_hi:[0,1]
	v_pk_add_f32 v[28:29], v[20:21], v[26:27]
	v_mov_b32_e32 v23, v20
	v_mov_b32_e32 v25, v29
	v_pk_add_f32 v[30:31], v[22:23], v[24:25] neg_lo:[0,1] neg_hi:[0,1]
	v_pk_add_f32 v[22:23], v[22:23], v[24:25]
	v_mov_b32_e32 v26, v27
	v_mov_b32_e32 v24, v23
	v_pk_add_f32 v[32:33], v[24:25], v[20:21] neg_lo:[0,1] neg_hi:[0,1]
	v_mov_b32_e32 v22, v29
	v_mov_b32_e32 v13, v32
	v_pk_add_f32 v[34:35], v[28:29], v[12:13] neg_lo:[0,1] neg_hi:[0,1]
	v_mov_b32_e32 v28, v21
	v_mov_b32_e32 v29, v32
	;; [unrolled: 1-line block ×3, first 2 shown]
	v_pk_add_f32 v[22:23], v[22:23], v[28:29] neg_lo:[0,1] neg_hi:[0,1]
	v_mov_b32_e32 v27, v20
	v_pk_add_f32 v[20:21], v[26:27], v[22:23] neg_lo:[0,1] neg_hi:[0,1]
	v_mov_b32_e32 v34, v30
	v_pk_add_f32 v[22:23], v[34:35], v[20:21]
	s_nop 0
	v_mov_b32_e32 v26, v23
	v_pk_add_f32 v[26:27], v[22:23], v[26:27]
	s_nop 0
	v_pk_add_f32 v[24:25], v[24:25], v[26:27]
	v_mov_b32_e32 v21, v26
	v_mov_b32_e32 v23, v24
	v_pk_add_f32 v[28:29], v[22:23], v[30:31] neg_lo:[0,1] neg_hi:[0,1]
	s_nop 0
	v_sub_f32_e32 v13, v22, v28
	v_pk_add_f32 v[20:21], v[20:21], v[28:29] neg_lo:[0,1] neg_hi:[0,1]
	v_sub_f32_e32 v13, v30, v13
	v_add_f32_e32 v13, v20, v13
	v_add_f32_e32 v13, v13, v21
	;; [unrolled: 1-line block ×3, first 2 shown]
	v_cndmask_b32_e32 v56, v13, v36, vcc
.LBB65_18:                              ;   in Loop: Header=BB65_12 Depth=1
	s_or_b64 exec, exec, s[8:9]
	v_cvt_f32_f16_e32 v13, v17
	v_add_f32_e32 v25, s33, v13
	v_cmp_ge_f32_e32 vcc, s75, v25
	s_and_b64 s[6:7], s[52:53], vcc
	s_and_saveexec_b64 s[8:9], s[6:7]
	s_cbranch_execz .LBB65_20
; %bb.19:                               ;   in Loop: Header=BB65_12 Depth=1
	v_mul_f32_e32 v13, 0x3fb8aa3b, v25
	v_rndne_f32_e32 v20, v13
	v_sub_f32_e32 v21, v13, v20
	v_fma_f32 v13, v25, s76, -v13
	v_fmac_f32_e32 v13, 0x32a5705f, v25
	v_add_f32_e32 v13, v21, v13
	v_cvt_i32_f32_e32 v20, v20
	v_exp_f32_e32 v13, v13
	v_cmp_ngt_f32_e32 vcc, s77, v25
	v_ldexp_f32 v13, v13, v20
	s_nop 0
	v_cndmask_b32_e32 v13, 0, v13, vcc
	v_cmp_nlt_f32_e32 vcc, s78, v25
	s_nop 1
	v_cndmask_b32_e32 v36, v0, v13, vcc
	v_add_f32_e32 v13, 1.0, v36
	v_add_f32_e32 v20, -1.0, v13
	v_sub_f32_e32 v21, v20, v13
	v_add_f32_e32 v21, 1.0, v21
	v_sub_f32_e32 v20, v36, v20
	v_add_f32_e32 v22, v20, v21
	v_frexp_mant_f32_e32 v23, v13
	v_cvt_f64_f32_e32 v[20:21], v13
	v_frexp_exp_i32_f64_e32 v20, v[20:21]
	v_cmp_gt_f32_e32 vcc, s80, v23
	v_cmp_gt_f32_e64 s[6:7], s82, v36
	s_nop 0
	v_subbrev_co_u32_e32 v28, vcc, 0, v20, vcc
	v_sub_u32_e32 v20, 0, v28
	v_ldexp_f32 v13, v13, v20
	v_ldexp_f32 v20, v22, v20
	v_add_f32_e32 v22, -1.0, v13
	v_add_f32_e32 v21, 1.0, v22
	v_sub_f32_e32 v21, v13, v21
	v_add_f32_e32 v23, v20, v21
	v_add_f32_e32 v21, 1.0, v13
	v_add_f32_e32 v24, -1.0, v21
	v_sub_f32_e32 v13, v13, v24
	v_add_f32_e32 v13, v20, v13
	v_add_f32_e32 v29, v21, v13
	v_rcp_f32_e32 v30, v29
	v_sub_f32_e32 v20, v21, v29
	v_add_f32_e32 v21, v22, v23
	v_add_f32_e32 v13, v13, v20
	v_mul_f32_e32 v32, v21, v30
	v_sub_f32_e32 v20, v22, v21
	v_mul_f32_e32 v22, v29, v32
	v_fma_f32 v24, v32, v29, -v22
	v_fmac_f32_e32 v24, v32, v13
	v_add_f32_e32 v31, v23, v20
	v_add_f32_e32 v20, v22, v24
	v_sub_f32_e32 v23, v21, v20
	v_pk_add_f32 v[26:27], v[20:21], v[22:23] neg_lo:[0,1] neg_hi:[0,1]
	v_mov_b32_e32 v25, v20
	v_pk_add_f32 v[20:21], v[26:27], v[24:25] neg_lo:[0,1] neg_hi:[0,1]
	v_cmp_eq_f32_e32 vcc, s79, v36
	v_add_f32_e32 v21, v31, v21
	v_add_f32_e32 v20, v20, v21
	;; [unrolled: 1-line block ×3, first 2 shown]
	v_mul_f32_e32 v31, v30, v21
	v_mul_f32_e32 v22, v29, v31
	v_fma_f32 v24, v31, v29, -v22
	v_fmac_f32_e32 v24, v31, v13
	v_sub_f32_e32 v13, v23, v21
	v_add_f32_e32 v13, v20, v13
	v_add_f32_e32 v20, v22, v24
	v_sub_f32_e32 v23, v21, v20
	v_pk_add_f32 v[26:27], v[20:21], v[22:23] neg_lo:[0,1] neg_hi:[0,1]
	v_mov_b32_e32 v25, v20
	v_pk_add_f32 v[20:21], v[26:27], v[24:25] neg_lo:[0,1] neg_hi:[0,1]
	s_or_b64 vcc, s[6:7], vcc
	v_add_f32_e32 v13, v13, v21
	v_add_f32_e32 v13, v20, v13
	;; [unrolled: 1-line block ×4, first 2 shown]
	v_sub_f32_e32 v20, v21, v32
	v_mul_f32_e32 v13, v30, v13
	v_sub_f32_e32 v20, v31, v20
	v_add_f32_e32 v22, v20, v13
	v_add_f32_e32 v24, v21, v22
	v_cvt_f32_i32_e32 v20, v28
	v_mul_f32_e32 v25, v24, v24
	v_sub_f32_e32 v21, v24, v21
	v_fmamk_f32 v13, v25, 0x3e9b6dac, v47
	v_sub_f32_e32 v21, v22, v21
	v_fmaak_f32 v13, v25, v13, 0x3f2aaada
	v_ldexp_f32 v26, v21, 1
	v_mul_f32_e32 v21, v24, v25
	v_ldexp_f32 v23, v24, 1
	v_pk_mul_f32 v[24:25], v[20:21], v[12:13]
	s_nop 0
	v_fma_f32 v22, v20, s81, -v24
	v_fmac_f32_e32 v22, 0xb102e308, v20
	v_pk_add_f32 v[20:21], v[24:25], v[22:23]
	s_nop 0
	v_sub_f32_e32 v13, v21, v23
	v_sub_f32_e32 v13, v25, v13
	v_add_f32_e32 v27, v26, v13
	v_mov_b32_e32 v26, v24
	v_pk_add_f32 v[24:25], v[20:21], v[24:25] neg_lo:[0,1] neg_hi:[0,1]
	v_pk_add_f32 v[28:29], v[20:21], v[26:27]
	v_mov_b32_e32 v23, v20
	v_mov_b32_e32 v25, v29
	v_pk_add_f32 v[30:31], v[22:23], v[24:25] neg_lo:[0,1] neg_hi:[0,1]
	v_pk_add_f32 v[22:23], v[22:23], v[24:25]
	v_mov_b32_e32 v26, v27
	v_mov_b32_e32 v24, v23
	v_pk_add_f32 v[32:33], v[24:25], v[20:21] neg_lo:[0,1] neg_hi:[0,1]
	v_mov_b32_e32 v22, v29
	v_mov_b32_e32 v13, v32
	v_pk_add_f32 v[34:35], v[28:29], v[12:13] neg_lo:[0,1] neg_hi:[0,1]
	v_mov_b32_e32 v28, v21
	v_mov_b32_e32 v29, v32
	;; [unrolled: 1-line block ×3, first 2 shown]
	v_pk_add_f32 v[22:23], v[22:23], v[28:29] neg_lo:[0,1] neg_hi:[0,1]
	v_mov_b32_e32 v27, v20
	v_pk_add_f32 v[20:21], v[26:27], v[22:23] neg_lo:[0,1] neg_hi:[0,1]
	v_mov_b32_e32 v34, v30
	v_pk_add_f32 v[22:23], v[34:35], v[20:21]
	s_nop 0
	v_mov_b32_e32 v26, v23
	v_pk_add_f32 v[26:27], v[22:23], v[26:27]
	s_nop 0
	v_pk_add_f32 v[24:25], v[24:25], v[26:27]
	v_mov_b32_e32 v21, v26
	v_mov_b32_e32 v23, v24
	v_pk_add_f32 v[28:29], v[22:23], v[30:31] neg_lo:[0,1] neg_hi:[0,1]
	s_nop 0
	v_sub_f32_e32 v13, v22, v28
	v_pk_add_f32 v[20:21], v[20:21], v[28:29] neg_lo:[0,1] neg_hi:[0,1]
	v_sub_f32_e32 v13, v30, v13
	v_add_f32_e32 v13, v20, v13
	v_add_f32_e32 v13, v13, v21
	;; [unrolled: 1-line block ×3, first 2 shown]
	v_cndmask_b32_e32 v25, v13, v36, vcc
.LBB65_20:                              ;   in Loop: Header=BB65_12 Depth=1
	s_or_b64 exec, exec, s[8:9]
	v_cvt_f32_f16_e32 v13, v53
	v_add_f32_e32 v24, s33, v13
	v_cmp_ge_f32_e32 vcc, s75, v24
	s_and_b64 s[6:7], s[52:53], vcc
	s_and_saveexec_b64 s[8:9], s[6:7]
	s_cbranch_execz .LBB65_22
; %bb.21:                               ;   in Loop: Header=BB65_12 Depth=1
	v_mul_f32_e32 v13, 0x3fb8aa3b, v24
	v_rndne_f32_e32 v20, v13
	v_sub_f32_e32 v21, v13, v20
	v_fma_f32 v13, v24, s76, -v13
	v_fmac_f32_e32 v13, 0x32a5705f, v24
	v_add_f32_e32 v13, v21, v13
	v_cvt_i32_f32_e32 v20, v20
	v_exp_f32_e32 v13, v13
	v_cmp_ngt_f32_e32 vcc, s77, v24
	v_ldexp_f32 v13, v13, v20
	s_nop 0
	v_cndmask_b32_e32 v13, 0, v13, vcc
	v_cmp_nlt_f32_e32 vcc, s78, v24
	s_nop 1
	v_cndmask_b32_e32 v36, v0, v13, vcc
	v_add_f32_e32 v13, 1.0, v36
	v_add_f32_e32 v20, -1.0, v13
	v_sub_f32_e32 v21, v20, v13
	v_add_f32_e32 v21, 1.0, v21
	v_sub_f32_e32 v20, v36, v20
	v_add_f32_e32 v22, v20, v21
	v_frexp_mant_f32_e32 v23, v13
	v_cvt_f64_f32_e32 v[20:21], v13
	v_frexp_exp_i32_f64_e32 v20, v[20:21]
	v_cmp_gt_f32_e32 vcc, s80, v23
	v_cmp_gt_f32_e64 s[6:7], s82, v36
	s_nop 0
	v_subbrev_co_u32_e32 v24, vcc, 0, v20, vcc
	v_sub_u32_e32 v20, 0, v24
	v_ldexp_f32 v13, v13, v20
	v_ldexp_f32 v20, v22, v20
	v_add_f32_e32 v22, -1.0, v13
	v_add_f32_e32 v21, 1.0, v22
	v_sub_f32_e32 v21, v13, v21
	v_add_f32_e32 v23, v20, v21
	v_add_f32_e32 v21, 1.0, v13
	v_add_f32_e32 v26, -1.0, v21
	v_sub_f32_e32 v13, v13, v26
	v_add_f32_e32 v13, v20, v13
	v_add_f32_e32 v30, v21, v13
	v_rcp_f32_e32 v31, v30
	v_sub_f32_e32 v20, v21, v30
	v_add_f32_e32 v21, v22, v23
	v_add_f32_e32 v13, v13, v20
	v_mul_f32_e32 v33, v21, v31
	v_sub_f32_e32 v20, v22, v21
	v_mul_f32_e32 v22, v30, v33
	v_fma_f32 v26, v33, v30, -v22
	v_fmac_f32_e32 v26, v33, v13
	v_add_f32_e32 v32, v23, v20
	v_add_f32_e32 v20, v22, v26
	v_sub_f32_e32 v23, v21, v20
	v_pk_add_f32 v[28:29], v[20:21], v[22:23] neg_lo:[0,1] neg_hi:[0,1]
	v_mov_b32_e32 v27, v20
	v_pk_add_f32 v[20:21], v[28:29], v[26:27] neg_lo:[0,1] neg_hi:[0,1]
	v_cmp_eq_f32_e32 vcc, s79, v36
	v_add_f32_e32 v21, v32, v21
	v_add_f32_e32 v20, v20, v21
	;; [unrolled: 1-line block ×3, first 2 shown]
	v_mul_f32_e32 v32, v31, v21
	v_mul_f32_e32 v22, v30, v32
	v_fma_f32 v26, v32, v30, -v22
	v_fmac_f32_e32 v26, v32, v13
	v_sub_f32_e32 v13, v23, v21
	v_add_f32_e32 v13, v20, v13
	v_add_f32_e32 v20, v22, v26
	v_sub_f32_e32 v23, v21, v20
	v_pk_add_f32 v[28:29], v[20:21], v[22:23] neg_lo:[0,1] neg_hi:[0,1]
	v_mov_b32_e32 v27, v20
	v_pk_add_f32 v[20:21], v[28:29], v[26:27] neg_lo:[0,1] neg_hi:[0,1]
	s_or_b64 vcc, s[6:7], vcc
	v_add_f32_e32 v13, v13, v21
	v_add_f32_e32 v13, v20, v13
	;; [unrolled: 1-line block ×4, first 2 shown]
	v_sub_f32_e32 v20, v21, v33
	v_mul_f32_e32 v13, v31, v13
	v_sub_f32_e32 v20, v32, v20
	v_add_f32_e32 v22, v20, v13
	v_add_f32_e32 v26, v21, v22
	v_cvt_f32_i32_e32 v20, v24
	v_mul_f32_e32 v27, v26, v26
	v_sub_f32_e32 v21, v26, v21
	v_fmamk_f32 v13, v27, 0x3e9b6dac, v47
	v_sub_f32_e32 v21, v22, v21
	v_fmaak_f32 v13, v27, v13, 0x3f2aaada
	v_ldexp_f32 v24, v21, 1
	v_mul_f32_e32 v21, v26, v27
	v_ldexp_f32 v23, v26, 1
	v_pk_mul_f32 v[26:27], v[20:21], v[12:13]
	s_nop 0
	v_fma_f32 v22, v20, s81, -v26
	v_fmac_f32_e32 v22, 0xb102e308, v20
	v_pk_add_f32 v[20:21], v[26:27], v[22:23]
	v_mov_b32_e32 v28, v26
	v_sub_f32_e32 v13, v21, v23
	v_sub_f32_e32 v13, v27, v13
	v_add_f32_e32 v29, v24, v13
	v_pk_add_f32 v[26:27], v[20:21], v[26:27] neg_lo:[0,1] neg_hi:[0,1]
	v_pk_add_f32 v[30:31], v[20:21], v[28:29]
	v_mov_b32_e32 v23, v20
	v_mov_b32_e32 v27, v31
	v_pk_add_f32 v[32:33], v[22:23], v[26:27] neg_lo:[0,1] neg_hi:[0,1]
	v_pk_add_f32 v[22:23], v[22:23], v[26:27]
	s_nop 0
	v_mov_b32_e32 v24, v23
	v_pk_add_f32 v[26:27], v[24:25], v[20:21] neg_lo:[0,1] neg_hi:[0,1]
	v_mov_b32_e32 v22, v31
	v_mov_b32_e32 v13, v26
	v_pk_add_f32 v[34:35], v[30:31], v[12:13] neg_lo:[0,1] neg_hi:[0,1]
	v_mov_b32_e32 v30, v21
	v_mov_b32_e32 v31, v26
	;; [unrolled: 1-line block ×3, first 2 shown]
	v_pk_add_f32 v[22:23], v[22:23], v[30:31] neg_lo:[0,1] neg_hi:[0,1]
	v_mov_b32_e32 v26, v29
	v_mov_b32_e32 v27, v20
	v_pk_add_f32 v[20:21], v[26:27], v[22:23] neg_lo:[0,1] neg_hi:[0,1]
	v_mov_b32_e32 v34, v32
	v_pk_add_f32 v[22:23], v[34:35], v[20:21]
	s_nop 0
	v_mov_b32_e32 v26, v23
	v_pk_add_f32 v[26:27], v[22:23], v[26:27]
	s_nop 0
	v_pk_add_f32 v[28:29], v[24:25], v[26:27]
	v_mov_b32_e32 v21, v26
	v_mov_b32_e32 v23, v28
	v_pk_add_f32 v[30:31], v[22:23], v[32:33] neg_lo:[0,1] neg_hi:[0,1]
	s_nop 0
	v_sub_f32_e32 v13, v22, v30
	v_pk_add_f32 v[20:21], v[20:21], v[30:31] neg_lo:[0,1] neg_hi:[0,1]
	v_sub_f32_e32 v13, v32, v13
	v_add_f32_e32 v13, v20, v13
	v_add_f32_e32 v13, v13, v21
	v_add_f32_e32 v13, v28, v13
	v_cndmask_b32_e32 v24, v13, v36, vcc
.LBB65_22:                              ;   in Loop: Header=BB65_12 Depth=1
	s_or_b64 exec, exec, s[8:9]
	v_cvt_f32_f16_e32 v26, v15
	v_cvt_f32_f16_e32 v27, v52
	v_cvt_f32_f16_e32 v28, v14
	v_cvt_f32_f16_e32 v13, v54
	v_mul_f32_e32 v20, s70, v26
	v_mul_f32_e32 v23, s70, v27
	;; [unrolled: 1-line block ×3, first 2 shown]
	s_lshl_b32 s56, s89, 8
	v_mul_f32_e32 v21, s70, v13
	s_and_b64 vcc, exec, s[54:55]
	s_waitcnt lgkmcnt(0)
	; wave barrier
	s_cbranch_vccz .LBB65_48
; %bb.23:                               ;   in Loop: Header=BB65_12 Depth=1
	v_and_b32_e32 v30, 15, v48
	v_cmp_eq_u32_e64 s[6:7], 0, v30
	v_cmp_lt_u32_e64 s[8:9], 1, v30
	v_cmp_lt_u32_e64 s[10:11], 3, v30
	;; [unrolled: 1-line block ×3, first 2 shown]
	v_and_b32_e32 v30, 16, v48
	s_sub_i32 s24, s30, s56
	v_cmp_ne_u32_e64 s[14:15], 0, v30
	v_add_u32_e32 v30, -1, v48
	v_and_b32_e32 v31, 64, v48
	s_cmp_lg_u32 s89, 0
	v_cmp_lt_i32_e32 vcc, v30, v31
	s_cselect_b64 s[58:59], -1, 0
	s_cmp_eq_u32 s89, s74
	v_cndmask_b32_e32 v30, v30, v48, vcc
	v_cmp_gt_u32_e32 vcc, s24, v11
	s_cselect_b64 s[60:61], -1, 0
	s_or_b64 s[18:19], s[50:51], vcc
	v_cmp_gt_u32_e32 vcc, s24, v10
	s_mov_b32 s34, 0
	v_cmp_gt_u32_e64 s[20:21], s24, v1
	s_or_b64 s[22:23], s[50:51], vcc
	v_cmp_gt_u32_e32 vcc, s24, v46
	v_mul_f32_e32 v13, v24, v13
	v_mul_f32_e32 v57, v25, v26
	;; [unrolled: 1-line block ×4, first 2 shown]
	v_lshl_add_u64 v[26:27], s[38:39], 0, v[2:3]
	v_lshl_add_u64 v[28:29], s[42:43], 0, v[2:3]
	v_cmp_lt_u32_e64 s[16:17], 31, v48
	v_lshlrev_b32_e32 v60, 2, v30
	s_or_b64 s[20:21], s[50:51], s[20:21]
	s_or_b64 s[24:25], s[50:51], vcc
	s_mov_b32 s62, s34
	s_mov_b32 s64, s34
	;; [unrolled: 1-line block ×5, first 2 shown]
	s_branch .LBB65_25
.LBB65_24:                              ;   in Loop: Header=BB65_25 Depth=2
	s_or_b64 exec, exec, s[26:27]
	v_mul_f32_e32 v32, v39, v38
	v_fma_f32 v33, v39, v41, v34
	v_cndmask_b32_e64 v34, v33, v34, s[4:5]
	v_cndmask_b32_e64 v32, v32, v39, s[4:5]
	s_waitcnt lgkmcnt(0)
	v_fmac_f32_e32 v34, v44, v32
	v_fmac_f32_e32 v35, v34, v37
	s_waitcnt vmcnt(0)
	v_cvt_f32_f16_sdwa v33, v31 dst_sel:DWORD dst_unused:UNUSED_PAD src0_sel:WORD_1
	v_cvt_f32_f16_e32 v32, v31
	v_cvt_f32_f16_sdwa v31, v30 dst_sel:DWORD dst_unused:UNUSED_PAD src0_sel:WORD_1
	v_cvt_f32_f16_e32 v30, v30
	v_fmac_f32_e32 v36, v35, v43
	v_fmac_f32_e32 v40, v36, v42
	v_mov_b32_e32 v37, v40
	s_add_i32 s90, s90, 8
	s_add_i32 s57, s57, -1
	s_add_i32 s66, s66, s71
	s_add_i32 s64, s64, s44
	;; [unrolled: 1-line block ×4, first 2 shown]
	v_pk_fma_f32 v[20:21], v[36:37], v[32:33], v[20:21]
	s_cmp_eq_u32 s57, 0
	v_pk_fma_f32 v[22:23], v[34:35], v[30:31], v[22:23]
	s_cbranch_scc1 .LBB65_48
.LBB65_25:                              ;   Parent Loop BB65_12 Depth=1
                                        ; =>  This Inner Loop Header: Depth=2
	s_lshl_b64 s[26:27], s[34:35], 2
	s_mov_b32 s63, s35
	s_add_u32 s26, s36, s26
	v_lshl_add_u64 v[30:31], s[62:63], 1, v[26:27]
	s_mov_b32 s65, s35
	s_addc_u32 s27, s72, s27
	global_load_dwordx2 v[34:35], v[30:31], off
	v_lshl_add_u64 v[30:31], s[64:65], 1, v[28:29]
	global_load_dword v36, v3, s[26:27]
	s_andn2_b64 vcc, exec, s[58:59]
	global_load_dwordx2 v[30:31], v[30:31], off
	s_cbranch_vccnz .LBB65_27
; %bb.26:                               ;   in Loop: Header=BB65_25 Depth=2
	v_mov_b32_e32 v32, s90
	ds_read_b64 v[32:33], v32
	s_cbranch_execz .LBB65_28
	s_branch .LBB65_31
.LBB65_27:                              ;   in Loop: Header=BB65_25 Depth=2
                                        ; implicit-def: $vgpr33
.LBB65_28:                              ;   in Loop: Header=BB65_25 Depth=2
	s_andn2_b64 vcc, exec, s[28:29]
	s_waitcnt lgkmcnt(0)
	v_mov_b32_e32 v33, 0
	s_cbranch_vccnz .LBB65_30
; %bb.29:                               ;   in Loop: Header=BB65_25 Depth=2
	s_mov_b32 s67, s35
	s_lshl_b64 s[26:27], s[66:67], 1
	s_add_u32 s26, s41, s26
	s_addc_u32 s27, s45, s27
	global_load_ushort v32, v3, s[26:27]
	s_waitcnt vmcnt(0)
	v_cvt_f32_f16_e32 v33, v32
.LBB65_30:                              ;   in Loop: Header=BB65_25 Depth=2
	v_mov_b32_e32 v32, 1.0
.LBB65_31:                              ;   in Loop: Header=BB65_25 Depth=2
	s_waitcnt vmcnt(1)
	v_mul_f32_e32 v38, 0x3fb8aa3b, v36
	v_cvt_f32_f16_e32 v36, v34
	v_cvt_f32_f16_sdwa v37, v34 dst_sel:DWORD dst_unused:UNUSED_PAD src0_sel:WORD_1
	v_mul_f32_e32 v34, v38, v55
	v_cmp_gt_f32_e32 vcc, s84, v34
	v_cvt_f32_f16_e32 v40, v35
	v_cvt_f32_f16_sdwa v42, v35 dst_sel:DWORD dst_unused:UNUSED_PAD src0_sel:WORD_1
	v_cndmask_b32_e32 v34, 0, v49, vcc
	v_fmac_f32_e32 v34, v38, v55
	v_exp_f32_e32 v34, v34
	v_cndmask_b32_e32 v35, 1.0, v50, vcc
	v_mul_f32_e32 v40, v57, v40
	v_mul_f32_e32 v35, v34, v35
	;; [unrolled: 1-line block ×4, first 2 shown]
	v_cmp_gt_f32_e32 vcc, s84, v36
	v_cndmask_b32_e64 v39, 1.0, v35, s[18:19]
	v_cndmask_b32_e64 v34, 0, v34, s[18:19]
	v_cndmask_b32_e32 v36, 0, v49, vcc
	v_fmac_f32_e32 v36, v38, v56
	v_exp_f32_e32 v36, v36
	v_cndmask_b32_e32 v35, 1.0, v50, vcc
	v_mul_f32_e32 v36, v36, v35
	v_mul_f32_e32 v35, v58, v37
	v_cndmask_b32_e64 v37, 1.0, v36, s[20:21]
	v_cndmask_b32_e64 v36, 0, v40, s[22:23]
	v_pk_mul_f32 v[40:41], v[38:39], v[24:25] op_sel_hi:[0,1]
	v_cmp_gt_f32_e32 vcc, s84, v40
	v_cmp_gt_f32_e64 s[26:27], s84, v41
	v_cndmask_b32_e64 v35, 0, v35, s[20:21]
	v_cndmask_b32_e32 v38, 0, v49, vcc
	v_add_f32_e32 v38, v40, v38
	v_cndmask_b32_e64 v40, 0, v49, s[26:27]
	v_exp_f32_e32 v38, v38
	v_add_f32_e32 v40, v41, v40
	v_exp_f32_e32 v40, v40
	v_cndmask_b32_e32 v41, 1.0, v50, vcc
	v_mul_f32_e32 v38, v38, v41
	v_cndmask_b32_e64 v41, 1.0, v50, s[26:27]
	v_mul_f32_e32 v41, v40, v41
	v_mul_f32_e32 v40, v13, v42
	v_cndmask_b32_e64 v43, 1.0, v41, s[22:23]
	v_cndmask_b32_e64 v42, 1.0, v38, s[24:25]
	v_fma_f32 v38, v37, v34, v35
	v_mul_f32_e32 v38, v38, v43
	v_pk_add_f32 v[44:45], v[38:39], v[36:37]
	v_pk_mul_f32 v[62:63], v[38:39], v[36:37]
	v_cndmask_b32_e64 v40, 0, v40, s[24:25]
	v_mov_b32_e32 v45, v63
	v_pk_mul_f32 v[62:63], v[44:45], v[42:43]
	v_mov_b32_e32 v41, v42
	v_pk_fma_f32 v[64:65], v[44:45], v[42:43], v[40:41]
	v_pk_mul_f32 v[62:63], v[62:63], v[40:41]
	s_nop 0
	v_mov_b32_dpp v41, v64 row_shr:1 row_mask:0xf bank_mask:0xf
	v_mov_b32_dpp v38, v63 row_shr:1 row_mask:0xf bank_mask:0xf
	v_mul_f32_e32 v61, v63, v38
	v_fma_f32 v38, v63, v41, v64
	v_cndmask_b32_e64 v45, v38, v64, s[6:7]
	v_cndmask_b32_e64 v38, v38, v64, s[6:7]
	;; [unrolled: 1-line block ×4, first 2 shown]
	v_mov_b32_dpp v62, v38 row_shr:2 row_mask:0xf bank_mask:0xf
	v_mov_b32_dpp v61, v41 row_shr:2 row_mask:0xf bank_mask:0xf
	s_and_saveexec_b64 s[26:27], s[8:9]
; %bb.32:                               ;   in Loop: Header=BB65_25 Depth=2
	v_fmac_f32_e32 v38, v41, v62
	v_mul_f32_e32 v41, v41, v61
	v_mov_b32_e32 v44, v41
	v_mov_b32_e32 v45, v38
; %bb.33:                               ;   in Loop: Header=BB65_25 Depth=2
	s_or_b64 exec, exec, s[26:27]
	v_mov_b32_dpp v61, v41 row_shr:4 row_mask:0xf bank_mask:0xf
	v_mov_b32_dpp v62, v38 row_shr:4 row_mask:0xf bank_mask:0xf
	s_and_saveexec_b64 s[26:27], s[10:11]
; %bb.34:                               ;   in Loop: Header=BB65_25 Depth=2
	v_fmac_f32_e32 v38, v41, v62
	v_mul_f32_e32 v41, v41, v61
	v_mov_b32_e32 v44, v41
	v_mov_b32_e32 v45, v38
; %bb.35:                               ;   in Loop: Header=BB65_25 Depth=2
	s_or_b64 exec, exec, s[26:27]
	v_mov_b32_dpp v61, v41 row_shr:8 row_mask:0xf bank_mask:0xf
	v_mov_b32_dpp v62, v38 row_shr:8 row_mask:0xf bank_mask:0xf
	s_and_saveexec_b64 s[26:27], s[12:13]
; %bb.36:                               ;   in Loop: Header=BB65_25 Depth=2
	v_fmac_f32_e32 v38, v41, v62
	v_mul_f32_e32 v41, v41, v61
	v_mov_b32_e32 v44, v41
	v_mov_b32_e32 v45, v38
; %bb.37:                               ;   in Loop: Header=BB65_25 Depth=2
	s_or_b64 exec, exec, s[26:27]
	v_mov_b32_dpp v61, v41 row_bcast:15 row_mask:0xf bank_mask:0xf
	v_mov_b32_dpp v62, v38 row_bcast:15 row_mask:0xf bank_mask:0xf
	s_and_saveexec_b64 s[26:27], s[14:15]
; %bb.38:                               ;   in Loop: Header=BB65_25 Depth=2
	v_fmac_f32_e32 v38, v41, v62
	v_mul_f32_e32 v41, v41, v61
	v_mov_b32_e32 v44, v41
	v_mov_b32_e32 v45, v38
; %bb.39:                               ;   in Loop: Header=BB65_25 Depth=2
	s_or_b64 exec, exec, s[26:27]
	v_mov_b32_dpp v61, v41 row_bcast:31 row_mask:0xf bank_mask:0xf
	v_mov_b32_dpp v62, v38 row_bcast:31 row_mask:0xf bank_mask:0xf
	v_mul_f32_e32 v61, v41, v61
	v_fmac_f32_e32 v38, v41, v62
	v_cndmask_b32_e64 v44, v44, v61, s[16:17]
	v_cndmask_b32_e64 v45, v45, v38, s[16:17]
	s_and_saveexec_b64 s[26:27], s[2:3]
	s_cbranch_execz .LBB65_41
; %bb.40:                               ;   in Loop: Header=BB65_25 Depth=2
	ds_write_b64 v3, v[44:45] offset:1056
.LBB65_41:                              ;   in Loop: Header=BB65_25 Depth=2
	s_or_b64 exec, exec, s[26:27]
	ds_bpermute_b32 v38, v60, v44
	ds_bpermute_b32 v41, v60, v45
	s_waitcnt lgkmcnt(2)
	v_mov_b32_e32 v45, v33
	s_waitcnt lgkmcnt(0)
	; wave barrier
	s_waitcnt lgkmcnt(0)
	s_and_saveexec_b64 s[26:27], s[0:1]
	s_cbranch_execz .LBB65_45
; %bb.42:                               ;   in Loop: Header=BB65_25 Depth=2
	ds_read_b64 v[44:45], v3 offset:1056
	s_and_saveexec_b64 s[68:69], s[4:5]
	s_cbranch_execz .LBB65_44
; %bb.43:                               ;   in Loop: Header=BB65_25 Depth=2
	ds_write_b64 v3, v[32:33] offset:1056
.LBB65_44:                              ;   in Loop: Header=BB65_25 Depth=2
	s_or_b64 exec, exec, s[68:69]
	s_waitcnt lgkmcnt(0)
	v_fmac_f32_e32 v45, v33, v44
	v_mul_f32_e32 v32, v32, v44
	v_mov_b32_e32 v33, v45
.LBB65_45:                              ;   in Loop: Header=BB65_25 Depth=2
	s_or_b64 exec, exec, s[26:27]
	s_waitcnt lgkmcnt(0)
	; wave barrier
	ds_read_b32 v44, v3 offset:1060
	s_and_saveexec_b64 s[26:27], s[4:5]
	s_cbranch_execz .LBB65_24
; %bb.46:                               ;   in Loop: Header=BB65_25 Depth=2
	v_mov_b32_e32 v61, s90
	s_andn2_b64 vcc, exec, s[60:61]
	ds_write_b64 v61, v[32:33]
	s_cbranch_vccnz .LBB65_24
; %bb.47:                               ;   in Loop: Header=BB65_25 Depth=2
	s_mov_b32 s67, s35
	v_cvt_f16_f32_e32 v32, v45
	s_lshl_b64 s[68:69], s[66:67], 1
	s_add_u32 s68, s41, s68
	s_addc_u32 s69, s45, s69
	global_store_short v3, v32, s[68:69]
	s_branch .LBB65_24
.LBB65_48:                              ;   in Loop: Header=BB65_12 Depth=1
	v_cvt_f16_f32_e32 v13, v22
	v_cvt_f16_f32_e32 v26, v20
	v_cvt_f16_f32_e32 v27, v21
	v_cvt_f16_f32_e32 v28, v23
	s_mov_b32 s57, s35
	v_lshl_add_u64 v[24:25], s[56:57], 1, v[4:5]
	v_pack_b32_f16 v27, v26, v27
	v_pack_b32_f16 v26, v13, v28
	s_waitcnt lgkmcnt(0)
	; wave barrier
	global_store_dwordx2 v[24:25], v[26:27], off
	s_waitcnt lgkmcnt(0)
	; wave barrier
	s_and_saveexec_b64 s[6:7], s[0:1]
	s_cbranch_execz .LBB65_11
; %bb.49:                               ;   in Loop: Header=BB65_12 Depth=1
	v_lshl_add_u64 v[18:19], s[56:57], 1, v[6:7]
	global_load_dwordx2 v[18:19], v[18:19], off
	s_branch .LBB65_11
.LBB65_50:
	s_endpgm
	.section	.rodata,"a",@progbits
	.p2align	6, 0x0
	.amdhsa_kernel _Z25selective_scan_fwd_kernelI32Selective_Scan_fwd_kernel_traitsILi64ELi4ELi1ELb1ELb1ELb1ELb1ELb0EN3c104HalfEfS2_EEv13SSMParamsBase
		.amdhsa_group_segment_fixed_size 0
		.amdhsa_private_segment_fixed_size 0
		.amdhsa_kernarg_size 248
		.amdhsa_user_sgpr_count 2
		.amdhsa_user_sgpr_dispatch_ptr 0
		.amdhsa_user_sgpr_queue_ptr 0
		.amdhsa_user_sgpr_kernarg_segment_ptr 1
		.amdhsa_user_sgpr_dispatch_id 0
		.amdhsa_user_sgpr_kernarg_preload_length 0
		.amdhsa_user_sgpr_kernarg_preload_offset 0
		.amdhsa_user_sgpr_private_segment_size 0
		.amdhsa_uses_dynamic_stack 0
		.amdhsa_enable_private_segment 0
		.amdhsa_system_sgpr_workgroup_id_x 1
		.amdhsa_system_sgpr_workgroup_id_y 1
		.amdhsa_system_sgpr_workgroup_id_z 0
		.amdhsa_system_sgpr_workgroup_info 0
		.amdhsa_system_vgpr_workitem_id 0
		.amdhsa_next_free_vgpr 66
		.amdhsa_next_free_sgpr 91
		.amdhsa_accum_offset 68
		.amdhsa_reserve_vcc 1
		.amdhsa_float_round_mode_32 0
		.amdhsa_float_round_mode_16_64 0
		.amdhsa_float_denorm_mode_32 3
		.amdhsa_float_denorm_mode_16_64 3
		.amdhsa_dx10_clamp 1
		.amdhsa_ieee_mode 1
		.amdhsa_fp16_overflow 0
		.amdhsa_tg_split 0
		.amdhsa_exception_fp_ieee_invalid_op 0
		.amdhsa_exception_fp_denorm_src 0
		.amdhsa_exception_fp_ieee_div_zero 0
		.amdhsa_exception_fp_ieee_overflow 0
		.amdhsa_exception_fp_ieee_underflow 0
		.amdhsa_exception_fp_ieee_inexact 0
		.amdhsa_exception_int_div_zero 0
	.end_amdhsa_kernel
	.section	.text._Z25selective_scan_fwd_kernelI32Selective_Scan_fwd_kernel_traitsILi64ELi4ELi1ELb1ELb1ELb1ELb1ELb0EN3c104HalfEfS2_EEv13SSMParamsBase,"axG",@progbits,_Z25selective_scan_fwd_kernelI32Selective_Scan_fwd_kernel_traitsILi64ELi4ELi1ELb1ELb1ELb1ELb1ELb0EN3c104HalfEfS2_EEv13SSMParamsBase,comdat
.Lfunc_end65:
	.size	_Z25selective_scan_fwd_kernelI32Selective_Scan_fwd_kernel_traitsILi64ELi4ELi1ELb1ELb1ELb1ELb1ELb0EN3c104HalfEfS2_EEv13SSMParamsBase, .Lfunc_end65-_Z25selective_scan_fwd_kernelI32Selective_Scan_fwd_kernel_traitsILi64ELi4ELi1ELb1ELb1ELb1ELb1ELb0EN3c104HalfEfS2_EEv13SSMParamsBase
                                        ; -- End function
	.section	.AMDGPU.csdata,"",@progbits
; Kernel info:
; codeLenInByte = 6004
; NumSgprs: 97
; NumVgprs: 66
; NumAgprs: 0
; TotalNumVgprs: 66
; ScratchSize: 0
; MemoryBound: 0
; FloatMode: 240
; IeeeMode: 1
; LDSByteSize: 0 bytes/workgroup (compile time only)
; SGPRBlocks: 12
; VGPRBlocks: 8
; NumSGPRsForWavesPerEU: 97
; NumVGPRsForWavesPerEU: 66
; AccumOffset: 68
; Occupancy: 7
; WaveLimiterHint : 0
; COMPUTE_PGM_RSRC2:SCRATCH_EN: 0
; COMPUTE_PGM_RSRC2:USER_SGPR: 2
; COMPUTE_PGM_RSRC2:TRAP_HANDLER: 0
; COMPUTE_PGM_RSRC2:TGID_X_EN: 1
; COMPUTE_PGM_RSRC2:TGID_Y_EN: 1
; COMPUTE_PGM_RSRC2:TGID_Z_EN: 0
; COMPUTE_PGM_RSRC2:TIDIG_COMP_CNT: 0
; COMPUTE_PGM_RSRC3_GFX90A:ACCUM_OFFSET: 16
; COMPUTE_PGM_RSRC3_GFX90A:TG_SPLIT: 0
	.section	.text._Z25selective_scan_fwd_kernelI32Selective_Scan_fwd_kernel_traitsILi64ELi4ELi1ELb1ELb1ELb1ELb0ELb1EN3c104HalfEfS2_EEv13SSMParamsBase,"axG",@progbits,_Z25selective_scan_fwd_kernelI32Selective_Scan_fwd_kernel_traitsILi64ELi4ELi1ELb1ELb1ELb1ELb0ELb1EN3c104HalfEfS2_EEv13SSMParamsBase,comdat
	.protected	_Z25selective_scan_fwd_kernelI32Selective_Scan_fwd_kernel_traitsILi64ELi4ELi1ELb1ELb1ELb1ELb0ELb1EN3c104HalfEfS2_EEv13SSMParamsBase ; -- Begin function _Z25selective_scan_fwd_kernelI32Selective_Scan_fwd_kernel_traitsILi64ELi4ELi1ELb1ELb1ELb1ELb0ELb1EN3c104HalfEfS2_EEv13SSMParamsBase
	.globl	_Z25selective_scan_fwd_kernelI32Selective_Scan_fwd_kernel_traitsILi64ELi4ELi1ELb1ELb1ELb1ELb0ELb1EN3c104HalfEfS2_EEv13SSMParamsBase
	.p2align	8
	.type	_Z25selective_scan_fwd_kernelI32Selective_Scan_fwd_kernel_traitsILi64ELi4ELi1ELb1ELb1ELb1ELb0ELb1EN3c104HalfEfS2_EEv13SSMParamsBase,@function
_Z25selective_scan_fwd_kernelI32Selective_Scan_fwd_kernel_traitsILi64ELi4ELi1ELb1ELb1ELb1ELb0ELb1EN3c104HalfEfS2_EEv13SSMParamsBase: ; @_Z25selective_scan_fwd_kernelI32Selective_Scan_fwd_kernel_traitsILi64ELi4ELi1ELb1ELb1ELb1ELb0ELb1EN3c104HalfEfS2_EEv13SSMParamsBase
; %bb.0:
	s_load_dword s27, s[0:1], 0x18
	s_load_dwordx4 s[4:7], s[0:1], 0xe0
	s_load_dwordx2 s[10:11], s[0:1], 0xf0
	s_mov_b32 s20, s3
	s_ashr_i32 s3, s2, 31
	s_waitcnt lgkmcnt(0)
	s_abs_i32 s26, s27
	v_cvt_f32_u32_e32 v1, s26
	s_lshl_b64 s[8:9], s[2:3], 2
	s_add_u32 s24, s4, s8
	s_addc_u32 s25, s5, s9
	v_rcp_iflag_f32_e32 v1, v1
	s_cmp_eq_u64 s[10:11], 0
	v_mul_f32_e32 v1, 0x4f7ffffe, v1
	v_cvt_u32_f32_e32 v1, v1
	s_nop 0
	v_readfirstlane_b32 s28, v1
	s_cbranch_scc1 .LBB66_86
; %bb.1:
	s_add_u32 s4, s10, s2
	s_addc_u32 s5, s11, s3
	v_mov_b32_e32 v1, 0
	global_load_ubyte v1, v1, s[4:5]
	s_waitcnt vmcnt(0)
	v_and_b32_e32 v1, 1, v1
	v_cmp_eq_u32_e64 s[52:53], 1, v1
	s_load_dwordx2 s[4:5], s[0:1], 0x20
	s_cmp_eq_u64 s[6:7], 0
	s_cbranch_scc1 .LBB66_3
.LBB66_2:
	s_add_u32 s2, s6, s8
	s_addc_u32 s3, s7, s9
	s_load_dword s2, s[2:3], 0x0
	s_waitcnt lgkmcnt(0)
	s_ashr_i32 s3, s2, 31
.LBB66_3:
	s_waitcnt lgkmcnt(0)
	s_cmp_eq_u64 s[4:5], s[2:3]
	s_cbranch_scc1 .LBB66_85
; %bb.4:
	s_load_dwordx16 s[4:19], s[0:1], 0x88
	s_load_dwordx2 s[22:23], s[24:25], 0x0
	s_mov_b32 s33, 0
	s_mov_b32 s78, 0
	s_waitcnt lgkmcnt(0)
	s_cmp_eq_u64 s[10:11], 0
	s_cbranch_scc1 .LBB66_6
; %bb.5:
	s_ashr_i32 s21, s20, 31
	s_lshl_b64 s[24:25], s[20:21], 2
	s_add_u32 s10, s10, s24
	s_addc_u32 s11, s11, s25
	s_load_dword s78, s[10:11], 0x0
.LBB66_6:
	s_cmp_eq_u64 s[16:17], 0
	s_cbranch_scc1 .LBB66_8
; %bb.7:
	s_ashr_i32 s21, s20, 31
	s_lshl_b64 s[10:11], s[20:21], 2
	s_add_u32 s10, s16, s10
	s_addc_u32 s11, s17, s11
	s_load_dword s33, s[10:11], 0x0
.LBB66_8:
	s_sub_i32 s79, s23, s22
	s_cmp_lt_i32 s79, 1
	s_cbranch_scc1 .LBB66_85
; %bb.9:
	s_sub_i32 s3, 0, s26
	s_mul_i32 s3, s3, s28
	s_mul_hi_u32 s3, s28, s3
	s_load_dwordx8 s[40:47], s[0:1], 0x2c
	s_load_dwordx2 s[16:17], s[0:1], 0x5c
	s_load_dwordx4 s[48:51], s[0:1], 0x4c
	s_abs_i32 s21, s20
	s_add_i32 s28, s28, s3
	s_load_dwordx4 s[36:39], s[0:1], 0x7c
	s_load_dwordx2 s[10:11], s[0:1], 0x6c
	s_load_dwordx2 s[24:25], s[0:1], 0xc8
	s_mul_hi_u32 s3, s21, s28
	s_waitcnt lgkmcnt(0)
	s_load_dword s39, s[0:1], 0xc
	s_load_dword s23, s[0:1], 0x28
	s_ashr_i32 s0, s20, 31
	s_ashr_i32 s1, s27, 31
	s_xor_b32 s0, s0, s1
	s_mul_i32 s1, s3, s26
	s_sub_i32 s1, s21, s1
	s_add_i32 s21, s3, 1
	s_sub_i32 s27, s1, s26
	s_cmp_ge_u32 s1, s26
	s_cselect_b32 s3, s21, s3
	s_cselect_b32 s1, s27, s1
	s_add_i32 s21, s3, 1
	s_cmp_ge_u32 s1, s26
	s_cselect_b32 s1, s21, s3
	s_xor_b32 s1, s1, s0
	s_mul_i32 s54, s22, s50
	s_mov_b32 s55, 0
	s_sub_i32 s3, s1, s0
	s_lshl_b64 s[0:1], s[54:55], 1
	s_add_u32 s12, s12, s0
	s_mul_i32 s54, s51, s20
	s_addc_u32 s13, s13, s1
	s_lshl_b64 s[0:1], s[54:55], 1
	s_add_u32 s50, s12, s0
	s_mul_i32 s54, s22, s16
	s_addc_u32 s51, s13, s1
	;; [unrolled: 4-line block ×9, first 2 shown]
	s_lshl_b64 s[0:1], s[54:55], 1
	s_add_u32 s2, s24, s0
	s_mul_i32 s54, s37, s20
	v_mbcnt_lo_u32_b32 v2, -1, 0
	s_addc_u32 s3, s25, s1
	s_lshl_b64 s[0:1], s[54:55], 1
	v_mbcnt_hi_u32_b32 v2, -1, v2
	s_add_u32 s45, s2, s0
	v_lshrrev_b32_e32 v3, 5, v2
	s_addc_u32 s49, s3, s1
	s_add_i32 s0, s79, 0x7ff
	v_and_b32_e32 v3, 2, v3
	s_lshr_b32 s81, s0, 11
	v_add_u32_e32 v36, 64, v2
	v_or_b32_e32 v37, 0x80, v2
	v_add_u32_e32 v38, 0xc0, v2
	v_add_u32_e32 v3, v3, v2
	v_lshl_add_u32 v39, v3, 1, 0
	v_lshrrev_b32_e32 v3, 5, v36
	v_lshrrev_b32_e32 v4, 5, v37
	;; [unrolled: 1-line block ×3, first 2 shown]
	s_waitcnt lgkmcnt(0)
	s_bitcmp1_b32 s23, 0
	v_and_b32_e32 v3, 6, v3
	v_and_b32_e32 v4, 6, v4
	v_and_b32_e32 v5, 14, v5
	s_cselect_b64 s[58:59], -1, 0
	s_cmp_gt_i32 s39, 0
	v_add_lshl_u32 v3, v3, v2, 1
	v_add_lshl_u32 v4, v4, v2, 1
	;; [unrolled: 1-line block ×3, first 2 shown]
	s_cselect_b64 s[60:61], -1, 0
	s_add_i32 s0, 0, 0x210
	s_mul_i32 s54, s22, s10
	v_add_u32_e32 v44, s0, v3
	v_add_u32_e32 v45, s0, v4
	;; [unrolled: 1-line block ×3, first 2 shown]
	s_and_b32 s2, s79, 0xff
	s_add_i32 s82, s81, -1
	s_lshl_b64 s[0:1], s[54:55], 1
	s_add_u32 s3, s18, s0
	s_mul_i32 s54, s11, s20
	s_addc_u32 s4, s19, s1
	s_lshl_b64 s[0:1], s[54:55], 1
	s_add_u32 s18, s3, s0
	v_add_u32_e32 v40, 0, v3
	s_addc_u32 s19, s4, s1
	v_and_b32_e32 v3, 15, v2
	s_cmp_eq_u32 s2, 0
	v_cmp_eq_u32_e64 s[0:1], 0, v3
	v_cmp_lt_u32_e64 s[2:3], 1, v3
	v_cmp_lt_u32_e64 s[4:5], 3, v3
	;; [unrolled: 1-line block ×3, first 2 shown]
	v_and_b32_e32 v3, 16, v2
	v_add_u32_e32 v41, 0, v4
	v_lshrrev_b32_e32 v6, 3, v2
	v_cmp_ne_u32_e64 s[8:9], 0, v3
	v_add_u32_e32 v3, -1, v2
	v_and_b32_e32 v4, 64, v2
	v_and_b32_e32 v6, 14, v6
	v_cmp_lt_i32_e32 vcc, v3, v4
	v_mov_b32_e32 v1, 0
	v_lshlrev_b32_e32 v7, 2, v0
	v_lshl_add_u32 v6, v2, 2, v6
	v_cmp_eq_u32_e64 s[12:13], 63, v0
	v_cndmask_b32_e32 v3, v3, v2, vcc
	v_cmp_gt_u32_e64 s[14:15], 64, v0
	v_cmp_eq_u32_e64 s[16:17], 0, v0
	v_lshlrev_b32_e32 v0, 1, v2
                                        ; implicit-def: $vgpr8
	v_add_u32_e32 v42, 0, v5
	v_lshl_add_u32 v43, v6, 1, 0
	s_cselect_b64 s[62:63], -1, 0
	v_cmp_lt_u32_e64 s[10:11], 31, v2
	v_lshlrev_b32_e32 v47, 2, v3
	v_lshl_add_u64 v[4:5], s[18:19], 0, v[0:1]
	v_or_b32_e32 v3, 1, v7
	v_or_b32_e32 v6, 2, v7
	;; [unrolled: 1-line block ×3, first 2 shown]
	v_lshlrev_b32_e32 v0, 1, v2
	s_mov_b32 s83, 0x41a00000
	s_mov_b32 s84, 0x3fb8aa3b
	;; [unrolled: 1-line block ×6, first 2 shown]
	v_mov_b32_e32 v49, 0x3ecc95a3
	s_mov_b32 s89, 0x3f317218
	s_mov_b32 s90, 0x33800000
	s_add_i32 s91, 0, 0x428
	s_mov_b32 s92, 0xc2fc0000
	v_mov_b32_e32 v50, 0x7f800000
	v_mov_b32_e32 v8, 0x3f317218
	;; [unrolled: 1-line block ×4, first 2 shown]
	s_mov_b32 s93, 0
	s_branch .LBB66_11
.LBB66_10:                              ;   in Loop: Header=BB66_11 Depth=1
	s_or_b64 exec, exec, s[18:19]
	s_add_u32 s56, s56, 0x200
	s_addc_u32 s57, s57, 0
	s_add_u32 s50, s50, 0x200
	s_addc_u32 s51, s51, 0
	s_add_u32 s42, s42, 0x200
	s_addc_u32 s43, s43, 0
	s_add_u32 s46, s46, 0x200
	s_addc_u32 s47, s47, 0
	s_add_i32 s93, s93, 1
	s_cmp_eq_u32 s93, s81
	s_cbranch_scc1 .LBB66_85
.LBB66_11:                              ; =>This Loop Header: Depth=1
                                        ;     Child Loop BB66_36 Depth 2
	s_lshl_b32 s64, s93, 8
	s_sub_i32 s34, s79, s64
	v_lshl_add_u64 v[10:11], s[50:51], 0, v[0:1]
	v_cmp_gt_u32_e64 s[18:19], s34, v2
	s_waitcnt lgkmcnt(1)
	v_mov_b32_e32 v12, 0
	s_waitcnt lgkmcnt(0)
	; wave barrier
	s_and_saveexec_b64 s[20:21], s[18:19]
	s_cbranch_execz .LBB66_13
; %bb.12:                               ;   in Loop: Header=BB66_11 Depth=1
	global_load_ushort v12, v[10:11], off
.LBB66_13:                              ;   in Loop: Header=BB66_11 Depth=1
	s_or_b64 exec, exec, s[20:21]
	v_cmp_gt_u32_e64 s[20:21], s34, v36
	v_mov_b32_e32 v13, 0
	v_mov_b32_e32 v14, 0
	s_and_saveexec_b64 s[22:23], s[20:21]
	s_cbranch_execz .LBB66_15
; %bb.14:                               ;   in Loop: Header=BB66_11 Depth=1
	global_load_ushort v14, v[10:11], off offset:128
.LBB66_15:                              ;   in Loop: Header=BB66_11 Depth=1
	s_or_b64 exec, exec, s[22:23]
	v_cmp_gt_u32_e64 s[22:23], s34, v37
	s_and_saveexec_b64 s[24:25], s[22:23]
	s_cbranch_execz .LBB66_17
; %bb.16:                               ;   in Loop: Header=BB66_11 Depth=1
	global_load_ushort v13, v[10:11], off offset:256
.LBB66_17:                              ;   in Loop: Header=BB66_11 Depth=1
	s_or_b64 exec, exec, s[24:25]
	v_cmp_gt_u32_e64 s[24:25], s34, v38
	s_waitcnt lgkmcnt(0)
	v_mov_b32_e32 v9, 0
	v_mov_b32_e32 v15, 0
	s_and_saveexec_b64 s[26:27], s[24:25]
	s_cbranch_execz .LBB66_19
; %bb.18:                               ;   in Loop: Header=BB66_11 Depth=1
	global_load_ushort v15, v[10:11], off offset:384
.LBB66_19:                              ;   in Loop: Header=BB66_11 Depth=1
	s_or_b64 exec, exec, s[26:27]
	s_waitcnt vmcnt(0)
	ds_write_b16 v39, v12
	ds_write_b16 v40, v14 offset:128
	ds_write_b16 v41, v13 offset:256
	;; [unrolled: 1-line block ×3, first 2 shown]
	; wave barrier
	ds_read_b64 v[12:13], v43
	v_lshl_add_u64 v[10:11], s[56:57], 0, v[0:1]
	s_waitcnt lgkmcnt(0)
	; wave barrier
	s_waitcnt lgkmcnt(0)
	s_and_saveexec_b64 s[26:27], s[18:19]
	s_cbranch_execz .LBB66_21
; %bb.20:                               ;   in Loop: Header=BB66_11 Depth=1
	global_load_ushort v9, v[10:11], off
.LBB66_21:                              ;   in Loop: Header=BB66_11 Depth=1
	s_or_b64 exec, exec, s[26:27]
	v_mov_b32_e32 v14, 0
	v_mov_b32_e32 v15, 0
	s_and_saveexec_b64 s[26:27], s[20:21]
	s_cbranch_execnz .LBB66_79
; %bb.22:                               ;   in Loop: Header=BB66_11 Depth=1
	s_or_b64 exec, exec, s[26:27]
	s_and_saveexec_b64 s[26:27], s[22:23]
	s_cbranch_execnz .LBB66_80
.LBB66_23:                              ;   in Loop: Header=BB66_11 Depth=1
	s_or_b64 exec, exec, s[26:27]
	v_mov_b32_e32 v16, 0
	s_and_saveexec_b64 s[26:27], s[24:25]
	s_cbranch_execz .LBB66_25
.LBB66_24:                              ;   in Loop: Header=BB66_11 Depth=1
	global_load_ushort v16, v[10:11], off offset:384
.LBB66_25:                              ;   in Loop: Header=BB66_11 Depth=1
	s_or_b64 exec, exec, s[26:27]
	s_waitcnt vmcnt(0)
	ds_write_b16 v39, v9
	ds_write_b16 v40, v15 offset:128
	ds_write_b16 v41, v14 offset:256
	;; [unrolled: 1-line block ×3, first 2 shown]
	; wave barrier
	ds_read_b64 v[14:15], v43
	s_waitcnt lgkmcnt(0)
	v_cvt_f32_f16_e32 v9, v14
	v_add_f32_e32 v53, s33, v9
	v_cmp_ge_f32_e32 vcc, s83, v53
	s_and_b64 s[26:27], s[58:59], vcc
	s_and_saveexec_b64 s[28:29], s[26:27]
	s_cbranch_execz .LBB66_27
; %bb.26:                               ;   in Loop: Header=BB66_11 Depth=1
	v_mul_f32_e32 v9, 0x3fb8aa3b, v53
	v_rndne_f32_e32 v10, v9
	v_sub_f32_e32 v11, v9, v10
	v_fma_f32 v9, v53, s84, -v9
	v_fmac_f32_e32 v9, 0x32a5705f, v53
	v_add_f32_e32 v9, v11, v9
	v_cvt_i32_f32_e32 v10, v10
	v_exp_f32_e32 v9, v9
	v_cmp_ngt_f32_e32 vcc, s85, v53
	v_ldexp_f32 v9, v9, v10
	s_nop 0
	v_cndmask_b32_e32 v9, 0, v9, vcc
	v_cmp_nlt_f32_e32 vcc, s86, v53
	s_nop 1
	v_cndmask_b32_e32 v30, v50, v9, vcc
	v_add_f32_e32 v9, 1.0, v30
	v_add_f32_e32 v10, -1.0, v9
	v_sub_f32_e32 v11, v10, v9
	v_add_f32_e32 v11, 1.0, v11
	v_sub_f32_e32 v10, v30, v10
	v_add_f32_e32 v16, v10, v11
	v_frexp_mant_f32_e32 v17, v9
	v_cvt_f64_f32_e32 v[10:11], v9
	v_frexp_exp_i32_f64_e32 v10, v[10:11]
	v_cmp_gt_f32_e32 vcc, s88, v17
	v_cmp_gt_f32_e64 s[26:27], s90, v30
	s_nop 0
	v_subbrev_co_u32_e32 v22, vcc, 0, v10, vcc
	v_sub_u32_e32 v10, 0, v22
	v_ldexp_f32 v9, v9, v10
	v_ldexp_f32 v10, v16, v10
	v_add_f32_e32 v16, -1.0, v9
	v_add_f32_e32 v11, 1.0, v16
	v_sub_f32_e32 v11, v9, v11
	v_add_f32_e32 v17, v10, v11
	v_add_f32_e32 v11, 1.0, v9
	v_add_f32_e32 v18, -1.0, v11
	v_sub_f32_e32 v9, v9, v18
	v_add_f32_e32 v9, v10, v9
	v_add_f32_e32 v23, v11, v9
	v_rcp_f32_e32 v24, v23
	v_sub_f32_e32 v10, v11, v23
	v_add_f32_e32 v11, v16, v17
	v_add_f32_e32 v9, v9, v10
	v_mul_f32_e32 v26, v11, v24
	v_sub_f32_e32 v10, v16, v11
	v_mul_f32_e32 v16, v23, v26
	v_fma_f32 v18, v26, v23, -v16
	v_fmac_f32_e32 v18, v26, v9
	v_add_f32_e32 v25, v17, v10
	v_add_f32_e32 v10, v16, v18
	v_sub_f32_e32 v17, v11, v10
	v_pk_add_f32 v[20:21], v[10:11], v[16:17] neg_lo:[0,1] neg_hi:[0,1]
	v_mov_b32_e32 v19, v10
	v_pk_add_f32 v[10:11], v[20:21], v[18:19] neg_lo:[0,1] neg_hi:[0,1]
	v_cmp_eq_f32_e32 vcc, s87, v30
	v_add_f32_e32 v11, v25, v11
	v_add_f32_e32 v10, v10, v11
	;; [unrolled: 1-line block ×3, first 2 shown]
	v_mul_f32_e32 v25, v24, v11
	v_mul_f32_e32 v16, v23, v25
	v_fma_f32 v18, v25, v23, -v16
	v_fmac_f32_e32 v18, v25, v9
	v_sub_f32_e32 v9, v17, v11
	v_add_f32_e32 v9, v10, v9
	v_add_f32_e32 v10, v16, v18
	v_sub_f32_e32 v17, v11, v10
	v_pk_add_f32 v[20:21], v[10:11], v[16:17] neg_lo:[0,1] neg_hi:[0,1]
	v_mov_b32_e32 v19, v10
	v_pk_add_f32 v[10:11], v[20:21], v[18:19] neg_lo:[0,1] neg_hi:[0,1]
	s_or_b64 vcc, s[26:27], vcc
	v_add_f32_e32 v9, v9, v11
	v_add_f32_e32 v9, v10, v9
	;; [unrolled: 1-line block ×4, first 2 shown]
	v_sub_f32_e32 v10, v11, v26
	v_mul_f32_e32 v9, v24, v9
	v_sub_f32_e32 v10, v25, v10
	v_add_f32_e32 v16, v10, v9
	v_add_f32_e32 v18, v11, v16
	v_cvt_f32_i32_e32 v10, v22
	v_mul_f32_e32 v19, v18, v18
	v_sub_f32_e32 v11, v18, v11
	v_fmamk_f32 v9, v19, 0x3e9b6dac, v49
	v_sub_f32_e32 v11, v16, v11
	v_fmaak_f32 v9, v19, v9, 0x3f2aaada
	v_ldexp_f32 v20, v11, 1
	v_mul_f32_e32 v11, v18, v19
	v_ldexp_f32 v17, v18, 1
	v_pk_mul_f32 v[18:19], v[10:11], v[8:9]
	s_nop 0
	v_fma_f32 v16, v10, s89, -v18
	v_fmac_f32_e32 v16, 0xb102e308, v10
	v_pk_add_f32 v[10:11], v[18:19], v[16:17]
	s_nop 0
	v_sub_f32_e32 v9, v11, v17
	v_sub_f32_e32 v9, v19, v9
	v_add_f32_e32 v21, v20, v9
	v_mov_b32_e32 v20, v18
	v_pk_add_f32 v[18:19], v[10:11], v[18:19] neg_lo:[0,1] neg_hi:[0,1]
	v_pk_add_f32 v[22:23], v[10:11], v[20:21]
	v_mov_b32_e32 v17, v10
	v_mov_b32_e32 v19, v23
	v_pk_add_f32 v[24:25], v[16:17], v[18:19] neg_lo:[0,1] neg_hi:[0,1]
	v_pk_add_f32 v[16:17], v[16:17], v[18:19]
	v_mov_b32_e32 v20, v21
	v_mov_b32_e32 v18, v17
	v_pk_add_f32 v[26:27], v[18:19], v[10:11] neg_lo:[0,1] neg_hi:[0,1]
	v_mov_b32_e32 v16, v23
	v_mov_b32_e32 v9, v26
	v_pk_add_f32 v[28:29], v[22:23], v[8:9] neg_lo:[0,1] neg_hi:[0,1]
	v_mov_b32_e32 v22, v11
	v_mov_b32_e32 v23, v26
	;; [unrolled: 1-line block ×3, first 2 shown]
	v_pk_add_f32 v[16:17], v[16:17], v[22:23] neg_lo:[0,1] neg_hi:[0,1]
	v_mov_b32_e32 v21, v10
	v_pk_add_f32 v[10:11], v[20:21], v[16:17] neg_lo:[0,1] neg_hi:[0,1]
	v_mov_b32_e32 v28, v24
	v_pk_add_f32 v[16:17], v[28:29], v[10:11]
	s_nop 0
	v_mov_b32_e32 v20, v17
	v_pk_add_f32 v[20:21], v[16:17], v[20:21]
	s_nop 0
	v_pk_add_f32 v[18:19], v[18:19], v[20:21]
	v_mov_b32_e32 v11, v20
	v_mov_b32_e32 v17, v18
	v_pk_add_f32 v[22:23], v[16:17], v[24:25] neg_lo:[0,1] neg_hi:[0,1]
	s_nop 0
	v_sub_f32_e32 v9, v16, v22
	v_pk_add_f32 v[10:11], v[10:11], v[22:23] neg_lo:[0,1] neg_hi:[0,1]
	v_sub_f32_e32 v9, v24, v9
	v_add_f32_e32 v9, v10, v9
	v_add_f32_e32 v9, v9, v11
	;; [unrolled: 1-line block ×3, first 2 shown]
	v_cndmask_b32_e32 v53, v9, v30, vcc
.LBB66_27:                              ;   in Loop: Header=BB66_11 Depth=1
	s_or_b64 exec, exec, s[28:29]
	v_cvt_f32_f16_sdwa v9, v14 dst_sel:DWORD dst_unused:UNUSED_PAD src0_sel:WORD_1
	v_add_f32_e32 v54, s33, v9
	v_cmp_ge_f32_e32 vcc, s83, v54
	s_and_b64 s[26:27], s[58:59], vcc
	s_and_saveexec_b64 s[28:29], s[26:27]
	s_cbranch_execz .LBB66_29
; %bb.28:                               ;   in Loop: Header=BB66_11 Depth=1
	v_mul_f32_e32 v9, 0x3fb8aa3b, v54
	v_rndne_f32_e32 v10, v9
	v_sub_f32_e32 v11, v9, v10
	v_fma_f32 v9, v54, s84, -v9
	v_fmac_f32_e32 v9, 0x32a5705f, v54
	v_add_f32_e32 v9, v11, v9
	v_cvt_i32_f32_e32 v10, v10
	v_exp_f32_e32 v9, v9
	v_cmp_ngt_f32_e32 vcc, s85, v54
	v_ldexp_f32 v9, v9, v10
	s_nop 0
	v_cndmask_b32_e32 v9, 0, v9, vcc
	v_cmp_nlt_f32_e32 vcc, s86, v54
	s_nop 1
	v_cndmask_b32_e32 v28, v50, v9, vcc
	v_add_f32_e32 v9, 1.0, v28
	v_add_f32_e32 v10, -1.0, v9
	v_sub_f32_e32 v11, v10, v9
	v_add_f32_e32 v11, 1.0, v11
	v_sub_f32_e32 v10, v28, v10
	v_add_f32_e32 v14, v10, v11
	v_frexp_mant_f32_e32 v16, v9
	v_cvt_f64_f32_e32 v[10:11], v9
	v_frexp_exp_i32_f64_e32 v10, v[10:11]
	v_cmp_gt_f32_e32 vcc, s88, v16
	v_cmp_gt_f32_e64 s[26:27], s90, v28
	s_nop 0
	v_subbrev_co_u32_e32 v22, vcc, 0, v10, vcc
	v_sub_u32_e32 v10, 0, v22
	v_ldexp_f32 v9, v9, v10
	v_ldexp_f32 v10, v14, v10
	v_add_f32_e32 v14, -1.0, v9
	v_add_f32_e32 v11, 1.0, v14
	v_sub_f32_e32 v11, v9, v11
	v_add_f32_e32 v16, v10, v11
	v_add_f32_e32 v11, 1.0, v9
	v_add_f32_e32 v17, -1.0, v11
	v_sub_f32_e32 v9, v9, v17
	v_add_f32_e32 v9, v10, v9
	v_add_f32_e32 v23, v11, v9
	v_rcp_f32_e32 v24, v23
	v_sub_f32_e32 v10, v11, v23
	v_add_f32_e32 v11, v14, v16
	v_add_f32_e32 v9, v9, v10
	v_sub_f32_e32 v10, v14, v11
	v_mul_f32_e32 v25, v11, v24
	v_add_f32_e32 v14, v16, v10
	v_mul_f32_e32 v16, v23, v25
	v_fma_f32 v18, v25, v23, -v16
	v_fmac_f32_e32 v18, v25, v9
	v_add_f32_e32 v10, v16, v18
	v_sub_f32_e32 v17, v11, v10
	v_pk_add_f32 v[20:21], v[10:11], v[16:17] neg_lo:[0,1] neg_hi:[0,1]
	v_mov_b32_e32 v19, v10
	v_pk_add_f32 v[10:11], v[20:21], v[18:19] neg_lo:[0,1] neg_hi:[0,1]
	v_cmp_eq_f32_e32 vcc, s87, v28
	v_add_f32_e32 v11, v14, v11
	v_add_f32_e32 v10, v10, v11
	v_add_f32_e32 v11, v17, v10
	v_mul_f32_e32 v14, v24, v11
	v_mul_f32_e32 v16, v23, v14
	v_fma_f32 v18, v14, v23, -v16
	v_fmac_f32_e32 v18, v14, v9
	v_sub_f32_e32 v9, v17, v11
	v_add_f32_e32 v9, v10, v9
	v_add_f32_e32 v10, v16, v18
	v_sub_f32_e32 v17, v11, v10
	v_pk_add_f32 v[20:21], v[10:11], v[16:17] neg_lo:[0,1] neg_hi:[0,1]
	v_mov_b32_e32 v19, v10
	v_pk_add_f32 v[10:11], v[20:21], v[18:19] neg_lo:[0,1] neg_hi:[0,1]
	s_or_b64 vcc, s[26:27], vcc
	v_add_f32_e32 v9, v9, v11
	v_add_f32_e32 v9, v10, v9
	v_add_f32_e32 v11, v25, v14
	v_add_f32_e32 v9, v17, v9
	v_sub_f32_e32 v10, v11, v25
	v_mul_f32_e32 v9, v24, v9
	v_sub_f32_e32 v10, v14, v10
	v_add_f32_e32 v14, v10, v9
	v_add_f32_e32 v16, v11, v14
	v_cvt_f32_i32_e32 v10, v22
	v_mul_f32_e32 v18, v16, v16
	v_sub_f32_e32 v11, v16, v11
	v_fmamk_f32 v9, v18, 0x3e9b6dac, v49
	v_sub_f32_e32 v11, v14, v11
	v_fmaak_f32 v9, v18, v9, 0x3f2aaada
	v_ldexp_f32 v14, v11, 1
	v_mul_f32_e32 v11, v16, v18
	v_pk_mul_f32 v[18:19], v[10:11], v[8:9]
	v_ldexp_f32 v17, v16, 1
	v_fma_f32 v16, v10, s89, -v18
	v_fmac_f32_e32 v16, 0xb102e308, v10
	v_pk_add_f32 v[10:11], v[18:19], v[16:17]
	v_mov_b32_e32 v20, v18
	v_sub_f32_e32 v9, v11, v17
	v_sub_f32_e32 v9, v19, v9
	v_add_f32_e32 v21, v14, v9
	v_pk_add_f32 v[18:19], v[10:11], v[18:19] neg_lo:[0,1] neg_hi:[0,1]
	v_pk_add_f32 v[22:23], v[10:11], v[20:21]
	v_mov_b32_e32 v17, v10
	v_mov_b32_e32 v19, v23
	v_pk_add_f32 v[24:25], v[16:17], v[18:19] neg_lo:[0,1] neg_hi:[0,1]
	v_pk_add_f32 v[16:17], v[16:17], v[18:19]
	s_nop 0
	v_mov_b32_e32 v14, v17
	v_pk_add_f32 v[18:19], v[14:15], v[10:11] neg_lo:[0,1] neg_hi:[0,1]
	v_mov_b32_e32 v16, v23
	v_mov_b32_e32 v9, v18
	v_pk_add_f32 v[26:27], v[22:23], v[8:9] neg_lo:[0,1] neg_hi:[0,1]
	v_mov_b32_e32 v22, v11
	v_mov_b32_e32 v23, v18
	;; [unrolled: 1-line block ×3, first 2 shown]
	v_pk_add_f32 v[16:17], v[16:17], v[22:23] neg_lo:[0,1] neg_hi:[0,1]
	v_mov_b32_e32 v18, v21
	v_mov_b32_e32 v19, v10
	v_pk_add_f32 v[10:11], v[18:19], v[16:17] neg_lo:[0,1] neg_hi:[0,1]
	v_mov_b32_e32 v26, v24
	v_pk_add_f32 v[16:17], v[26:27], v[10:11]
	s_nop 0
	v_mov_b32_e32 v18, v17
	v_pk_add_f32 v[18:19], v[16:17], v[18:19]
	s_nop 0
	v_pk_add_f32 v[20:21], v[14:15], v[18:19]
	v_mov_b32_e32 v11, v18
	v_mov_b32_e32 v17, v20
	v_pk_add_f32 v[22:23], v[16:17], v[24:25] neg_lo:[0,1] neg_hi:[0,1]
	s_nop 0
	v_sub_f32_e32 v9, v16, v22
	v_pk_add_f32 v[10:11], v[10:11], v[22:23] neg_lo:[0,1] neg_hi:[0,1]
	v_sub_f32_e32 v9, v24, v9
	v_add_f32_e32 v9, v10, v9
	v_add_f32_e32 v9, v9, v11
	v_add_f32_e32 v9, v20, v9
	v_cndmask_b32_e32 v54, v9, v28, vcc
.LBB66_29:                              ;   in Loop: Header=BB66_11 Depth=1
	s_or_b64 exec, exec, s[28:29]
	v_cvt_f32_f16_e32 v9, v15
	v_add_f32_e32 v11, s33, v9
	v_cmp_ge_f32_e32 vcc, s83, v11
	s_and_b64 s[26:27], s[58:59], vcc
	s_and_saveexec_b64 s[28:29], s[26:27]
	s_cbranch_execz .LBB66_31
; %bb.30:                               ;   in Loop: Header=BB66_11 Depth=1
	v_mul_f32_e32 v9, 0x3fb8aa3b, v11
	v_rndne_f32_e32 v10, v9
	v_sub_f32_e32 v14, v9, v10
	v_fma_f32 v9, v11, s84, -v9
	v_fmac_f32_e32 v9, 0x32a5705f, v11
	v_add_f32_e32 v9, v14, v9
	v_cvt_i32_f32_e32 v10, v10
	v_exp_f32_e32 v9, v9
	v_cmp_ngt_f32_e32 vcc, s85, v11
	v_ldexp_f32 v9, v9, v10
	s_nop 0
	v_cndmask_b32_e32 v9, 0, v9, vcc
	v_cmp_nlt_f32_e32 vcc, s86, v11
	s_nop 1
	v_cndmask_b32_e32 v28, v50, v9, vcc
	v_add_f32_e32 v9, 1.0, v28
	v_add_f32_e32 v10, -1.0, v9
	v_sub_f32_e32 v11, v10, v9
	v_add_f32_e32 v11, 1.0, v11
	v_sub_f32_e32 v10, v28, v10
	v_add_f32_e32 v14, v10, v11
	v_frexp_mant_f32_e32 v16, v9
	v_cvt_f64_f32_e32 v[10:11], v9
	v_frexp_exp_i32_f64_e32 v10, v[10:11]
	v_cmp_gt_f32_e32 vcc, s88, v16
	v_cmp_gt_f32_e64 s[26:27], s90, v28
	s_nop 0
	v_subbrev_co_u32_e32 v22, vcc, 0, v10, vcc
	v_sub_u32_e32 v10, 0, v22
	v_ldexp_f32 v9, v9, v10
	v_ldexp_f32 v10, v14, v10
	v_add_f32_e32 v14, -1.0, v9
	v_add_f32_e32 v11, 1.0, v14
	v_sub_f32_e32 v11, v9, v11
	v_add_f32_e32 v16, v10, v11
	v_add_f32_e32 v11, 1.0, v9
	v_add_f32_e32 v17, -1.0, v11
	v_sub_f32_e32 v9, v9, v17
	v_add_f32_e32 v9, v10, v9
	v_add_f32_e32 v23, v11, v9
	v_rcp_f32_e32 v24, v23
	v_sub_f32_e32 v10, v11, v23
	v_add_f32_e32 v11, v14, v16
	v_add_f32_e32 v9, v9, v10
	v_sub_f32_e32 v10, v14, v11
	v_mul_f32_e32 v25, v11, v24
	v_add_f32_e32 v14, v16, v10
	v_mul_f32_e32 v16, v23, v25
	v_fma_f32 v18, v25, v23, -v16
	v_fmac_f32_e32 v18, v25, v9
	v_add_f32_e32 v10, v16, v18
	v_sub_f32_e32 v17, v11, v10
	v_pk_add_f32 v[20:21], v[10:11], v[16:17] neg_lo:[0,1] neg_hi:[0,1]
	v_mov_b32_e32 v19, v10
	v_pk_add_f32 v[10:11], v[20:21], v[18:19] neg_lo:[0,1] neg_hi:[0,1]
	v_cmp_eq_f32_e32 vcc, s87, v28
	v_add_f32_e32 v11, v14, v11
	v_add_f32_e32 v10, v10, v11
	;; [unrolled: 1-line block ×3, first 2 shown]
	v_mul_f32_e32 v14, v24, v11
	v_mul_f32_e32 v16, v23, v14
	v_fma_f32 v18, v14, v23, -v16
	v_fmac_f32_e32 v18, v14, v9
	v_sub_f32_e32 v9, v17, v11
	v_add_f32_e32 v9, v10, v9
	v_add_f32_e32 v10, v16, v18
	v_sub_f32_e32 v17, v11, v10
	v_pk_add_f32 v[20:21], v[10:11], v[16:17] neg_lo:[0,1] neg_hi:[0,1]
	v_mov_b32_e32 v19, v10
	v_pk_add_f32 v[10:11], v[20:21], v[18:19] neg_lo:[0,1] neg_hi:[0,1]
	s_or_b64 vcc, s[26:27], vcc
	v_add_f32_e32 v9, v9, v11
	v_add_f32_e32 v9, v10, v9
	;; [unrolled: 1-line block ×4, first 2 shown]
	v_sub_f32_e32 v10, v11, v25
	v_mul_f32_e32 v9, v24, v9
	v_sub_f32_e32 v10, v14, v10
	v_add_f32_e32 v14, v10, v9
	v_add_f32_e32 v16, v11, v14
	v_cvt_f32_i32_e32 v10, v22
	v_mul_f32_e32 v18, v16, v16
	v_sub_f32_e32 v11, v16, v11
	v_fmamk_f32 v9, v18, 0x3e9b6dac, v49
	v_sub_f32_e32 v11, v14, v11
	v_fmaak_f32 v9, v18, v9, 0x3f2aaada
	v_ldexp_f32 v14, v11, 1
	v_mul_f32_e32 v11, v16, v18
	v_pk_mul_f32 v[18:19], v[10:11], v[8:9]
	v_ldexp_f32 v17, v16, 1
	v_fma_f32 v16, v10, s89, -v18
	v_fmac_f32_e32 v16, 0xb102e308, v10
	v_pk_add_f32 v[10:11], v[18:19], v[16:17]
	v_mov_b32_e32 v20, v18
	v_sub_f32_e32 v9, v11, v17
	v_sub_f32_e32 v9, v19, v9
	v_add_f32_e32 v21, v14, v9
	v_pk_add_f32 v[18:19], v[10:11], v[18:19] neg_lo:[0,1] neg_hi:[0,1]
	v_pk_add_f32 v[22:23], v[10:11], v[20:21]
	v_mov_b32_e32 v17, v10
	v_mov_b32_e32 v19, v23
	v_pk_add_f32 v[24:25], v[16:17], v[18:19] neg_lo:[0,1] neg_hi:[0,1]
	v_pk_add_f32 v[16:17], v[16:17], v[18:19]
	s_nop 0
	v_mov_b32_e32 v14, v17
	v_pk_add_f32 v[18:19], v[14:15], v[10:11] neg_lo:[0,1] neg_hi:[0,1]
	v_mov_b32_e32 v16, v23
	v_mov_b32_e32 v9, v18
	v_pk_add_f32 v[26:27], v[22:23], v[8:9] neg_lo:[0,1] neg_hi:[0,1]
	v_mov_b32_e32 v22, v11
	v_mov_b32_e32 v23, v18
	;; [unrolled: 1-line block ×3, first 2 shown]
	v_pk_add_f32 v[16:17], v[16:17], v[22:23] neg_lo:[0,1] neg_hi:[0,1]
	v_mov_b32_e32 v18, v21
	v_mov_b32_e32 v19, v10
	v_pk_add_f32 v[10:11], v[18:19], v[16:17] neg_lo:[0,1] neg_hi:[0,1]
	v_mov_b32_e32 v26, v24
	v_pk_add_f32 v[16:17], v[26:27], v[10:11]
	s_nop 0
	v_mov_b32_e32 v18, v17
	v_pk_add_f32 v[18:19], v[16:17], v[18:19]
	s_nop 0
	v_pk_add_f32 v[20:21], v[14:15], v[18:19]
	v_mov_b32_e32 v11, v18
	v_mov_b32_e32 v17, v20
	v_pk_add_f32 v[22:23], v[16:17], v[24:25] neg_lo:[0,1] neg_hi:[0,1]
	s_nop 0
	v_sub_f32_e32 v9, v16, v22
	v_pk_add_f32 v[10:11], v[10:11], v[22:23] neg_lo:[0,1] neg_hi:[0,1]
	v_sub_f32_e32 v9, v24, v9
	v_add_f32_e32 v9, v10, v9
	v_add_f32_e32 v9, v9, v11
	;; [unrolled: 1-line block ×3, first 2 shown]
	v_cndmask_b32_e32 v11, v9, v28, vcc
.LBB66_31:                              ;   in Loop: Header=BB66_11 Depth=1
	s_or_b64 exec, exec, s[28:29]
	v_cvt_f32_f16_sdwa v9, v15 dst_sel:DWORD dst_unused:UNUSED_PAD src0_sel:WORD_1
	v_add_f32_e32 v10, s33, v9
	v_cmp_ge_f32_e32 vcc, s83, v10
	s_and_b64 s[26:27], s[58:59], vcc
	s_and_saveexec_b64 s[28:29], s[26:27]
	s_cbranch_execz .LBB66_33
; %bb.32:                               ;   in Loop: Header=BB66_11 Depth=1
	v_mul_f32_e32 v9, 0x3fb8aa3b, v10
	v_rndne_f32_e32 v14, v9
	v_sub_f32_e32 v15, v9, v14
	v_fma_f32 v9, v10, s84, -v9
	v_fmac_f32_e32 v9, 0x32a5705f, v10
	v_add_f32_e32 v9, v15, v9
	v_cvt_i32_f32_e32 v14, v14
	v_exp_f32_e32 v9, v9
	v_cmp_ngt_f32_e32 vcc, s85, v10
	v_ldexp_f32 v9, v9, v14
	s_nop 0
	v_cndmask_b32_e32 v9, 0, v9, vcc
	v_cmp_nlt_f32_e32 vcc, s86, v10
	s_nop 1
	v_cndmask_b32_e32 v28, v50, v9, vcc
	v_add_f32_e32 v9, 1.0, v28
	v_add_f32_e32 v10, -1.0, v9
	v_sub_f32_e32 v14, v10, v9
	v_add_f32_e32 v14, 1.0, v14
	v_sub_f32_e32 v10, v28, v10
	v_add_f32_e32 v10, v10, v14
	v_frexp_mant_f32_e32 v16, v9
	v_cvt_f64_f32_e32 v[14:15], v9
	v_frexp_exp_i32_f64_e32 v14, v[14:15]
	v_cmp_gt_f32_e32 vcc, s88, v16
	v_cmp_gt_f32_e64 s[26:27], s90, v28
	s_nop 0
	v_subbrev_co_u32_e32 v22, vcc, 0, v14, vcc
	v_sub_u32_e32 v14, 0, v22
	v_ldexp_f32 v9, v9, v14
	v_ldexp_f32 v10, v10, v14
	v_add_f32_e32 v14, -1.0, v9
	v_add_f32_e32 v15, 1.0, v14
	v_sub_f32_e32 v15, v9, v15
	v_add_f32_e32 v16, v10, v15
	v_add_f32_e32 v15, 1.0, v9
	v_add_f32_e32 v17, -1.0, v15
	v_sub_f32_e32 v9, v9, v17
	v_add_f32_e32 v9, v10, v9
	v_add_f32_e32 v10, v15, v9
	v_rcp_f32_e32 v23, v10
	v_sub_f32_e32 v15, v15, v10
	v_add_f32_e32 v9, v9, v15
	v_add_f32_e32 v15, v14, v16
	v_sub_f32_e32 v14, v14, v15
	v_mul_f32_e32 v25, v15, v23
	v_add_f32_e32 v24, v16, v14
	v_mul_f32_e32 v16, v10, v25
	v_fma_f32 v18, v25, v10, -v16
	v_fmac_f32_e32 v18, v25, v9
	v_add_f32_e32 v14, v16, v18
	v_sub_f32_e32 v17, v15, v14
	v_pk_add_f32 v[20:21], v[14:15], v[16:17] neg_lo:[0,1] neg_hi:[0,1]
	v_mov_b32_e32 v19, v14
	v_pk_add_f32 v[14:15], v[20:21], v[18:19] neg_lo:[0,1] neg_hi:[0,1]
	v_cmp_eq_f32_e32 vcc, s87, v28
	v_add_f32_e32 v15, v24, v15
	v_add_f32_e32 v14, v14, v15
	v_add_f32_e32 v15, v17, v14
	v_mul_f32_e32 v24, v23, v15
	v_mul_f32_e32 v16, v10, v24
	v_fma_f32 v18, v24, v10, -v16
	v_fmac_f32_e32 v18, v24, v9
	v_sub_f32_e32 v9, v17, v15
	v_add_f32_e32 v9, v14, v9
	v_add_f32_e32 v14, v16, v18
	v_sub_f32_e32 v17, v15, v14
	v_pk_add_f32 v[20:21], v[14:15], v[16:17] neg_lo:[0,1] neg_hi:[0,1]
	v_mov_b32_e32 v19, v14
	v_pk_add_f32 v[14:15], v[20:21], v[18:19] neg_lo:[0,1] neg_hi:[0,1]
	v_add_f32_e32 v10, v25, v24
	v_add_f32_e32 v9, v9, v15
	;; [unrolled: 1-line block ×4, first 2 shown]
	v_sub_f32_e32 v14, v10, v25
	v_mul_f32_e32 v9, v23, v9
	v_sub_f32_e32 v14, v24, v14
	v_add_f32_e32 v15, v14, v9
	v_add_f32_e32 v16, v10, v15
	v_cvt_f32_i32_e32 v14, v22
	v_mul_f32_e32 v18, v16, v16
	v_fmamk_f32 v9, v18, 0x3e9b6dac, v49
	v_sub_f32_e32 v10, v16, v10
	v_fmaak_f32 v9, v18, v9, 0x3f2aaada
	v_sub_f32_e32 v10, v15, v10
	v_mul_f32_e32 v15, v16, v18
	v_pk_mul_f32 v[18:19], v[14:15], v[8:9]
	v_ldexp_f32 v17, v16, 1
	v_fma_f32 v16, v14, s89, -v18
	v_fmac_f32_e32 v16, 0xb102e308, v14
	v_pk_add_f32 v[14:15], v[18:19], v[16:17]
	v_ldexp_f32 v10, v10, 1
	v_sub_f32_e32 v9, v15, v17
	v_sub_f32_e32 v9, v19, v9
	v_add_f32_e32 v21, v10, v9
	v_mov_b32_e32 v20, v18
	v_pk_add_f32 v[18:19], v[14:15], v[18:19] neg_lo:[0,1] neg_hi:[0,1]
	v_pk_add_f32 v[22:23], v[14:15], v[20:21]
	v_mov_b32_e32 v17, v14
	v_mov_b32_e32 v19, v23
	v_pk_add_f32 v[24:25], v[16:17], v[18:19] neg_lo:[0,1] neg_hi:[0,1]
	v_pk_add_f32 v[16:17], v[16:17], v[18:19]
	s_or_b64 vcc, s[26:27], vcc
	v_mov_b32_e32 v10, v17
	v_pk_add_f32 v[18:19], v[10:11], v[14:15] neg_lo:[0,1] neg_hi:[0,1]
	v_mov_b32_e32 v16, v23
	v_mov_b32_e32 v9, v18
	v_pk_add_f32 v[26:27], v[22:23], v[8:9] neg_lo:[0,1] neg_hi:[0,1]
	v_mov_b32_e32 v22, v15
	v_mov_b32_e32 v23, v18
	;; [unrolled: 1-line block ×3, first 2 shown]
	v_pk_add_f32 v[16:17], v[16:17], v[22:23] neg_lo:[0,1] neg_hi:[0,1]
	v_mov_b32_e32 v18, v21
	v_mov_b32_e32 v19, v14
	v_pk_add_f32 v[14:15], v[18:19], v[16:17] neg_lo:[0,1] neg_hi:[0,1]
	v_mov_b32_e32 v26, v24
	v_pk_add_f32 v[16:17], v[26:27], v[14:15]
	s_nop 0
	v_mov_b32_e32 v18, v17
	v_pk_add_f32 v[18:19], v[16:17], v[18:19]
	s_nop 0
	v_pk_add_f32 v[20:21], v[10:11], v[18:19]
	v_mov_b32_e32 v15, v18
	v_mov_b32_e32 v17, v20
	v_pk_add_f32 v[22:23], v[16:17], v[24:25] neg_lo:[0,1] neg_hi:[0,1]
	s_nop 0
	v_sub_f32_e32 v9, v16, v22
	v_pk_add_f32 v[14:15], v[14:15], v[22:23] neg_lo:[0,1] neg_hi:[0,1]
	v_sub_f32_e32 v9, v24, v9
	v_add_f32_e32 v9, v14, v9
	v_add_f32_e32 v9, v9, v15
	v_add_f32_e32 v9, v20, v9
	v_cndmask_b32_e32 v10, v9, v28, vcc
.LBB66_33:                              ;   in Loop: Header=BB66_11 Depth=1
	s_or_b64 exec, exec, s[28:29]
	v_cvt_f32_f16_e32 v20, v13
	v_cvt_f32_f16_sdwa v21, v12 dst_sel:DWORD dst_unused:UNUSED_PAD src0_sel:WORD_1
	v_cvt_f32_f16_e32 v22, v12
	v_cvt_f32_f16_sdwa v9, v13 dst_sel:DWORD dst_unused:UNUSED_PAD src0_sel:WORD_1
	v_mul_f32_e32 v14, s78, v20
	v_mul_f32_e32 v13, s78, v21
	;; [unrolled: 1-line block ×4, first 2 shown]
	s_and_b64 vcc, exec, s[60:61]
	s_waitcnt lgkmcnt(0)
	; wave barrier
	s_cbranch_vccz .LBB66_75
; %bb.34:                               ;   in Loop: Header=BB66_11 Depth=1
	s_cmp_lg_u32 s93, 0
	s_cselect_b64 s[66:67], -1, 0
	s_cmp_eq_u32 s93, s82
	v_cmp_gt_u32_e32 vcc, s34, v7
	s_cselect_b64 s[68:69], -1, 0
	s_or_b64 s[26:27], s[62:63], vcc
	v_cmp_gt_u32_e32 vcc, s34, v6
	s_mov_b32 s54, 0
	v_cmp_gt_u32_e64 s[28:29], s34, v3
	s_or_b64 s[30:31], s[62:63], vcc
	v_cmp_gt_u32_e32 vcc, s34, v48
	v_mul_f32_e32 v9, v10, v9
	v_lshl_add_u64 v[16:17], s[42:43], 0, v[0:1]
	v_lshl_add_u64 v[18:19], s[46:47], 0, v[0:1]
	v_mul_f32_e32 v55, v11, v20
	v_mul_f32_e32 v56, v54, v21
	v_mul_f32_e32 v57, v53, v22
	s_or_b64 s[28:29], s[62:63], s[28:29]
	s_or_b64 s[34:35], s[62:63], vcc
	s_mov_b32 s70, s54
	s_mov_b32 s72, s54
	;; [unrolled: 1-line block ×5, first 2 shown]
	s_branch .LBB66_36
.LBB66_35:                              ;   in Loop: Header=BB66_36 Depth=2
	s_or_b64 exec, exec, s[36:37]
	v_mul_f32_e32 v22, v29, v28
	v_fma_f32 v23, v29, v31, v24
	v_cndmask_b32_e64 v24, v23, v24, s[16:17]
	v_cndmask_b32_e64 v22, v22, v29, s[16:17]
	s_waitcnt lgkmcnt(0)
	v_fmac_f32_e32 v24, v34, v22
	v_fmac_f32_e32 v25, v24, v27
	v_cvt_f32_f16_sdwa v23, v21 dst_sel:DWORD dst_unused:UNUSED_PAD src0_sel:WORD_1
	v_cvt_f32_f16_e32 v22, v21
	v_cvt_f32_f16_sdwa v21, v20 dst_sel:DWORD dst_unused:UNUSED_PAD src0_sel:WORD_1
	v_cvt_f32_f16_e32 v20, v20
	v_fmac_f32_e32 v26, v25, v33
	v_fmac_f32_e32 v30, v26, v32
	v_mov_b32_e32 v27, v30
	s_add_i32 s94, s94, 8
	s_add_i32 s65, s65, -1
	s_add_i32 s74, s74, s38
	s_add_i32 s72, s72, s48
	;; [unrolled: 1-line block ×4, first 2 shown]
	v_pk_fma_f32 v[14:15], v[26:27], v[22:23], v[14:15]
	s_cmp_eq_u32 s65, 0
	v_pk_fma_f32 v[12:13], v[24:25], v[20:21], v[12:13]
	s_cbranch_scc1 .LBB66_75
.LBB66_36:                              ;   Parent Loop BB66_11 Depth=1
                                        ; =>  This Inner Loop Header: Depth=2
	s_lshl_b64 s[36:37], s[54:55], 2
	s_add_u32 s36, s40, s36
	s_addc_u32 s37, s80, s37
	global_load_dword v26, v1, s[36:37]
	s_mov_b32 s71, s55
	v_lshl_add_u64 v[20:21], s[70:71], 1, v[16:17]
	v_mov_b32_e32 v22, 0
	v_mov_b32_e32 v23, 0
	s_and_saveexec_b64 s[36:37], s[18:19]
	s_cbranch_execnz .LBB66_48
; %bb.37:                               ;   in Loop: Header=BB66_36 Depth=2
	s_or_b64 exec, exec, s[36:37]
	s_and_saveexec_b64 s[36:37], s[20:21]
	s_cbranch_execnz .LBB66_49
.LBB66_38:                              ;   in Loop: Header=BB66_36 Depth=2
	s_or_b64 exec, exec, s[36:37]
	v_mov_b32_e32 v24, 0
	s_and_saveexec_b64 s[36:37], s[22:23]
	s_cbranch_execnz .LBB66_50
.LBB66_39:                              ;   in Loop: Header=BB66_36 Depth=2
	s_or_b64 exec, exec, s[36:37]
	s_and_saveexec_b64 s[36:37], s[24:25]
	s_cbranch_execz .LBB66_41
.LBB66_40:                              ;   in Loop: Header=BB66_36 Depth=2
	global_load_ushort v20, v[20:21], off offset:384
	s_waitcnt vmcnt(0)
	v_lshl_or_b32 v24, v20, 16, v24
.LBB66_41:                              ;   in Loop: Header=BB66_36 Depth=2
	s_or_b64 exec, exec, s[36:37]
	s_waitcnt vmcnt(0)
	ds_write_b16 v39, v23
	ds_write_b16 v40, v22 offset:128
	ds_write_b16 v41, v24 offset:256
	ds_write_b16_d16_hi v42, v24 offset:384
	; wave barrier
	ds_read_b64 v[24:25], v43
	s_mov_b32 s73, s55
	v_lshl_add_u64 v[20:21], s[72:73], 1, v[18:19]
	v_mov_b32_e32 v22, 0
	v_mov_b32_e32 v23, 0
	s_and_saveexec_b64 s[36:37], s[18:19]
	s_cbranch_execnz .LBB66_51
; %bb.42:                               ;   in Loop: Header=BB66_36 Depth=2
	s_or_b64 exec, exec, s[36:37]
	s_and_saveexec_b64 s[36:37], s[20:21]
	s_cbranch_execnz .LBB66_52
.LBB66_43:                              ;   in Loop: Header=BB66_36 Depth=2
	s_or_b64 exec, exec, s[36:37]
	v_mov_b32_e32 v27, 0
	s_and_saveexec_b64 s[36:37], s[22:23]
	s_cbranch_execnz .LBB66_53
.LBB66_44:                              ;   in Loop: Header=BB66_36 Depth=2
	s_or_b64 exec, exec, s[36:37]
	s_and_saveexec_b64 s[36:37], s[24:25]
	s_cbranch_execz .LBB66_46
.LBB66_45:                              ;   in Loop: Header=BB66_36 Depth=2
	global_load_ushort v20, v[20:21], off offset:384
	s_waitcnt vmcnt(0)
	v_lshl_or_b32 v27, v20, 16, v27
.LBB66_46:                              ;   in Loop: Header=BB66_36 Depth=2
	s_or_b64 exec, exec, s[36:37]
	s_waitcnt vmcnt(0)
	ds_write_b16 v39, v23 offset:528
	ds_write_b16 v44, v22 offset:128
	;; [unrolled: 1-line block ×3, first 2 shown]
	ds_write_b16_d16_hi v46, v27 offset:384
	; wave barrier
	ds_read_b64 v[20:21], v43 offset:528
	s_andn2_b64 vcc, exec, s[66:67]
	s_cbranch_vccnz .LBB66_54
; %bb.47:                               ;   in Loop: Header=BB66_36 Depth=2
	v_mov_b32_e32 v22, s94
	ds_read_b64 v[22:23], v22
	s_cbranch_execz .LBB66_55
	s_branch .LBB66_58
.LBB66_48:                              ;   in Loop: Header=BB66_36 Depth=2
	global_load_ushort v23, v[20:21], off
	s_or_b64 exec, exec, s[36:37]
	s_and_saveexec_b64 s[36:37], s[20:21]
	s_cbranch_execz .LBB66_38
.LBB66_49:                              ;   in Loop: Header=BB66_36 Depth=2
	global_load_ushort v22, v[20:21], off offset:128
	s_or_b64 exec, exec, s[36:37]
	v_mov_b32_e32 v24, 0
	s_and_saveexec_b64 s[36:37], s[22:23]
	s_cbranch_execz .LBB66_39
.LBB66_50:                              ;   in Loop: Header=BB66_36 Depth=2
	global_load_ushort v24, v[20:21], off offset:256
	s_or_b64 exec, exec, s[36:37]
	s_and_saveexec_b64 s[36:37], s[24:25]
	s_cbranch_execnz .LBB66_40
	s_branch .LBB66_41
.LBB66_51:                              ;   in Loop: Header=BB66_36 Depth=2
	global_load_ushort v23, v[20:21], off
	s_or_b64 exec, exec, s[36:37]
	s_and_saveexec_b64 s[36:37], s[20:21]
	s_cbranch_execz .LBB66_43
.LBB66_52:                              ;   in Loop: Header=BB66_36 Depth=2
	global_load_ushort v22, v[20:21], off offset:128
	s_or_b64 exec, exec, s[36:37]
	v_mov_b32_e32 v27, 0
	s_and_saveexec_b64 s[36:37], s[22:23]
	s_cbranch_execz .LBB66_44
.LBB66_53:                              ;   in Loop: Header=BB66_36 Depth=2
	global_load_ushort v27, v[20:21], off offset:256
	s_or_b64 exec, exec, s[36:37]
	s_and_saveexec_b64 s[36:37], s[24:25]
	s_cbranch_execnz .LBB66_45
	s_branch .LBB66_46
.LBB66_54:                              ;   in Loop: Header=BB66_36 Depth=2
                                        ; implicit-def: $vgpr23
.LBB66_55:                              ;   in Loop: Header=BB66_36 Depth=2
	s_andn2_b64 vcc, exec, s[52:53]
	s_waitcnt lgkmcnt(0)
	v_mov_b32_e32 v23, 0
	s_cbranch_vccnz .LBB66_57
; %bb.56:                               ;   in Loop: Header=BB66_36 Depth=2
	s_mov_b32 s75, s55
	s_lshl_b64 s[36:37], s[74:75], 1
	s_add_u32 s36, s45, s36
	s_addc_u32 s37, s49, s37
	global_load_ushort v22, v1, s[36:37]
	s_waitcnt vmcnt(0)
	v_cvt_f32_f16_e32 v23, v22
.LBB66_57:                              ;   in Loop: Header=BB66_36 Depth=2
	v_mov_b32_e32 v22, 1.0
.LBB66_58:                              ;   in Loop: Header=BB66_36 Depth=2
	v_mul_f32_e32 v26, 0x3fb8aa3b, v26
	s_waitcnt lgkmcnt(5)
	v_cvt_f32_f16_e32 v27, v24
	v_cvt_f32_f16_sdwa v28, v24 dst_sel:DWORD dst_unused:UNUSED_PAD src0_sel:WORD_1
	v_mul_f32_e32 v24, v26, v53
	v_cmp_gt_f32_e32 vcc, s92, v24
	v_cvt_f32_f16_e32 v32, v25
	v_cvt_f32_f16_sdwa v33, v25 dst_sel:DWORD dst_unused:UNUSED_PAD src0_sel:WORD_1
	v_cndmask_b32_e32 v24, 0, v51, vcc
	v_fmac_f32_e32 v24, v26, v53
	v_exp_f32_e32 v24, v24
	v_cndmask_b32_e32 v25, 1.0, v52, vcc
	v_mul_f32_e32 v25, v24, v25
	v_mul_f32_e32 v24, v57, v27
	;; [unrolled: 1-line block ×3, first 2 shown]
	v_cmp_gt_f32_e32 vcc, s92, v27
	v_cndmask_b32_e64 v29, 1.0, v25, s[26:27]
	v_cndmask_b32_e64 v24, 0, v24, s[26:27]
	v_cndmask_b32_e32 v27, 0, v51, vcc
	v_fmac_f32_e32 v27, v26, v54
	v_exp_f32_e32 v27, v27
	v_cndmask_b32_e32 v25, 1.0, v52, vcc
	v_mul_f32_e32 v27, v27, v25
	v_pk_mul_f32 v[30:31], v[26:27], v[10:11] op_sel_hi:[0,1]
	v_cmp_gt_f32_e32 vcc, s92, v30
	v_mul_f32_e32 v25, v56, v28
	v_cmp_gt_f32_e64 s[36:37], s92, v31
	v_cndmask_b32_e32 v28, 0, v51, vcc
	v_add_f32_e32 v28, v30, v28
	v_cndmask_b32_e64 v30, 0, v51, s[36:37]
	v_exp_f32_e32 v28, v28
	v_add_f32_e32 v30, v31, v30
	v_exp_f32_e32 v30, v30
	v_cndmask_b32_e32 v31, 1.0, v52, vcc
	v_mul_f32_e32 v28, v28, v31
	v_cndmask_b32_e64 v31, 1.0, v52, s[36:37]
	v_cndmask_b32_e64 v25, 0, v25, s[28:29]
	v_cndmask_b32_e64 v27, 1.0, v27, s[28:29]
	v_mul_f32_e32 v31, v30, v31
	v_mul_f32_e32 v26, v55, v32
	;; [unrolled: 1-line block ×3, first 2 shown]
	v_cndmask_b32_e64 v33, 1.0, v31, s[30:31]
	v_cndmask_b32_e64 v32, 1.0, v28, s[34:35]
	v_fma_f32 v28, v27, v24, v25
	v_cndmask_b32_e64 v26, 0, v26, s[30:31]
	v_mul_f32_e32 v28, v28, v33
	v_pk_add_f32 v[34:35], v[28:29], v[26:27]
	v_pk_mul_f32 v[58:59], v[28:29], v[26:27]
	v_cndmask_b32_e64 v30, 0, v30, s[34:35]
	v_mov_b32_e32 v35, v59
	v_pk_mul_f32 v[58:59], v[34:35], v[32:33]
	v_mov_b32_e32 v31, v32
	v_pk_fma_f32 v[60:61], v[34:35], v[32:33], v[30:31]
	v_pk_mul_f32 v[58:59], v[58:59], v[30:31]
	s_nop 0
	v_mov_b32_dpp v31, v60 row_shr:1 row_mask:0xf bank_mask:0xf
	v_mov_b32_dpp v28, v59 row_shr:1 row_mask:0xf bank_mask:0xf
	v_mul_f32_e32 v58, v59, v28
	v_fma_f32 v28, v59, v31, v60
	v_cndmask_b32_e64 v35, v28, v60, s[0:1]
	v_cndmask_b32_e64 v28, v28, v60, s[0:1]
	;; [unrolled: 1-line block ×4, first 2 shown]
	v_mov_b32_dpp v59, v28 row_shr:2 row_mask:0xf bank_mask:0xf
	v_mov_b32_dpp v58, v31 row_shr:2 row_mask:0xf bank_mask:0xf
	s_and_saveexec_b64 s[36:37], s[2:3]
; %bb.59:                               ;   in Loop: Header=BB66_36 Depth=2
	v_fmac_f32_e32 v28, v31, v59
	v_mul_f32_e32 v31, v31, v58
	v_mov_b32_e32 v34, v31
	v_mov_b32_e32 v35, v28
; %bb.60:                               ;   in Loop: Header=BB66_36 Depth=2
	s_or_b64 exec, exec, s[36:37]
	v_mov_b32_dpp v58, v31 row_shr:4 row_mask:0xf bank_mask:0xf
	v_mov_b32_dpp v59, v28 row_shr:4 row_mask:0xf bank_mask:0xf
	s_and_saveexec_b64 s[36:37], s[4:5]
; %bb.61:                               ;   in Loop: Header=BB66_36 Depth=2
	v_fmac_f32_e32 v28, v31, v59
	v_mul_f32_e32 v31, v31, v58
	v_mov_b32_e32 v34, v31
	v_mov_b32_e32 v35, v28
; %bb.62:                               ;   in Loop: Header=BB66_36 Depth=2
	s_or_b64 exec, exec, s[36:37]
	v_mov_b32_dpp v58, v31 row_shr:8 row_mask:0xf bank_mask:0xf
	v_mov_b32_dpp v59, v28 row_shr:8 row_mask:0xf bank_mask:0xf
	s_and_saveexec_b64 s[36:37], s[6:7]
; %bb.63:                               ;   in Loop: Header=BB66_36 Depth=2
	v_fmac_f32_e32 v28, v31, v59
	v_mul_f32_e32 v31, v31, v58
	v_mov_b32_e32 v34, v31
	v_mov_b32_e32 v35, v28
; %bb.64:                               ;   in Loop: Header=BB66_36 Depth=2
	s_or_b64 exec, exec, s[36:37]
	v_mov_b32_dpp v58, v31 row_bcast:15 row_mask:0xf bank_mask:0xf
	v_mov_b32_dpp v59, v28 row_bcast:15 row_mask:0xf bank_mask:0xf
	s_and_saveexec_b64 s[36:37], s[8:9]
; %bb.65:                               ;   in Loop: Header=BB66_36 Depth=2
	v_fmac_f32_e32 v28, v31, v59
	v_mul_f32_e32 v31, v31, v58
	v_mov_b32_e32 v34, v31
	v_mov_b32_e32 v35, v28
; %bb.66:                               ;   in Loop: Header=BB66_36 Depth=2
	s_or_b64 exec, exec, s[36:37]
	v_mov_b32_dpp v58, v31 row_bcast:31 row_mask:0xf bank_mask:0xf
	v_mov_b32_dpp v59, v28 row_bcast:31 row_mask:0xf bank_mask:0xf
	v_mul_f32_e32 v58, v31, v58
	v_fmac_f32_e32 v28, v31, v59
	v_cndmask_b32_e64 v34, v34, v58, s[10:11]
	v_cndmask_b32_e64 v35, v35, v28, s[10:11]
	s_and_saveexec_b64 s[36:37], s[12:13]
	s_cbranch_execz .LBB66_68
; %bb.67:                               ;   in Loop: Header=BB66_36 Depth=2
	ds_write_b64 v1, v[34:35] offset:1056
.LBB66_68:                              ;   in Loop: Header=BB66_36 Depth=2
	s_or_b64 exec, exec, s[36:37]
	ds_bpermute_b32 v28, v47, v34
	ds_bpermute_b32 v31, v47, v35
	s_waitcnt lgkmcnt(2)
	v_mov_b32_e32 v35, v23
	s_waitcnt lgkmcnt(0)
	; wave barrier
	s_waitcnt lgkmcnt(0)
	s_and_saveexec_b64 s[36:37], s[14:15]
	s_cbranch_execz .LBB66_72
; %bb.69:                               ;   in Loop: Header=BB66_36 Depth=2
	ds_read_b64 v[34:35], v1 offset:1056
	s_and_saveexec_b64 s[76:77], s[16:17]
	s_cbranch_execz .LBB66_71
; %bb.70:                               ;   in Loop: Header=BB66_36 Depth=2
	ds_write_b64 v1, v[22:23] offset:1056
.LBB66_71:                              ;   in Loop: Header=BB66_36 Depth=2
	s_or_b64 exec, exec, s[76:77]
	s_waitcnt lgkmcnt(0)
	v_fmac_f32_e32 v35, v23, v34
	v_mul_f32_e32 v22, v22, v34
	v_mov_b32_e32 v23, v35
.LBB66_72:                              ;   in Loop: Header=BB66_36 Depth=2
	s_or_b64 exec, exec, s[36:37]
	s_waitcnt lgkmcnt(0)
	; wave barrier
	ds_read_b32 v34, v1 offset:1060
	s_and_saveexec_b64 s[36:37], s[16:17]
	s_cbranch_execz .LBB66_35
; %bb.73:                               ;   in Loop: Header=BB66_36 Depth=2
	v_mov_b32_e32 v58, s94
	s_andn2_b64 vcc, exec, s[68:69]
	ds_write_b64 v58, v[22:23]
	s_cbranch_vccnz .LBB66_35
; %bb.74:                               ;   in Loop: Header=BB66_36 Depth=2
	s_mov_b32 s75, s55
	v_cvt_f16_f32_e32 v22, v35
	s_lshl_b64 s[76:77], s[74:75], 1
	s_add_u32 s76, s45, s76
	s_addc_u32 s77, s49, s77
	global_store_short v1, v22, s[76:77]
	s_branch .LBB66_35
.LBB66_75:                              ;   in Loop: Header=BB66_11 Depth=1
	v_cvt_f16_f32_e32 v9, v15
	v_cvt_f16_f32_e32 v10, v14
	;; [unrolled: 1-line block ×4, first 2 shown]
	v_pack_b32_f16 v11, v10, v9
	; wave barrier
	v_pack_b32_f16 v10, v12, v13
	ds_write_b64 v43, v[10:11]
	; wave barrier
	ds_read_u16 v13, v40 offset:128
	ds_read_u16 v12, v41 offset:256
	;; [unrolled: 1-line block ×3, first 2 shown]
	s_mov_b32 s65, s55
	v_lshl_add_u64 v[10:11], s[64:65], 1, v[4:5]
	s_and_saveexec_b64 s[26:27], s[18:19]
	s_cbranch_execnz .LBB66_81
; %bb.76:                               ;   in Loop: Header=BB66_11 Depth=1
	s_or_b64 exec, exec, s[26:27]
	s_and_saveexec_b64 s[18:19], s[20:21]
	s_cbranch_execnz .LBB66_82
.LBB66_77:                              ;   in Loop: Header=BB66_11 Depth=1
	s_or_b64 exec, exec, s[18:19]
	s_and_saveexec_b64 s[18:19], s[22:23]
	s_cbranch_execnz .LBB66_83
.LBB66_78:                              ;   in Loop: Header=BB66_11 Depth=1
	s_or_b64 exec, exec, s[18:19]
	s_and_saveexec_b64 s[18:19], s[24:25]
	s_cbranch_execz .LBB66_10
	s_branch .LBB66_84
.LBB66_79:                              ;   in Loop: Header=BB66_11 Depth=1
	global_load_ushort v15, v[10:11], off offset:128
	s_or_b64 exec, exec, s[26:27]
	s_and_saveexec_b64 s[26:27], s[22:23]
	s_cbranch_execz .LBB66_23
.LBB66_80:                              ;   in Loop: Header=BB66_11 Depth=1
	global_load_ushort v14, v[10:11], off offset:256
	s_or_b64 exec, exec, s[26:27]
	v_mov_b32_e32 v16, 0
	s_and_saveexec_b64 s[26:27], s[24:25]
	s_cbranch_execnz .LBB66_24
	s_branch .LBB66_25
.LBB66_81:                              ;   in Loop: Header=BB66_11 Depth=1
	ds_read_u16 v14, v39
	s_waitcnt lgkmcnt(0)
	global_store_short v[10:11], v14, off
	s_or_b64 exec, exec, s[26:27]
	s_and_saveexec_b64 s[18:19], s[20:21]
	s_cbranch_execz .LBB66_77
.LBB66_82:                              ;   in Loop: Header=BB66_11 Depth=1
	s_waitcnt lgkmcnt(2)
	global_store_short v[10:11], v13, off offset:128
	s_or_b64 exec, exec, s[18:19]
	s_and_saveexec_b64 s[18:19], s[22:23]
	s_cbranch_execz .LBB66_78
.LBB66_83:                              ;   in Loop: Header=BB66_11 Depth=1
	s_waitcnt lgkmcnt(1)
	global_store_short v[10:11], v12, off offset:256
	s_or_b64 exec, exec, s[18:19]
	s_and_saveexec_b64 s[18:19], s[24:25]
	s_cbranch_execz .LBB66_10
.LBB66_84:                              ;   in Loop: Header=BB66_11 Depth=1
	s_waitcnt lgkmcnt(0)
	global_store_short v[10:11], v9, off offset:384
	s_branch .LBB66_10
.LBB66_85:
	s_endpgm
.LBB66_86:
	s_mov_b64 s[52:53], 0
	s_load_dwordx2 s[4:5], s[0:1], 0x20
	s_cmp_eq_u64 s[6:7], 0
	s_cbranch_scc0 .LBB66_2
	s_branch .LBB66_3
	.section	.rodata,"a",@progbits
	.p2align	6, 0x0
	.amdhsa_kernel _Z25selective_scan_fwd_kernelI32Selective_Scan_fwd_kernel_traitsILi64ELi4ELi1ELb1ELb1ELb1ELb0ELb1EN3c104HalfEfS2_EEv13SSMParamsBase
		.amdhsa_group_segment_fixed_size 0
		.amdhsa_private_segment_fixed_size 0
		.amdhsa_kernarg_size 248
		.amdhsa_user_sgpr_count 2
		.amdhsa_user_sgpr_dispatch_ptr 0
		.amdhsa_user_sgpr_queue_ptr 0
		.amdhsa_user_sgpr_kernarg_segment_ptr 1
		.amdhsa_user_sgpr_dispatch_id 0
		.amdhsa_user_sgpr_kernarg_preload_length 0
		.amdhsa_user_sgpr_kernarg_preload_offset 0
		.amdhsa_user_sgpr_private_segment_size 0
		.amdhsa_uses_dynamic_stack 0
		.amdhsa_enable_private_segment 0
		.amdhsa_system_sgpr_workgroup_id_x 1
		.amdhsa_system_sgpr_workgroup_id_y 1
		.amdhsa_system_sgpr_workgroup_id_z 0
		.amdhsa_system_sgpr_workgroup_info 0
		.amdhsa_system_vgpr_workitem_id 0
		.amdhsa_next_free_vgpr 62
		.amdhsa_next_free_sgpr 95
		.amdhsa_accum_offset 64
		.amdhsa_reserve_vcc 1
		.amdhsa_float_round_mode_32 0
		.amdhsa_float_round_mode_16_64 0
		.amdhsa_float_denorm_mode_32 3
		.amdhsa_float_denorm_mode_16_64 3
		.amdhsa_dx10_clamp 1
		.amdhsa_ieee_mode 1
		.amdhsa_fp16_overflow 0
		.amdhsa_tg_split 0
		.amdhsa_exception_fp_ieee_invalid_op 0
		.amdhsa_exception_fp_denorm_src 0
		.amdhsa_exception_fp_ieee_div_zero 0
		.amdhsa_exception_fp_ieee_overflow 0
		.amdhsa_exception_fp_ieee_underflow 0
		.amdhsa_exception_fp_ieee_inexact 0
		.amdhsa_exception_int_div_zero 0
	.end_amdhsa_kernel
	.section	.text._Z25selective_scan_fwd_kernelI32Selective_Scan_fwd_kernel_traitsILi64ELi4ELi1ELb1ELb1ELb1ELb0ELb1EN3c104HalfEfS2_EEv13SSMParamsBase,"axG",@progbits,_Z25selective_scan_fwd_kernelI32Selective_Scan_fwd_kernel_traitsILi64ELi4ELi1ELb1ELb1ELb1ELb0ELb1EN3c104HalfEfS2_EEv13SSMParamsBase,comdat
.Lfunc_end66:
	.size	_Z25selective_scan_fwd_kernelI32Selective_Scan_fwd_kernel_traitsILi64ELi4ELi1ELb1ELb1ELb1ELb0ELb1EN3c104HalfEfS2_EEv13SSMParamsBase, .Lfunc_end66-_Z25selective_scan_fwd_kernelI32Selective_Scan_fwd_kernel_traitsILi64ELi4ELi1ELb1ELb1ELb1ELb0ELb1EN3c104HalfEfS2_EEv13SSMParamsBase
                                        ; -- End function
	.section	.AMDGPU.csdata,"",@progbits
; Kernel info:
; codeLenInByte = 6176
; NumSgprs: 101
; NumVgprs: 62
; NumAgprs: 0
; TotalNumVgprs: 62
; ScratchSize: 0
; MemoryBound: 0
; FloatMode: 240
; IeeeMode: 1
; LDSByteSize: 0 bytes/workgroup (compile time only)
; SGPRBlocks: 12
; VGPRBlocks: 7
; NumSGPRsForWavesPerEU: 101
; NumVGPRsForWavesPerEU: 62
; AccumOffset: 64
; Occupancy: 7
; WaveLimiterHint : 1
; COMPUTE_PGM_RSRC2:SCRATCH_EN: 0
; COMPUTE_PGM_RSRC2:USER_SGPR: 2
; COMPUTE_PGM_RSRC2:TRAP_HANDLER: 0
; COMPUTE_PGM_RSRC2:TGID_X_EN: 1
; COMPUTE_PGM_RSRC2:TGID_Y_EN: 1
; COMPUTE_PGM_RSRC2:TGID_Z_EN: 0
; COMPUTE_PGM_RSRC2:TIDIG_COMP_CNT: 0
; COMPUTE_PGM_RSRC3_GFX90A:ACCUM_OFFSET: 15
; COMPUTE_PGM_RSRC3_GFX90A:TG_SPLIT: 0
	.section	.text._Z25selective_scan_fwd_kernelI32Selective_Scan_fwd_kernel_traitsILi64ELi4ELi1ELb1ELb1ELb1ELb0ELb0EN3c104HalfEfS2_EEv13SSMParamsBase,"axG",@progbits,_Z25selective_scan_fwd_kernelI32Selective_Scan_fwd_kernel_traitsILi64ELi4ELi1ELb1ELb1ELb1ELb0ELb0EN3c104HalfEfS2_EEv13SSMParamsBase,comdat
	.protected	_Z25selective_scan_fwd_kernelI32Selective_Scan_fwd_kernel_traitsILi64ELi4ELi1ELb1ELb1ELb1ELb0ELb0EN3c104HalfEfS2_EEv13SSMParamsBase ; -- Begin function _Z25selective_scan_fwd_kernelI32Selective_Scan_fwd_kernel_traitsILi64ELi4ELi1ELb1ELb1ELb1ELb0ELb0EN3c104HalfEfS2_EEv13SSMParamsBase
	.globl	_Z25selective_scan_fwd_kernelI32Selective_Scan_fwd_kernel_traitsILi64ELi4ELi1ELb1ELb1ELb1ELb0ELb0EN3c104HalfEfS2_EEv13SSMParamsBase
	.p2align	8
	.type	_Z25selective_scan_fwd_kernelI32Selective_Scan_fwd_kernel_traitsILi64ELi4ELi1ELb1ELb1ELb1ELb0ELb0EN3c104HalfEfS2_EEv13SSMParamsBase,@function
_Z25selective_scan_fwd_kernelI32Selective_Scan_fwd_kernel_traitsILi64ELi4ELi1ELb1ELb1ELb1ELb0ELb0EN3c104HalfEfS2_EEv13SSMParamsBase: ; @_Z25selective_scan_fwd_kernelI32Selective_Scan_fwd_kernel_traitsILi64ELi4ELi1ELb1ELb1ELb1ELb0ELb0EN3c104HalfEfS2_EEv13SSMParamsBase
; %bb.0:
	s_load_dword s25, s[0:1], 0x18
	s_load_dwordx4 s[4:7], s[0:1], 0xe8
	s_mov_b32 s20, s3
	s_waitcnt lgkmcnt(0)
	s_abs_i32 s24, s25
	v_cvt_f32_u32_e32 v1, s24
	s_cmp_eq_u64 s[6:7], 0
	v_rcp_iflag_f32_e32 v1, v1
	s_nop 0
	v_mul_f32_e32 v1, 0x4f7ffffe, v1
	v_cvt_u32_f32_e32 v1, v1
	s_nop 0
	v_readfirstlane_b32 s26, v1
	s_cbranch_scc1 .LBB67_3
; %bb.1:
	s_ashr_i32 s3, s2, 31
	s_add_u32 s6, s6, s2
	s_addc_u32 s7, s7, s3
	v_mov_b32_e32 v1, 0
	global_load_ubyte v1, v1, s[6:7]
	s_waitcnt vmcnt(0)
	v_and_b32_e32 v1, 1, v1
	v_cmp_eq_u32_e64 s[34:35], 1, v1
	s_load_dwordx2 s[6:7], s[0:1], 0x20
	s_cmp_eq_u64 s[4:5], 0
	s_cbranch_scc1 .LBB67_4
.LBB67_2:
	s_ashr_i32 s3, s2, 31
	s_lshl_b64 s[8:9], s[2:3], 2
	s_add_u32 s4, s4, s8
	s_addc_u32 s5, s5, s9
	s_load_dword s22, s[4:5], 0x0
	s_waitcnt lgkmcnt(0)
	s_ashr_i32 s23, s22, 31
	s_cmp_eq_u64 s[6:7], s[22:23]
	s_cbranch_scc0 .LBB67_5
	s_branch .LBB67_48
.LBB67_3:
	s_mov_b64 s[34:35], 0
	s_load_dwordx2 s[6:7], s[0:1], 0x20
	s_cmp_eq_u64 s[4:5], 0
	s_cbranch_scc0 .LBB67_2
.LBB67_4:
	s_mov_b32 s22, s2
	s_ashr_i32 s23, s22, 31
	s_waitcnt lgkmcnt(0)
	s_cmp_eq_u64 s[6:7], s[22:23]
	s_cbranch_scc1 .LBB67_48
.LBB67_5:
	s_load_dwordx16 s[4:19], s[0:1], 0x88
	s_load_dwordx2 s[48:49], s[0:1], 0x8
	s_mov_b32 s33, 0
	s_mov_b32 s72, 0
	s_waitcnt lgkmcnt(0)
	s_cmp_eq_u64 s[10:11], 0
	s_cbranch_scc1 .LBB67_7
; %bb.6:
	s_ashr_i32 s21, s20, 31
	s_lshl_b64 s[28:29], s[20:21], 2
	s_add_u32 s10, s10, s28
	s_addc_u32 s11, s11, s29
	s_load_dword s72, s[10:11], 0x0
.LBB67_7:
	s_cmp_eq_u64 s[16:17], 0
	s_cbranch_scc1 .LBB67_9
; %bb.8:
	s_ashr_i32 s21, s20, 31
	s_lshl_b64 s[10:11], s[20:21], 2
	s_add_u32 s10, s16, s10
	s_addc_u32 s11, s17, s11
	s_load_dword s33, s[10:11], 0x0
.LBB67_9:
	s_cmp_lt_i32 s48, 1
	s_cbranch_scc1 .LBB67_48
; %bb.10:
	s_sub_i32 s3, 0, s24
	s_mul_i32 s3, s3, s26
	s_mul_hi_u32 s3, s26, s3
	s_abs_i32 s21, s20
	s_add_i32 s3, s26, s3
	s_load_dwordx8 s[36:43], s[0:1], 0x2c
	s_load_dwordx2 s[16:17], s[0:1], 0x5c
	s_load_dwordx4 s[28:31], s[0:1], 0x4c
	s_load_dwordx4 s[44:47], s[0:1], 0x7c
	s_load_dwordx2 s[10:11], s[0:1], 0x6c
	s_load_dwordx2 s[26:27], s[0:1], 0xc8
	s_mul_hi_u32 s3, s21, s3
	s_load_dword s23, s[0:1], 0x28
	s_ashr_i32 s0, s20, 31
	s_ashr_i32 s1, s25, 31
	s_xor_b32 s0, s0, s1
	s_mul_i32 s1, s3, s24
	s_sub_i32 s1, s21, s1
	s_add_i32 s21, s3, 1
	s_sub_i32 s25, s1, s24
	s_cmp_ge_u32 s1, s24
	s_cselect_b32 s3, s21, s3
	s_cselect_b32 s1, s25, s1
	s_add_i32 s21, s3, 1
	s_cmp_ge_u32 s1, s24
	s_cselect_b32 s1, s21, s3
	s_xor_b32 s1, s1, s0
	s_waitcnt lgkmcnt(0)
	s_mul_i32 s50, s30, s2
	s_mov_b32 s51, 0
	s_sub_i32 s3, s1, s0
	s_lshl_b64 s[0:1], s[50:51], 1
	s_add_u32 s12, s12, s0
	s_mul_i32 s50, s31, s20
	s_addc_u32 s13, s13, s1
	s_lshl_b64 s[0:1], s[50:51], 1
	s_add_u32 s30, s12, s0
	s_mul_i32 s50, s16, s2
	s_addc_u32 s31, s13, s1
	;; [unrolled: 4-line block ×10, first 2 shown]
	s_lshl_b64 s[0:1], s[50:51], 1
	s_add_u32 s29, s3, s0
	s_addc_u32 s41, s4, s1
	s_add_i32 s0, s48, 0x7ff
	s_lshr_b32 s73, s0, 11
	s_bitcmp1_b32 s23, 0
	s_cselect_b64 s[44:45], -1, 0
	s_cmp_gt_i32 s49, 0
	s_mul_i32 s50, s10, s2
	s_cselect_b64 s[54:55], -1, 0
	s_and_b32 s4, s48, 0xff
	s_add_i32 s74, s73, -1
	s_lshl_b64 s[2:3], s[50:51], 1
	s_add_u32 s5, s18, s2
	s_mul_i32 s50, s11, s20
	s_addc_u32 s7, s19, s3
	s_lshl_b64 s[2:3], s[50:51], 1
	s_add_u32 s6, s5, s2
	v_mov_b32_e32 v3, 0
	s_addc_u32 s7, s7, s3
	v_lshlrev_b32_e32 v2, 3, v0
	s_cmp_eq_u32 s4, 0
	v_lshlrev_b32_e32 v7, 2, v0
	v_lshl_add_u64 v[4:5], s[6:7], 0, v[2:3]
                                        ; implicit-def: $vgpr2
	v_mbcnt_lo_u32_b32 v9, -1, 0
	v_cmp_gt_u32_e64 s[0:1], 64, v0
	s_cselect_b64 s[56:57], -1, 0
	v_cmp_eq_u32_e64 s[2:3], 63, v0
	v_cmp_eq_u32_e64 s[4:5], 0, v0
	v_or_b32_e32 v1, 1, v7
	v_or_b32_e32 v6, 2, v7
	;; [unrolled: 1-line block ×3, first 2 shown]
	s_mov_b32 s75, 0x41a00000
	s_mov_b32 s76, 0x3fb8aa3b
	;; [unrolled: 1-line block ×6, first 2 shown]
	v_mov_b32_e32 v41, 0x3ecc95a3
	s_mov_b32 s81, 0x3f317218
	s_mov_b32 s82, 0x33800000
	s_add_i32 s83, 0, 0x428
	s_mov_b32 s84, 0xc2fc0000
	v_lshlrev_b32_e32 v2, 3, v0
	v_mov_b32_e32 v0, 0x7f800000
	v_mov_b32_e32 v8, 0x3f317218
	v_mbcnt_hi_u32_b32 v42, -1, v9
	v_mov_b32_e32 v43, 0x42800000
	v_mov_b32_e32 v44, 0x1f800000
	s_mov_b32 s85, 0
                                        ; implicit-def: $vgpr47
                                        ; implicit-def: $vgpr13
                                        ; implicit-def: $vgpr45
                                        ; implicit-def: $vgpr10
                                        ; implicit-def: $vgpr46
                                        ; implicit-def: $vgpr48
	s_branch .LBB67_12
.LBB67_11:                              ;   in Loop: Header=BB67_12 Depth=1
	s_add_u32 s52, s52, 0x200
	s_addc_u32 s53, s53, 0
	s_add_u32 s30, s30, 0x200
	s_addc_u32 s31, s31, 0
	v_cvt_f16_f32_e32 v9, v19
	v_cvt_f16_f32_e32 v14, v18
	;; [unrolled: 1-line block ×4, first 2 shown]
	s_add_u32 s38, s38, 0x200
	s_addc_u32 s39, s39, 0
	s_add_u32 s42, s42, 0x200
	s_mov_b32 s59, s51
	s_addc_u32 s43, s43, 0
	s_add_i32 s85, s85, 1
	v_pack_b32_f16 v15, v14, v9
	v_pack_b32_f16 v14, v16, v17
	v_lshl_add_u64 v[16:17], s[58:59], 1, v[4:5]
	s_cmp_eq_u32 s85, s73
	s_waitcnt lgkmcnt(0)
	; wave barrier
	global_store_dwordx2 v[16:17], v[14:15], off
	s_cbranch_scc1 .LBB67_48
.LBB67_12:                              ; =>This Loop Header: Depth=1
                                        ;     Child Loop BB67_25 Depth 2
	s_waitcnt lgkmcnt(0)
	; wave barrier
	s_and_saveexec_b64 s[6:7], s[0:1]
	s_cbranch_execz .LBB67_14
; %bb.13:                               ;   in Loop: Header=BB67_12 Depth=1
	global_load_dwordx2 v[10:11], v2, s[30:31]
	global_load_dwordx2 v[12:13], v2, s[52:53]
	s_waitcnt vmcnt(1)
	v_lshrrev_b32_e32 v46, 16, v10
	v_lshrrev_b32_e32 v48, 16, v11
	s_waitcnt vmcnt(0)
	v_lshrrev_b32_e32 v45, 16, v12
	v_lshrrev_b32_e32 v47, 16, v13
.LBB67_14:                              ;   in Loop: Header=BB67_12 Depth=1
	s_or_b64 exec, exec, s[6:7]
	v_cvt_f32_f16_e32 v9, v12
	v_add_f32_e32 v49, s33, v9
	v_cmp_ge_f32_e32 vcc, s75, v49
	s_and_b64 s[6:7], s[44:45], vcc
	s_and_saveexec_b64 s[8:9], s[6:7]
	s_cbranch_execz .LBB67_16
; %bb.15:                               ;   in Loop: Header=BB67_12 Depth=1
	v_mul_f32_e32 v9, 0x3fb8aa3b, v49
	v_rndne_f32_e32 v14, v9
	v_sub_f32_e32 v15, v9, v14
	v_fma_f32 v9, v49, s76, -v9
	v_fmac_f32_e32 v9, 0x32a5705f, v49
	v_add_f32_e32 v9, v15, v9
	v_cvt_i32_f32_e32 v14, v14
	v_exp_f32_e32 v9, v9
	v_cmp_ngt_f32_e32 vcc, s77, v49
	v_ldexp_f32 v9, v9, v14
	s_nop 0
	v_cndmask_b32_e32 v9, 0, v9, vcc
	v_cmp_nlt_f32_e32 vcc, s78, v49
	s_nop 1
	v_cndmask_b32_e32 v30, v0, v9, vcc
	v_add_f32_e32 v9, 1.0, v30
	v_add_f32_e32 v14, -1.0, v9
	v_sub_f32_e32 v15, v14, v9
	v_add_f32_e32 v15, 1.0, v15
	v_sub_f32_e32 v14, v30, v14
	v_add_f32_e32 v16, v14, v15
	v_frexp_mant_f32_e32 v17, v9
	v_cvt_f64_f32_e32 v[14:15], v9
	v_frexp_exp_i32_f64_e32 v14, v[14:15]
	v_cmp_gt_f32_e32 vcc, s80, v17
	v_cmp_gt_f32_e64 s[6:7], s82, v30
	s_nop 0
	v_subbrev_co_u32_e32 v22, vcc, 0, v14, vcc
	v_sub_u32_e32 v14, 0, v22
	v_ldexp_f32 v9, v9, v14
	v_ldexp_f32 v14, v16, v14
	v_add_f32_e32 v16, -1.0, v9
	v_add_f32_e32 v15, 1.0, v16
	v_sub_f32_e32 v15, v9, v15
	v_add_f32_e32 v17, v14, v15
	v_add_f32_e32 v15, 1.0, v9
	v_add_f32_e32 v18, -1.0, v15
	v_sub_f32_e32 v9, v9, v18
	v_add_f32_e32 v9, v14, v9
	v_add_f32_e32 v23, v15, v9
	v_rcp_f32_e32 v24, v23
	v_sub_f32_e32 v14, v15, v23
	v_add_f32_e32 v15, v16, v17
	v_add_f32_e32 v9, v9, v14
	v_mul_f32_e32 v26, v15, v24
	v_sub_f32_e32 v14, v16, v15
	v_mul_f32_e32 v16, v23, v26
	v_fma_f32 v18, v26, v23, -v16
	v_fmac_f32_e32 v18, v26, v9
	v_add_f32_e32 v25, v17, v14
	v_add_f32_e32 v14, v16, v18
	v_sub_f32_e32 v17, v15, v14
	v_pk_add_f32 v[20:21], v[14:15], v[16:17] neg_lo:[0,1] neg_hi:[0,1]
	v_mov_b32_e32 v19, v14
	v_pk_add_f32 v[14:15], v[20:21], v[18:19] neg_lo:[0,1] neg_hi:[0,1]
	v_cmp_eq_f32_e32 vcc, s79, v30
	v_add_f32_e32 v15, v25, v15
	v_add_f32_e32 v14, v14, v15
	;; [unrolled: 1-line block ×3, first 2 shown]
	v_mul_f32_e32 v25, v24, v15
	v_mul_f32_e32 v16, v23, v25
	v_fma_f32 v18, v25, v23, -v16
	v_fmac_f32_e32 v18, v25, v9
	v_sub_f32_e32 v9, v17, v15
	v_add_f32_e32 v9, v14, v9
	v_add_f32_e32 v14, v16, v18
	v_sub_f32_e32 v17, v15, v14
	v_pk_add_f32 v[20:21], v[14:15], v[16:17] neg_lo:[0,1] neg_hi:[0,1]
	v_mov_b32_e32 v19, v14
	v_pk_add_f32 v[14:15], v[20:21], v[18:19] neg_lo:[0,1] neg_hi:[0,1]
	s_or_b64 vcc, s[6:7], vcc
	v_add_f32_e32 v9, v9, v15
	v_add_f32_e32 v9, v14, v9
	;; [unrolled: 1-line block ×4, first 2 shown]
	v_sub_f32_e32 v14, v15, v26
	v_mul_f32_e32 v9, v24, v9
	v_sub_f32_e32 v14, v25, v14
	v_add_f32_e32 v16, v14, v9
	v_add_f32_e32 v18, v15, v16
	v_cvt_f32_i32_e32 v14, v22
	v_mul_f32_e32 v19, v18, v18
	v_sub_f32_e32 v15, v18, v15
	v_fmamk_f32 v9, v19, 0x3e9b6dac, v41
	v_sub_f32_e32 v15, v16, v15
	v_fmaak_f32 v9, v19, v9, 0x3f2aaada
	v_ldexp_f32 v20, v15, 1
	v_mul_f32_e32 v15, v18, v19
	v_ldexp_f32 v17, v18, 1
	v_pk_mul_f32 v[18:19], v[14:15], v[8:9]
	s_nop 0
	v_fma_f32 v16, v14, s81, -v18
	v_fmac_f32_e32 v16, 0xb102e308, v14
	v_pk_add_f32 v[14:15], v[18:19], v[16:17]
	s_nop 0
	v_sub_f32_e32 v9, v15, v17
	v_sub_f32_e32 v9, v19, v9
	v_add_f32_e32 v21, v20, v9
	v_mov_b32_e32 v20, v18
	v_pk_add_f32 v[18:19], v[14:15], v[18:19] neg_lo:[0,1] neg_hi:[0,1]
	v_pk_add_f32 v[22:23], v[14:15], v[20:21]
	v_mov_b32_e32 v17, v14
	v_mov_b32_e32 v19, v23
	v_pk_add_f32 v[24:25], v[16:17], v[18:19] neg_lo:[0,1] neg_hi:[0,1]
	v_pk_add_f32 v[16:17], v[16:17], v[18:19]
	v_mov_b32_e32 v20, v21
	v_mov_b32_e32 v18, v17
	v_pk_add_f32 v[26:27], v[18:19], v[14:15] neg_lo:[0,1] neg_hi:[0,1]
	v_mov_b32_e32 v16, v23
	v_mov_b32_e32 v9, v26
	v_pk_add_f32 v[28:29], v[22:23], v[8:9] neg_lo:[0,1] neg_hi:[0,1]
	v_mov_b32_e32 v22, v15
	v_mov_b32_e32 v23, v26
	;; [unrolled: 1-line block ×3, first 2 shown]
	v_pk_add_f32 v[16:17], v[16:17], v[22:23] neg_lo:[0,1] neg_hi:[0,1]
	v_mov_b32_e32 v21, v14
	v_pk_add_f32 v[14:15], v[20:21], v[16:17] neg_lo:[0,1] neg_hi:[0,1]
	v_mov_b32_e32 v28, v24
	v_pk_add_f32 v[16:17], v[28:29], v[14:15]
	s_nop 0
	v_mov_b32_e32 v20, v17
	v_pk_add_f32 v[20:21], v[16:17], v[20:21]
	s_nop 0
	v_pk_add_f32 v[18:19], v[18:19], v[20:21]
	v_mov_b32_e32 v15, v20
	v_mov_b32_e32 v17, v18
	v_pk_add_f32 v[22:23], v[16:17], v[24:25] neg_lo:[0,1] neg_hi:[0,1]
	s_nop 0
	v_sub_f32_e32 v9, v16, v22
	v_pk_add_f32 v[14:15], v[14:15], v[22:23] neg_lo:[0,1] neg_hi:[0,1]
	v_sub_f32_e32 v9, v24, v9
	v_add_f32_e32 v9, v14, v9
	v_add_f32_e32 v9, v9, v15
	;; [unrolled: 1-line block ×3, first 2 shown]
	v_cndmask_b32_e32 v49, v9, v30, vcc
.LBB67_16:                              ;   in Loop: Header=BB67_12 Depth=1
	s_or_b64 exec, exec, s[8:9]
	v_cvt_f32_f16_e32 v9, v45
	v_add_f32_e32 v50, s33, v9
	v_cmp_ge_f32_e32 vcc, s75, v50
	s_and_b64 s[6:7], s[44:45], vcc
	s_and_saveexec_b64 s[8:9], s[6:7]
	s_cbranch_execz .LBB67_18
; %bb.17:                               ;   in Loop: Header=BB67_12 Depth=1
	v_mul_f32_e32 v9, 0x3fb8aa3b, v50
	v_rndne_f32_e32 v14, v9
	v_sub_f32_e32 v15, v9, v14
	v_fma_f32 v9, v50, s76, -v9
	v_fmac_f32_e32 v9, 0x32a5705f, v50
	v_add_f32_e32 v9, v15, v9
	v_cvt_i32_f32_e32 v14, v14
	v_exp_f32_e32 v9, v9
	v_cmp_ngt_f32_e32 vcc, s77, v50
	v_ldexp_f32 v9, v9, v14
	s_nop 0
	v_cndmask_b32_e32 v9, 0, v9, vcc
	v_cmp_nlt_f32_e32 vcc, s78, v50
	s_nop 1
	v_cndmask_b32_e32 v30, v0, v9, vcc
	v_add_f32_e32 v9, 1.0, v30
	v_add_f32_e32 v14, -1.0, v9
	v_sub_f32_e32 v15, v14, v9
	v_add_f32_e32 v15, 1.0, v15
	v_sub_f32_e32 v14, v30, v14
	v_add_f32_e32 v16, v14, v15
	v_frexp_mant_f32_e32 v17, v9
	v_cvt_f64_f32_e32 v[14:15], v9
	v_frexp_exp_i32_f64_e32 v14, v[14:15]
	v_cmp_gt_f32_e32 vcc, s80, v17
	v_cmp_gt_f32_e64 s[6:7], s82, v30
	s_nop 0
	v_subbrev_co_u32_e32 v22, vcc, 0, v14, vcc
	v_sub_u32_e32 v14, 0, v22
	v_ldexp_f32 v9, v9, v14
	v_ldexp_f32 v14, v16, v14
	v_add_f32_e32 v16, -1.0, v9
	v_add_f32_e32 v15, 1.0, v16
	v_sub_f32_e32 v15, v9, v15
	v_add_f32_e32 v17, v14, v15
	v_add_f32_e32 v15, 1.0, v9
	v_add_f32_e32 v18, -1.0, v15
	v_sub_f32_e32 v9, v9, v18
	v_add_f32_e32 v9, v14, v9
	v_add_f32_e32 v23, v15, v9
	v_rcp_f32_e32 v24, v23
	v_sub_f32_e32 v14, v15, v23
	v_add_f32_e32 v15, v16, v17
	v_add_f32_e32 v9, v9, v14
	v_mul_f32_e32 v26, v15, v24
	v_sub_f32_e32 v14, v16, v15
	v_mul_f32_e32 v16, v23, v26
	v_fma_f32 v18, v26, v23, -v16
	v_fmac_f32_e32 v18, v26, v9
	v_add_f32_e32 v25, v17, v14
	v_add_f32_e32 v14, v16, v18
	v_sub_f32_e32 v17, v15, v14
	v_pk_add_f32 v[20:21], v[14:15], v[16:17] neg_lo:[0,1] neg_hi:[0,1]
	v_mov_b32_e32 v19, v14
	v_pk_add_f32 v[14:15], v[20:21], v[18:19] neg_lo:[0,1] neg_hi:[0,1]
	v_cmp_eq_f32_e32 vcc, s79, v30
	v_add_f32_e32 v15, v25, v15
	v_add_f32_e32 v14, v14, v15
	;; [unrolled: 1-line block ×3, first 2 shown]
	v_mul_f32_e32 v25, v24, v15
	v_mul_f32_e32 v16, v23, v25
	v_fma_f32 v18, v25, v23, -v16
	v_fmac_f32_e32 v18, v25, v9
	v_sub_f32_e32 v9, v17, v15
	v_add_f32_e32 v9, v14, v9
	v_add_f32_e32 v14, v16, v18
	v_sub_f32_e32 v17, v15, v14
	v_pk_add_f32 v[20:21], v[14:15], v[16:17] neg_lo:[0,1] neg_hi:[0,1]
	v_mov_b32_e32 v19, v14
	v_pk_add_f32 v[14:15], v[20:21], v[18:19] neg_lo:[0,1] neg_hi:[0,1]
	s_or_b64 vcc, s[6:7], vcc
	v_add_f32_e32 v9, v9, v15
	v_add_f32_e32 v9, v14, v9
	;; [unrolled: 1-line block ×4, first 2 shown]
	v_sub_f32_e32 v14, v15, v26
	v_mul_f32_e32 v9, v24, v9
	v_sub_f32_e32 v14, v25, v14
	v_add_f32_e32 v16, v14, v9
	v_add_f32_e32 v18, v15, v16
	v_cvt_f32_i32_e32 v14, v22
	v_mul_f32_e32 v19, v18, v18
	v_sub_f32_e32 v15, v18, v15
	v_fmamk_f32 v9, v19, 0x3e9b6dac, v41
	v_sub_f32_e32 v15, v16, v15
	v_fmaak_f32 v9, v19, v9, 0x3f2aaada
	v_ldexp_f32 v20, v15, 1
	v_mul_f32_e32 v15, v18, v19
	v_ldexp_f32 v17, v18, 1
	v_pk_mul_f32 v[18:19], v[14:15], v[8:9]
	s_nop 0
	v_fma_f32 v16, v14, s81, -v18
	v_fmac_f32_e32 v16, 0xb102e308, v14
	v_pk_add_f32 v[14:15], v[18:19], v[16:17]
	s_nop 0
	v_sub_f32_e32 v9, v15, v17
	v_sub_f32_e32 v9, v19, v9
	v_add_f32_e32 v21, v20, v9
	v_mov_b32_e32 v20, v18
	v_pk_add_f32 v[18:19], v[14:15], v[18:19] neg_lo:[0,1] neg_hi:[0,1]
	v_pk_add_f32 v[22:23], v[14:15], v[20:21]
	v_mov_b32_e32 v17, v14
	v_mov_b32_e32 v19, v23
	v_pk_add_f32 v[24:25], v[16:17], v[18:19] neg_lo:[0,1] neg_hi:[0,1]
	v_pk_add_f32 v[16:17], v[16:17], v[18:19]
	v_mov_b32_e32 v20, v21
	v_mov_b32_e32 v18, v17
	v_pk_add_f32 v[26:27], v[18:19], v[14:15] neg_lo:[0,1] neg_hi:[0,1]
	v_mov_b32_e32 v16, v23
	v_mov_b32_e32 v9, v26
	v_pk_add_f32 v[28:29], v[22:23], v[8:9] neg_lo:[0,1] neg_hi:[0,1]
	v_mov_b32_e32 v22, v15
	v_mov_b32_e32 v23, v26
	;; [unrolled: 1-line block ×3, first 2 shown]
	v_pk_add_f32 v[16:17], v[16:17], v[22:23] neg_lo:[0,1] neg_hi:[0,1]
	v_mov_b32_e32 v21, v14
	v_pk_add_f32 v[14:15], v[20:21], v[16:17] neg_lo:[0,1] neg_hi:[0,1]
	v_mov_b32_e32 v28, v24
	v_pk_add_f32 v[16:17], v[28:29], v[14:15]
	s_nop 0
	v_mov_b32_e32 v20, v17
	v_pk_add_f32 v[20:21], v[16:17], v[20:21]
	s_nop 0
	v_pk_add_f32 v[18:19], v[18:19], v[20:21]
	v_mov_b32_e32 v15, v20
	v_mov_b32_e32 v17, v18
	v_pk_add_f32 v[22:23], v[16:17], v[24:25] neg_lo:[0,1] neg_hi:[0,1]
	s_nop 0
	v_sub_f32_e32 v9, v16, v22
	v_pk_add_f32 v[14:15], v[14:15], v[22:23] neg_lo:[0,1] neg_hi:[0,1]
	v_sub_f32_e32 v9, v24, v9
	v_add_f32_e32 v9, v14, v9
	v_add_f32_e32 v9, v9, v15
	;; [unrolled: 1-line block ×3, first 2 shown]
	v_cndmask_b32_e32 v50, v9, v30, vcc
.LBB67_18:                              ;   in Loop: Header=BB67_12 Depth=1
	s_or_b64 exec, exec, s[8:9]
	v_cvt_f32_f16_e32 v9, v13
	v_add_f32_e32 v15, s33, v9
	v_cmp_ge_f32_e32 vcc, s75, v15
	s_and_b64 s[6:7], s[44:45], vcc
	s_and_saveexec_b64 s[8:9], s[6:7]
	s_cbranch_execz .LBB67_20
; %bb.19:                               ;   in Loop: Header=BB67_12 Depth=1
	v_mul_f32_e32 v9, 0x3fb8aa3b, v15
	v_rndne_f32_e32 v14, v9
	v_sub_f32_e32 v16, v9, v14
	v_fma_f32 v9, v15, s76, -v9
	v_fmac_f32_e32 v9, 0x32a5705f, v15
	v_add_f32_e32 v9, v16, v9
	v_cvt_i32_f32_e32 v14, v14
	v_exp_f32_e32 v9, v9
	v_cmp_ngt_f32_e32 vcc, s77, v15
	v_ldexp_f32 v9, v9, v14
	s_nop 0
	v_cndmask_b32_e32 v9, 0, v9, vcc
	v_cmp_nlt_f32_e32 vcc, s78, v15
	s_nop 1
	v_cndmask_b32_e32 v30, v0, v9, vcc
	v_add_f32_e32 v9, 1.0, v30
	v_add_f32_e32 v14, -1.0, v9
	v_sub_f32_e32 v15, v14, v9
	v_add_f32_e32 v15, 1.0, v15
	v_sub_f32_e32 v14, v30, v14
	v_add_f32_e32 v16, v14, v15
	v_frexp_mant_f32_e32 v17, v9
	v_cvt_f64_f32_e32 v[14:15], v9
	v_frexp_exp_i32_f64_e32 v14, v[14:15]
	v_cmp_gt_f32_e32 vcc, s80, v17
	v_cmp_gt_f32_e64 s[6:7], s82, v30
	s_nop 0
	v_subbrev_co_u32_e32 v22, vcc, 0, v14, vcc
	v_sub_u32_e32 v14, 0, v22
	v_ldexp_f32 v9, v9, v14
	v_ldexp_f32 v14, v16, v14
	v_add_f32_e32 v16, -1.0, v9
	v_add_f32_e32 v15, 1.0, v16
	v_sub_f32_e32 v15, v9, v15
	v_add_f32_e32 v17, v14, v15
	v_add_f32_e32 v15, 1.0, v9
	v_add_f32_e32 v18, -1.0, v15
	v_sub_f32_e32 v9, v9, v18
	v_add_f32_e32 v9, v14, v9
	v_add_f32_e32 v23, v15, v9
	v_rcp_f32_e32 v24, v23
	v_sub_f32_e32 v14, v15, v23
	v_add_f32_e32 v15, v16, v17
	v_add_f32_e32 v9, v9, v14
	v_mul_f32_e32 v26, v15, v24
	v_sub_f32_e32 v14, v16, v15
	v_mul_f32_e32 v16, v23, v26
	v_fma_f32 v18, v26, v23, -v16
	v_fmac_f32_e32 v18, v26, v9
	v_add_f32_e32 v25, v17, v14
	v_add_f32_e32 v14, v16, v18
	v_sub_f32_e32 v17, v15, v14
	v_pk_add_f32 v[20:21], v[14:15], v[16:17] neg_lo:[0,1] neg_hi:[0,1]
	v_mov_b32_e32 v19, v14
	v_pk_add_f32 v[14:15], v[20:21], v[18:19] neg_lo:[0,1] neg_hi:[0,1]
	v_cmp_eq_f32_e32 vcc, s79, v30
	v_add_f32_e32 v15, v25, v15
	v_add_f32_e32 v14, v14, v15
	v_add_f32_e32 v15, v17, v14
	v_mul_f32_e32 v25, v24, v15
	v_mul_f32_e32 v16, v23, v25
	v_fma_f32 v18, v25, v23, -v16
	v_fmac_f32_e32 v18, v25, v9
	v_sub_f32_e32 v9, v17, v15
	v_add_f32_e32 v9, v14, v9
	v_add_f32_e32 v14, v16, v18
	v_sub_f32_e32 v17, v15, v14
	v_pk_add_f32 v[20:21], v[14:15], v[16:17] neg_lo:[0,1] neg_hi:[0,1]
	v_mov_b32_e32 v19, v14
	v_pk_add_f32 v[14:15], v[20:21], v[18:19] neg_lo:[0,1] neg_hi:[0,1]
	s_or_b64 vcc, s[6:7], vcc
	v_add_f32_e32 v9, v9, v15
	v_add_f32_e32 v9, v14, v9
	v_add_f32_e32 v15, v26, v25
	v_add_f32_e32 v9, v17, v9
	v_sub_f32_e32 v14, v15, v26
	v_mul_f32_e32 v9, v24, v9
	v_sub_f32_e32 v14, v25, v14
	v_add_f32_e32 v16, v14, v9
	v_add_f32_e32 v18, v15, v16
	v_cvt_f32_i32_e32 v14, v22
	v_mul_f32_e32 v19, v18, v18
	v_sub_f32_e32 v15, v18, v15
	v_fmamk_f32 v9, v19, 0x3e9b6dac, v41
	v_sub_f32_e32 v15, v16, v15
	v_fmaak_f32 v9, v19, v9, 0x3f2aaada
	v_ldexp_f32 v20, v15, 1
	v_mul_f32_e32 v15, v18, v19
	v_ldexp_f32 v17, v18, 1
	v_pk_mul_f32 v[18:19], v[14:15], v[8:9]
	s_nop 0
	v_fma_f32 v16, v14, s81, -v18
	v_fmac_f32_e32 v16, 0xb102e308, v14
	v_pk_add_f32 v[14:15], v[18:19], v[16:17]
	s_nop 0
	v_sub_f32_e32 v9, v15, v17
	v_sub_f32_e32 v9, v19, v9
	v_add_f32_e32 v21, v20, v9
	v_mov_b32_e32 v20, v18
	v_pk_add_f32 v[18:19], v[14:15], v[18:19] neg_lo:[0,1] neg_hi:[0,1]
	v_pk_add_f32 v[22:23], v[14:15], v[20:21]
	v_mov_b32_e32 v17, v14
	v_mov_b32_e32 v19, v23
	v_pk_add_f32 v[24:25], v[16:17], v[18:19] neg_lo:[0,1] neg_hi:[0,1]
	v_pk_add_f32 v[16:17], v[16:17], v[18:19]
	v_mov_b32_e32 v20, v21
	v_mov_b32_e32 v18, v17
	v_pk_add_f32 v[26:27], v[18:19], v[14:15] neg_lo:[0,1] neg_hi:[0,1]
	v_mov_b32_e32 v16, v23
	v_mov_b32_e32 v9, v26
	v_pk_add_f32 v[28:29], v[22:23], v[8:9] neg_lo:[0,1] neg_hi:[0,1]
	v_mov_b32_e32 v22, v15
	v_mov_b32_e32 v23, v26
	v_mov_b32_e32 v25, v17
	v_pk_add_f32 v[16:17], v[16:17], v[22:23] neg_lo:[0,1] neg_hi:[0,1]
	v_mov_b32_e32 v21, v14
	v_pk_add_f32 v[14:15], v[20:21], v[16:17] neg_lo:[0,1] neg_hi:[0,1]
	v_mov_b32_e32 v28, v24
	v_pk_add_f32 v[16:17], v[28:29], v[14:15]
	s_nop 0
	v_mov_b32_e32 v20, v17
	v_pk_add_f32 v[20:21], v[16:17], v[20:21]
	s_nop 0
	v_pk_add_f32 v[18:19], v[18:19], v[20:21]
	v_mov_b32_e32 v15, v20
	v_mov_b32_e32 v17, v18
	v_pk_add_f32 v[22:23], v[16:17], v[24:25] neg_lo:[0,1] neg_hi:[0,1]
	s_nop 0
	v_sub_f32_e32 v9, v16, v22
	v_pk_add_f32 v[14:15], v[14:15], v[22:23] neg_lo:[0,1] neg_hi:[0,1]
	v_sub_f32_e32 v9, v24, v9
	v_add_f32_e32 v9, v14, v9
	v_add_f32_e32 v9, v9, v15
	;; [unrolled: 1-line block ×3, first 2 shown]
	v_cndmask_b32_e32 v15, v9, v30, vcc
.LBB67_20:                              ;   in Loop: Header=BB67_12 Depth=1
	s_or_b64 exec, exec, s[8:9]
	v_cvt_f32_f16_e32 v9, v47
	v_add_f32_e32 v14, s33, v9
	v_cmp_ge_f32_e32 vcc, s75, v14
	s_and_b64 s[6:7], s[44:45], vcc
	s_and_saveexec_b64 s[8:9], s[6:7]
	s_cbranch_execz .LBB67_22
; %bb.21:                               ;   in Loop: Header=BB67_12 Depth=1
	v_mul_f32_e32 v9, 0x3fb8aa3b, v14
	v_rndne_f32_e32 v16, v9
	v_sub_f32_e32 v17, v9, v16
	v_fma_f32 v9, v14, s76, -v9
	v_fmac_f32_e32 v9, 0x32a5705f, v14
	v_add_f32_e32 v9, v17, v9
	v_cvt_i32_f32_e32 v16, v16
	v_exp_f32_e32 v9, v9
	v_cmp_ngt_f32_e32 vcc, s77, v14
	v_ldexp_f32 v9, v9, v16
	s_nop 0
	v_cndmask_b32_e32 v9, 0, v9, vcc
	v_cmp_nlt_f32_e32 vcc, s78, v14
	s_nop 1
	v_cndmask_b32_e32 v30, v0, v9, vcc
	v_add_f32_e32 v9, 1.0, v30
	v_add_f32_e32 v14, -1.0, v9
	v_sub_f32_e32 v16, v14, v9
	v_add_f32_e32 v16, 1.0, v16
	v_sub_f32_e32 v14, v30, v14
	v_add_f32_e32 v14, v14, v16
	v_frexp_mant_f32_e32 v18, v9
	v_cvt_f64_f32_e32 v[16:17], v9
	v_frexp_exp_i32_f64_e32 v16, v[16:17]
	v_cmp_gt_f32_e32 vcc, s80, v18
	v_cmp_gt_f32_e64 s[6:7], s82, v30
	s_nop 0
	v_subbrev_co_u32_e32 v24, vcc, 0, v16, vcc
	v_sub_u32_e32 v16, 0, v24
	v_ldexp_f32 v9, v9, v16
	v_ldexp_f32 v14, v14, v16
	v_add_f32_e32 v16, -1.0, v9
	v_add_f32_e32 v17, 1.0, v16
	v_sub_f32_e32 v17, v9, v17
	v_add_f32_e32 v18, v14, v17
	v_add_f32_e32 v17, 1.0, v9
	v_add_f32_e32 v19, -1.0, v17
	v_sub_f32_e32 v9, v9, v19
	v_add_f32_e32 v9, v14, v9
	v_add_f32_e32 v14, v17, v9
	v_rcp_f32_e32 v25, v14
	v_sub_f32_e32 v17, v17, v14
	v_add_f32_e32 v9, v9, v17
	v_add_f32_e32 v17, v16, v18
	v_sub_f32_e32 v16, v16, v17
	v_mul_f32_e32 v27, v17, v25
	v_add_f32_e32 v26, v18, v16
	v_mul_f32_e32 v18, v14, v27
	v_fma_f32 v20, v27, v14, -v18
	v_fmac_f32_e32 v20, v27, v9
	v_add_f32_e32 v16, v18, v20
	v_sub_f32_e32 v19, v17, v16
	v_pk_add_f32 v[22:23], v[16:17], v[18:19] neg_lo:[0,1] neg_hi:[0,1]
	v_mov_b32_e32 v21, v16
	v_pk_add_f32 v[16:17], v[22:23], v[20:21] neg_lo:[0,1] neg_hi:[0,1]
	v_cmp_eq_f32_e32 vcc, s79, v30
	v_add_f32_e32 v17, v26, v17
	v_add_f32_e32 v16, v16, v17
	v_add_f32_e32 v17, v19, v16
	v_mul_f32_e32 v26, v25, v17
	v_mul_f32_e32 v18, v14, v26
	v_fma_f32 v20, v26, v14, -v18
	v_fmac_f32_e32 v20, v26, v9
	v_sub_f32_e32 v9, v19, v17
	v_add_f32_e32 v9, v16, v9
	v_add_f32_e32 v16, v18, v20
	v_sub_f32_e32 v19, v17, v16
	v_pk_add_f32 v[22:23], v[16:17], v[18:19] neg_lo:[0,1] neg_hi:[0,1]
	v_mov_b32_e32 v21, v16
	v_pk_add_f32 v[16:17], v[22:23], v[20:21] neg_lo:[0,1] neg_hi:[0,1]
	v_add_f32_e32 v14, v27, v26
	v_add_f32_e32 v9, v9, v17
	;; [unrolled: 1-line block ×4, first 2 shown]
	v_sub_f32_e32 v16, v14, v27
	v_mul_f32_e32 v9, v25, v9
	v_sub_f32_e32 v16, v26, v16
	v_add_f32_e32 v17, v16, v9
	v_add_f32_e32 v18, v14, v17
	v_cvt_f32_i32_e32 v16, v24
	v_mul_f32_e32 v20, v18, v18
	v_fmamk_f32 v9, v20, 0x3e9b6dac, v41
	v_sub_f32_e32 v14, v18, v14
	v_fmaak_f32 v9, v20, v9, 0x3f2aaada
	v_sub_f32_e32 v14, v17, v14
	v_mul_f32_e32 v17, v18, v20
	v_pk_mul_f32 v[20:21], v[16:17], v[8:9]
	v_ldexp_f32 v19, v18, 1
	v_fma_f32 v18, v16, s81, -v20
	v_fmac_f32_e32 v18, 0xb102e308, v16
	v_pk_add_f32 v[16:17], v[20:21], v[18:19]
	v_ldexp_f32 v14, v14, 1
	v_sub_f32_e32 v9, v17, v19
	v_sub_f32_e32 v9, v21, v9
	v_add_f32_e32 v23, v14, v9
	v_mov_b32_e32 v22, v20
	v_pk_add_f32 v[20:21], v[16:17], v[20:21] neg_lo:[0,1] neg_hi:[0,1]
	v_pk_add_f32 v[24:25], v[16:17], v[22:23]
	v_mov_b32_e32 v19, v16
	v_mov_b32_e32 v21, v25
	v_pk_add_f32 v[26:27], v[18:19], v[20:21] neg_lo:[0,1] neg_hi:[0,1]
	v_pk_add_f32 v[18:19], v[18:19], v[20:21]
	s_or_b64 vcc, s[6:7], vcc
	v_mov_b32_e32 v14, v19
	v_pk_add_f32 v[20:21], v[14:15], v[16:17] neg_lo:[0,1] neg_hi:[0,1]
	v_mov_b32_e32 v18, v25
	v_mov_b32_e32 v9, v20
	v_pk_add_f32 v[28:29], v[24:25], v[8:9] neg_lo:[0,1] neg_hi:[0,1]
	v_mov_b32_e32 v24, v17
	v_mov_b32_e32 v25, v20
	;; [unrolled: 1-line block ×3, first 2 shown]
	v_pk_add_f32 v[18:19], v[18:19], v[24:25] neg_lo:[0,1] neg_hi:[0,1]
	v_mov_b32_e32 v20, v23
	v_mov_b32_e32 v21, v16
	v_pk_add_f32 v[16:17], v[20:21], v[18:19] neg_lo:[0,1] neg_hi:[0,1]
	v_mov_b32_e32 v28, v26
	v_pk_add_f32 v[18:19], v[28:29], v[16:17]
	s_nop 0
	v_mov_b32_e32 v20, v19
	v_pk_add_f32 v[20:21], v[18:19], v[20:21]
	s_nop 0
	v_pk_add_f32 v[22:23], v[14:15], v[20:21]
	v_mov_b32_e32 v17, v20
	v_mov_b32_e32 v19, v22
	v_pk_add_f32 v[24:25], v[18:19], v[26:27] neg_lo:[0,1] neg_hi:[0,1]
	s_nop 0
	v_sub_f32_e32 v9, v18, v24
	v_pk_add_f32 v[16:17], v[16:17], v[24:25] neg_lo:[0,1] neg_hi:[0,1]
	v_sub_f32_e32 v9, v26, v9
	v_add_f32_e32 v9, v16, v9
	v_add_f32_e32 v9, v9, v17
	v_add_f32_e32 v9, v22, v9
	v_cndmask_b32_e32 v14, v9, v30, vcc
.LBB67_22:                              ;   in Loop: Header=BB67_12 Depth=1
	s_or_b64 exec, exec, s[8:9]
	v_cvt_f32_f16_e32 v20, v11
	v_cvt_f32_f16_e32 v21, v46
	;; [unrolled: 1-line block ×4, first 2 shown]
	v_mul_f32_e32 v18, s72, v20
	v_mul_f32_e32 v17, s72, v21
	;; [unrolled: 1-line block ×3, first 2 shown]
	s_lshl_b32 s58, s85, 8
	v_mul_f32_e32 v19, s72, v9
	s_and_b64 vcc, exec, s[54:55]
	s_waitcnt lgkmcnt(0)
	; wave barrier
	s_cbranch_vccz .LBB67_11
; %bb.23:                               ;   in Loop: Header=BB67_12 Depth=1
	v_and_b32_e32 v24, 15, v42
	v_cmp_eq_u32_e64 s[6:7], 0, v24
	v_cmp_lt_u32_e64 s[8:9], 1, v24
	v_cmp_lt_u32_e64 s[10:11], 3, v24
	;; [unrolled: 1-line block ×3, first 2 shown]
	v_and_b32_e32 v24, 16, v42
	s_sub_i32 s24, s48, s58
	v_cmp_ne_u32_e64 s[14:15], 0, v24
	v_add_u32_e32 v24, -1, v42
	v_and_b32_e32 v25, 64, v42
	s_cmp_lg_u32 s85, 0
	v_cmp_lt_i32_e32 vcc, v24, v25
	s_cselect_b64 s[60:61], -1, 0
	s_cmp_eq_u32 s85, s74
	v_cndmask_b32_e32 v24, v24, v42, vcc
	v_cmp_gt_u32_e32 vcc, s24, v7
	s_cselect_b64 s[62:63], -1, 0
	s_or_b64 s[18:19], s[56:57], vcc
	v_cmp_gt_u32_e32 vcc, s24, v6
	s_mov_b32 s50, 0
	v_cmp_gt_u32_e64 s[20:21], s24, v1
	s_or_b64 s[22:23], s[56:57], vcc
	v_cmp_gt_u32_e32 vcc, s24, v40
	v_mul_f32_e32 v9, v14, v9
	v_mul_f32_e32 v51, v15, v20
	;; [unrolled: 1-line block ×4, first 2 shown]
	v_lshl_add_u64 v[20:21], s[38:39], 0, v[2:3]
	v_lshl_add_u64 v[22:23], s[42:43], 0, v[2:3]
	v_cmp_lt_u32_e64 s[16:17], 31, v42
	v_lshlrev_b32_e32 v54, 2, v24
	s_or_b64 s[20:21], s[56:57], s[20:21]
	s_or_b64 s[24:25], s[56:57], vcc
	s_mov_b32 s64, s50
	s_mov_b32 s66, s50
	;; [unrolled: 1-line block ×5, first 2 shown]
	s_branch .LBB67_25
.LBB67_24:                              ;   in Loop: Header=BB67_25 Depth=2
	s_or_b64 exec, exec, s[26:27]
	v_mul_f32_e32 v26, v33, v32
	v_fma_f32 v27, v33, v35, v28
	v_cndmask_b32_e64 v28, v27, v28, s[4:5]
	v_cndmask_b32_e64 v26, v26, v33, s[4:5]
	s_waitcnt lgkmcnt(0)
	v_fmac_f32_e32 v28, v38, v26
	v_fmac_f32_e32 v29, v28, v31
	s_waitcnt vmcnt(0)
	v_cvt_f32_f16_sdwa v27, v25 dst_sel:DWORD dst_unused:UNUSED_PAD src0_sel:WORD_1
	v_cvt_f32_f16_e32 v26, v25
	v_cvt_f32_f16_sdwa v25, v24 dst_sel:DWORD dst_unused:UNUSED_PAD src0_sel:WORD_1
	v_cvt_f32_f16_e32 v24, v24
	v_fmac_f32_e32 v30, v29, v37
	v_fmac_f32_e32 v34, v30, v36
	v_mov_b32_e32 v31, v34
	s_add_i32 s86, s86, 8
	s_add_i32 s59, s59, -1
	s_add_i32 s68, s68, s46
	s_add_i32 s66, s66, s28
	;; [unrolled: 1-line block ×4, first 2 shown]
	v_pk_fma_f32 v[18:19], v[30:31], v[26:27], v[18:19]
	s_cmp_eq_u32 s59, 0
	v_pk_fma_f32 v[16:17], v[28:29], v[24:25], v[16:17]
	s_cbranch_scc1 .LBB67_11
.LBB67_25:                              ;   Parent Loop BB67_12 Depth=1
                                        ; =>  This Inner Loop Header: Depth=2
	s_lshl_b64 s[26:27], s[50:51], 2
	s_mov_b32 s65, s51
	s_add_u32 s26, s36, s26
	v_lshl_add_u64 v[24:25], s[64:65], 1, v[20:21]
	s_mov_b32 s67, s51
	s_addc_u32 s27, s47, s27
	global_load_dwordx2 v[28:29], v[24:25], off
	v_lshl_add_u64 v[24:25], s[66:67], 1, v[22:23]
	global_load_dword v30, v3, s[26:27]
	s_andn2_b64 vcc, exec, s[60:61]
	global_load_dwordx2 v[24:25], v[24:25], off
	s_cbranch_vccnz .LBB67_27
; %bb.26:                               ;   in Loop: Header=BB67_25 Depth=2
	v_mov_b32_e32 v26, s86
	ds_read_b64 v[26:27], v26
	s_cbranch_execz .LBB67_28
	s_branch .LBB67_31
.LBB67_27:                              ;   in Loop: Header=BB67_25 Depth=2
                                        ; implicit-def: $vgpr27
.LBB67_28:                              ;   in Loop: Header=BB67_25 Depth=2
	s_andn2_b64 vcc, exec, s[34:35]
	s_waitcnt lgkmcnt(0)
	v_mov_b32_e32 v27, 0
	s_cbranch_vccnz .LBB67_30
; %bb.29:                               ;   in Loop: Header=BB67_25 Depth=2
	s_mov_b32 s69, s51
	s_lshl_b64 s[26:27], s[68:69], 1
	s_add_u32 s26, s29, s26
	s_addc_u32 s27, s41, s27
	global_load_ushort v26, v3, s[26:27]
	s_waitcnt vmcnt(0)
	v_cvt_f32_f16_e32 v27, v26
.LBB67_30:                              ;   in Loop: Header=BB67_25 Depth=2
	v_mov_b32_e32 v26, 1.0
.LBB67_31:                              ;   in Loop: Header=BB67_25 Depth=2
	s_waitcnt vmcnt(1)
	v_mul_f32_e32 v32, 0x3fb8aa3b, v30
	v_cvt_f32_f16_e32 v30, v28
	v_cvt_f32_f16_sdwa v31, v28 dst_sel:DWORD dst_unused:UNUSED_PAD src0_sel:WORD_1
	v_mul_f32_e32 v28, v32, v49
	v_cmp_gt_f32_e32 vcc, s84, v28
	v_cvt_f32_f16_e32 v34, v29
	v_cvt_f32_f16_sdwa v36, v29 dst_sel:DWORD dst_unused:UNUSED_PAD src0_sel:WORD_1
	v_cndmask_b32_e32 v28, 0, v43, vcc
	v_fmac_f32_e32 v28, v32, v49
	v_exp_f32_e32 v28, v28
	v_cndmask_b32_e32 v29, 1.0, v44, vcc
	v_mul_f32_e32 v34, v51, v34
	v_mul_f32_e32 v29, v28, v29
	v_mul_f32_e32 v28, v53, v30
	v_mul_f32_e32 v30, v32, v50
	v_cmp_gt_f32_e32 vcc, s84, v30
	v_cndmask_b32_e64 v33, 1.0, v29, s[18:19]
	v_cndmask_b32_e64 v28, 0, v28, s[18:19]
	v_cndmask_b32_e32 v30, 0, v43, vcc
	v_fmac_f32_e32 v30, v32, v50
	v_exp_f32_e32 v30, v30
	v_cndmask_b32_e32 v29, 1.0, v44, vcc
	v_mul_f32_e32 v30, v30, v29
	v_mul_f32_e32 v29, v52, v31
	v_cndmask_b32_e64 v31, 1.0, v30, s[20:21]
	v_cndmask_b32_e64 v30, 0, v34, s[22:23]
	v_pk_mul_f32 v[34:35], v[32:33], v[14:15] op_sel_hi:[0,1]
	v_cmp_gt_f32_e32 vcc, s84, v34
	v_cmp_gt_f32_e64 s[26:27], s84, v35
	v_cndmask_b32_e64 v29, 0, v29, s[20:21]
	v_cndmask_b32_e32 v32, 0, v43, vcc
	v_add_f32_e32 v32, v34, v32
	v_cndmask_b32_e64 v34, 0, v43, s[26:27]
	v_exp_f32_e32 v32, v32
	v_add_f32_e32 v34, v35, v34
	v_exp_f32_e32 v34, v34
	v_cndmask_b32_e32 v35, 1.0, v44, vcc
	v_mul_f32_e32 v32, v32, v35
	v_cndmask_b32_e64 v35, 1.0, v44, s[26:27]
	v_mul_f32_e32 v35, v34, v35
	v_mul_f32_e32 v34, v9, v36
	v_cndmask_b32_e64 v37, 1.0, v35, s[22:23]
	v_cndmask_b32_e64 v36, 1.0, v32, s[24:25]
	v_fma_f32 v32, v31, v28, v29
	v_mul_f32_e32 v32, v32, v37
	v_pk_add_f32 v[38:39], v[32:33], v[30:31]
	v_pk_mul_f32 v[56:57], v[32:33], v[30:31]
	v_cndmask_b32_e64 v34, 0, v34, s[24:25]
	v_mov_b32_e32 v39, v57
	v_pk_mul_f32 v[56:57], v[38:39], v[36:37]
	v_mov_b32_e32 v35, v36
	v_pk_fma_f32 v[58:59], v[38:39], v[36:37], v[34:35]
	v_pk_mul_f32 v[56:57], v[56:57], v[34:35]
	s_nop 0
	v_mov_b32_dpp v35, v58 row_shr:1 row_mask:0xf bank_mask:0xf
	v_mov_b32_dpp v32, v57 row_shr:1 row_mask:0xf bank_mask:0xf
	v_mul_f32_e32 v55, v57, v32
	v_fma_f32 v32, v57, v35, v58
	v_cndmask_b32_e64 v39, v32, v58, s[6:7]
	v_cndmask_b32_e64 v32, v32, v58, s[6:7]
	;; [unrolled: 1-line block ×4, first 2 shown]
	v_mov_b32_dpp v56, v32 row_shr:2 row_mask:0xf bank_mask:0xf
	v_mov_b32_dpp v55, v35 row_shr:2 row_mask:0xf bank_mask:0xf
	s_and_saveexec_b64 s[26:27], s[8:9]
; %bb.32:                               ;   in Loop: Header=BB67_25 Depth=2
	v_fmac_f32_e32 v32, v35, v56
	v_mul_f32_e32 v35, v35, v55
	v_mov_b32_e32 v38, v35
	v_mov_b32_e32 v39, v32
; %bb.33:                               ;   in Loop: Header=BB67_25 Depth=2
	s_or_b64 exec, exec, s[26:27]
	v_mov_b32_dpp v55, v35 row_shr:4 row_mask:0xf bank_mask:0xf
	v_mov_b32_dpp v56, v32 row_shr:4 row_mask:0xf bank_mask:0xf
	s_and_saveexec_b64 s[26:27], s[10:11]
; %bb.34:                               ;   in Loop: Header=BB67_25 Depth=2
	v_fmac_f32_e32 v32, v35, v56
	v_mul_f32_e32 v35, v35, v55
	v_mov_b32_e32 v38, v35
	v_mov_b32_e32 v39, v32
; %bb.35:                               ;   in Loop: Header=BB67_25 Depth=2
	s_or_b64 exec, exec, s[26:27]
	;; [unrolled: 10-line block ×3, first 2 shown]
	v_mov_b32_dpp v55, v35 row_bcast:15 row_mask:0xf bank_mask:0xf
	v_mov_b32_dpp v56, v32 row_bcast:15 row_mask:0xf bank_mask:0xf
	s_and_saveexec_b64 s[26:27], s[14:15]
; %bb.38:                               ;   in Loop: Header=BB67_25 Depth=2
	v_fmac_f32_e32 v32, v35, v56
	v_mul_f32_e32 v35, v35, v55
	v_mov_b32_e32 v38, v35
	v_mov_b32_e32 v39, v32
; %bb.39:                               ;   in Loop: Header=BB67_25 Depth=2
	s_or_b64 exec, exec, s[26:27]
	v_mov_b32_dpp v55, v35 row_bcast:31 row_mask:0xf bank_mask:0xf
	v_mov_b32_dpp v56, v32 row_bcast:31 row_mask:0xf bank_mask:0xf
	v_mul_f32_e32 v55, v35, v55
	v_fmac_f32_e32 v32, v35, v56
	v_cndmask_b32_e64 v38, v38, v55, s[16:17]
	v_cndmask_b32_e64 v39, v39, v32, s[16:17]
	s_and_saveexec_b64 s[26:27], s[2:3]
	s_cbranch_execz .LBB67_41
; %bb.40:                               ;   in Loop: Header=BB67_25 Depth=2
	ds_write_b64 v3, v[38:39] offset:1056
.LBB67_41:                              ;   in Loop: Header=BB67_25 Depth=2
	s_or_b64 exec, exec, s[26:27]
	ds_bpermute_b32 v32, v54, v38
	ds_bpermute_b32 v35, v54, v39
	s_waitcnt lgkmcnt(2)
	v_mov_b32_e32 v39, v27
	s_waitcnt lgkmcnt(0)
	; wave barrier
	s_waitcnt lgkmcnt(0)
	s_and_saveexec_b64 s[26:27], s[0:1]
	s_cbranch_execz .LBB67_45
; %bb.42:                               ;   in Loop: Header=BB67_25 Depth=2
	ds_read_b64 v[38:39], v3 offset:1056
	s_and_saveexec_b64 s[70:71], s[4:5]
	s_cbranch_execz .LBB67_44
; %bb.43:                               ;   in Loop: Header=BB67_25 Depth=2
	ds_write_b64 v3, v[26:27] offset:1056
.LBB67_44:                              ;   in Loop: Header=BB67_25 Depth=2
	s_or_b64 exec, exec, s[70:71]
	s_waitcnt lgkmcnt(0)
	v_fmac_f32_e32 v39, v27, v38
	v_mul_f32_e32 v26, v26, v38
	v_mov_b32_e32 v27, v39
.LBB67_45:                              ;   in Loop: Header=BB67_25 Depth=2
	s_or_b64 exec, exec, s[26:27]
	s_waitcnt lgkmcnt(0)
	; wave barrier
	ds_read_b32 v38, v3 offset:1060
	s_and_saveexec_b64 s[26:27], s[4:5]
	s_cbranch_execz .LBB67_24
; %bb.46:                               ;   in Loop: Header=BB67_25 Depth=2
	v_mov_b32_e32 v55, s86
	s_andn2_b64 vcc, exec, s[62:63]
	ds_write_b64 v55, v[26:27]
	s_cbranch_vccnz .LBB67_24
; %bb.47:                               ;   in Loop: Header=BB67_25 Depth=2
	s_mov_b32 s69, s51
	v_cvt_f16_f32_e32 v26, v39
	s_lshl_b64 s[70:71], s[68:69], 1
	s_add_u32 s70, s29, s70
	s_addc_u32 s71, s41, s71
	global_store_short v3, v26, s[70:71]
	s_branch .LBB67_24
.LBB67_48:
	s_endpgm
	.section	.rodata,"a",@progbits
	.p2align	6, 0x0
	.amdhsa_kernel _Z25selective_scan_fwd_kernelI32Selective_Scan_fwd_kernel_traitsILi64ELi4ELi1ELb1ELb1ELb1ELb0ELb0EN3c104HalfEfS2_EEv13SSMParamsBase
		.amdhsa_group_segment_fixed_size 0
		.amdhsa_private_segment_fixed_size 0
		.amdhsa_kernarg_size 248
		.amdhsa_user_sgpr_count 2
		.amdhsa_user_sgpr_dispatch_ptr 0
		.amdhsa_user_sgpr_queue_ptr 0
		.amdhsa_user_sgpr_kernarg_segment_ptr 1
		.amdhsa_user_sgpr_dispatch_id 0
		.amdhsa_user_sgpr_kernarg_preload_length 0
		.amdhsa_user_sgpr_kernarg_preload_offset 0
		.amdhsa_user_sgpr_private_segment_size 0
		.amdhsa_uses_dynamic_stack 0
		.amdhsa_enable_private_segment 0
		.amdhsa_system_sgpr_workgroup_id_x 1
		.amdhsa_system_sgpr_workgroup_id_y 1
		.amdhsa_system_sgpr_workgroup_id_z 0
		.amdhsa_system_sgpr_workgroup_info 0
		.amdhsa_system_vgpr_workitem_id 0
		.amdhsa_next_free_vgpr 60
		.amdhsa_next_free_sgpr 87
		.amdhsa_accum_offset 60
		.amdhsa_reserve_vcc 1
		.amdhsa_float_round_mode_32 0
		.amdhsa_float_round_mode_16_64 0
		.amdhsa_float_denorm_mode_32 3
		.amdhsa_float_denorm_mode_16_64 3
		.amdhsa_dx10_clamp 1
		.amdhsa_ieee_mode 1
		.amdhsa_fp16_overflow 0
		.amdhsa_tg_split 0
		.amdhsa_exception_fp_ieee_invalid_op 0
		.amdhsa_exception_fp_denorm_src 0
		.amdhsa_exception_fp_ieee_div_zero 0
		.amdhsa_exception_fp_ieee_overflow 0
		.amdhsa_exception_fp_ieee_underflow 0
		.amdhsa_exception_fp_ieee_inexact 0
		.amdhsa_exception_int_div_zero 0
	.end_amdhsa_kernel
	.section	.text._Z25selective_scan_fwd_kernelI32Selective_Scan_fwd_kernel_traitsILi64ELi4ELi1ELb1ELb1ELb1ELb0ELb0EN3c104HalfEfS2_EEv13SSMParamsBase,"axG",@progbits,_Z25selective_scan_fwd_kernelI32Selective_Scan_fwd_kernel_traitsILi64ELi4ELi1ELb1ELb1ELb1ELb0ELb0EN3c104HalfEfS2_EEv13SSMParamsBase,comdat
.Lfunc_end67:
	.size	_Z25selective_scan_fwd_kernelI32Selective_Scan_fwd_kernel_traitsILi64ELi4ELi1ELb1ELb1ELb1ELb0ELb0EN3c104HalfEfS2_EEv13SSMParamsBase, .Lfunc_end67-_Z25selective_scan_fwd_kernelI32Selective_Scan_fwd_kernel_traitsILi64ELi4ELi1ELb1ELb1ELb1ELb0ELb0EN3c104HalfEfS2_EEv13SSMParamsBase
                                        ; -- End function
	.section	.AMDGPU.csdata,"",@progbits
; Kernel info:
; codeLenInByte = 5156
; NumSgprs: 93
; NumVgprs: 60
; NumAgprs: 0
; TotalNumVgprs: 60
; ScratchSize: 0
; MemoryBound: 0
; FloatMode: 240
; IeeeMode: 1
; LDSByteSize: 0 bytes/workgroup (compile time only)
; SGPRBlocks: 11
; VGPRBlocks: 7
; NumSGPRsForWavesPerEU: 93
; NumVGPRsForWavesPerEU: 60
; AccumOffset: 60
; Occupancy: 8
; WaveLimiterHint : 0
; COMPUTE_PGM_RSRC2:SCRATCH_EN: 0
; COMPUTE_PGM_RSRC2:USER_SGPR: 2
; COMPUTE_PGM_RSRC2:TRAP_HANDLER: 0
; COMPUTE_PGM_RSRC2:TGID_X_EN: 1
; COMPUTE_PGM_RSRC2:TGID_Y_EN: 1
; COMPUTE_PGM_RSRC2:TGID_Z_EN: 0
; COMPUTE_PGM_RSRC2:TIDIG_COMP_CNT: 0
; COMPUTE_PGM_RSRC3_GFX90A:ACCUM_OFFSET: 14
; COMPUTE_PGM_RSRC3_GFX90A:TG_SPLIT: 0
	.section	.text._Z25selective_scan_fwd_kernelI32Selective_Scan_fwd_kernel_traitsILi64ELi4ELi1ELb0ELb1ELb1ELb1ELb1EN3c104HalfEfS2_EEv13SSMParamsBase,"axG",@progbits,_Z25selective_scan_fwd_kernelI32Selective_Scan_fwd_kernel_traitsILi64ELi4ELi1ELb0ELb1ELb1ELb1ELb1EN3c104HalfEfS2_EEv13SSMParamsBase,comdat
	.protected	_Z25selective_scan_fwd_kernelI32Selective_Scan_fwd_kernel_traitsILi64ELi4ELi1ELb0ELb1ELb1ELb1ELb1EN3c104HalfEfS2_EEv13SSMParamsBase ; -- Begin function _Z25selective_scan_fwd_kernelI32Selective_Scan_fwd_kernel_traitsILi64ELi4ELi1ELb0ELb1ELb1ELb1ELb1EN3c104HalfEfS2_EEv13SSMParamsBase
	.globl	_Z25selective_scan_fwd_kernelI32Selective_Scan_fwd_kernel_traitsILi64ELi4ELi1ELb0ELb1ELb1ELb1ELb1EN3c104HalfEfS2_EEv13SSMParamsBase
	.p2align	8
	.type	_Z25selective_scan_fwd_kernelI32Selective_Scan_fwd_kernel_traitsILi64ELi4ELi1ELb0ELb1ELb1ELb1ELb1EN3c104HalfEfS2_EEv13SSMParamsBase,@function
_Z25selective_scan_fwd_kernelI32Selective_Scan_fwd_kernel_traitsILi64ELi4ELi1ELb0ELb1ELb1ELb1ELb1EN3c104HalfEfS2_EEv13SSMParamsBase: ; @_Z25selective_scan_fwd_kernelI32Selective_Scan_fwd_kernel_traitsILi64ELi4ELi1ELb0ELb1ELb1ELb1ELb1EN3c104HalfEfS2_EEv13SSMParamsBase
; %bb.0:
	s_load_dword s37, s[0:1], 0x18
	s_load_dwordx4 s[4:7], s[0:1], 0xe8
	s_load_dwordx8 s[20:27], s[0:1], 0xc8
	s_mov_b32 s34, s3
	s_ashr_i32 s3, s2, 31
	s_lshl_b64 s[8:9], s[2:3], 2
	s_waitcnt lgkmcnt(0)
	s_abs_i32 s36, s37
	v_cvt_f32_u32_e32 v1, s36
	s_add_u32 s28, s26, s8
	s_addc_u32 s29, s27, s9
	s_cmp_eq_u64 s[6:7], 0
	v_rcp_iflag_f32_e32 v1, v1
	s_nop 0
	v_mul_f32_e32 v1, 0x4f7ffffe, v1
	v_cvt_u32_f32_e32 v1, v1
	s_nop 0
	v_readfirstlane_b32 s56, v1
	s_cbranch_scc1 .LBB68_102
; %bb.1:
	s_add_u32 s6, s6, s2
	s_addc_u32 s7, s7, s3
	v_mov_b32_e32 v1, 0
	global_load_ubyte v1, v1, s[6:7]
	s_waitcnt vmcnt(0)
	v_and_b32_e32 v1, 1, v1
	v_cmp_eq_u32_e64 s[38:39], 1, v1
	s_load_dwordx2 s[6:7], s[0:1], 0x20
	s_cmp_eq_u64 s[4:5], 0
	s_cbranch_scc1 .LBB68_3
.LBB68_2:
	s_add_u32 s2, s4, s8
	s_addc_u32 s3, s5, s9
	s_load_dword s2, s[2:3], 0x0
	s_waitcnt lgkmcnt(0)
	s_ashr_i32 s3, s2, 31
.LBB68_3:
	s_waitcnt lgkmcnt(0)
	s_cmp_eq_u64 s[6:7], s[2:3]
	s_cbranch_scc1 .LBB68_101
; %bb.4:
	s_load_dwordx16 s[4:19], s[0:1], 0x88
	s_load_dwordx2 s[26:27], s[28:29], 0x0
	s_mov_b32 s33, 0
	s_mov_b32 s76, 0
	s_waitcnt lgkmcnt(0)
	s_cmp_eq_u64 s[10:11], 0
	s_cbranch_scc1 .LBB68_6
; %bb.5:
	s_ashr_i32 s35, s34, 31
	s_lshl_b64 s[28:29], s[34:35], 2
	s_add_u32 s10, s10, s28
	s_addc_u32 s11, s11, s29
	s_load_dword s76, s[10:11], 0x0
.LBB68_6:
	s_cmp_eq_u64 s[16:17], 0
	s_cbranch_scc1 .LBB68_8
; %bb.7:
	s_ashr_i32 s35, s34, 31
	s_lshl_b64 s[10:11], s[34:35], 2
	s_add_u32 s10, s16, s10
	s_addc_u32 s11, s17, s11
	s_load_dword s33, s[10:11], 0x0
.LBB68_8:
	s_sub_i32 s77, s27, s26
	s_cmp_lt_i32 s77, 1
	s_cbranch_scc1 .LBB68_101
; %bb.9:
	s_sub_i32 s3, 0, s36
	s_mul_i32 s3, s3, s56
	s_mul_hi_u32 s3, s56, s3
	s_abs_i32 s16, s34
	s_add_i32 s56, s56, s3
	s_load_dwordx8 s[40:47], s[0:1], 0x2c
	s_load_dwordx2 s[10:11], s[0:1], 0x7c
	s_load_dwordx4 s[28:31], s[0:1], 0x6c
	s_load_dwordx8 s[48:55], s[0:1], 0x4c
	s_load_dword s78, s[0:1], 0x84
	s_mul_hi_u32 s3, s16, s56
	s_load_dword s79, s[0:1], 0xc
	s_load_dword s17, s[0:1], 0x28
	s_ashr_i32 s0, s34, 31
	s_ashr_i32 s1, s37, 31
	s_xor_b32 s0, s0, s1
	s_mul_i32 s1, s3, s36
	s_sub_i32 s1, s16, s1
	s_add_i32 s16, s3, 1
	s_sub_i32 s27, s1, s36
	s_cmp_ge_u32 s1, s36
	s_cselect_b32 s3, s16, s3
	s_cselect_b32 s1, s27, s1
	s_add_i32 s16, s3, 1
	s_cmp_ge_u32 s1, s36
	s_cselect_b32 s1, s16, s3
	s_xor_b32 s1, s1, s0
	s_waitcnt lgkmcnt(0)
	s_mul_i32 s56, s26, s50
	s_mov_b32 s57, 0
	s_sub_i32 s3, s1, s0
	s_lshl_b64 s[0:1], s[56:57], 1
	s_add_u32 s12, s12, s0
	s_mul_i32 s56, s51, s34
	s_addc_u32 s13, s13, s1
	s_lshl_b64 s[0:1], s[56:57], 1
	s_add_u32 s50, s12, s0
	s_mul_i32 s56, s26, s52
	s_addc_u32 s51, s13, s1
	;; [unrolled: 4-line block ×9, first 2 shown]
	s_lshl_b64 s[0:1], s[56:57], 1
	s_add_u32 s2, s20, s0
	s_mul_i32 s56, s11, s34
	v_mbcnt_lo_u32_b32 v2, -1, 0
	s_addc_u32 s3, s21, s1
	s_lshl_b64 s[0:1], s[56:57], 1
	v_mbcnt_hi_u32_b32 v2, -1, v2
	s_add_u32 s45, s2, s0
	v_lshrrev_b32_e32 v3, 5, v2
	s_addc_u32 s49, s3, s1
	s_add_i32 s0, s77, 0x7ff
	v_and_b32_e32 v3, 2, v3
	s_lshr_b32 s81, s0, 11
	v_add_u32_e32 v40, 64, v2
	v_or_b32_e32 v41, 0x80, v2
	v_add_u32_e32 v42, 0xc0, v2
	v_add_u32_e32 v3, v3, v2
	v_lshl_add_u32 v43, v3, 1, 0
	v_lshrrev_b32_e32 v3, 5, v40
	v_lshrrev_b32_e32 v4, 5, v41
	;; [unrolled: 1-line block ×3, first 2 shown]
	s_bitcmp1_b32 s17, 0
	v_and_b32_e32 v3, 6, v3
	v_and_b32_e32 v4, 6, v4
	;; [unrolled: 1-line block ×3, first 2 shown]
	s_cselect_b64 s[58:59], -1, 0
	s_cmp_gt_i32 s79, 0
	v_add_lshl_u32 v3, v3, v2, 1
	v_add_lshl_u32 v4, v4, v2, 1
	;; [unrolled: 1-line block ×3, first 2 shown]
	s_cselect_b64 s[60:61], -1, 0
	s_add_i32 s0, 0, 0x210
	s_mul_i32 s56, s26, s28
	v_add_u32_e32 v48, s0, v3
	v_add_u32_e32 v49, s0, v4
	;; [unrolled: 1-line block ×3, first 2 shown]
	s_and_b32 s2, s77, 0xff
	s_add_i32 s82, s81, -1
	s_lshl_b64 s[0:1], s[56:57], 1
	s_add_u32 s3, s18, s0
	s_mul_i32 s56, s29, s34
	s_addc_u32 s4, s19, s1
	s_lshl_b64 s[0:1], s[56:57], 1
	s_add_u32 s18, s3, s0
	s_mul_i32 s56, s26, s54
	s_addc_u32 s19, s4, s1
	;; [unrolled: 4-line block ×5, first 2 shown]
	s_lshl_b64 s[0:1], s[56:57], 1
	s_add_u32 s22, s3, s0
	v_add_u32_e32 v44, 0, v3
	s_addc_u32 s23, s4, s1
	v_and_b32_e32 v3, 15, v2
	s_cmp_eq_u32 s2, 0
	v_cmp_eq_u32_e64 s[0:1], 0, v3
	v_cmp_lt_u32_e64 s[2:3], 1, v3
	v_cmp_lt_u32_e64 s[4:5], 3, v3
	;; [unrolled: 1-line block ×3, first 2 shown]
	v_and_b32_e32 v3, 16, v2
	v_add_u32_e32 v45, 0, v4
	v_lshrrev_b32_e32 v6, 3, v2
	v_cmp_ne_u32_e64 s[8:9], 0, v3
	v_add_u32_e32 v3, -1, v2
	v_and_b32_e32 v4, 64, v2
	v_and_b32_e32 v6, 14, v6
	v_cmp_lt_i32_e32 vcc, v3, v4
	v_mov_b32_e32 v1, 0
	v_lshlrev_b32_e32 v11, 2, v0
	v_lshl_add_u32 v6, v2, 2, v6
	v_cmp_eq_u32_e64 s[12:13], 63, v0
	v_cndmask_b32_e32 v3, v3, v2, vcc
	v_cmp_gt_u32_e64 s[14:15], 64, v0
	v_cmp_eq_u32_e64 s[16:17], 0, v0
	v_lshlrev_b32_e32 v0, 1, v2
                                        ; implicit-def: $vgpr12
	v_add_u32_e32 v46, 0, v5
	v_lshl_add_u32 v47, v6, 1, 0
	s_cselect_b64 s[54:55], -1, 0
	v_cmp_lt_u32_e64 s[10:11], 31, v2
	v_lshlrev_b32_e32 v51, 2, v3
	v_lshl_add_u64 v[4:5], s[18:19], 0, v[0:1]
	v_lshl_add_u64 v[6:7], s[20:21], 0, v[0:1]
	;; [unrolled: 1-line block ×3, first 2 shown]
	v_or_b32_e32 v3, 1, v11
	v_or_b32_e32 v10, 2, v11
	;; [unrolled: 1-line block ×3, first 2 shown]
	v_lshlrev_b32_e32 v0, 1, v2
	s_mov_b32 s83, 0x41a00000
	s_mov_b32 s84, 0x3fb8aa3b
	;; [unrolled: 1-line block ×6, first 2 shown]
	v_mov_b32_e32 v53, 0x3ecc95a3
	s_mov_b32 s89, 0x3f317218
	s_mov_b32 s90, 0x33800000
	s_add_i32 s91, 0, 0x428
	s_mov_b32 s92, 0xc2fc0000
	s_mov_b32 s93, 0xbfb8aa3b
	;; [unrolled: 1-line block ×5, first 2 shown]
	v_mov_b32_e32 v54, 0x7f800000
	v_mov_b32_e32 v12, 0x3f317218
	;; [unrolled: 1-line block ×4, first 2 shown]
	s_mov_b32 s97, 0
	s_branch .LBB68_11
.LBB68_10:                              ;   in Loop: Header=BB68_11 Depth=1
	s_or_b64 exec, exec, s[18:19]
	s_add_u32 s52, s52, 0x200
	s_addc_u32 s53, s53, 0
	s_add_u32 s50, s50, 0x200
	s_addc_u32 s51, s51, 0
	;; [unrolled: 2-line block ×4, first 2 shown]
	s_add_i32 s97, s97, 1
	s_cmp_lg_u32 s97, s81
	s_cbranch_scc0 .LBB68_101
.LBB68_11:                              ; =>This Loop Header: Depth=1
                                        ;     Child Loop BB68_36 Depth 2
	s_lshl_b32 s62, s97, 8
	s_sub_i32 s34, s77, s62
	v_lshl_add_u64 v[14:15], s[50:51], 0, v[0:1]
	v_cmp_gt_u32_e64 s[18:19], s34, v2
	s_waitcnt lgkmcnt(1)
	v_mov_b32_e32 v16, 0
	s_waitcnt lgkmcnt(0)
	; wave barrier
	s_and_saveexec_b64 s[20:21], s[18:19]
	s_cbranch_execz .LBB68_13
; %bb.12:                               ;   in Loop: Header=BB68_11 Depth=1
	global_load_ushort v16, v[14:15], off
.LBB68_13:                              ;   in Loop: Header=BB68_11 Depth=1
	s_or_b64 exec, exec, s[20:21]
	v_cmp_gt_u32_e64 s[20:21], s34, v40
	v_mov_b32_e32 v17, 0
	v_mov_b32_e32 v18, 0
	s_and_saveexec_b64 s[22:23], s[20:21]
	s_cbranch_execz .LBB68_15
; %bb.14:                               ;   in Loop: Header=BB68_11 Depth=1
	global_load_ushort v18, v[14:15], off offset:128
.LBB68_15:                              ;   in Loop: Header=BB68_11 Depth=1
	s_or_b64 exec, exec, s[22:23]
	v_cmp_gt_u32_e64 s[22:23], s34, v41
	s_and_saveexec_b64 s[24:25], s[22:23]
	s_cbranch_execz .LBB68_17
; %bb.16:                               ;   in Loop: Header=BB68_11 Depth=1
	global_load_ushort v17, v[14:15], off offset:256
.LBB68_17:                              ;   in Loop: Header=BB68_11 Depth=1
	s_or_b64 exec, exec, s[24:25]
	v_cmp_gt_u32_e64 s[24:25], s34, v42
	s_waitcnt lgkmcnt(0)
	v_mov_b32_e32 v13, 0
	v_mov_b32_e32 v19, 0
	s_and_saveexec_b64 s[26:27], s[24:25]
	s_cbranch_execz .LBB68_19
; %bb.18:                               ;   in Loop: Header=BB68_11 Depth=1
	global_load_ushort v19, v[14:15], off offset:384
.LBB68_19:                              ;   in Loop: Header=BB68_11 Depth=1
	s_or_b64 exec, exec, s[26:27]
	s_waitcnt vmcnt(0)
	ds_write_b16 v43, v16
	ds_write_b16 v44, v18 offset:128
	ds_write_b16 v45, v17 offset:256
	;; [unrolled: 1-line block ×3, first 2 shown]
	; wave barrier
	ds_read_b64 v[14:15], v47
	v_lshl_add_u64 v[16:17], s[52:53], 0, v[0:1]
	s_waitcnt lgkmcnt(0)
	; wave barrier
	s_waitcnt lgkmcnt(0)
	s_and_saveexec_b64 s[26:27], s[18:19]
	s_cbranch_execz .LBB68_21
; %bb.20:                               ;   in Loop: Header=BB68_11 Depth=1
	global_load_ushort v13, v[16:17], off
.LBB68_21:                              ;   in Loop: Header=BB68_11 Depth=1
	s_or_b64 exec, exec, s[26:27]
	v_mov_b32_e32 v18, 0
	v_mov_b32_e32 v19, 0
	s_and_saveexec_b64 s[26:27], s[20:21]
	s_cbranch_execnz .LBB68_92
; %bb.22:                               ;   in Loop: Header=BB68_11 Depth=1
	s_or_b64 exec, exec, s[26:27]
	s_and_saveexec_b64 s[26:27], s[22:23]
	s_cbranch_execnz .LBB68_93
.LBB68_23:                              ;   in Loop: Header=BB68_11 Depth=1
	s_or_b64 exec, exec, s[26:27]
	v_mov_b32_e32 v20, 0
	s_and_saveexec_b64 s[26:27], s[24:25]
	s_cbranch_execz .LBB68_25
.LBB68_24:                              ;   in Loop: Header=BB68_11 Depth=1
	global_load_ushort v20, v[16:17], off offset:384
.LBB68_25:                              ;   in Loop: Header=BB68_11 Depth=1
	s_or_b64 exec, exec, s[26:27]
	s_waitcnt vmcnt(0)
	ds_write_b16 v43, v13
	ds_write_b16 v44, v19 offset:128
	ds_write_b16 v45, v18 offset:256
	;; [unrolled: 1-line block ×3, first 2 shown]
	; wave barrier
	ds_read_b64 v[16:17], v47
	s_waitcnt lgkmcnt(0)
	v_cvt_f32_f16_e32 v13, v16
	v_add_f32_e32 v57, s33, v13
	v_cmp_ge_f32_e32 vcc, s83, v57
	s_and_b64 s[26:27], s[58:59], vcc
	s_and_saveexec_b64 s[28:29], s[26:27]
	s_cbranch_execz .LBB68_27
; %bb.26:                               ;   in Loop: Header=BB68_11 Depth=1
	v_mul_f32_e32 v13, 0x3fb8aa3b, v57
	v_rndne_f32_e32 v18, v13
	v_sub_f32_e32 v19, v13, v18
	v_fma_f32 v13, v57, s84, -v13
	v_fmac_f32_e32 v13, 0x32a5705f, v57
	v_add_f32_e32 v13, v19, v13
	v_cvt_i32_f32_e32 v18, v18
	v_exp_f32_e32 v13, v13
	v_cmp_ngt_f32_e32 vcc, s85, v57
	v_ldexp_f32 v13, v13, v18
	s_nop 0
	v_cndmask_b32_e32 v13, 0, v13, vcc
	v_cmp_nlt_f32_e32 vcc, s86, v57
	s_nop 1
	v_cndmask_b32_e32 v34, v54, v13, vcc
	v_add_f32_e32 v13, 1.0, v34
	v_add_f32_e32 v18, -1.0, v13
	v_sub_f32_e32 v19, v18, v13
	v_add_f32_e32 v19, 1.0, v19
	v_sub_f32_e32 v18, v34, v18
	v_add_f32_e32 v20, v18, v19
	v_frexp_mant_f32_e32 v21, v13
	v_cvt_f64_f32_e32 v[18:19], v13
	v_frexp_exp_i32_f64_e32 v18, v[18:19]
	v_cmp_gt_f32_e32 vcc, s88, v21
	v_cmp_gt_f32_e64 s[26:27], s90, v34
	s_nop 0
	v_subbrev_co_u32_e32 v26, vcc, 0, v18, vcc
	v_sub_u32_e32 v18, 0, v26
	v_ldexp_f32 v13, v13, v18
	v_ldexp_f32 v18, v20, v18
	v_add_f32_e32 v20, -1.0, v13
	v_add_f32_e32 v19, 1.0, v20
	v_sub_f32_e32 v19, v13, v19
	v_add_f32_e32 v21, v18, v19
	v_add_f32_e32 v19, 1.0, v13
	v_add_f32_e32 v22, -1.0, v19
	v_sub_f32_e32 v13, v13, v22
	v_add_f32_e32 v13, v18, v13
	v_add_f32_e32 v27, v19, v13
	v_rcp_f32_e32 v28, v27
	v_sub_f32_e32 v18, v19, v27
	v_add_f32_e32 v19, v20, v21
	v_add_f32_e32 v13, v13, v18
	v_mul_f32_e32 v30, v19, v28
	v_sub_f32_e32 v18, v20, v19
	v_mul_f32_e32 v20, v27, v30
	v_fma_f32 v22, v30, v27, -v20
	v_fmac_f32_e32 v22, v30, v13
	v_add_f32_e32 v29, v21, v18
	v_add_f32_e32 v18, v20, v22
	v_sub_f32_e32 v21, v19, v18
	v_pk_add_f32 v[24:25], v[18:19], v[20:21] neg_lo:[0,1] neg_hi:[0,1]
	v_mov_b32_e32 v23, v18
	v_pk_add_f32 v[18:19], v[24:25], v[22:23] neg_lo:[0,1] neg_hi:[0,1]
	v_cmp_eq_f32_e32 vcc, s87, v34
	v_add_f32_e32 v19, v29, v19
	v_add_f32_e32 v18, v18, v19
	;; [unrolled: 1-line block ×3, first 2 shown]
	v_mul_f32_e32 v29, v28, v19
	v_mul_f32_e32 v20, v27, v29
	v_fma_f32 v22, v29, v27, -v20
	v_fmac_f32_e32 v22, v29, v13
	v_sub_f32_e32 v13, v21, v19
	v_add_f32_e32 v13, v18, v13
	v_add_f32_e32 v18, v20, v22
	v_sub_f32_e32 v21, v19, v18
	v_pk_add_f32 v[24:25], v[18:19], v[20:21] neg_lo:[0,1] neg_hi:[0,1]
	v_mov_b32_e32 v23, v18
	v_pk_add_f32 v[18:19], v[24:25], v[22:23] neg_lo:[0,1] neg_hi:[0,1]
	s_or_b64 vcc, s[26:27], vcc
	v_add_f32_e32 v13, v13, v19
	v_add_f32_e32 v13, v18, v13
	;; [unrolled: 1-line block ×4, first 2 shown]
	v_sub_f32_e32 v18, v19, v30
	v_mul_f32_e32 v13, v28, v13
	v_sub_f32_e32 v18, v29, v18
	v_add_f32_e32 v20, v18, v13
	v_add_f32_e32 v22, v19, v20
	v_cvt_f32_i32_e32 v18, v26
	v_mul_f32_e32 v23, v22, v22
	v_sub_f32_e32 v19, v22, v19
	v_fmamk_f32 v13, v23, 0x3e9b6dac, v53
	v_sub_f32_e32 v19, v20, v19
	v_fmaak_f32 v13, v23, v13, 0x3f2aaada
	v_ldexp_f32 v24, v19, 1
	v_mul_f32_e32 v19, v22, v23
	v_ldexp_f32 v21, v22, 1
	v_pk_mul_f32 v[22:23], v[18:19], v[12:13]
	s_nop 0
	v_fma_f32 v20, v18, s89, -v22
	v_fmac_f32_e32 v20, 0xb102e308, v18
	v_pk_add_f32 v[18:19], v[22:23], v[20:21]
	s_nop 0
	v_sub_f32_e32 v13, v19, v21
	v_sub_f32_e32 v13, v23, v13
	v_add_f32_e32 v25, v24, v13
	v_mov_b32_e32 v24, v22
	v_pk_add_f32 v[22:23], v[18:19], v[22:23] neg_lo:[0,1] neg_hi:[0,1]
	v_pk_add_f32 v[26:27], v[18:19], v[24:25]
	v_mov_b32_e32 v21, v18
	v_mov_b32_e32 v23, v27
	v_pk_add_f32 v[28:29], v[20:21], v[22:23] neg_lo:[0,1] neg_hi:[0,1]
	v_pk_add_f32 v[20:21], v[20:21], v[22:23]
	v_mov_b32_e32 v24, v25
	v_mov_b32_e32 v22, v21
	v_pk_add_f32 v[30:31], v[22:23], v[18:19] neg_lo:[0,1] neg_hi:[0,1]
	v_mov_b32_e32 v20, v27
	v_mov_b32_e32 v13, v30
	v_pk_add_f32 v[32:33], v[26:27], v[12:13] neg_lo:[0,1] neg_hi:[0,1]
	v_mov_b32_e32 v26, v19
	v_mov_b32_e32 v27, v30
	;; [unrolled: 1-line block ×3, first 2 shown]
	v_pk_add_f32 v[20:21], v[20:21], v[26:27] neg_lo:[0,1] neg_hi:[0,1]
	v_mov_b32_e32 v25, v18
	v_pk_add_f32 v[18:19], v[24:25], v[20:21] neg_lo:[0,1] neg_hi:[0,1]
	v_mov_b32_e32 v32, v28
	v_pk_add_f32 v[20:21], v[32:33], v[18:19]
	s_nop 0
	v_mov_b32_e32 v24, v21
	v_pk_add_f32 v[24:25], v[20:21], v[24:25]
	s_nop 0
	v_pk_add_f32 v[22:23], v[22:23], v[24:25]
	v_mov_b32_e32 v19, v24
	v_mov_b32_e32 v21, v22
	v_pk_add_f32 v[26:27], v[20:21], v[28:29] neg_lo:[0,1] neg_hi:[0,1]
	s_nop 0
	v_sub_f32_e32 v13, v20, v26
	v_pk_add_f32 v[18:19], v[18:19], v[26:27] neg_lo:[0,1] neg_hi:[0,1]
	v_sub_f32_e32 v13, v28, v13
	v_add_f32_e32 v13, v18, v13
	v_add_f32_e32 v13, v13, v19
	;; [unrolled: 1-line block ×3, first 2 shown]
	v_cndmask_b32_e32 v57, v13, v34, vcc
.LBB68_27:                              ;   in Loop: Header=BB68_11 Depth=1
	s_or_b64 exec, exec, s[28:29]
	v_cvt_f32_f16_sdwa v13, v16 dst_sel:DWORD dst_unused:UNUSED_PAD src0_sel:WORD_1
	v_add_f32_e32 v58, s33, v13
	v_cmp_ge_f32_e32 vcc, s83, v58
	s_and_b64 s[26:27], s[58:59], vcc
	s_and_saveexec_b64 s[28:29], s[26:27]
	s_cbranch_execz .LBB68_29
; %bb.28:                               ;   in Loop: Header=BB68_11 Depth=1
	v_mul_f32_e32 v13, 0x3fb8aa3b, v58
	v_rndne_f32_e32 v16, v13
	v_sub_f32_e32 v18, v13, v16
	v_fma_f32 v13, v58, s84, -v13
	v_fmac_f32_e32 v13, 0x32a5705f, v58
	v_add_f32_e32 v13, v18, v13
	v_cvt_i32_f32_e32 v16, v16
	v_exp_f32_e32 v13, v13
	v_cmp_ngt_f32_e32 vcc, s85, v58
	v_ldexp_f32 v13, v13, v16
	s_nop 0
	v_cndmask_b32_e32 v13, 0, v13, vcc
	v_cmp_nlt_f32_e32 vcc, s86, v58
	s_nop 1
	v_cndmask_b32_e32 v32, v54, v13, vcc
	v_add_f32_e32 v13, 1.0, v32
	v_add_f32_e32 v16, -1.0, v13
	v_sub_f32_e32 v18, v16, v13
	v_add_f32_e32 v18, 1.0, v18
	v_sub_f32_e32 v16, v32, v16
	v_add_f32_e32 v16, v16, v18
	v_frexp_mant_f32_e32 v20, v13
	v_cvt_f64_f32_e32 v[18:19], v13
	v_frexp_exp_i32_f64_e32 v18, v[18:19]
	v_cmp_gt_f32_e32 vcc, s88, v20
	v_cmp_gt_f32_e64 s[26:27], s90, v32
	s_nop 0
	v_subbrev_co_u32_e32 v26, vcc, 0, v18, vcc
	v_sub_u32_e32 v18, 0, v26
	v_ldexp_f32 v13, v13, v18
	v_ldexp_f32 v16, v16, v18
	v_add_f32_e32 v18, -1.0, v13
	v_add_f32_e32 v19, 1.0, v18
	v_sub_f32_e32 v19, v13, v19
	v_add_f32_e32 v20, v16, v19
	v_add_f32_e32 v19, 1.0, v13
	v_add_f32_e32 v21, -1.0, v19
	v_sub_f32_e32 v13, v13, v21
	v_add_f32_e32 v13, v16, v13
	v_add_f32_e32 v16, v19, v13
	v_rcp_f32_e32 v27, v16
	v_sub_f32_e32 v19, v19, v16
	v_add_f32_e32 v13, v13, v19
	v_add_f32_e32 v19, v18, v20
	v_sub_f32_e32 v18, v18, v19
	v_mul_f32_e32 v29, v19, v27
	v_add_f32_e32 v28, v20, v18
	v_mul_f32_e32 v20, v16, v29
	v_fma_f32 v22, v29, v16, -v20
	v_fmac_f32_e32 v22, v29, v13
	v_add_f32_e32 v18, v20, v22
	v_sub_f32_e32 v21, v19, v18
	v_pk_add_f32 v[24:25], v[18:19], v[20:21] neg_lo:[0,1] neg_hi:[0,1]
	v_mov_b32_e32 v23, v18
	v_pk_add_f32 v[18:19], v[24:25], v[22:23] neg_lo:[0,1] neg_hi:[0,1]
	v_cmp_eq_f32_e32 vcc, s87, v32
	v_add_f32_e32 v19, v28, v19
	v_add_f32_e32 v18, v18, v19
	;; [unrolled: 1-line block ×3, first 2 shown]
	v_mul_f32_e32 v28, v27, v19
	v_mul_f32_e32 v20, v16, v28
	v_fma_f32 v22, v28, v16, -v20
	v_fmac_f32_e32 v22, v28, v13
	v_sub_f32_e32 v13, v21, v19
	v_add_f32_e32 v13, v18, v13
	v_add_f32_e32 v18, v20, v22
	v_sub_f32_e32 v21, v19, v18
	v_pk_add_f32 v[24:25], v[18:19], v[20:21] neg_lo:[0,1] neg_hi:[0,1]
	v_mov_b32_e32 v23, v18
	v_pk_add_f32 v[18:19], v[24:25], v[22:23] neg_lo:[0,1] neg_hi:[0,1]
	v_add_f32_e32 v16, v29, v28
	v_add_f32_e32 v13, v13, v19
	;; [unrolled: 1-line block ×4, first 2 shown]
	v_sub_f32_e32 v18, v16, v29
	v_mul_f32_e32 v13, v27, v13
	v_sub_f32_e32 v18, v28, v18
	v_add_f32_e32 v19, v18, v13
	v_add_f32_e32 v20, v16, v19
	v_cvt_f32_i32_e32 v18, v26
	v_mul_f32_e32 v22, v20, v20
	v_fmamk_f32 v13, v22, 0x3e9b6dac, v53
	v_sub_f32_e32 v16, v20, v16
	v_fmaak_f32 v13, v22, v13, 0x3f2aaada
	v_sub_f32_e32 v16, v19, v16
	v_mul_f32_e32 v19, v20, v22
	v_pk_mul_f32 v[22:23], v[18:19], v[12:13]
	v_ldexp_f32 v21, v20, 1
	v_fma_f32 v20, v18, s89, -v22
	v_fmac_f32_e32 v20, 0xb102e308, v18
	v_pk_add_f32 v[18:19], v[22:23], v[20:21]
	v_ldexp_f32 v16, v16, 1
	v_sub_f32_e32 v13, v19, v21
	v_sub_f32_e32 v13, v23, v13
	v_add_f32_e32 v25, v16, v13
	v_mov_b32_e32 v24, v22
	v_pk_add_f32 v[22:23], v[18:19], v[22:23] neg_lo:[0,1] neg_hi:[0,1]
	v_pk_add_f32 v[26:27], v[18:19], v[24:25]
	v_mov_b32_e32 v21, v18
	v_mov_b32_e32 v23, v27
	v_pk_add_f32 v[28:29], v[20:21], v[22:23] neg_lo:[0,1] neg_hi:[0,1]
	v_pk_add_f32 v[20:21], v[20:21], v[22:23]
	s_or_b64 vcc, s[26:27], vcc
	v_mov_b32_e32 v16, v21
	v_pk_add_f32 v[22:23], v[16:17], v[18:19] neg_lo:[0,1] neg_hi:[0,1]
	v_mov_b32_e32 v20, v27
	v_mov_b32_e32 v13, v22
	v_pk_add_f32 v[30:31], v[26:27], v[12:13] neg_lo:[0,1] neg_hi:[0,1]
	v_mov_b32_e32 v26, v19
	v_mov_b32_e32 v27, v22
	;; [unrolled: 1-line block ×3, first 2 shown]
	v_pk_add_f32 v[20:21], v[20:21], v[26:27] neg_lo:[0,1] neg_hi:[0,1]
	v_mov_b32_e32 v22, v25
	v_mov_b32_e32 v23, v18
	v_pk_add_f32 v[18:19], v[22:23], v[20:21] neg_lo:[0,1] neg_hi:[0,1]
	v_mov_b32_e32 v30, v28
	v_pk_add_f32 v[20:21], v[30:31], v[18:19]
	s_nop 0
	v_mov_b32_e32 v22, v21
	v_pk_add_f32 v[22:23], v[20:21], v[22:23]
	s_nop 0
	v_pk_add_f32 v[24:25], v[16:17], v[22:23]
	v_mov_b32_e32 v19, v22
	v_mov_b32_e32 v21, v24
	v_pk_add_f32 v[26:27], v[20:21], v[28:29] neg_lo:[0,1] neg_hi:[0,1]
	s_nop 0
	v_sub_f32_e32 v13, v20, v26
	v_pk_add_f32 v[18:19], v[18:19], v[26:27] neg_lo:[0,1] neg_hi:[0,1]
	v_sub_f32_e32 v13, v28, v13
	v_add_f32_e32 v13, v18, v13
	v_add_f32_e32 v13, v13, v19
	;; [unrolled: 1-line block ×3, first 2 shown]
	v_cndmask_b32_e32 v58, v13, v32, vcc
.LBB68_29:                              ;   in Loop: Header=BB68_11 Depth=1
	s_or_b64 exec, exec, s[28:29]
	v_cvt_f32_f16_e32 v13, v17
	v_add_f32_e32 v19, s33, v13
	v_cmp_ge_f32_e32 vcc, s83, v19
	s_and_b64 s[26:27], s[58:59], vcc
	s_and_saveexec_b64 s[28:29], s[26:27]
	s_cbranch_execz .LBB68_31
; %bb.30:                               ;   in Loop: Header=BB68_11 Depth=1
	v_mul_f32_e32 v13, 0x3fb8aa3b, v19
	v_rndne_f32_e32 v16, v13
	v_sub_f32_e32 v18, v13, v16
	v_fma_f32 v13, v19, s84, -v13
	v_fmac_f32_e32 v13, 0x32a5705f, v19
	v_add_f32_e32 v13, v18, v13
	v_cvt_i32_f32_e32 v16, v16
	v_exp_f32_e32 v13, v13
	v_cmp_ngt_f32_e32 vcc, s85, v19
	v_ldexp_f32 v13, v13, v16
	s_nop 0
	v_cndmask_b32_e32 v13, 0, v13, vcc
	v_cmp_nlt_f32_e32 vcc, s86, v19
	s_nop 1
	v_cndmask_b32_e32 v32, v54, v13, vcc
	v_add_f32_e32 v13, 1.0, v32
	v_add_f32_e32 v16, -1.0, v13
	v_sub_f32_e32 v18, v16, v13
	v_add_f32_e32 v18, 1.0, v18
	v_sub_f32_e32 v16, v32, v16
	v_add_f32_e32 v16, v16, v18
	v_frexp_mant_f32_e32 v20, v13
	v_cvt_f64_f32_e32 v[18:19], v13
	v_frexp_exp_i32_f64_e32 v18, v[18:19]
	v_cmp_gt_f32_e32 vcc, s88, v20
	v_cmp_gt_f32_e64 s[26:27], s90, v32
	s_nop 0
	v_subbrev_co_u32_e32 v26, vcc, 0, v18, vcc
	v_sub_u32_e32 v18, 0, v26
	v_ldexp_f32 v13, v13, v18
	v_ldexp_f32 v16, v16, v18
	v_add_f32_e32 v18, -1.0, v13
	v_add_f32_e32 v19, 1.0, v18
	v_sub_f32_e32 v19, v13, v19
	v_add_f32_e32 v20, v16, v19
	v_add_f32_e32 v19, 1.0, v13
	v_add_f32_e32 v21, -1.0, v19
	v_sub_f32_e32 v13, v13, v21
	v_add_f32_e32 v13, v16, v13
	v_add_f32_e32 v16, v19, v13
	v_rcp_f32_e32 v27, v16
	v_sub_f32_e32 v19, v19, v16
	v_add_f32_e32 v13, v13, v19
	v_add_f32_e32 v19, v18, v20
	v_sub_f32_e32 v18, v18, v19
	v_mul_f32_e32 v29, v19, v27
	v_add_f32_e32 v28, v20, v18
	v_mul_f32_e32 v20, v16, v29
	v_fma_f32 v22, v29, v16, -v20
	v_fmac_f32_e32 v22, v29, v13
	v_add_f32_e32 v18, v20, v22
	v_sub_f32_e32 v21, v19, v18
	v_pk_add_f32 v[24:25], v[18:19], v[20:21] neg_lo:[0,1] neg_hi:[0,1]
	v_mov_b32_e32 v23, v18
	v_pk_add_f32 v[18:19], v[24:25], v[22:23] neg_lo:[0,1] neg_hi:[0,1]
	v_cmp_eq_f32_e32 vcc, s87, v32
	v_add_f32_e32 v19, v28, v19
	v_add_f32_e32 v18, v18, v19
	;; [unrolled: 1-line block ×3, first 2 shown]
	v_mul_f32_e32 v28, v27, v19
	v_mul_f32_e32 v20, v16, v28
	v_fma_f32 v22, v28, v16, -v20
	v_fmac_f32_e32 v22, v28, v13
	v_sub_f32_e32 v13, v21, v19
	v_add_f32_e32 v13, v18, v13
	v_add_f32_e32 v18, v20, v22
	v_sub_f32_e32 v21, v19, v18
	v_pk_add_f32 v[24:25], v[18:19], v[20:21] neg_lo:[0,1] neg_hi:[0,1]
	v_mov_b32_e32 v23, v18
	v_pk_add_f32 v[18:19], v[24:25], v[22:23] neg_lo:[0,1] neg_hi:[0,1]
	v_add_f32_e32 v16, v29, v28
	v_add_f32_e32 v13, v13, v19
	;; [unrolled: 1-line block ×4, first 2 shown]
	v_sub_f32_e32 v18, v16, v29
	v_mul_f32_e32 v13, v27, v13
	v_sub_f32_e32 v18, v28, v18
	v_add_f32_e32 v19, v18, v13
	v_add_f32_e32 v20, v16, v19
	v_cvt_f32_i32_e32 v18, v26
	v_mul_f32_e32 v22, v20, v20
	v_fmamk_f32 v13, v22, 0x3e9b6dac, v53
	v_sub_f32_e32 v16, v20, v16
	v_fmaak_f32 v13, v22, v13, 0x3f2aaada
	v_sub_f32_e32 v16, v19, v16
	v_mul_f32_e32 v19, v20, v22
	v_pk_mul_f32 v[22:23], v[18:19], v[12:13]
	v_ldexp_f32 v21, v20, 1
	v_fma_f32 v20, v18, s89, -v22
	v_fmac_f32_e32 v20, 0xb102e308, v18
	v_pk_add_f32 v[18:19], v[22:23], v[20:21]
	v_ldexp_f32 v16, v16, 1
	v_sub_f32_e32 v13, v19, v21
	v_sub_f32_e32 v13, v23, v13
	v_add_f32_e32 v25, v16, v13
	v_mov_b32_e32 v24, v22
	v_pk_add_f32 v[22:23], v[18:19], v[22:23] neg_lo:[0,1] neg_hi:[0,1]
	v_pk_add_f32 v[26:27], v[18:19], v[24:25]
	v_mov_b32_e32 v21, v18
	v_mov_b32_e32 v23, v27
	v_pk_add_f32 v[28:29], v[20:21], v[22:23] neg_lo:[0,1] neg_hi:[0,1]
	v_pk_add_f32 v[20:21], v[20:21], v[22:23]
	s_or_b64 vcc, s[26:27], vcc
	v_mov_b32_e32 v16, v21
	v_pk_add_f32 v[22:23], v[16:17], v[18:19] neg_lo:[0,1] neg_hi:[0,1]
	v_mov_b32_e32 v20, v27
	v_mov_b32_e32 v13, v22
	v_pk_add_f32 v[30:31], v[26:27], v[12:13] neg_lo:[0,1] neg_hi:[0,1]
	v_mov_b32_e32 v26, v19
	v_mov_b32_e32 v27, v22
	;; [unrolled: 1-line block ×3, first 2 shown]
	v_pk_add_f32 v[20:21], v[20:21], v[26:27] neg_lo:[0,1] neg_hi:[0,1]
	v_mov_b32_e32 v22, v25
	v_mov_b32_e32 v23, v18
	v_pk_add_f32 v[18:19], v[22:23], v[20:21] neg_lo:[0,1] neg_hi:[0,1]
	v_mov_b32_e32 v30, v28
	v_pk_add_f32 v[20:21], v[30:31], v[18:19]
	s_nop 0
	v_mov_b32_e32 v22, v21
	v_pk_add_f32 v[22:23], v[20:21], v[22:23]
	s_nop 0
	v_pk_add_f32 v[24:25], v[16:17], v[22:23]
	v_mov_b32_e32 v19, v22
	v_mov_b32_e32 v21, v24
	v_pk_add_f32 v[26:27], v[20:21], v[28:29] neg_lo:[0,1] neg_hi:[0,1]
	s_nop 0
	v_sub_f32_e32 v13, v20, v26
	v_pk_add_f32 v[18:19], v[18:19], v[26:27] neg_lo:[0,1] neg_hi:[0,1]
	v_sub_f32_e32 v13, v28, v13
	v_add_f32_e32 v13, v18, v13
	v_add_f32_e32 v13, v13, v19
	;; [unrolled: 1-line block ×3, first 2 shown]
	v_cndmask_b32_e32 v19, v13, v32, vcc
.LBB68_31:                              ;   in Loop: Header=BB68_11 Depth=1
	s_or_b64 exec, exec, s[28:29]
	v_cvt_f32_f16_sdwa v13, v17 dst_sel:DWORD dst_unused:UNUSED_PAD src0_sel:WORD_1
	v_add_f32_e32 v18, s33, v13
	v_cmp_ge_f32_e32 vcc, s83, v18
	s_and_b64 s[26:27], s[58:59], vcc
	s_and_saveexec_b64 s[28:29], s[26:27]
	s_cbranch_execz .LBB68_33
; %bb.32:                               ;   in Loop: Header=BB68_11 Depth=1
	v_mul_f32_e32 v13, 0x3fb8aa3b, v18
	v_rndne_f32_e32 v16, v13
	v_sub_f32_e32 v17, v13, v16
	v_fma_f32 v13, v18, s84, -v13
	v_fmac_f32_e32 v13, 0x32a5705f, v18
	v_add_f32_e32 v13, v17, v13
	v_cvt_i32_f32_e32 v16, v16
	v_exp_f32_e32 v13, v13
	v_cmp_ngt_f32_e32 vcc, s85, v18
	v_ldexp_f32 v13, v13, v16
	s_nop 0
	v_cndmask_b32_e32 v13, 0, v13, vcc
	v_cmp_nlt_f32_e32 vcc, s86, v18
	s_nop 1
	v_cndmask_b32_e32 v32, v54, v13, vcc
	v_add_f32_e32 v13, 1.0, v32
	v_add_f32_e32 v16, -1.0, v13
	v_sub_f32_e32 v17, v16, v13
	v_add_f32_e32 v17, 1.0, v17
	v_sub_f32_e32 v16, v32, v16
	v_add_f32_e32 v18, v16, v17
	v_frexp_mant_f32_e32 v20, v13
	v_cvt_f64_f32_e32 v[16:17], v13
	v_frexp_exp_i32_f64_e32 v16, v[16:17]
	v_cmp_gt_f32_e32 vcc, s88, v20
	v_cmp_gt_f32_e64 s[26:27], s90, v32
	s_nop 0
	v_subbrev_co_u32_e32 v26, vcc, 0, v16, vcc
	v_sub_u32_e32 v16, 0, v26
	v_ldexp_f32 v13, v13, v16
	v_ldexp_f32 v16, v18, v16
	v_add_f32_e32 v18, -1.0, v13
	v_add_f32_e32 v17, 1.0, v18
	v_sub_f32_e32 v17, v13, v17
	v_add_f32_e32 v20, v16, v17
	v_add_f32_e32 v17, 1.0, v13
	v_add_f32_e32 v21, -1.0, v17
	v_sub_f32_e32 v13, v13, v21
	v_add_f32_e32 v13, v16, v13
	v_add_f32_e32 v27, v17, v13
	v_rcp_f32_e32 v28, v27
	v_sub_f32_e32 v16, v17, v27
	v_add_f32_e32 v17, v18, v20
	v_add_f32_e32 v13, v13, v16
	v_sub_f32_e32 v16, v18, v17
	v_mul_f32_e32 v29, v17, v28
	v_add_f32_e32 v18, v20, v16
	v_mul_f32_e32 v20, v27, v29
	v_fma_f32 v22, v29, v27, -v20
	v_fmac_f32_e32 v22, v29, v13
	v_add_f32_e32 v16, v20, v22
	v_sub_f32_e32 v21, v17, v16
	v_pk_add_f32 v[24:25], v[16:17], v[20:21] neg_lo:[0,1] neg_hi:[0,1]
	v_mov_b32_e32 v23, v16
	v_pk_add_f32 v[16:17], v[24:25], v[22:23] neg_lo:[0,1] neg_hi:[0,1]
	v_cmp_eq_f32_e32 vcc, s87, v32
	v_add_f32_e32 v17, v18, v17
	v_add_f32_e32 v16, v16, v17
	;; [unrolled: 1-line block ×3, first 2 shown]
	v_mul_f32_e32 v18, v28, v17
	v_mul_f32_e32 v20, v27, v18
	v_fma_f32 v22, v18, v27, -v20
	v_fmac_f32_e32 v22, v18, v13
	v_sub_f32_e32 v13, v21, v17
	v_add_f32_e32 v13, v16, v13
	v_add_f32_e32 v16, v20, v22
	v_sub_f32_e32 v21, v17, v16
	v_pk_add_f32 v[24:25], v[16:17], v[20:21] neg_lo:[0,1] neg_hi:[0,1]
	v_mov_b32_e32 v23, v16
	v_pk_add_f32 v[16:17], v[24:25], v[22:23] neg_lo:[0,1] neg_hi:[0,1]
	s_or_b64 vcc, s[26:27], vcc
	v_add_f32_e32 v13, v13, v17
	v_add_f32_e32 v13, v16, v13
	;; [unrolled: 1-line block ×4, first 2 shown]
	v_sub_f32_e32 v16, v17, v29
	v_mul_f32_e32 v13, v28, v13
	v_sub_f32_e32 v16, v18, v16
	v_add_f32_e32 v18, v16, v13
	v_add_f32_e32 v20, v17, v18
	v_cvt_f32_i32_e32 v16, v26
	v_mul_f32_e32 v22, v20, v20
	v_sub_f32_e32 v17, v20, v17
	v_fmamk_f32 v13, v22, 0x3e9b6dac, v53
	v_sub_f32_e32 v17, v18, v17
	v_fmaak_f32 v13, v22, v13, 0x3f2aaada
	v_ldexp_f32 v18, v17, 1
	v_mul_f32_e32 v17, v20, v22
	v_pk_mul_f32 v[22:23], v[16:17], v[12:13]
	v_ldexp_f32 v21, v20, 1
	v_fma_f32 v20, v16, s89, -v22
	v_fmac_f32_e32 v20, 0xb102e308, v16
	v_pk_add_f32 v[16:17], v[22:23], v[20:21]
	v_mov_b32_e32 v24, v22
	v_sub_f32_e32 v13, v17, v21
	v_sub_f32_e32 v13, v23, v13
	v_add_f32_e32 v25, v18, v13
	v_pk_add_f32 v[22:23], v[16:17], v[22:23] neg_lo:[0,1] neg_hi:[0,1]
	v_pk_add_f32 v[26:27], v[16:17], v[24:25]
	v_mov_b32_e32 v21, v16
	v_mov_b32_e32 v23, v27
	v_pk_add_f32 v[28:29], v[20:21], v[22:23] neg_lo:[0,1] neg_hi:[0,1]
	v_pk_add_f32 v[20:21], v[20:21], v[22:23]
	s_nop 0
	v_mov_b32_e32 v18, v21
	v_pk_add_f32 v[22:23], v[18:19], v[16:17] neg_lo:[0,1] neg_hi:[0,1]
	v_mov_b32_e32 v20, v27
	v_mov_b32_e32 v13, v22
	v_pk_add_f32 v[30:31], v[26:27], v[12:13] neg_lo:[0,1] neg_hi:[0,1]
	v_mov_b32_e32 v26, v17
	v_mov_b32_e32 v27, v22
	;; [unrolled: 1-line block ×3, first 2 shown]
	v_pk_add_f32 v[20:21], v[20:21], v[26:27] neg_lo:[0,1] neg_hi:[0,1]
	v_mov_b32_e32 v22, v25
	v_mov_b32_e32 v23, v16
	v_pk_add_f32 v[16:17], v[22:23], v[20:21] neg_lo:[0,1] neg_hi:[0,1]
	v_mov_b32_e32 v30, v28
	v_pk_add_f32 v[20:21], v[30:31], v[16:17]
	s_nop 0
	v_mov_b32_e32 v22, v21
	v_pk_add_f32 v[22:23], v[20:21], v[22:23]
	s_nop 0
	v_pk_add_f32 v[24:25], v[18:19], v[22:23]
	v_mov_b32_e32 v17, v22
	v_mov_b32_e32 v21, v24
	v_pk_add_f32 v[26:27], v[20:21], v[28:29] neg_lo:[0,1] neg_hi:[0,1]
	s_nop 0
	v_sub_f32_e32 v13, v20, v26
	v_pk_add_f32 v[16:17], v[16:17], v[26:27] neg_lo:[0,1] neg_hi:[0,1]
	v_sub_f32_e32 v13, v28, v13
	v_add_f32_e32 v13, v16, v13
	v_add_f32_e32 v13, v13, v17
	;; [unrolled: 1-line block ×3, first 2 shown]
	v_cndmask_b32_e32 v18, v13, v32, vcc
.LBB68_33:                              ;   in Loop: Header=BB68_11 Depth=1
	s_or_b64 exec, exec, s[28:29]
	v_cvt_f32_f16_e32 v24, v15
	v_cvt_f32_f16_sdwa v25, v14 dst_sel:DWORD dst_unused:UNUSED_PAD src0_sel:WORD_1
	v_cvt_f32_f16_e32 v26, v14
	v_cvt_f32_f16_sdwa v13, v15 dst_sel:DWORD dst_unused:UNUSED_PAD src0_sel:WORD_1
	v_mul_f32_e32 v14, s76, v24
	v_mul_f32_e32 v17, s76, v25
	;; [unrolled: 1-line block ×4, first 2 shown]
	s_and_b64 vcc, exec, s[60:61]
	s_waitcnt lgkmcnt(0)
	; wave barrier
	s_cbranch_vccz .LBB68_75
; %bb.34:                               ;   in Loop: Header=BB68_11 Depth=1
	s_cmp_lg_u32 s97, 0
	s_cselect_b64 s[64:65], -1, 0
	s_cmp_eq_u32 s97, s82
	v_cmp_gt_u32_e32 vcc, s34, v11
	s_cselect_b64 s[66:67], -1, 0
	s_or_b64 s[26:27], s[54:55], vcc
	v_cmp_gt_u32_e32 vcc, s34, v10
	s_mov_b32 s56, 0
	v_cmp_gt_u32_e64 s[28:29], s34, v3
	s_or_b64 s[30:31], s[54:55], vcc
	v_cmp_gt_u32_e32 vcc, s34, v52
	v_mul_f32_e32 v13, v18, v13
	v_lshl_add_u64 v[20:21], s[42:43], 0, v[0:1]
	v_lshl_add_u64 v[22:23], s[46:47], 0, v[0:1]
	v_mul_f32_e32 v59, v19, v24
	v_mul_f32_e32 v60, v58, v25
	;; [unrolled: 1-line block ×3, first 2 shown]
	s_or_b64 s[28:29], s[54:55], s[28:29]
	s_or_b64 s[34:35], s[54:55], vcc
	s_mov_b32 s68, s56
	s_mov_b32 s70, s56
	;; [unrolled: 1-line block ×5, first 2 shown]
	s_branch .LBB68_36
.LBB68_35:                              ;   in Loop: Header=BB68_36 Depth=2
	s_or_b64 exec, exec, s[36:37]
	v_mul_f32_e32 v26, v33, v32
	v_fma_f32 v27, v33, v35, v28
	v_cndmask_b32_e64 v28, v27, v28, s[16:17]
	v_cndmask_b32_e64 v26, v26, v33, s[16:17]
	s_waitcnt lgkmcnt(0)
	v_fmac_f32_e32 v28, v38, v26
	v_fmac_f32_e32 v29, v28, v31
	v_cvt_f32_f16_sdwa v27, v25 dst_sel:DWORD dst_unused:UNUSED_PAD src0_sel:WORD_1
	v_cvt_f32_f16_e32 v26, v25
	v_cvt_f32_f16_sdwa v25, v24 dst_sel:DWORD dst_unused:UNUSED_PAD src0_sel:WORD_1
	v_cvt_f32_f16_e32 v24, v24
	v_fmac_f32_e32 v30, v29, v37
	v_fmac_f32_e32 v34, v30, v36
	v_mov_b32_e32 v31, v34
	s_add_i32 s98, s98, 8
	s_add_i32 s63, s63, -1
	s_add_i32 s72, s72, s78
	s_add_i32 s70, s70, s48
	;; [unrolled: 1-line block ×4, first 2 shown]
	v_pk_fma_f32 v[14:15], v[30:31], v[26:27], v[14:15]
	s_cmp_eq_u32 s63, 0
	v_pk_fma_f32 v[16:17], v[28:29], v[24:25], v[16:17]
	s_cbranch_scc1 .LBB68_75
.LBB68_36:                              ;   Parent Loop BB68_11 Depth=1
                                        ; =>  This Inner Loop Header: Depth=2
	s_lshl_b64 s[36:37], s[56:57], 2
	s_add_u32 s36, s40, s36
	s_addc_u32 s37, s80, s37
	global_load_dword v30, v1, s[36:37]
	s_mov_b32 s69, s57
	v_lshl_add_u64 v[24:25], s[68:69], 1, v[20:21]
	v_mov_b32_e32 v26, 0
	v_mov_b32_e32 v27, 0
	s_and_saveexec_b64 s[36:37], s[18:19]
	s_cbranch_execnz .LBB68_48
; %bb.37:                               ;   in Loop: Header=BB68_36 Depth=2
	s_or_b64 exec, exec, s[36:37]
	s_and_saveexec_b64 s[36:37], s[20:21]
	s_cbranch_execnz .LBB68_49
.LBB68_38:                              ;   in Loop: Header=BB68_36 Depth=2
	s_or_b64 exec, exec, s[36:37]
	v_mov_b32_e32 v28, 0
	s_and_saveexec_b64 s[36:37], s[22:23]
	s_cbranch_execnz .LBB68_50
.LBB68_39:                              ;   in Loop: Header=BB68_36 Depth=2
	s_or_b64 exec, exec, s[36:37]
	s_and_saveexec_b64 s[36:37], s[24:25]
	s_cbranch_execz .LBB68_41
.LBB68_40:                              ;   in Loop: Header=BB68_36 Depth=2
	global_load_ushort v24, v[24:25], off offset:384
	s_waitcnt vmcnt(0)
	v_lshl_or_b32 v28, v24, 16, v28
.LBB68_41:                              ;   in Loop: Header=BB68_36 Depth=2
	s_or_b64 exec, exec, s[36:37]
	s_waitcnt vmcnt(0)
	ds_write_b16 v43, v27
	ds_write_b16 v44, v26 offset:128
	ds_write_b16 v45, v28 offset:256
	ds_write_b16_d16_hi v46, v28 offset:384
	; wave barrier
	ds_read_b64 v[28:29], v47
	s_mov_b32 s71, s57
	v_lshl_add_u64 v[24:25], s[70:71], 1, v[22:23]
	v_mov_b32_e32 v26, 0
	v_mov_b32_e32 v27, 0
	s_and_saveexec_b64 s[36:37], s[18:19]
	s_cbranch_execnz .LBB68_51
; %bb.42:                               ;   in Loop: Header=BB68_36 Depth=2
	s_or_b64 exec, exec, s[36:37]
	s_and_saveexec_b64 s[36:37], s[20:21]
	s_cbranch_execnz .LBB68_52
.LBB68_43:                              ;   in Loop: Header=BB68_36 Depth=2
	s_or_b64 exec, exec, s[36:37]
	v_mov_b32_e32 v31, 0
	s_and_saveexec_b64 s[36:37], s[22:23]
	s_cbranch_execnz .LBB68_53
.LBB68_44:                              ;   in Loop: Header=BB68_36 Depth=2
	s_or_b64 exec, exec, s[36:37]
	s_and_saveexec_b64 s[36:37], s[24:25]
	s_cbranch_execz .LBB68_46
.LBB68_45:                              ;   in Loop: Header=BB68_36 Depth=2
	global_load_ushort v24, v[24:25], off offset:384
	s_waitcnt vmcnt(0)
	v_lshl_or_b32 v31, v24, 16, v31
.LBB68_46:                              ;   in Loop: Header=BB68_36 Depth=2
	s_or_b64 exec, exec, s[36:37]
	s_waitcnt vmcnt(0)
	ds_write_b16 v43, v27 offset:528
	ds_write_b16 v48, v26 offset:128
	;; [unrolled: 1-line block ×3, first 2 shown]
	ds_write_b16_d16_hi v50, v31 offset:384
	; wave barrier
	ds_read_b64 v[24:25], v47 offset:528
	s_andn2_b64 vcc, exec, s[64:65]
	s_cbranch_vccnz .LBB68_54
; %bb.47:                               ;   in Loop: Header=BB68_36 Depth=2
	v_mov_b32_e32 v26, s98
	ds_read_b64 v[26:27], v26
	s_cbranch_execz .LBB68_55
	s_branch .LBB68_58
.LBB68_48:                              ;   in Loop: Header=BB68_36 Depth=2
	global_load_ushort v27, v[24:25], off
	s_or_b64 exec, exec, s[36:37]
	s_and_saveexec_b64 s[36:37], s[20:21]
	s_cbranch_execz .LBB68_38
.LBB68_49:                              ;   in Loop: Header=BB68_36 Depth=2
	global_load_ushort v26, v[24:25], off offset:128
	s_or_b64 exec, exec, s[36:37]
	v_mov_b32_e32 v28, 0
	s_and_saveexec_b64 s[36:37], s[22:23]
	s_cbranch_execz .LBB68_39
.LBB68_50:                              ;   in Loop: Header=BB68_36 Depth=2
	global_load_ushort v28, v[24:25], off offset:256
	s_or_b64 exec, exec, s[36:37]
	s_and_saveexec_b64 s[36:37], s[24:25]
	s_cbranch_execnz .LBB68_40
	s_branch .LBB68_41
.LBB68_51:                              ;   in Loop: Header=BB68_36 Depth=2
	global_load_ushort v27, v[24:25], off
	s_or_b64 exec, exec, s[36:37]
	s_and_saveexec_b64 s[36:37], s[20:21]
	s_cbranch_execz .LBB68_43
.LBB68_52:                              ;   in Loop: Header=BB68_36 Depth=2
	global_load_ushort v26, v[24:25], off offset:128
	s_or_b64 exec, exec, s[36:37]
	v_mov_b32_e32 v31, 0
	s_and_saveexec_b64 s[36:37], s[22:23]
	s_cbranch_execz .LBB68_44
.LBB68_53:                              ;   in Loop: Header=BB68_36 Depth=2
	global_load_ushort v31, v[24:25], off offset:256
	s_or_b64 exec, exec, s[36:37]
	s_and_saveexec_b64 s[36:37], s[24:25]
	s_cbranch_execnz .LBB68_45
	s_branch .LBB68_46
.LBB68_54:                              ;   in Loop: Header=BB68_36 Depth=2
                                        ; implicit-def: $vgpr27
.LBB68_55:                              ;   in Loop: Header=BB68_36 Depth=2
	s_andn2_b64 vcc, exec, s[38:39]
	s_waitcnt lgkmcnt(0)
	v_mov_b32_e32 v27, 0
	s_cbranch_vccnz .LBB68_57
; %bb.56:                               ;   in Loop: Header=BB68_36 Depth=2
	s_mov_b32 s73, s57
	s_lshl_b64 s[36:37], s[72:73], 1
	s_add_u32 s36, s45, s36
	s_addc_u32 s37, s49, s37
	global_load_ushort v26, v1, s[36:37]
	s_waitcnt vmcnt(0)
	v_cvt_f32_f16_e32 v27, v26
.LBB68_57:                              ;   in Loop: Header=BB68_36 Depth=2
	v_mov_b32_e32 v26, 1.0
.LBB68_58:                              ;   in Loop: Header=BB68_36 Depth=2
	v_mul_f32_e32 v30, 0x3fb8aa3b, v30
	s_waitcnt lgkmcnt(5)
	v_cvt_f32_f16_e32 v31, v28
	v_cvt_f32_f16_sdwa v32, v28 dst_sel:DWORD dst_unused:UNUSED_PAD src0_sel:WORD_1
	v_mul_f32_e32 v28, v30, v57
	v_cmp_gt_f32_e32 vcc, s92, v28
	v_cvt_f32_f16_e32 v36, v29
	v_cvt_f32_f16_sdwa v37, v29 dst_sel:DWORD dst_unused:UNUSED_PAD src0_sel:WORD_1
	v_cndmask_b32_e32 v28, 0, v55, vcc
	v_fmac_f32_e32 v28, v30, v57
	v_exp_f32_e32 v28, v28
	v_cndmask_b32_e32 v29, 1.0, v56, vcc
	v_mul_f32_e32 v29, v28, v29
	v_mul_f32_e32 v28, v61, v31
	;; [unrolled: 1-line block ×3, first 2 shown]
	v_cmp_gt_f32_e32 vcc, s92, v31
	v_cndmask_b32_e64 v33, 1.0, v29, s[26:27]
	v_cndmask_b32_e64 v28, 0, v28, s[26:27]
	v_cndmask_b32_e32 v31, 0, v55, vcc
	v_fmac_f32_e32 v31, v30, v58
	v_exp_f32_e32 v31, v31
	v_cndmask_b32_e32 v29, 1.0, v56, vcc
	v_mul_f32_e32 v31, v31, v29
	v_pk_mul_f32 v[34:35], v[30:31], v[18:19] op_sel_hi:[0,1]
	v_cmp_gt_f32_e32 vcc, s92, v34
	v_mul_f32_e32 v29, v60, v32
	v_cmp_gt_f32_e64 s[36:37], s92, v35
	v_cndmask_b32_e32 v32, 0, v55, vcc
	v_add_f32_e32 v32, v34, v32
	v_cndmask_b32_e64 v34, 0, v55, s[36:37]
	v_exp_f32_e32 v32, v32
	v_add_f32_e32 v34, v35, v34
	v_exp_f32_e32 v34, v34
	v_cndmask_b32_e32 v35, 1.0, v56, vcc
	v_mul_f32_e32 v32, v32, v35
	v_cndmask_b32_e64 v35, 1.0, v56, s[36:37]
	v_cndmask_b32_e64 v29, 0, v29, s[28:29]
	v_cndmask_b32_e64 v31, 1.0, v31, s[28:29]
	v_mul_f32_e32 v35, v34, v35
	v_mul_f32_e32 v30, v59, v36
	;; [unrolled: 1-line block ×3, first 2 shown]
	v_cndmask_b32_e64 v37, 1.0, v35, s[30:31]
	v_cndmask_b32_e64 v36, 1.0, v32, s[34:35]
	v_fma_f32 v32, v31, v28, v29
	v_cndmask_b32_e64 v30, 0, v30, s[30:31]
	v_mul_f32_e32 v32, v32, v37
	v_pk_add_f32 v[38:39], v[32:33], v[30:31]
	v_pk_mul_f32 v[62:63], v[32:33], v[30:31]
	v_cndmask_b32_e64 v34, 0, v34, s[34:35]
	v_mov_b32_e32 v39, v63
	v_pk_mul_f32 v[62:63], v[38:39], v[36:37]
	v_mov_b32_e32 v35, v36
	v_pk_fma_f32 v[64:65], v[38:39], v[36:37], v[34:35]
	v_pk_mul_f32 v[62:63], v[62:63], v[34:35]
	s_nop 0
	v_mov_b32_dpp v35, v64 row_shr:1 row_mask:0xf bank_mask:0xf
	v_mov_b32_dpp v32, v63 row_shr:1 row_mask:0xf bank_mask:0xf
	v_mul_f32_e32 v62, v63, v32
	v_fma_f32 v32, v63, v35, v64
	v_cndmask_b32_e64 v39, v32, v64, s[0:1]
	v_cndmask_b32_e64 v32, v32, v64, s[0:1]
	;; [unrolled: 1-line block ×4, first 2 shown]
	v_mov_b32_dpp v63, v32 row_shr:2 row_mask:0xf bank_mask:0xf
	v_mov_b32_dpp v62, v35 row_shr:2 row_mask:0xf bank_mask:0xf
	s_and_saveexec_b64 s[36:37], s[2:3]
; %bb.59:                               ;   in Loop: Header=BB68_36 Depth=2
	v_fmac_f32_e32 v32, v35, v63
	v_mul_f32_e32 v35, v35, v62
	v_mov_b32_e32 v38, v35
	v_mov_b32_e32 v39, v32
; %bb.60:                               ;   in Loop: Header=BB68_36 Depth=2
	s_or_b64 exec, exec, s[36:37]
	v_mov_b32_dpp v62, v35 row_shr:4 row_mask:0xf bank_mask:0xf
	v_mov_b32_dpp v63, v32 row_shr:4 row_mask:0xf bank_mask:0xf
	s_and_saveexec_b64 s[36:37], s[4:5]
; %bb.61:                               ;   in Loop: Header=BB68_36 Depth=2
	v_fmac_f32_e32 v32, v35, v63
	v_mul_f32_e32 v35, v35, v62
	v_mov_b32_e32 v38, v35
	v_mov_b32_e32 v39, v32
; %bb.62:                               ;   in Loop: Header=BB68_36 Depth=2
	s_or_b64 exec, exec, s[36:37]
	;; [unrolled: 10-line block ×3, first 2 shown]
	v_mov_b32_dpp v62, v35 row_bcast:15 row_mask:0xf bank_mask:0xf
	v_mov_b32_dpp v63, v32 row_bcast:15 row_mask:0xf bank_mask:0xf
	s_and_saveexec_b64 s[36:37], s[8:9]
; %bb.65:                               ;   in Loop: Header=BB68_36 Depth=2
	v_fmac_f32_e32 v32, v35, v63
	v_mul_f32_e32 v35, v35, v62
	v_mov_b32_e32 v38, v35
	v_mov_b32_e32 v39, v32
; %bb.66:                               ;   in Loop: Header=BB68_36 Depth=2
	s_or_b64 exec, exec, s[36:37]
	v_mov_b32_dpp v62, v35 row_bcast:31 row_mask:0xf bank_mask:0xf
	v_mov_b32_dpp v63, v32 row_bcast:31 row_mask:0xf bank_mask:0xf
	v_mul_f32_e32 v62, v35, v62
	v_fmac_f32_e32 v32, v35, v63
	v_cndmask_b32_e64 v38, v38, v62, s[10:11]
	v_cndmask_b32_e64 v39, v39, v32, s[10:11]
	s_and_saveexec_b64 s[36:37], s[12:13]
	s_cbranch_execz .LBB68_68
; %bb.67:                               ;   in Loop: Header=BB68_36 Depth=2
	ds_write_b64 v1, v[38:39] offset:1056
.LBB68_68:                              ;   in Loop: Header=BB68_36 Depth=2
	s_or_b64 exec, exec, s[36:37]
	ds_bpermute_b32 v32, v51, v38
	ds_bpermute_b32 v35, v51, v39
	s_waitcnt lgkmcnt(2)
	v_mov_b32_e32 v39, v27
	s_waitcnt lgkmcnt(0)
	; wave barrier
	s_waitcnt lgkmcnt(0)
	s_and_saveexec_b64 s[36:37], s[14:15]
	s_cbranch_execz .LBB68_72
; %bb.69:                               ;   in Loop: Header=BB68_36 Depth=2
	ds_read_b64 v[38:39], v1 offset:1056
	s_and_saveexec_b64 s[74:75], s[16:17]
	s_cbranch_execz .LBB68_71
; %bb.70:                               ;   in Loop: Header=BB68_36 Depth=2
	ds_write_b64 v1, v[26:27] offset:1056
.LBB68_71:                              ;   in Loop: Header=BB68_36 Depth=2
	s_or_b64 exec, exec, s[74:75]
	s_waitcnt lgkmcnt(0)
	v_fmac_f32_e32 v39, v27, v38
	v_mul_f32_e32 v26, v26, v38
	v_mov_b32_e32 v27, v39
.LBB68_72:                              ;   in Loop: Header=BB68_36 Depth=2
	s_or_b64 exec, exec, s[36:37]
	s_waitcnt lgkmcnt(0)
	; wave barrier
	ds_read_b32 v38, v1 offset:1060
	s_and_saveexec_b64 s[36:37], s[16:17]
	s_cbranch_execz .LBB68_35
; %bb.73:                               ;   in Loop: Header=BB68_36 Depth=2
	v_mov_b32_e32 v62, s98
	s_andn2_b64 vcc, exec, s[66:67]
	ds_write_b64 v62, v[26:27]
	s_cbranch_vccnz .LBB68_35
; %bb.74:                               ;   in Loop: Header=BB68_36 Depth=2
	s_mov_b32 s73, s57
	v_cvt_f16_f32_e32 v26, v39
	s_lshl_b64 s[74:75], s[72:73], 1
	s_add_u32 s74, s45, s74
	s_addc_u32 s75, s49, s75
	global_store_short v1, v26, s[74:75]
	s_branch .LBB68_35
.LBB68_75:                              ;   in Loop: Header=BB68_11 Depth=1
	v_cvt_f16_f32_e32 v13, v16
	v_cvt_f16_f32_e32 v18, v14
	v_cvt_f16_f32_e32 v19, v15
	v_cvt_f16_f32_e32 v20, v17
	s_waitcnt lgkmcnt(0)
	; wave barrier
	v_pack_b32_f16 v19, v18, v19
	v_pack_b32_f16 v18, v13, v20
	ds_write_b64 v47, v[18:19]
	; wave barrier
	ds_read_u16 v21, v44 offset:128
	ds_read_u16 v20, v45 offset:256
	;; [unrolled: 1-line block ×3, first 2 shown]
	s_mov_b32 s63, s57
	v_lshl_add_u64 v[18:19], s[62:63], 1, v[4:5]
	s_and_saveexec_b64 s[26:27], s[18:19]
	s_cbranch_execnz .LBB68_94
; %bb.76:                               ;   in Loop: Header=BB68_11 Depth=1
	s_or_b64 exec, exec, s[26:27]
	s_and_saveexec_b64 s[26:27], s[20:21]
	s_cbranch_execnz .LBB68_95
.LBB68_77:                              ;   in Loop: Header=BB68_11 Depth=1
	s_or_b64 exec, exec, s[26:27]
	s_and_saveexec_b64 s[26:27], s[22:23]
	s_cbranch_execnz .LBB68_96
.LBB68_78:                              ;   in Loop: Header=BB68_11 Depth=1
	s_or_b64 exec, exec, s[26:27]
	s_and_saveexec_b64 s[26:27], s[24:25]
	s_cbranch_execz .LBB68_80
.LBB68_79:                              ;   in Loop: Header=BB68_11 Depth=1
	s_waitcnt lgkmcnt(0)
	global_store_short v[18:19], v13, off offset:384
.LBB68_80:                              ;   in Loop: Header=BB68_11 Depth=1
	s_or_b64 exec, exec, s[26:27]
	v_lshl_add_u64 v[18:19], s[62:63], 1, v[6:7]
	s_waitcnt lgkmcnt(0)
	v_mov_b32_e32 v13, 0
	v_mov_b32_e32 v20, 0
	s_waitcnt lgkmcnt(0)
	; wave barrier
	s_and_saveexec_b64 s[26:27], s[18:19]
	s_cbranch_execz .LBB68_82
; %bb.81:                               ;   in Loop: Header=BB68_11 Depth=1
	global_load_ushort v20, v[18:19], off
.LBB68_82:                              ;   in Loop: Header=BB68_11 Depth=1
	s_or_b64 exec, exec, s[26:27]
	s_and_saveexec_b64 s[26:27], s[20:21]
	s_cbranch_execz .LBB68_84
; %bb.83:                               ;   in Loop: Header=BB68_11 Depth=1
	global_load_ushort v13, v[18:19], off offset:128
.LBB68_84:                              ;   in Loop: Header=BB68_11 Depth=1
	s_or_b64 exec, exec, s[26:27]
	v_mov_b32_e32 v21, 0
	v_mov_b32_e32 v22, 0
	s_and_saveexec_b64 s[26:27], s[22:23]
	s_cbranch_execz .LBB68_86
; %bb.85:                               ;   in Loop: Header=BB68_11 Depth=1
	global_load_ushort v22, v[18:19], off offset:256
.LBB68_86:                              ;   in Loop: Header=BB68_11 Depth=1
	s_or_b64 exec, exec, s[26:27]
	s_and_saveexec_b64 s[26:27], s[24:25]
	s_cbranch_execz .LBB68_88
; %bb.87:                               ;   in Loop: Header=BB68_11 Depth=1
	global_load_ushort v21, v[18:19], off offset:384
.LBB68_88:                              ;   in Loop: Header=BB68_11 Depth=1
	s_or_b64 exec, exec, s[26:27]
	s_waitcnt vmcnt(0)
	ds_write_b16 v43, v20
	ds_write_b16 v44, v13 offset:128
	ds_write_b16 v45, v22 offset:256
	;; [unrolled: 1-line block ×3, first 2 shown]
	; wave barrier
	ds_read_b64 v[18:19], v47
	s_waitcnt lgkmcnt(0)
	; wave barrier
	s_waitcnt lgkmcnt(0)
	v_cvt_f32_f16_e32 v13, v19
	v_cvt_f32_f16_e32 v24, v18
	v_cvt_f32_f16_sdwa v23, v18 dst_sel:DWORD dst_unused:UNUSED_PAD src0_sel:WORD_1
	v_mul_f32_e32 v20, 0xbfb8aa3b, v13
	v_rndne_f32_e32 v21, v20
	v_fma_mix_f32 v22, v19, s93, -v20 op_sel_hi:[1,0,0]
	v_sub_f32_e32 v20, v20, v21
	v_fma_mix_f32 v22, v19, s94, v22 op_sel_hi:[1,0,0]
	v_cvt_i32_f32_e32 v21, v21
	v_add_f32_e32 v20, v20, v22
	v_exp_f32_e32 v20, v20
	v_cvt_f32_f16_sdwa v22, v19 dst_sel:DWORD dst_unused:UNUSED_PAD src0_sel:WORD_1
	v_cmp_nlt_f32_e32 vcc, s95, v13
	v_ldexp_f32 v20, v20, v21
	v_mul_f32_e32 v21, 0xbfb8aa3b, v22
	v_rndne_f32_e32 v25, v21
	v_sub_f32_e32 v26, v21, v25
	v_fma_mix_f32 v21, v19, s93, -v21 op_sel:[1,0,0] op_sel_hi:[1,0,0]
	v_cndmask_b32_e32 v20, 0, v20, vcc
	v_fma_mix_f32 v19, v19, s94, v21 op_sel:[1,0,0] op_sel_hi:[1,0,0]
	v_cvt_i32_f32_e32 v21, v25
	v_add_f32_e32 v19, v26, v19
	v_exp_f32_e32 v19, v19
	v_cmp_ngt_f32_e32 vcc, s96, v13
	v_ldexp_f32 v19, v19, v21
	v_mul_f32_e32 v21, 0xbfb8aa3b, v24
	v_rndne_f32_e32 v25, v21
	v_sub_f32_e32 v26, v21, v25
	v_fma_mix_f32 v21, v18, s93, -v21 op_sel_hi:[1,0,0]
	v_cvt_i32_f32_e32 v25, v25
	v_fma_mix_f32 v21, v18, s94, v21 op_sel_hi:[1,0,0]
	v_cndmask_b32_e32 v20, v54, v20, vcc
	v_add_f32_e32 v21, v26, v21
	v_exp_f32_e32 v26, v21
	v_cmp_nlt_f32_e32 vcc, s95, v22
	s_nop 1
	v_cndmask_b32_e32 v19, 0, v19, vcc
	v_cmp_ngt_f32_e32 vcc, s96, v22
	s_nop 1
	v_cndmask_b32_e32 v21, v54, v19, vcc
	v_ldexp_f32 v19, v26, v25
	v_mul_f32_e32 v25, 0xbfb8aa3b, v23
	v_rndne_f32_e32 v26, v25
	v_sub_f32_e32 v27, v25, v26
	v_fma_mix_f32 v25, v18, s93, -v25 op_sel:[1,0,0] op_sel_hi:[1,0,0]
	v_cvt_i32_f32_e32 v26, v26
	v_fma_mix_f32 v18, v18, s94, v25 op_sel:[1,0,0] op_sel_hi:[1,0,0]
	v_cmp_nlt_f32_e32 vcc, s95, v24
	v_add_f32_e32 v18, v27, v18
	v_exp_f32_e32 v25, v18
	v_pk_add_f32 v[20:21], v[20:21], 1.0 op_sel_hi:[1,0]
	v_cndmask_b32_e32 v18, 0, v19, vcc
	v_cmp_ngt_f32_e32 vcc, s96, v24
	v_ldexp_f32 v19, v25, v26
	v_div_scale_f32 v25, s[26:27], v21, v21, v22
	v_rcp_f32_e32 v26, v25
	v_cndmask_b32_e32 v18, v54, v18, vcc
	v_cmp_nlt_f32_e32 vcc, s95, v23
	v_fma_f32 v27, -v25, v26, 1.0
	s_nop 0
	v_cndmask_b32_e32 v19, 0, v19, vcc
	v_cmp_ngt_f32_e32 vcc, s96, v23
	v_fmac_f32_e32 v26, v27, v26
	s_nop 0
	v_cndmask_b32_e32 v19, v54, v19, vcc
	v_div_scale_f32 v27, vcc, v22, v21, v22
	v_mul_f32_e32 v28, v27, v26
	v_fma_f32 v29, -v25, v28, v27
	v_fmac_f32_e32 v28, v29, v26
	v_fma_f32 v25, -v25, v28, v27
	v_div_scale_f32 v27, s[26:27], v20, v20, v13
	v_rcp_f32_e32 v29, v27
	v_div_fmas_f32 v25, v25, v26, v28
	v_div_fixup_f32 v21, v25, v21, v22
	v_pk_add_f32 v[18:19], v[18:19], 1.0 op_sel_hi:[1,0]
	v_fma_f32 v22, -v27, v29, 1.0
	v_fmac_f32_e32 v29, v22, v29
	v_div_scale_f32 v22, vcc, v13, v20, v13
	v_mul_f32_e32 v25, v22, v29
	v_fma_f32 v26, -v27, v25, v22
	v_fmac_f32_e32 v25, v26, v29
	v_div_scale_f32 v26, s[26:27], v19, v19, v23
	v_fma_f32 v22, -v27, v25, v22
	v_rcp_f32_e32 v27, v26
	v_div_fmas_f32 v22, v22, v29, v25
	v_div_fixup_f32 v20, v22, v20, v13
	v_pk_mul_f32 v[14:15], v[14:15], v[20:21]
	v_fma_f32 v13, -v26, v27, 1.0
	v_fmac_f32_e32 v27, v13, v27
	v_div_scale_f32 v13, vcc, v23, v19, v23
	v_mul_f32_e32 v22, v13, v27
	v_fma_f32 v25, -v26, v22, v13
	v_fmac_f32_e32 v22, v25, v27
	v_div_scale_f32 v25, s[26:27], v18, v18, v24
	v_fma_f32 v13, -v26, v22, v13
	v_rcp_f32_e32 v26, v25
	v_div_fmas_f32 v13, v13, v27, v22
	v_div_fixup_f32 v19, v13, v19, v23
	v_cvt_f16_f32_e32 v14, v14
	v_fma_f32 v13, -v25, v26, 1.0
	v_fmac_f32_e32 v26, v13, v26
	v_div_scale_f32 v13, vcc, v24, v18, v24
	v_mul_f32_e32 v22, v13, v26
	v_fma_f32 v23, -v25, v22, v13
	v_fmac_f32_e32 v22, v23, v26
	v_fma_f32 v13, -v25, v22, v13
	v_div_fmas_f32 v13, v13, v26, v22
	v_div_fixup_f32 v18, v13, v18, v24
	v_pk_mul_f32 v[16:17], v[16:17], v[18:19]
	v_cvt_f16_f32_e32 v13, v15
	v_cvt_f16_f32_e32 v17, v17
	;; [unrolled: 1-line block ×3, first 2 shown]
	v_pack_b32_f16 v15, v14, v13
	v_pack_b32_f16 v14, v16, v17
	ds_write_b64 v47, v[14:15]
	; wave barrier
	ds_read_u16 v17, v44 offset:128
	ds_read_u16 v16, v45 offset:256
	;; [unrolled: 1-line block ×3, first 2 shown]
	v_lshl_add_u64 v[14:15], s[62:63], 1, v[8:9]
	s_and_saveexec_b64 s[26:27], s[18:19]
	s_cbranch_execnz .LBB68_97
; %bb.89:                               ;   in Loop: Header=BB68_11 Depth=1
	s_or_b64 exec, exec, s[26:27]
	s_and_saveexec_b64 s[18:19], s[20:21]
	s_cbranch_execnz .LBB68_98
.LBB68_90:                              ;   in Loop: Header=BB68_11 Depth=1
	s_or_b64 exec, exec, s[18:19]
	s_and_saveexec_b64 s[18:19], s[22:23]
	s_cbranch_execnz .LBB68_99
.LBB68_91:                              ;   in Loop: Header=BB68_11 Depth=1
	s_or_b64 exec, exec, s[18:19]
	s_and_saveexec_b64 s[18:19], s[24:25]
	s_cbranch_execz .LBB68_10
	s_branch .LBB68_100
.LBB68_92:                              ;   in Loop: Header=BB68_11 Depth=1
	global_load_ushort v19, v[16:17], off offset:128
	s_or_b64 exec, exec, s[26:27]
	s_and_saveexec_b64 s[26:27], s[22:23]
	s_cbranch_execz .LBB68_23
.LBB68_93:                              ;   in Loop: Header=BB68_11 Depth=1
	global_load_ushort v18, v[16:17], off offset:256
	s_or_b64 exec, exec, s[26:27]
	v_mov_b32_e32 v20, 0
	s_and_saveexec_b64 s[26:27], s[24:25]
	s_cbranch_execnz .LBB68_24
	s_branch .LBB68_25
.LBB68_94:                              ;   in Loop: Header=BB68_11 Depth=1
	ds_read_u16 v22, v43
	s_waitcnt lgkmcnt(0)
	global_store_short v[18:19], v22, off
	s_or_b64 exec, exec, s[26:27]
	s_and_saveexec_b64 s[26:27], s[20:21]
	s_cbranch_execz .LBB68_77
.LBB68_95:                              ;   in Loop: Header=BB68_11 Depth=1
	s_waitcnt lgkmcnt(2)
	global_store_short v[18:19], v21, off offset:128
	s_or_b64 exec, exec, s[26:27]
	s_and_saveexec_b64 s[26:27], s[22:23]
	s_cbranch_execz .LBB68_78
.LBB68_96:                              ;   in Loop: Header=BB68_11 Depth=1
	s_waitcnt lgkmcnt(1)
	global_store_short v[18:19], v20, off offset:256
	s_or_b64 exec, exec, s[26:27]
	s_and_saveexec_b64 s[26:27], s[24:25]
	s_cbranch_execnz .LBB68_79
	s_branch .LBB68_80
.LBB68_97:                              ;   in Loop: Header=BB68_11 Depth=1
	ds_read_u16 v18, v43
	s_waitcnt lgkmcnt(0)
	global_store_short v[14:15], v18, off
	s_or_b64 exec, exec, s[26:27]
	s_and_saveexec_b64 s[18:19], s[20:21]
	s_cbranch_execz .LBB68_90
.LBB68_98:                              ;   in Loop: Header=BB68_11 Depth=1
	s_waitcnt lgkmcnt(2)
	global_store_short v[14:15], v17, off offset:128
	s_or_b64 exec, exec, s[18:19]
	s_and_saveexec_b64 s[18:19], s[22:23]
	s_cbranch_execz .LBB68_91
.LBB68_99:                              ;   in Loop: Header=BB68_11 Depth=1
	s_waitcnt lgkmcnt(1)
	global_store_short v[14:15], v16, off offset:256
	s_or_b64 exec, exec, s[18:19]
	s_and_saveexec_b64 s[18:19], s[24:25]
	s_cbranch_execz .LBB68_10
.LBB68_100:                             ;   in Loop: Header=BB68_11 Depth=1
	s_waitcnt lgkmcnt(0)
	global_store_short v[14:15], v13, off offset:384
	s_branch .LBB68_10
.LBB68_101:
	s_endpgm
.LBB68_102:
	s_mov_b64 s[38:39], 0
	s_load_dwordx2 s[6:7], s[0:1], 0x20
	s_cmp_eq_u64 s[4:5], 0
	s_cbranch_scc0 .LBB68_2
	s_branch .LBB68_3
	.section	.rodata,"a",@progbits
	.p2align	6, 0x0
	.amdhsa_kernel _Z25selective_scan_fwd_kernelI32Selective_Scan_fwd_kernel_traitsILi64ELi4ELi1ELb0ELb1ELb1ELb1ELb1EN3c104HalfEfS2_EEv13SSMParamsBase
		.amdhsa_group_segment_fixed_size 0
		.amdhsa_private_segment_fixed_size 0
		.amdhsa_kernarg_size 248
		.amdhsa_user_sgpr_count 2
		.amdhsa_user_sgpr_dispatch_ptr 0
		.amdhsa_user_sgpr_queue_ptr 0
		.amdhsa_user_sgpr_kernarg_segment_ptr 1
		.amdhsa_user_sgpr_dispatch_id 0
		.amdhsa_user_sgpr_kernarg_preload_length 0
		.amdhsa_user_sgpr_kernarg_preload_offset 0
		.amdhsa_user_sgpr_private_segment_size 0
		.amdhsa_uses_dynamic_stack 0
		.amdhsa_enable_private_segment 0
		.amdhsa_system_sgpr_workgroup_id_x 1
		.amdhsa_system_sgpr_workgroup_id_y 1
		.amdhsa_system_sgpr_workgroup_id_z 0
		.amdhsa_system_sgpr_workgroup_info 0
		.amdhsa_system_vgpr_workitem_id 0
		.amdhsa_next_free_vgpr 66
		.amdhsa_next_free_sgpr 99
		.amdhsa_accum_offset 68
		.amdhsa_reserve_vcc 1
		.amdhsa_float_round_mode_32 0
		.amdhsa_float_round_mode_16_64 0
		.amdhsa_float_denorm_mode_32 3
		.amdhsa_float_denorm_mode_16_64 3
		.amdhsa_dx10_clamp 1
		.amdhsa_ieee_mode 1
		.amdhsa_fp16_overflow 0
		.amdhsa_tg_split 0
		.amdhsa_exception_fp_ieee_invalid_op 0
		.amdhsa_exception_fp_denorm_src 0
		.amdhsa_exception_fp_ieee_div_zero 0
		.amdhsa_exception_fp_ieee_overflow 0
		.amdhsa_exception_fp_ieee_underflow 0
		.amdhsa_exception_fp_ieee_inexact 0
		.amdhsa_exception_int_div_zero 0
	.end_amdhsa_kernel
	.section	.text._Z25selective_scan_fwd_kernelI32Selective_Scan_fwd_kernel_traitsILi64ELi4ELi1ELb0ELb1ELb1ELb1ELb1EN3c104HalfEfS2_EEv13SSMParamsBase,"axG",@progbits,_Z25selective_scan_fwd_kernelI32Selective_Scan_fwd_kernel_traitsILi64ELi4ELi1ELb0ELb1ELb1ELb1ELb1EN3c104HalfEfS2_EEv13SSMParamsBase,comdat
.Lfunc_end68:
	.size	_Z25selective_scan_fwd_kernelI32Selective_Scan_fwd_kernel_traitsILi64ELi4ELi1ELb0ELb1ELb1ELb1ELb1EN3c104HalfEfS2_EEv13SSMParamsBase, .Lfunc_end68-_Z25selective_scan_fwd_kernelI32Selective_Scan_fwd_kernel_traitsILi64ELi4ELi1ELb0ELb1ELb1ELb1ELb1EN3c104HalfEfS2_EEv13SSMParamsBase
                                        ; -- End function
	.section	.AMDGPU.csdata,"",@progbits
; Kernel info:
; codeLenInByte = 7292
; NumSgprs: 105
; NumVgprs: 66
; NumAgprs: 0
; TotalNumVgprs: 66
; ScratchSize: 0
; MemoryBound: 0
; FloatMode: 240
; IeeeMode: 1
; LDSByteSize: 0 bytes/workgroup (compile time only)
; SGPRBlocks: 13
; VGPRBlocks: 8
; NumSGPRsForWavesPerEU: 105
; NumVGPRsForWavesPerEU: 66
; AccumOffset: 68
; Occupancy: 7
; WaveLimiterHint : 1
; COMPUTE_PGM_RSRC2:SCRATCH_EN: 0
; COMPUTE_PGM_RSRC2:USER_SGPR: 2
; COMPUTE_PGM_RSRC2:TRAP_HANDLER: 0
; COMPUTE_PGM_RSRC2:TGID_X_EN: 1
; COMPUTE_PGM_RSRC2:TGID_Y_EN: 1
; COMPUTE_PGM_RSRC2:TGID_Z_EN: 0
; COMPUTE_PGM_RSRC2:TIDIG_COMP_CNT: 0
; COMPUTE_PGM_RSRC3_GFX90A:ACCUM_OFFSET: 16
; COMPUTE_PGM_RSRC3_GFX90A:TG_SPLIT: 0
	.section	.text._Z25selective_scan_fwd_kernelI32Selective_Scan_fwd_kernel_traitsILi64ELi4ELi1ELb0ELb1ELb1ELb1ELb0EN3c104HalfEfS2_EEv13SSMParamsBase,"axG",@progbits,_Z25selective_scan_fwd_kernelI32Selective_Scan_fwd_kernel_traitsILi64ELi4ELi1ELb0ELb1ELb1ELb1ELb0EN3c104HalfEfS2_EEv13SSMParamsBase,comdat
	.protected	_Z25selective_scan_fwd_kernelI32Selective_Scan_fwd_kernel_traitsILi64ELi4ELi1ELb0ELb1ELb1ELb1ELb0EN3c104HalfEfS2_EEv13SSMParamsBase ; -- Begin function _Z25selective_scan_fwd_kernelI32Selective_Scan_fwd_kernel_traitsILi64ELi4ELi1ELb0ELb1ELb1ELb1ELb0EN3c104HalfEfS2_EEv13SSMParamsBase
	.globl	_Z25selective_scan_fwd_kernelI32Selective_Scan_fwd_kernel_traitsILi64ELi4ELi1ELb0ELb1ELb1ELb1ELb0EN3c104HalfEfS2_EEv13SSMParamsBase
	.p2align	8
	.type	_Z25selective_scan_fwd_kernelI32Selective_Scan_fwd_kernel_traitsILi64ELi4ELi1ELb0ELb1ELb1ELb1ELb0EN3c104HalfEfS2_EEv13SSMParamsBase,@function
_Z25selective_scan_fwd_kernelI32Selective_Scan_fwd_kernel_traitsILi64ELi4ELi1ELb0ELb1ELb1ELb1ELb0EN3c104HalfEfS2_EEv13SSMParamsBase: ; @_Z25selective_scan_fwd_kernelI32Selective_Scan_fwd_kernel_traitsILi64ELi4ELi1ELb0ELb1ELb1ELb1ELb0EN3c104HalfEfS2_EEv13SSMParamsBase
; %bb.0:
	s_load_dword s35, s[0:1], 0x18
	s_load_dwordx4 s[4:7], s[0:1], 0xe8
	s_mov_b32 s28, s3
	s_waitcnt lgkmcnt(0)
	s_abs_i32 s34, s35
	v_cvt_f32_u32_e32 v1, s34
	s_cmp_eq_u64 s[6:7], 0
	v_rcp_iflag_f32_e32 v1, v1
	s_nop 0
	v_mul_f32_e32 v1, 0x4f7ffffe, v1
	v_cvt_u32_f32_e32 v1, v1
	s_nop 0
	v_readfirstlane_b32 s24, v1
	s_cbranch_scc1 .LBB69_3
; %bb.1:
	s_ashr_i32 s3, s2, 31
	s_add_u32 s6, s6, s2
	s_addc_u32 s7, s7, s3
	v_mov_b32_e32 v1, 0
	global_load_ubyte v1, v1, s[6:7]
	s_waitcnt vmcnt(0)
	v_and_b32_e32 v1, 1, v1
	v_cmp_eq_u32_e64 s[38:39], 1, v1
	s_load_dwordx2 s[6:7], s[0:1], 0x20
	s_cmp_eq_u64 s[4:5], 0
	s_cbranch_scc1 .LBB69_4
.LBB69_2:
	s_ashr_i32 s3, s2, 31
	s_lshl_b64 s[8:9], s[2:3], 2
	s_add_u32 s4, s4, s8
	s_addc_u32 s5, s5, s9
	s_load_dword s30, s[4:5], 0x0
	s_waitcnt lgkmcnt(0)
	s_ashr_i32 s31, s30, 31
	s_cmp_eq_u64 s[6:7], s[30:31]
	s_cbranch_scc0 .LBB69_5
	s_branch .LBB69_102
.LBB69_3:
	s_mov_b64 s[38:39], 0
	s_load_dwordx2 s[6:7], s[0:1], 0x20
	s_cmp_eq_u64 s[4:5], 0
	s_cbranch_scc0 .LBB69_2
.LBB69_4:
	s_mov_b32 s30, s2
	s_ashr_i32 s31, s30, 31
	s_waitcnt lgkmcnt(0)
	s_cmp_eq_u64 s[6:7], s[30:31]
	s_cbranch_scc1 .LBB69_102
.LBB69_5:
	s_load_dwordx16 s[4:19], s[0:1], 0x88
	s_load_dwordx2 s[56:57], s[0:1], 0x8
	s_mov_b32 s33, 0
	s_mov_b32 s78, 0
	s_waitcnt lgkmcnt(0)
	s_cmp_eq_u64 s[10:11], 0
	s_cbranch_scc1 .LBB69_7
; %bb.6:
	s_ashr_i32 s29, s28, 31
	s_lshl_b64 s[20:21], s[28:29], 2
	s_add_u32 s10, s10, s20
	s_addc_u32 s11, s11, s21
	s_load_dword s78, s[10:11], 0x0
.LBB69_7:
	s_cmp_eq_u64 s[16:17], 0
	s_cbranch_scc1 .LBB69_9
; %bb.8:
	s_ashr_i32 s29, s28, 31
	s_lshl_b64 s[10:11], s[28:29], 2
	s_add_u32 s10, s16, s10
	s_addc_u32 s11, s17, s11
	s_load_dword s33, s[10:11], 0x0
.LBB69_9:
	s_cmp_lt_i32 s56, 1
	s_cbranch_scc1 .LBB69_102
; %bb.10:
	s_sub_i32 s3, 0, s34
	s_mul_i32 s3, s3, s24
	s_mul_hi_u32 s3, s24, s3
	s_abs_i32 s29, s28
	s_add_i32 s3, s24, s3
	s_load_dwordx8 s[40:47], s[0:1], 0x2c
	s_load_dwordx2 s[16:17], s[0:1], 0x7c
	s_load_dwordx4 s[20:23], s[0:1], 0x6c
	s_load_dwordx8 s[48:55], s[0:1], 0x4c
	s_load_dwordx2 s[10:11], s[0:1], 0xd8
	s_load_dwordx4 s[24:27], s[0:1], 0xc8
	s_load_dword s79, s[0:1], 0x84
	s_mul_hi_u32 s3, s29, s3
	s_load_dword s31, s[0:1], 0x28
	s_ashr_i32 s0, s28, 31
	s_ashr_i32 s1, s35, 31
	s_xor_b32 s0, s0, s1
	s_mul_i32 s1, s3, s34
	s_sub_i32 s1, s29, s1
	s_add_i32 s29, s3, 1
	s_sub_i32 s35, s1, s34
	s_cmp_ge_u32 s1, s34
	s_cselect_b32 s3, s29, s3
	s_cselect_b32 s1, s35, s1
	s_add_i32 s29, s3, 1
	s_cmp_ge_u32 s1, s34
	s_cselect_b32 s1, s29, s3
	s_xor_b32 s1, s1, s0
	s_waitcnt lgkmcnt(0)
	s_mul_i32 s58, s50, s2
	s_mov_b32 s59, 0
	s_sub_i32 s3, s1, s0
	s_lshl_b64 s[0:1], s[58:59], 1
	s_add_u32 s12, s12, s0
	s_mul_i32 s58, s51, s28
	s_addc_u32 s13, s13, s1
	s_lshl_b64 s[0:1], s[58:59], 1
	s_add_u32 s50, s12, s0
	s_mul_i32 s58, s52, s2
	s_addc_u32 s51, s13, s1
	;; [unrolled: 4-line block ×9, first 2 shown]
	s_lshl_b64 s[0:1], s[58:59], 1
	s_add_u32 s3, s24, s0
	s_mul_i32 s58, s17, s28
	v_mbcnt_lo_u32_b32 v2, -1, 0
	s_addc_u32 s4, s25, s1
	s_lshl_b64 s[0:1], s[58:59], 1
	v_mbcnt_hi_u32_b32 v2, -1, v2
	s_add_u32 s45, s3, s0
	v_lshrrev_b32_e32 v3, 5, v2
	s_addc_u32 s49, s4, s1
	s_add_i32 s0, s56, 0x7ff
	v_and_b32_e32 v3, 2, v3
	s_lshr_b32 s81, s0, 11
	v_add_u32_e32 v40, 64, v2
	v_or_b32_e32 v41, 0x80, v2
	v_add_u32_e32 v42, 0xc0, v2
	v_add_u32_e32 v3, v3, v2
	v_lshl_add_u32 v43, v3, 1, 0
	v_lshrrev_b32_e32 v3, 5, v40
	v_lshrrev_b32_e32 v4, 5, v41
	;; [unrolled: 1-line block ×3, first 2 shown]
	s_bitcmp1_b32 s31, 0
	v_and_b32_e32 v3, 6, v3
	v_and_b32_e32 v4, 6, v4
	;; [unrolled: 1-line block ×3, first 2 shown]
	s_cselect_b64 s[60:61], -1, 0
	s_cmp_gt_i32 s57, 0
	v_add_lshl_u32 v3, v3, v2, 1
	v_add_lshl_u32 v4, v4, v2, 1
	;; [unrolled: 1-line block ×3, first 2 shown]
	s_cselect_b64 s[62:63], -1, 0
	s_add_i32 s0, 0, 0x210
	s_mul_i32 s58, s20, s2
	v_add_u32_e32 v48, s0, v3
	v_add_u32_e32 v49, s0, v4
	;; [unrolled: 1-line block ×3, first 2 shown]
	s_and_b32 s3, s56, 0xff
	s_add_i32 s82, s81, -1
	s_lshl_b64 s[0:1], s[58:59], 1
	s_add_u32 s4, s18, s0
	s_mul_i32 s58, s21, s28
	s_addc_u32 s5, s19, s1
	s_lshl_b64 s[0:1], s[58:59], 1
	s_add_u32 s18, s4, s0
	s_mul_i32 s58, s54, s2
	s_addc_u32 s19, s5, s1
	;; [unrolled: 4-line block ×5, first 2 shown]
	s_lshl_b64 s[0:1], s[58:59], 1
	s_add_u32 s22, s2, s0
	v_add_u32_e32 v44, 0, v3
	s_addc_u32 s23, s4, s1
	v_and_b32_e32 v3, 15, v2
	s_cmp_eq_u32 s3, 0
	v_cmp_eq_u32_e64 s[0:1], 0, v3
	v_cmp_lt_u32_e64 s[2:3], 1, v3
	v_cmp_lt_u32_e64 s[4:5], 3, v3
	;; [unrolled: 1-line block ×3, first 2 shown]
	v_and_b32_e32 v3, 16, v2
	v_add_u32_e32 v45, 0, v4
	v_lshrrev_b32_e32 v6, 3, v2
	v_cmp_ne_u32_e64 s[8:9], 0, v3
	v_add_u32_e32 v3, -1, v2
	v_and_b32_e32 v4, 64, v2
	v_and_b32_e32 v6, 14, v6
	v_cmp_lt_i32_e32 vcc, v3, v4
	v_mov_b32_e32 v1, 0
	v_lshlrev_b32_e32 v11, 2, v0
	v_lshl_add_u32 v6, v2, 2, v6
	v_cmp_eq_u32_e64 s[12:13], 63, v0
	v_cndmask_b32_e32 v3, v3, v2, vcc
	v_cmp_gt_u32_e64 s[14:15], 64, v0
	v_cmp_eq_u32_e64 s[16:17], 0, v0
	v_lshlrev_b32_e32 v0, 1, v2
                                        ; implicit-def: $vgpr12
	v_add_u32_e32 v46, 0, v5
	v_lshl_add_u32 v47, v6, 1, 0
	s_cselect_b64 s[54:55], -1, 0
	v_cmp_lt_u32_e64 s[10:11], 31, v2
	v_lshlrev_b32_e32 v51, 2, v3
	v_lshl_add_u64 v[4:5], s[18:19], 0, v[0:1]
	v_lshl_add_u64 v[6:7], s[20:21], 0, v[0:1]
	v_lshl_add_u64 v[8:9], s[22:23], 0, v[0:1]
	v_or_b32_e32 v3, 1, v11
	v_or_b32_e32 v10, 2, v11
	;; [unrolled: 1-line block ×3, first 2 shown]
	v_lshlrev_b32_e32 v0, 1, v2
	s_mov_b32 s83, 0x41a00000
	s_mov_b32 s84, 0x3fb8aa3b
	;; [unrolled: 1-line block ×6, first 2 shown]
	v_mov_b32_e32 v53, 0x3ecc95a3
	s_mov_b32 s89, 0x3f317218
	s_mov_b32 s90, 0x33800000
	s_add_i32 s91, 0, 0x428
	s_mov_b32 s92, 0xc2fc0000
	s_mov_b32 s93, 0xbfb8aa3b
	;; [unrolled: 1-line block ×5, first 2 shown]
	v_mov_b32_e32 v54, 0x7f800000
	v_mov_b32_e32 v12, 0x3f317218
	;; [unrolled: 1-line block ×4, first 2 shown]
	s_mov_b32 s97, 0
	s_branch .LBB69_12
.LBB69_11:                              ;   in Loop: Header=BB69_12 Depth=1
	s_or_b64 exec, exec, s[18:19]
	s_add_u32 s52, s52, 0x200
	s_addc_u32 s53, s53, 0
	s_add_u32 s50, s50, 0x200
	s_addc_u32 s51, s51, 0
	;; [unrolled: 2-line block ×4, first 2 shown]
	s_add_i32 s97, s97, 1
	s_cmp_lg_u32 s97, s81
	s_cbranch_scc0 .LBB69_102
.LBB69_12:                              ; =>This Loop Header: Depth=1
                                        ;     Child Loop BB69_37 Depth 2
	s_lshl_b32 s64, s97, 8
	s_sub_i32 s34, s56, s64
	v_lshl_add_u64 v[14:15], s[50:51], 0, v[0:1]
	v_cmp_gt_u32_e64 s[18:19], s34, v2
	s_waitcnt lgkmcnt(1)
	v_mov_b32_e32 v16, 0
	s_waitcnt lgkmcnt(0)
	; wave barrier
	s_and_saveexec_b64 s[20:21], s[18:19]
	s_cbranch_execz .LBB69_14
; %bb.13:                               ;   in Loop: Header=BB69_12 Depth=1
	global_load_ushort v16, v[14:15], off
.LBB69_14:                              ;   in Loop: Header=BB69_12 Depth=1
	s_or_b64 exec, exec, s[20:21]
	v_cmp_gt_u32_e64 s[20:21], s34, v40
	v_mov_b32_e32 v17, 0
	v_mov_b32_e32 v18, 0
	s_and_saveexec_b64 s[22:23], s[20:21]
	s_cbranch_execz .LBB69_16
; %bb.15:                               ;   in Loop: Header=BB69_12 Depth=1
	global_load_ushort v18, v[14:15], off offset:128
.LBB69_16:                              ;   in Loop: Header=BB69_12 Depth=1
	s_or_b64 exec, exec, s[22:23]
	v_cmp_gt_u32_e64 s[22:23], s34, v41
	s_and_saveexec_b64 s[24:25], s[22:23]
	s_cbranch_execz .LBB69_18
; %bb.17:                               ;   in Loop: Header=BB69_12 Depth=1
	global_load_ushort v17, v[14:15], off offset:256
.LBB69_18:                              ;   in Loop: Header=BB69_12 Depth=1
	s_or_b64 exec, exec, s[24:25]
	v_cmp_gt_u32_e64 s[24:25], s34, v42
	s_waitcnt lgkmcnt(0)
	v_mov_b32_e32 v13, 0
	v_mov_b32_e32 v19, 0
	s_and_saveexec_b64 s[26:27], s[24:25]
	s_cbranch_execz .LBB69_20
; %bb.19:                               ;   in Loop: Header=BB69_12 Depth=1
	global_load_ushort v19, v[14:15], off offset:384
.LBB69_20:                              ;   in Loop: Header=BB69_12 Depth=1
	s_or_b64 exec, exec, s[26:27]
	s_waitcnt vmcnt(0)
	ds_write_b16 v43, v16
	ds_write_b16 v44, v18 offset:128
	ds_write_b16 v45, v17 offset:256
	;; [unrolled: 1-line block ×3, first 2 shown]
	; wave barrier
	ds_read_b64 v[14:15], v47
	v_lshl_add_u64 v[16:17], s[52:53], 0, v[0:1]
	s_waitcnt lgkmcnt(0)
	; wave barrier
	s_waitcnt lgkmcnt(0)
	s_and_saveexec_b64 s[26:27], s[18:19]
	s_cbranch_execz .LBB69_22
; %bb.21:                               ;   in Loop: Header=BB69_12 Depth=1
	global_load_ushort v13, v[16:17], off
.LBB69_22:                              ;   in Loop: Header=BB69_12 Depth=1
	s_or_b64 exec, exec, s[26:27]
	v_mov_b32_e32 v18, 0
	v_mov_b32_e32 v19, 0
	s_and_saveexec_b64 s[26:27], s[20:21]
	s_cbranch_execnz .LBB69_93
; %bb.23:                               ;   in Loop: Header=BB69_12 Depth=1
	s_or_b64 exec, exec, s[26:27]
	s_and_saveexec_b64 s[26:27], s[22:23]
	s_cbranch_execnz .LBB69_94
.LBB69_24:                              ;   in Loop: Header=BB69_12 Depth=1
	s_or_b64 exec, exec, s[26:27]
	v_mov_b32_e32 v20, 0
	s_and_saveexec_b64 s[26:27], s[24:25]
	s_cbranch_execz .LBB69_26
.LBB69_25:                              ;   in Loop: Header=BB69_12 Depth=1
	global_load_ushort v20, v[16:17], off offset:384
.LBB69_26:                              ;   in Loop: Header=BB69_12 Depth=1
	s_or_b64 exec, exec, s[26:27]
	s_waitcnt vmcnt(0)
	ds_write_b16 v43, v13
	ds_write_b16 v44, v19 offset:128
	ds_write_b16 v45, v18 offset:256
	;; [unrolled: 1-line block ×3, first 2 shown]
	; wave barrier
	ds_read_b64 v[16:17], v47
	s_waitcnt lgkmcnt(0)
	v_cvt_f32_f16_e32 v13, v16
	v_add_f32_e32 v57, s33, v13
	v_cmp_ge_f32_e32 vcc, s83, v57
	s_and_b64 s[26:27], s[60:61], vcc
	s_and_saveexec_b64 s[28:29], s[26:27]
	s_cbranch_execz .LBB69_28
; %bb.27:                               ;   in Loop: Header=BB69_12 Depth=1
	v_mul_f32_e32 v13, 0x3fb8aa3b, v57
	v_rndne_f32_e32 v18, v13
	v_sub_f32_e32 v19, v13, v18
	v_fma_f32 v13, v57, s84, -v13
	v_fmac_f32_e32 v13, 0x32a5705f, v57
	v_add_f32_e32 v13, v19, v13
	v_cvt_i32_f32_e32 v18, v18
	v_exp_f32_e32 v13, v13
	v_cmp_ngt_f32_e32 vcc, s85, v57
	v_ldexp_f32 v13, v13, v18
	s_nop 0
	v_cndmask_b32_e32 v13, 0, v13, vcc
	v_cmp_nlt_f32_e32 vcc, s86, v57
	s_nop 1
	v_cndmask_b32_e32 v34, v54, v13, vcc
	v_add_f32_e32 v13, 1.0, v34
	v_add_f32_e32 v18, -1.0, v13
	v_sub_f32_e32 v19, v18, v13
	v_add_f32_e32 v19, 1.0, v19
	v_sub_f32_e32 v18, v34, v18
	v_add_f32_e32 v20, v18, v19
	v_frexp_mant_f32_e32 v21, v13
	v_cvt_f64_f32_e32 v[18:19], v13
	v_frexp_exp_i32_f64_e32 v18, v[18:19]
	v_cmp_gt_f32_e32 vcc, s88, v21
	v_cmp_gt_f32_e64 s[26:27], s90, v34
	s_nop 0
	v_subbrev_co_u32_e32 v26, vcc, 0, v18, vcc
	v_sub_u32_e32 v18, 0, v26
	v_ldexp_f32 v13, v13, v18
	v_ldexp_f32 v18, v20, v18
	v_add_f32_e32 v20, -1.0, v13
	v_add_f32_e32 v19, 1.0, v20
	v_sub_f32_e32 v19, v13, v19
	v_add_f32_e32 v21, v18, v19
	v_add_f32_e32 v19, 1.0, v13
	v_add_f32_e32 v22, -1.0, v19
	v_sub_f32_e32 v13, v13, v22
	v_add_f32_e32 v13, v18, v13
	v_add_f32_e32 v27, v19, v13
	v_rcp_f32_e32 v28, v27
	v_sub_f32_e32 v18, v19, v27
	v_add_f32_e32 v19, v20, v21
	v_add_f32_e32 v13, v13, v18
	v_mul_f32_e32 v30, v19, v28
	v_sub_f32_e32 v18, v20, v19
	v_mul_f32_e32 v20, v27, v30
	v_fma_f32 v22, v30, v27, -v20
	v_fmac_f32_e32 v22, v30, v13
	v_add_f32_e32 v29, v21, v18
	v_add_f32_e32 v18, v20, v22
	v_sub_f32_e32 v21, v19, v18
	v_pk_add_f32 v[24:25], v[18:19], v[20:21] neg_lo:[0,1] neg_hi:[0,1]
	v_mov_b32_e32 v23, v18
	v_pk_add_f32 v[18:19], v[24:25], v[22:23] neg_lo:[0,1] neg_hi:[0,1]
	v_cmp_eq_f32_e32 vcc, s87, v34
	v_add_f32_e32 v19, v29, v19
	v_add_f32_e32 v18, v18, v19
	;; [unrolled: 1-line block ×3, first 2 shown]
	v_mul_f32_e32 v29, v28, v19
	v_mul_f32_e32 v20, v27, v29
	v_fma_f32 v22, v29, v27, -v20
	v_fmac_f32_e32 v22, v29, v13
	v_sub_f32_e32 v13, v21, v19
	v_add_f32_e32 v13, v18, v13
	v_add_f32_e32 v18, v20, v22
	v_sub_f32_e32 v21, v19, v18
	v_pk_add_f32 v[24:25], v[18:19], v[20:21] neg_lo:[0,1] neg_hi:[0,1]
	v_mov_b32_e32 v23, v18
	v_pk_add_f32 v[18:19], v[24:25], v[22:23] neg_lo:[0,1] neg_hi:[0,1]
	s_or_b64 vcc, s[26:27], vcc
	v_add_f32_e32 v13, v13, v19
	v_add_f32_e32 v13, v18, v13
	;; [unrolled: 1-line block ×4, first 2 shown]
	v_sub_f32_e32 v18, v19, v30
	v_mul_f32_e32 v13, v28, v13
	v_sub_f32_e32 v18, v29, v18
	v_add_f32_e32 v20, v18, v13
	v_add_f32_e32 v22, v19, v20
	v_cvt_f32_i32_e32 v18, v26
	v_mul_f32_e32 v23, v22, v22
	v_sub_f32_e32 v19, v22, v19
	v_fmamk_f32 v13, v23, 0x3e9b6dac, v53
	v_sub_f32_e32 v19, v20, v19
	v_fmaak_f32 v13, v23, v13, 0x3f2aaada
	v_ldexp_f32 v24, v19, 1
	v_mul_f32_e32 v19, v22, v23
	v_ldexp_f32 v21, v22, 1
	v_pk_mul_f32 v[22:23], v[18:19], v[12:13]
	s_nop 0
	v_fma_f32 v20, v18, s89, -v22
	v_fmac_f32_e32 v20, 0xb102e308, v18
	v_pk_add_f32 v[18:19], v[22:23], v[20:21]
	s_nop 0
	v_sub_f32_e32 v13, v19, v21
	v_sub_f32_e32 v13, v23, v13
	v_add_f32_e32 v25, v24, v13
	v_mov_b32_e32 v24, v22
	v_pk_add_f32 v[22:23], v[18:19], v[22:23] neg_lo:[0,1] neg_hi:[0,1]
	v_pk_add_f32 v[26:27], v[18:19], v[24:25]
	v_mov_b32_e32 v21, v18
	v_mov_b32_e32 v23, v27
	v_pk_add_f32 v[28:29], v[20:21], v[22:23] neg_lo:[0,1] neg_hi:[0,1]
	v_pk_add_f32 v[20:21], v[20:21], v[22:23]
	v_mov_b32_e32 v24, v25
	v_mov_b32_e32 v22, v21
	v_pk_add_f32 v[30:31], v[22:23], v[18:19] neg_lo:[0,1] neg_hi:[0,1]
	v_mov_b32_e32 v20, v27
	v_mov_b32_e32 v13, v30
	v_pk_add_f32 v[32:33], v[26:27], v[12:13] neg_lo:[0,1] neg_hi:[0,1]
	v_mov_b32_e32 v26, v19
	v_mov_b32_e32 v27, v30
	v_mov_b32_e32 v29, v21
	v_pk_add_f32 v[20:21], v[20:21], v[26:27] neg_lo:[0,1] neg_hi:[0,1]
	v_mov_b32_e32 v25, v18
	v_pk_add_f32 v[18:19], v[24:25], v[20:21] neg_lo:[0,1] neg_hi:[0,1]
	v_mov_b32_e32 v32, v28
	v_pk_add_f32 v[20:21], v[32:33], v[18:19]
	s_nop 0
	v_mov_b32_e32 v24, v21
	v_pk_add_f32 v[24:25], v[20:21], v[24:25]
	s_nop 0
	v_pk_add_f32 v[22:23], v[22:23], v[24:25]
	v_mov_b32_e32 v19, v24
	v_mov_b32_e32 v21, v22
	v_pk_add_f32 v[26:27], v[20:21], v[28:29] neg_lo:[0,1] neg_hi:[0,1]
	s_nop 0
	v_sub_f32_e32 v13, v20, v26
	v_pk_add_f32 v[18:19], v[18:19], v[26:27] neg_lo:[0,1] neg_hi:[0,1]
	v_sub_f32_e32 v13, v28, v13
	v_add_f32_e32 v13, v18, v13
	v_add_f32_e32 v13, v13, v19
	;; [unrolled: 1-line block ×3, first 2 shown]
	v_cndmask_b32_e32 v57, v13, v34, vcc
.LBB69_28:                              ;   in Loop: Header=BB69_12 Depth=1
	s_or_b64 exec, exec, s[28:29]
	v_cvt_f32_f16_sdwa v13, v16 dst_sel:DWORD dst_unused:UNUSED_PAD src0_sel:WORD_1
	v_add_f32_e32 v58, s33, v13
	v_cmp_ge_f32_e32 vcc, s83, v58
	s_and_b64 s[26:27], s[60:61], vcc
	s_and_saveexec_b64 s[28:29], s[26:27]
	s_cbranch_execz .LBB69_30
; %bb.29:                               ;   in Loop: Header=BB69_12 Depth=1
	v_mul_f32_e32 v13, 0x3fb8aa3b, v58
	v_rndne_f32_e32 v16, v13
	v_sub_f32_e32 v18, v13, v16
	v_fma_f32 v13, v58, s84, -v13
	v_fmac_f32_e32 v13, 0x32a5705f, v58
	v_add_f32_e32 v13, v18, v13
	v_cvt_i32_f32_e32 v16, v16
	v_exp_f32_e32 v13, v13
	v_cmp_ngt_f32_e32 vcc, s85, v58
	v_ldexp_f32 v13, v13, v16
	s_nop 0
	v_cndmask_b32_e32 v13, 0, v13, vcc
	v_cmp_nlt_f32_e32 vcc, s86, v58
	s_nop 1
	v_cndmask_b32_e32 v32, v54, v13, vcc
	v_add_f32_e32 v13, 1.0, v32
	v_add_f32_e32 v16, -1.0, v13
	v_sub_f32_e32 v18, v16, v13
	v_add_f32_e32 v18, 1.0, v18
	v_sub_f32_e32 v16, v32, v16
	v_add_f32_e32 v16, v16, v18
	v_frexp_mant_f32_e32 v20, v13
	v_cvt_f64_f32_e32 v[18:19], v13
	v_frexp_exp_i32_f64_e32 v18, v[18:19]
	v_cmp_gt_f32_e32 vcc, s88, v20
	v_cmp_gt_f32_e64 s[26:27], s90, v32
	s_nop 0
	v_subbrev_co_u32_e32 v26, vcc, 0, v18, vcc
	v_sub_u32_e32 v18, 0, v26
	v_ldexp_f32 v13, v13, v18
	v_ldexp_f32 v16, v16, v18
	v_add_f32_e32 v18, -1.0, v13
	v_add_f32_e32 v19, 1.0, v18
	v_sub_f32_e32 v19, v13, v19
	v_add_f32_e32 v20, v16, v19
	v_add_f32_e32 v19, 1.0, v13
	v_add_f32_e32 v21, -1.0, v19
	v_sub_f32_e32 v13, v13, v21
	v_add_f32_e32 v13, v16, v13
	v_add_f32_e32 v16, v19, v13
	v_rcp_f32_e32 v27, v16
	v_sub_f32_e32 v19, v19, v16
	v_add_f32_e32 v13, v13, v19
	v_add_f32_e32 v19, v18, v20
	v_sub_f32_e32 v18, v18, v19
	v_mul_f32_e32 v29, v19, v27
	v_add_f32_e32 v28, v20, v18
	v_mul_f32_e32 v20, v16, v29
	v_fma_f32 v22, v29, v16, -v20
	v_fmac_f32_e32 v22, v29, v13
	v_add_f32_e32 v18, v20, v22
	v_sub_f32_e32 v21, v19, v18
	v_pk_add_f32 v[24:25], v[18:19], v[20:21] neg_lo:[0,1] neg_hi:[0,1]
	v_mov_b32_e32 v23, v18
	v_pk_add_f32 v[18:19], v[24:25], v[22:23] neg_lo:[0,1] neg_hi:[0,1]
	v_cmp_eq_f32_e32 vcc, s87, v32
	v_add_f32_e32 v19, v28, v19
	v_add_f32_e32 v18, v18, v19
	;; [unrolled: 1-line block ×3, first 2 shown]
	v_mul_f32_e32 v28, v27, v19
	v_mul_f32_e32 v20, v16, v28
	v_fma_f32 v22, v28, v16, -v20
	v_fmac_f32_e32 v22, v28, v13
	v_sub_f32_e32 v13, v21, v19
	v_add_f32_e32 v13, v18, v13
	v_add_f32_e32 v18, v20, v22
	v_sub_f32_e32 v21, v19, v18
	v_pk_add_f32 v[24:25], v[18:19], v[20:21] neg_lo:[0,1] neg_hi:[0,1]
	v_mov_b32_e32 v23, v18
	v_pk_add_f32 v[18:19], v[24:25], v[22:23] neg_lo:[0,1] neg_hi:[0,1]
	v_add_f32_e32 v16, v29, v28
	v_add_f32_e32 v13, v13, v19
	;; [unrolled: 1-line block ×4, first 2 shown]
	v_sub_f32_e32 v18, v16, v29
	v_mul_f32_e32 v13, v27, v13
	v_sub_f32_e32 v18, v28, v18
	v_add_f32_e32 v19, v18, v13
	v_add_f32_e32 v20, v16, v19
	v_cvt_f32_i32_e32 v18, v26
	v_mul_f32_e32 v22, v20, v20
	v_fmamk_f32 v13, v22, 0x3e9b6dac, v53
	v_sub_f32_e32 v16, v20, v16
	v_fmaak_f32 v13, v22, v13, 0x3f2aaada
	v_sub_f32_e32 v16, v19, v16
	v_mul_f32_e32 v19, v20, v22
	v_pk_mul_f32 v[22:23], v[18:19], v[12:13]
	v_ldexp_f32 v21, v20, 1
	v_fma_f32 v20, v18, s89, -v22
	v_fmac_f32_e32 v20, 0xb102e308, v18
	v_pk_add_f32 v[18:19], v[22:23], v[20:21]
	v_ldexp_f32 v16, v16, 1
	v_sub_f32_e32 v13, v19, v21
	v_sub_f32_e32 v13, v23, v13
	v_add_f32_e32 v25, v16, v13
	v_mov_b32_e32 v24, v22
	v_pk_add_f32 v[22:23], v[18:19], v[22:23] neg_lo:[0,1] neg_hi:[0,1]
	v_pk_add_f32 v[26:27], v[18:19], v[24:25]
	v_mov_b32_e32 v21, v18
	v_mov_b32_e32 v23, v27
	v_pk_add_f32 v[28:29], v[20:21], v[22:23] neg_lo:[0,1] neg_hi:[0,1]
	v_pk_add_f32 v[20:21], v[20:21], v[22:23]
	s_or_b64 vcc, s[26:27], vcc
	v_mov_b32_e32 v16, v21
	v_pk_add_f32 v[22:23], v[16:17], v[18:19] neg_lo:[0,1] neg_hi:[0,1]
	v_mov_b32_e32 v20, v27
	v_mov_b32_e32 v13, v22
	v_pk_add_f32 v[30:31], v[26:27], v[12:13] neg_lo:[0,1] neg_hi:[0,1]
	v_mov_b32_e32 v26, v19
	v_mov_b32_e32 v27, v22
	;; [unrolled: 1-line block ×3, first 2 shown]
	v_pk_add_f32 v[20:21], v[20:21], v[26:27] neg_lo:[0,1] neg_hi:[0,1]
	v_mov_b32_e32 v22, v25
	v_mov_b32_e32 v23, v18
	v_pk_add_f32 v[18:19], v[22:23], v[20:21] neg_lo:[0,1] neg_hi:[0,1]
	v_mov_b32_e32 v30, v28
	v_pk_add_f32 v[20:21], v[30:31], v[18:19]
	s_nop 0
	v_mov_b32_e32 v22, v21
	v_pk_add_f32 v[22:23], v[20:21], v[22:23]
	s_nop 0
	v_pk_add_f32 v[24:25], v[16:17], v[22:23]
	v_mov_b32_e32 v19, v22
	v_mov_b32_e32 v21, v24
	v_pk_add_f32 v[26:27], v[20:21], v[28:29] neg_lo:[0,1] neg_hi:[0,1]
	s_nop 0
	v_sub_f32_e32 v13, v20, v26
	v_pk_add_f32 v[18:19], v[18:19], v[26:27] neg_lo:[0,1] neg_hi:[0,1]
	v_sub_f32_e32 v13, v28, v13
	v_add_f32_e32 v13, v18, v13
	v_add_f32_e32 v13, v13, v19
	;; [unrolled: 1-line block ×3, first 2 shown]
	v_cndmask_b32_e32 v58, v13, v32, vcc
.LBB69_30:                              ;   in Loop: Header=BB69_12 Depth=1
	s_or_b64 exec, exec, s[28:29]
	v_cvt_f32_f16_e32 v13, v17
	v_add_f32_e32 v19, s33, v13
	v_cmp_ge_f32_e32 vcc, s83, v19
	s_and_b64 s[26:27], s[60:61], vcc
	s_and_saveexec_b64 s[28:29], s[26:27]
	s_cbranch_execz .LBB69_32
; %bb.31:                               ;   in Loop: Header=BB69_12 Depth=1
	v_mul_f32_e32 v13, 0x3fb8aa3b, v19
	v_rndne_f32_e32 v16, v13
	v_sub_f32_e32 v18, v13, v16
	v_fma_f32 v13, v19, s84, -v13
	v_fmac_f32_e32 v13, 0x32a5705f, v19
	v_add_f32_e32 v13, v18, v13
	v_cvt_i32_f32_e32 v16, v16
	v_exp_f32_e32 v13, v13
	v_cmp_ngt_f32_e32 vcc, s85, v19
	v_ldexp_f32 v13, v13, v16
	s_nop 0
	v_cndmask_b32_e32 v13, 0, v13, vcc
	v_cmp_nlt_f32_e32 vcc, s86, v19
	s_nop 1
	v_cndmask_b32_e32 v32, v54, v13, vcc
	v_add_f32_e32 v13, 1.0, v32
	v_add_f32_e32 v16, -1.0, v13
	v_sub_f32_e32 v18, v16, v13
	v_add_f32_e32 v18, 1.0, v18
	v_sub_f32_e32 v16, v32, v16
	v_add_f32_e32 v16, v16, v18
	v_frexp_mant_f32_e32 v20, v13
	v_cvt_f64_f32_e32 v[18:19], v13
	v_frexp_exp_i32_f64_e32 v18, v[18:19]
	v_cmp_gt_f32_e32 vcc, s88, v20
	v_cmp_gt_f32_e64 s[26:27], s90, v32
	s_nop 0
	v_subbrev_co_u32_e32 v26, vcc, 0, v18, vcc
	v_sub_u32_e32 v18, 0, v26
	v_ldexp_f32 v13, v13, v18
	v_ldexp_f32 v16, v16, v18
	v_add_f32_e32 v18, -1.0, v13
	v_add_f32_e32 v19, 1.0, v18
	v_sub_f32_e32 v19, v13, v19
	v_add_f32_e32 v20, v16, v19
	v_add_f32_e32 v19, 1.0, v13
	v_add_f32_e32 v21, -1.0, v19
	v_sub_f32_e32 v13, v13, v21
	v_add_f32_e32 v13, v16, v13
	v_add_f32_e32 v16, v19, v13
	v_rcp_f32_e32 v27, v16
	v_sub_f32_e32 v19, v19, v16
	v_add_f32_e32 v13, v13, v19
	v_add_f32_e32 v19, v18, v20
	v_sub_f32_e32 v18, v18, v19
	v_mul_f32_e32 v29, v19, v27
	v_add_f32_e32 v28, v20, v18
	v_mul_f32_e32 v20, v16, v29
	v_fma_f32 v22, v29, v16, -v20
	v_fmac_f32_e32 v22, v29, v13
	v_add_f32_e32 v18, v20, v22
	v_sub_f32_e32 v21, v19, v18
	v_pk_add_f32 v[24:25], v[18:19], v[20:21] neg_lo:[0,1] neg_hi:[0,1]
	v_mov_b32_e32 v23, v18
	v_pk_add_f32 v[18:19], v[24:25], v[22:23] neg_lo:[0,1] neg_hi:[0,1]
	v_cmp_eq_f32_e32 vcc, s87, v32
	v_add_f32_e32 v19, v28, v19
	v_add_f32_e32 v18, v18, v19
	;; [unrolled: 1-line block ×3, first 2 shown]
	v_mul_f32_e32 v28, v27, v19
	v_mul_f32_e32 v20, v16, v28
	v_fma_f32 v22, v28, v16, -v20
	v_fmac_f32_e32 v22, v28, v13
	v_sub_f32_e32 v13, v21, v19
	v_add_f32_e32 v13, v18, v13
	v_add_f32_e32 v18, v20, v22
	v_sub_f32_e32 v21, v19, v18
	v_pk_add_f32 v[24:25], v[18:19], v[20:21] neg_lo:[0,1] neg_hi:[0,1]
	v_mov_b32_e32 v23, v18
	v_pk_add_f32 v[18:19], v[24:25], v[22:23] neg_lo:[0,1] neg_hi:[0,1]
	v_add_f32_e32 v16, v29, v28
	v_add_f32_e32 v13, v13, v19
	;; [unrolled: 1-line block ×4, first 2 shown]
	v_sub_f32_e32 v18, v16, v29
	v_mul_f32_e32 v13, v27, v13
	v_sub_f32_e32 v18, v28, v18
	v_add_f32_e32 v19, v18, v13
	v_add_f32_e32 v20, v16, v19
	v_cvt_f32_i32_e32 v18, v26
	v_mul_f32_e32 v22, v20, v20
	v_fmamk_f32 v13, v22, 0x3e9b6dac, v53
	v_sub_f32_e32 v16, v20, v16
	v_fmaak_f32 v13, v22, v13, 0x3f2aaada
	v_sub_f32_e32 v16, v19, v16
	v_mul_f32_e32 v19, v20, v22
	v_pk_mul_f32 v[22:23], v[18:19], v[12:13]
	v_ldexp_f32 v21, v20, 1
	v_fma_f32 v20, v18, s89, -v22
	v_fmac_f32_e32 v20, 0xb102e308, v18
	v_pk_add_f32 v[18:19], v[22:23], v[20:21]
	v_ldexp_f32 v16, v16, 1
	v_sub_f32_e32 v13, v19, v21
	v_sub_f32_e32 v13, v23, v13
	v_add_f32_e32 v25, v16, v13
	v_mov_b32_e32 v24, v22
	v_pk_add_f32 v[22:23], v[18:19], v[22:23] neg_lo:[0,1] neg_hi:[0,1]
	v_pk_add_f32 v[26:27], v[18:19], v[24:25]
	v_mov_b32_e32 v21, v18
	v_mov_b32_e32 v23, v27
	v_pk_add_f32 v[28:29], v[20:21], v[22:23] neg_lo:[0,1] neg_hi:[0,1]
	v_pk_add_f32 v[20:21], v[20:21], v[22:23]
	s_or_b64 vcc, s[26:27], vcc
	v_mov_b32_e32 v16, v21
	v_pk_add_f32 v[22:23], v[16:17], v[18:19] neg_lo:[0,1] neg_hi:[0,1]
	v_mov_b32_e32 v20, v27
	v_mov_b32_e32 v13, v22
	v_pk_add_f32 v[30:31], v[26:27], v[12:13] neg_lo:[0,1] neg_hi:[0,1]
	v_mov_b32_e32 v26, v19
	v_mov_b32_e32 v27, v22
	;; [unrolled: 1-line block ×3, first 2 shown]
	v_pk_add_f32 v[20:21], v[20:21], v[26:27] neg_lo:[0,1] neg_hi:[0,1]
	v_mov_b32_e32 v22, v25
	v_mov_b32_e32 v23, v18
	v_pk_add_f32 v[18:19], v[22:23], v[20:21] neg_lo:[0,1] neg_hi:[0,1]
	v_mov_b32_e32 v30, v28
	v_pk_add_f32 v[20:21], v[30:31], v[18:19]
	s_nop 0
	v_mov_b32_e32 v22, v21
	v_pk_add_f32 v[22:23], v[20:21], v[22:23]
	s_nop 0
	v_pk_add_f32 v[24:25], v[16:17], v[22:23]
	v_mov_b32_e32 v19, v22
	v_mov_b32_e32 v21, v24
	v_pk_add_f32 v[26:27], v[20:21], v[28:29] neg_lo:[0,1] neg_hi:[0,1]
	s_nop 0
	v_sub_f32_e32 v13, v20, v26
	v_pk_add_f32 v[18:19], v[18:19], v[26:27] neg_lo:[0,1] neg_hi:[0,1]
	v_sub_f32_e32 v13, v28, v13
	v_add_f32_e32 v13, v18, v13
	v_add_f32_e32 v13, v13, v19
	v_add_f32_e32 v13, v24, v13
	v_cndmask_b32_e32 v19, v13, v32, vcc
.LBB69_32:                              ;   in Loop: Header=BB69_12 Depth=1
	s_or_b64 exec, exec, s[28:29]
	v_cvt_f32_f16_sdwa v13, v17 dst_sel:DWORD dst_unused:UNUSED_PAD src0_sel:WORD_1
	v_add_f32_e32 v18, s33, v13
	v_cmp_ge_f32_e32 vcc, s83, v18
	s_and_b64 s[26:27], s[60:61], vcc
	s_and_saveexec_b64 s[28:29], s[26:27]
	s_cbranch_execz .LBB69_34
; %bb.33:                               ;   in Loop: Header=BB69_12 Depth=1
	v_mul_f32_e32 v13, 0x3fb8aa3b, v18
	v_rndne_f32_e32 v16, v13
	v_sub_f32_e32 v17, v13, v16
	v_fma_f32 v13, v18, s84, -v13
	v_fmac_f32_e32 v13, 0x32a5705f, v18
	v_add_f32_e32 v13, v17, v13
	v_cvt_i32_f32_e32 v16, v16
	v_exp_f32_e32 v13, v13
	v_cmp_ngt_f32_e32 vcc, s85, v18
	v_ldexp_f32 v13, v13, v16
	s_nop 0
	v_cndmask_b32_e32 v13, 0, v13, vcc
	v_cmp_nlt_f32_e32 vcc, s86, v18
	s_nop 1
	v_cndmask_b32_e32 v32, v54, v13, vcc
	v_add_f32_e32 v13, 1.0, v32
	v_add_f32_e32 v16, -1.0, v13
	v_sub_f32_e32 v17, v16, v13
	v_add_f32_e32 v17, 1.0, v17
	v_sub_f32_e32 v16, v32, v16
	v_add_f32_e32 v18, v16, v17
	v_frexp_mant_f32_e32 v20, v13
	v_cvt_f64_f32_e32 v[16:17], v13
	v_frexp_exp_i32_f64_e32 v16, v[16:17]
	v_cmp_gt_f32_e32 vcc, s88, v20
	v_cmp_gt_f32_e64 s[26:27], s90, v32
	s_nop 0
	v_subbrev_co_u32_e32 v26, vcc, 0, v16, vcc
	v_sub_u32_e32 v16, 0, v26
	v_ldexp_f32 v13, v13, v16
	v_ldexp_f32 v16, v18, v16
	v_add_f32_e32 v18, -1.0, v13
	v_add_f32_e32 v17, 1.0, v18
	v_sub_f32_e32 v17, v13, v17
	v_add_f32_e32 v20, v16, v17
	v_add_f32_e32 v17, 1.0, v13
	v_add_f32_e32 v21, -1.0, v17
	v_sub_f32_e32 v13, v13, v21
	v_add_f32_e32 v13, v16, v13
	v_add_f32_e32 v27, v17, v13
	v_rcp_f32_e32 v28, v27
	v_sub_f32_e32 v16, v17, v27
	v_add_f32_e32 v17, v18, v20
	v_add_f32_e32 v13, v13, v16
	v_sub_f32_e32 v16, v18, v17
	v_mul_f32_e32 v29, v17, v28
	v_add_f32_e32 v18, v20, v16
	v_mul_f32_e32 v20, v27, v29
	v_fma_f32 v22, v29, v27, -v20
	v_fmac_f32_e32 v22, v29, v13
	v_add_f32_e32 v16, v20, v22
	v_sub_f32_e32 v21, v17, v16
	v_pk_add_f32 v[24:25], v[16:17], v[20:21] neg_lo:[0,1] neg_hi:[0,1]
	v_mov_b32_e32 v23, v16
	v_pk_add_f32 v[16:17], v[24:25], v[22:23] neg_lo:[0,1] neg_hi:[0,1]
	v_cmp_eq_f32_e32 vcc, s87, v32
	v_add_f32_e32 v17, v18, v17
	v_add_f32_e32 v16, v16, v17
	;; [unrolled: 1-line block ×3, first 2 shown]
	v_mul_f32_e32 v18, v28, v17
	v_mul_f32_e32 v20, v27, v18
	v_fma_f32 v22, v18, v27, -v20
	v_fmac_f32_e32 v22, v18, v13
	v_sub_f32_e32 v13, v21, v17
	v_add_f32_e32 v13, v16, v13
	v_add_f32_e32 v16, v20, v22
	v_sub_f32_e32 v21, v17, v16
	v_pk_add_f32 v[24:25], v[16:17], v[20:21] neg_lo:[0,1] neg_hi:[0,1]
	v_mov_b32_e32 v23, v16
	v_pk_add_f32 v[16:17], v[24:25], v[22:23] neg_lo:[0,1] neg_hi:[0,1]
	s_or_b64 vcc, s[26:27], vcc
	v_add_f32_e32 v13, v13, v17
	v_add_f32_e32 v13, v16, v13
	;; [unrolled: 1-line block ×4, first 2 shown]
	v_sub_f32_e32 v16, v17, v29
	v_mul_f32_e32 v13, v28, v13
	v_sub_f32_e32 v16, v18, v16
	v_add_f32_e32 v18, v16, v13
	v_add_f32_e32 v20, v17, v18
	v_cvt_f32_i32_e32 v16, v26
	v_mul_f32_e32 v22, v20, v20
	v_sub_f32_e32 v17, v20, v17
	v_fmamk_f32 v13, v22, 0x3e9b6dac, v53
	v_sub_f32_e32 v17, v18, v17
	v_fmaak_f32 v13, v22, v13, 0x3f2aaada
	v_ldexp_f32 v18, v17, 1
	v_mul_f32_e32 v17, v20, v22
	v_pk_mul_f32 v[22:23], v[16:17], v[12:13]
	v_ldexp_f32 v21, v20, 1
	v_fma_f32 v20, v16, s89, -v22
	v_fmac_f32_e32 v20, 0xb102e308, v16
	v_pk_add_f32 v[16:17], v[22:23], v[20:21]
	v_mov_b32_e32 v24, v22
	v_sub_f32_e32 v13, v17, v21
	v_sub_f32_e32 v13, v23, v13
	v_add_f32_e32 v25, v18, v13
	v_pk_add_f32 v[22:23], v[16:17], v[22:23] neg_lo:[0,1] neg_hi:[0,1]
	v_pk_add_f32 v[26:27], v[16:17], v[24:25]
	v_mov_b32_e32 v21, v16
	v_mov_b32_e32 v23, v27
	v_pk_add_f32 v[28:29], v[20:21], v[22:23] neg_lo:[0,1] neg_hi:[0,1]
	v_pk_add_f32 v[20:21], v[20:21], v[22:23]
	s_nop 0
	v_mov_b32_e32 v18, v21
	v_pk_add_f32 v[22:23], v[18:19], v[16:17] neg_lo:[0,1] neg_hi:[0,1]
	v_mov_b32_e32 v20, v27
	v_mov_b32_e32 v13, v22
	v_pk_add_f32 v[30:31], v[26:27], v[12:13] neg_lo:[0,1] neg_hi:[0,1]
	v_mov_b32_e32 v26, v17
	v_mov_b32_e32 v27, v22
	;; [unrolled: 1-line block ×3, first 2 shown]
	v_pk_add_f32 v[20:21], v[20:21], v[26:27] neg_lo:[0,1] neg_hi:[0,1]
	v_mov_b32_e32 v22, v25
	v_mov_b32_e32 v23, v16
	v_pk_add_f32 v[16:17], v[22:23], v[20:21] neg_lo:[0,1] neg_hi:[0,1]
	v_mov_b32_e32 v30, v28
	v_pk_add_f32 v[20:21], v[30:31], v[16:17]
	s_nop 0
	v_mov_b32_e32 v22, v21
	v_pk_add_f32 v[22:23], v[20:21], v[22:23]
	s_nop 0
	v_pk_add_f32 v[24:25], v[18:19], v[22:23]
	v_mov_b32_e32 v17, v22
	v_mov_b32_e32 v21, v24
	v_pk_add_f32 v[26:27], v[20:21], v[28:29] neg_lo:[0,1] neg_hi:[0,1]
	s_nop 0
	v_sub_f32_e32 v13, v20, v26
	v_pk_add_f32 v[16:17], v[16:17], v[26:27] neg_lo:[0,1] neg_hi:[0,1]
	v_sub_f32_e32 v13, v28, v13
	v_add_f32_e32 v13, v16, v13
	v_add_f32_e32 v13, v13, v17
	v_add_f32_e32 v13, v24, v13
	v_cndmask_b32_e32 v18, v13, v32, vcc
.LBB69_34:                              ;   in Loop: Header=BB69_12 Depth=1
	s_or_b64 exec, exec, s[28:29]
	v_cvt_f32_f16_e32 v24, v15
	v_cvt_f32_f16_sdwa v25, v14 dst_sel:DWORD dst_unused:UNUSED_PAD src0_sel:WORD_1
	v_cvt_f32_f16_e32 v26, v14
	v_cvt_f32_f16_sdwa v13, v15 dst_sel:DWORD dst_unused:UNUSED_PAD src0_sel:WORD_1
	v_mul_f32_e32 v14, s78, v24
	v_mul_f32_e32 v17, s78, v25
	;; [unrolled: 1-line block ×4, first 2 shown]
	s_and_b64 vcc, exec, s[62:63]
	s_waitcnt lgkmcnt(0)
	; wave barrier
	s_cbranch_vccz .LBB69_76
; %bb.35:                               ;   in Loop: Header=BB69_12 Depth=1
	s_cmp_lg_u32 s97, 0
	s_cselect_b64 s[66:67], -1, 0
	s_cmp_eq_u32 s97, s82
	v_cmp_gt_u32_e32 vcc, s34, v11
	s_cselect_b64 s[68:69], -1, 0
	s_or_b64 s[26:27], s[54:55], vcc
	v_cmp_gt_u32_e32 vcc, s34, v10
	s_mov_b32 s58, 0
	v_cmp_gt_u32_e64 s[28:29], s34, v3
	s_or_b64 s[30:31], s[54:55], vcc
	v_cmp_gt_u32_e32 vcc, s34, v52
	v_mul_f32_e32 v13, v18, v13
	v_lshl_add_u64 v[20:21], s[42:43], 0, v[0:1]
	v_lshl_add_u64 v[22:23], s[46:47], 0, v[0:1]
	v_mul_f32_e32 v59, v19, v24
	v_mul_f32_e32 v60, v58, v25
	v_mul_f32_e32 v61, v57, v26
	s_or_b64 s[28:29], s[54:55], s[28:29]
	s_or_b64 s[34:35], s[54:55], vcc
	s_mov_b32 s70, s58
	s_mov_b32 s72, s58
	s_mov_b32 s74, s58
	s_mov_b32 s65, s57
	s_mov_b32 s98, s91
	s_branch .LBB69_37
.LBB69_36:                              ;   in Loop: Header=BB69_37 Depth=2
	s_or_b64 exec, exec, s[36:37]
	v_mul_f32_e32 v26, v33, v32
	v_fma_f32 v27, v33, v35, v28
	v_cndmask_b32_e64 v28, v27, v28, s[16:17]
	v_cndmask_b32_e64 v26, v26, v33, s[16:17]
	s_waitcnt lgkmcnt(0)
	v_fmac_f32_e32 v28, v38, v26
	v_fmac_f32_e32 v29, v28, v31
	v_cvt_f32_f16_sdwa v27, v25 dst_sel:DWORD dst_unused:UNUSED_PAD src0_sel:WORD_1
	v_cvt_f32_f16_e32 v26, v25
	v_cvt_f32_f16_sdwa v25, v24 dst_sel:DWORD dst_unused:UNUSED_PAD src0_sel:WORD_1
	v_cvt_f32_f16_e32 v24, v24
	v_fmac_f32_e32 v30, v29, v37
	v_fmac_f32_e32 v34, v30, v36
	v_mov_b32_e32 v31, v34
	s_add_i32 s98, s98, 8
	s_add_i32 s65, s65, -1
	s_add_i32 s74, s74, s79
	s_add_i32 s72, s72, s48
	;; [unrolled: 1-line block ×4, first 2 shown]
	v_pk_fma_f32 v[14:15], v[30:31], v[26:27], v[14:15]
	s_cmp_eq_u32 s65, 0
	v_pk_fma_f32 v[16:17], v[28:29], v[24:25], v[16:17]
	s_cbranch_scc1 .LBB69_76
.LBB69_37:                              ;   Parent Loop BB69_12 Depth=1
                                        ; =>  This Inner Loop Header: Depth=2
	s_lshl_b64 s[36:37], s[58:59], 2
	s_add_u32 s36, s40, s36
	s_addc_u32 s37, s80, s37
	global_load_dword v30, v1, s[36:37]
	s_mov_b32 s71, s59
	v_lshl_add_u64 v[24:25], s[70:71], 1, v[20:21]
	v_mov_b32_e32 v26, 0
	v_mov_b32_e32 v27, 0
	s_and_saveexec_b64 s[36:37], s[18:19]
	s_cbranch_execnz .LBB69_49
; %bb.38:                               ;   in Loop: Header=BB69_37 Depth=2
	s_or_b64 exec, exec, s[36:37]
	s_and_saveexec_b64 s[36:37], s[20:21]
	s_cbranch_execnz .LBB69_50
.LBB69_39:                              ;   in Loop: Header=BB69_37 Depth=2
	s_or_b64 exec, exec, s[36:37]
	v_mov_b32_e32 v28, 0
	s_and_saveexec_b64 s[36:37], s[22:23]
	s_cbranch_execnz .LBB69_51
.LBB69_40:                              ;   in Loop: Header=BB69_37 Depth=2
	s_or_b64 exec, exec, s[36:37]
	s_and_saveexec_b64 s[36:37], s[24:25]
	s_cbranch_execz .LBB69_42
.LBB69_41:                              ;   in Loop: Header=BB69_37 Depth=2
	global_load_ushort v24, v[24:25], off offset:384
	s_waitcnt vmcnt(0)
	v_lshl_or_b32 v28, v24, 16, v28
.LBB69_42:                              ;   in Loop: Header=BB69_37 Depth=2
	s_or_b64 exec, exec, s[36:37]
	s_waitcnt vmcnt(0)
	ds_write_b16 v43, v27
	ds_write_b16 v44, v26 offset:128
	ds_write_b16 v45, v28 offset:256
	ds_write_b16_d16_hi v46, v28 offset:384
	; wave barrier
	ds_read_b64 v[28:29], v47
	s_mov_b32 s73, s59
	v_lshl_add_u64 v[24:25], s[72:73], 1, v[22:23]
	v_mov_b32_e32 v26, 0
	v_mov_b32_e32 v27, 0
	s_and_saveexec_b64 s[36:37], s[18:19]
	s_cbranch_execnz .LBB69_52
; %bb.43:                               ;   in Loop: Header=BB69_37 Depth=2
	s_or_b64 exec, exec, s[36:37]
	s_and_saveexec_b64 s[36:37], s[20:21]
	s_cbranch_execnz .LBB69_53
.LBB69_44:                              ;   in Loop: Header=BB69_37 Depth=2
	s_or_b64 exec, exec, s[36:37]
	v_mov_b32_e32 v31, 0
	s_and_saveexec_b64 s[36:37], s[22:23]
	s_cbranch_execnz .LBB69_54
.LBB69_45:                              ;   in Loop: Header=BB69_37 Depth=2
	s_or_b64 exec, exec, s[36:37]
	s_and_saveexec_b64 s[36:37], s[24:25]
	s_cbranch_execz .LBB69_47
.LBB69_46:                              ;   in Loop: Header=BB69_37 Depth=2
	global_load_ushort v24, v[24:25], off offset:384
	s_waitcnt vmcnt(0)
	v_lshl_or_b32 v31, v24, 16, v31
.LBB69_47:                              ;   in Loop: Header=BB69_37 Depth=2
	s_or_b64 exec, exec, s[36:37]
	s_waitcnt vmcnt(0)
	ds_write_b16 v43, v27 offset:528
	ds_write_b16 v48, v26 offset:128
	ds_write_b16 v49, v31 offset:256
	ds_write_b16_d16_hi v50, v31 offset:384
	; wave barrier
	ds_read_b64 v[24:25], v47 offset:528
	s_andn2_b64 vcc, exec, s[66:67]
	s_cbranch_vccnz .LBB69_55
; %bb.48:                               ;   in Loop: Header=BB69_37 Depth=2
	v_mov_b32_e32 v26, s98
	ds_read_b64 v[26:27], v26
	s_cbranch_execz .LBB69_56
	s_branch .LBB69_59
.LBB69_49:                              ;   in Loop: Header=BB69_37 Depth=2
	global_load_ushort v27, v[24:25], off
	s_or_b64 exec, exec, s[36:37]
	s_and_saveexec_b64 s[36:37], s[20:21]
	s_cbranch_execz .LBB69_39
.LBB69_50:                              ;   in Loop: Header=BB69_37 Depth=2
	global_load_ushort v26, v[24:25], off offset:128
	s_or_b64 exec, exec, s[36:37]
	v_mov_b32_e32 v28, 0
	s_and_saveexec_b64 s[36:37], s[22:23]
	s_cbranch_execz .LBB69_40
.LBB69_51:                              ;   in Loop: Header=BB69_37 Depth=2
	global_load_ushort v28, v[24:25], off offset:256
	s_or_b64 exec, exec, s[36:37]
	s_and_saveexec_b64 s[36:37], s[24:25]
	s_cbranch_execnz .LBB69_41
	s_branch .LBB69_42
.LBB69_52:                              ;   in Loop: Header=BB69_37 Depth=2
	global_load_ushort v27, v[24:25], off
	s_or_b64 exec, exec, s[36:37]
	s_and_saveexec_b64 s[36:37], s[20:21]
	s_cbranch_execz .LBB69_44
.LBB69_53:                              ;   in Loop: Header=BB69_37 Depth=2
	global_load_ushort v26, v[24:25], off offset:128
	s_or_b64 exec, exec, s[36:37]
	v_mov_b32_e32 v31, 0
	s_and_saveexec_b64 s[36:37], s[22:23]
	s_cbranch_execz .LBB69_45
.LBB69_54:                              ;   in Loop: Header=BB69_37 Depth=2
	global_load_ushort v31, v[24:25], off offset:256
	s_or_b64 exec, exec, s[36:37]
	s_and_saveexec_b64 s[36:37], s[24:25]
	s_cbranch_execnz .LBB69_46
	s_branch .LBB69_47
.LBB69_55:                              ;   in Loop: Header=BB69_37 Depth=2
                                        ; implicit-def: $vgpr27
.LBB69_56:                              ;   in Loop: Header=BB69_37 Depth=2
	s_andn2_b64 vcc, exec, s[38:39]
	s_waitcnt lgkmcnt(0)
	v_mov_b32_e32 v27, 0
	s_cbranch_vccnz .LBB69_58
; %bb.57:                               ;   in Loop: Header=BB69_37 Depth=2
	s_mov_b32 s75, s59
	s_lshl_b64 s[36:37], s[74:75], 1
	s_add_u32 s36, s45, s36
	s_addc_u32 s37, s49, s37
	global_load_ushort v26, v1, s[36:37]
	s_waitcnt vmcnt(0)
	v_cvt_f32_f16_e32 v27, v26
.LBB69_58:                              ;   in Loop: Header=BB69_37 Depth=2
	v_mov_b32_e32 v26, 1.0
.LBB69_59:                              ;   in Loop: Header=BB69_37 Depth=2
	v_mul_f32_e32 v30, 0x3fb8aa3b, v30
	s_waitcnt lgkmcnt(5)
	v_cvt_f32_f16_e32 v31, v28
	v_cvt_f32_f16_sdwa v32, v28 dst_sel:DWORD dst_unused:UNUSED_PAD src0_sel:WORD_1
	v_mul_f32_e32 v28, v30, v57
	v_cmp_gt_f32_e32 vcc, s92, v28
	v_cvt_f32_f16_e32 v36, v29
	v_cvt_f32_f16_sdwa v37, v29 dst_sel:DWORD dst_unused:UNUSED_PAD src0_sel:WORD_1
	v_cndmask_b32_e32 v28, 0, v55, vcc
	v_fmac_f32_e32 v28, v30, v57
	v_exp_f32_e32 v28, v28
	v_cndmask_b32_e32 v29, 1.0, v56, vcc
	v_mul_f32_e32 v29, v28, v29
	v_mul_f32_e32 v28, v61, v31
	;; [unrolled: 1-line block ×3, first 2 shown]
	v_cmp_gt_f32_e32 vcc, s92, v31
	v_cndmask_b32_e64 v33, 1.0, v29, s[26:27]
	v_cndmask_b32_e64 v28, 0, v28, s[26:27]
	v_cndmask_b32_e32 v31, 0, v55, vcc
	v_fmac_f32_e32 v31, v30, v58
	v_exp_f32_e32 v31, v31
	v_cndmask_b32_e32 v29, 1.0, v56, vcc
	v_mul_f32_e32 v31, v31, v29
	v_pk_mul_f32 v[34:35], v[30:31], v[18:19] op_sel_hi:[0,1]
	v_cmp_gt_f32_e32 vcc, s92, v34
	v_mul_f32_e32 v29, v60, v32
	v_cmp_gt_f32_e64 s[36:37], s92, v35
	v_cndmask_b32_e32 v32, 0, v55, vcc
	v_add_f32_e32 v32, v34, v32
	v_cndmask_b32_e64 v34, 0, v55, s[36:37]
	v_exp_f32_e32 v32, v32
	v_add_f32_e32 v34, v35, v34
	v_exp_f32_e32 v34, v34
	v_cndmask_b32_e32 v35, 1.0, v56, vcc
	v_mul_f32_e32 v32, v32, v35
	v_cndmask_b32_e64 v35, 1.0, v56, s[36:37]
	v_cndmask_b32_e64 v29, 0, v29, s[28:29]
	v_cndmask_b32_e64 v31, 1.0, v31, s[28:29]
	v_mul_f32_e32 v35, v34, v35
	v_mul_f32_e32 v30, v59, v36
	;; [unrolled: 1-line block ×3, first 2 shown]
	v_cndmask_b32_e64 v37, 1.0, v35, s[30:31]
	v_cndmask_b32_e64 v36, 1.0, v32, s[34:35]
	v_fma_f32 v32, v31, v28, v29
	v_cndmask_b32_e64 v30, 0, v30, s[30:31]
	v_mul_f32_e32 v32, v32, v37
	v_pk_add_f32 v[38:39], v[32:33], v[30:31]
	v_pk_mul_f32 v[62:63], v[32:33], v[30:31]
	v_cndmask_b32_e64 v34, 0, v34, s[34:35]
	v_mov_b32_e32 v39, v63
	v_pk_mul_f32 v[62:63], v[38:39], v[36:37]
	v_mov_b32_e32 v35, v36
	v_pk_fma_f32 v[64:65], v[38:39], v[36:37], v[34:35]
	v_pk_mul_f32 v[62:63], v[62:63], v[34:35]
	s_nop 0
	v_mov_b32_dpp v35, v64 row_shr:1 row_mask:0xf bank_mask:0xf
	v_mov_b32_dpp v32, v63 row_shr:1 row_mask:0xf bank_mask:0xf
	v_mul_f32_e32 v62, v63, v32
	v_fma_f32 v32, v63, v35, v64
	v_cndmask_b32_e64 v39, v32, v64, s[0:1]
	v_cndmask_b32_e64 v32, v32, v64, s[0:1]
	;; [unrolled: 1-line block ×4, first 2 shown]
	v_mov_b32_dpp v63, v32 row_shr:2 row_mask:0xf bank_mask:0xf
	v_mov_b32_dpp v62, v35 row_shr:2 row_mask:0xf bank_mask:0xf
	s_and_saveexec_b64 s[36:37], s[2:3]
; %bb.60:                               ;   in Loop: Header=BB69_37 Depth=2
	v_fmac_f32_e32 v32, v35, v63
	v_mul_f32_e32 v35, v35, v62
	v_mov_b32_e32 v38, v35
	v_mov_b32_e32 v39, v32
; %bb.61:                               ;   in Loop: Header=BB69_37 Depth=2
	s_or_b64 exec, exec, s[36:37]
	v_mov_b32_dpp v62, v35 row_shr:4 row_mask:0xf bank_mask:0xf
	v_mov_b32_dpp v63, v32 row_shr:4 row_mask:0xf bank_mask:0xf
	s_and_saveexec_b64 s[36:37], s[4:5]
; %bb.62:                               ;   in Loop: Header=BB69_37 Depth=2
	v_fmac_f32_e32 v32, v35, v63
	v_mul_f32_e32 v35, v35, v62
	v_mov_b32_e32 v38, v35
	v_mov_b32_e32 v39, v32
; %bb.63:                               ;   in Loop: Header=BB69_37 Depth=2
	s_or_b64 exec, exec, s[36:37]
	;; [unrolled: 10-line block ×3, first 2 shown]
	v_mov_b32_dpp v62, v35 row_bcast:15 row_mask:0xf bank_mask:0xf
	v_mov_b32_dpp v63, v32 row_bcast:15 row_mask:0xf bank_mask:0xf
	s_and_saveexec_b64 s[36:37], s[8:9]
; %bb.66:                               ;   in Loop: Header=BB69_37 Depth=2
	v_fmac_f32_e32 v32, v35, v63
	v_mul_f32_e32 v35, v35, v62
	v_mov_b32_e32 v38, v35
	v_mov_b32_e32 v39, v32
; %bb.67:                               ;   in Loop: Header=BB69_37 Depth=2
	s_or_b64 exec, exec, s[36:37]
	v_mov_b32_dpp v62, v35 row_bcast:31 row_mask:0xf bank_mask:0xf
	v_mov_b32_dpp v63, v32 row_bcast:31 row_mask:0xf bank_mask:0xf
	v_mul_f32_e32 v62, v35, v62
	v_fmac_f32_e32 v32, v35, v63
	v_cndmask_b32_e64 v38, v38, v62, s[10:11]
	v_cndmask_b32_e64 v39, v39, v32, s[10:11]
	s_and_saveexec_b64 s[36:37], s[12:13]
	s_cbranch_execz .LBB69_69
; %bb.68:                               ;   in Loop: Header=BB69_37 Depth=2
	ds_write_b64 v1, v[38:39] offset:1056
.LBB69_69:                              ;   in Loop: Header=BB69_37 Depth=2
	s_or_b64 exec, exec, s[36:37]
	ds_bpermute_b32 v32, v51, v38
	ds_bpermute_b32 v35, v51, v39
	s_waitcnt lgkmcnt(2)
	v_mov_b32_e32 v39, v27
	s_waitcnt lgkmcnt(0)
	; wave barrier
	s_waitcnt lgkmcnt(0)
	s_and_saveexec_b64 s[36:37], s[14:15]
	s_cbranch_execz .LBB69_73
; %bb.70:                               ;   in Loop: Header=BB69_37 Depth=2
	ds_read_b64 v[38:39], v1 offset:1056
	s_and_saveexec_b64 s[76:77], s[16:17]
	s_cbranch_execz .LBB69_72
; %bb.71:                               ;   in Loop: Header=BB69_37 Depth=2
	ds_write_b64 v1, v[26:27] offset:1056
.LBB69_72:                              ;   in Loop: Header=BB69_37 Depth=2
	s_or_b64 exec, exec, s[76:77]
	s_waitcnt lgkmcnt(0)
	v_fmac_f32_e32 v39, v27, v38
	v_mul_f32_e32 v26, v26, v38
	v_mov_b32_e32 v27, v39
.LBB69_73:                              ;   in Loop: Header=BB69_37 Depth=2
	s_or_b64 exec, exec, s[36:37]
	s_waitcnt lgkmcnt(0)
	; wave barrier
	ds_read_b32 v38, v1 offset:1060
	s_and_saveexec_b64 s[36:37], s[16:17]
	s_cbranch_execz .LBB69_36
; %bb.74:                               ;   in Loop: Header=BB69_37 Depth=2
	v_mov_b32_e32 v62, s98
	s_andn2_b64 vcc, exec, s[68:69]
	ds_write_b64 v62, v[26:27]
	s_cbranch_vccnz .LBB69_36
; %bb.75:                               ;   in Loop: Header=BB69_37 Depth=2
	s_mov_b32 s75, s59
	v_cvt_f16_f32_e32 v26, v39
	s_lshl_b64 s[76:77], s[74:75], 1
	s_add_u32 s76, s45, s76
	s_addc_u32 s77, s49, s77
	global_store_short v1, v26, s[76:77]
	s_branch .LBB69_36
.LBB69_76:                              ;   in Loop: Header=BB69_12 Depth=1
	v_cvt_f16_f32_e32 v13, v16
	v_cvt_f16_f32_e32 v18, v14
	;; [unrolled: 1-line block ×4, first 2 shown]
	s_waitcnt lgkmcnt(0)
	; wave barrier
	v_pack_b32_f16 v19, v18, v19
	v_pack_b32_f16 v18, v13, v20
	ds_write_b64 v47, v[18:19]
	; wave barrier
	ds_read_u16 v21, v44 offset:128
	ds_read_u16 v20, v45 offset:256
	;; [unrolled: 1-line block ×3, first 2 shown]
	s_mov_b32 s65, s59
	v_lshl_add_u64 v[18:19], s[64:65], 1, v[4:5]
	s_and_saveexec_b64 s[26:27], s[18:19]
	s_cbranch_execnz .LBB69_95
; %bb.77:                               ;   in Loop: Header=BB69_12 Depth=1
	s_or_b64 exec, exec, s[26:27]
	s_and_saveexec_b64 s[26:27], s[20:21]
	s_cbranch_execnz .LBB69_96
.LBB69_78:                              ;   in Loop: Header=BB69_12 Depth=1
	s_or_b64 exec, exec, s[26:27]
	s_and_saveexec_b64 s[26:27], s[22:23]
	s_cbranch_execnz .LBB69_97
.LBB69_79:                              ;   in Loop: Header=BB69_12 Depth=1
	s_or_b64 exec, exec, s[26:27]
	s_and_saveexec_b64 s[26:27], s[24:25]
	s_cbranch_execz .LBB69_81
.LBB69_80:                              ;   in Loop: Header=BB69_12 Depth=1
	s_waitcnt lgkmcnt(0)
	global_store_short v[18:19], v13, off offset:384
.LBB69_81:                              ;   in Loop: Header=BB69_12 Depth=1
	s_or_b64 exec, exec, s[26:27]
	v_lshl_add_u64 v[18:19], s[64:65], 1, v[6:7]
	s_waitcnt lgkmcnt(0)
	v_mov_b32_e32 v13, 0
	v_mov_b32_e32 v20, 0
	s_waitcnt lgkmcnt(0)
	; wave barrier
	s_and_saveexec_b64 s[26:27], s[18:19]
	s_cbranch_execz .LBB69_83
; %bb.82:                               ;   in Loop: Header=BB69_12 Depth=1
	global_load_ushort v20, v[18:19], off
.LBB69_83:                              ;   in Loop: Header=BB69_12 Depth=1
	s_or_b64 exec, exec, s[26:27]
	s_and_saveexec_b64 s[26:27], s[20:21]
	s_cbranch_execz .LBB69_85
; %bb.84:                               ;   in Loop: Header=BB69_12 Depth=1
	global_load_ushort v13, v[18:19], off offset:128
.LBB69_85:                              ;   in Loop: Header=BB69_12 Depth=1
	s_or_b64 exec, exec, s[26:27]
	v_mov_b32_e32 v21, 0
	v_mov_b32_e32 v22, 0
	s_and_saveexec_b64 s[26:27], s[22:23]
	s_cbranch_execz .LBB69_87
; %bb.86:                               ;   in Loop: Header=BB69_12 Depth=1
	global_load_ushort v22, v[18:19], off offset:256
.LBB69_87:                              ;   in Loop: Header=BB69_12 Depth=1
	s_or_b64 exec, exec, s[26:27]
	s_and_saveexec_b64 s[26:27], s[24:25]
	s_cbranch_execz .LBB69_89
; %bb.88:                               ;   in Loop: Header=BB69_12 Depth=1
	global_load_ushort v21, v[18:19], off offset:384
.LBB69_89:                              ;   in Loop: Header=BB69_12 Depth=1
	s_or_b64 exec, exec, s[26:27]
	s_waitcnt vmcnt(0)
	ds_write_b16 v43, v20
	ds_write_b16 v44, v13 offset:128
	ds_write_b16 v45, v22 offset:256
	;; [unrolled: 1-line block ×3, first 2 shown]
	; wave barrier
	ds_read_b64 v[18:19], v47
	s_waitcnt lgkmcnt(0)
	; wave barrier
	s_waitcnt lgkmcnt(0)
	v_cvt_f32_f16_e32 v13, v19
	v_cvt_f32_f16_e32 v24, v18
	v_cvt_f32_f16_sdwa v23, v18 dst_sel:DWORD dst_unused:UNUSED_PAD src0_sel:WORD_1
	v_mul_f32_e32 v20, 0xbfb8aa3b, v13
	v_rndne_f32_e32 v21, v20
	v_fma_mix_f32 v22, v19, s93, -v20 op_sel_hi:[1,0,0]
	v_sub_f32_e32 v20, v20, v21
	v_fma_mix_f32 v22, v19, s94, v22 op_sel_hi:[1,0,0]
	v_cvt_i32_f32_e32 v21, v21
	v_add_f32_e32 v20, v20, v22
	v_exp_f32_e32 v20, v20
	v_cvt_f32_f16_sdwa v22, v19 dst_sel:DWORD dst_unused:UNUSED_PAD src0_sel:WORD_1
	v_cmp_nlt_f32_e32 vcc, s95, v13
	v_ldexp_f32 v20, v20, v21
	v_mul_f32_e32 v21, 0xbfb8aa3b, v22
	v_rndne_f32_e32 v25, v21
	v_sub_f32_e32 v26, v21, v25
	v_fma_mix_f32 v21, v19, s93, -v21 op_sel:[1,0,0] op_sel_hi:[1,0,0]
	v_cndmask_b32_e32 v20, 0, v20, vcc
	v_fma_mix_f32 v19, v19, s94, v21 op_sel:[1,0,0] op_sel_hi:[1,0,0]
	v_cvt_i32_f32_e32 v21, v25
	v_add_f32_e32 v19, v26, v19
	v_exp_f32_e32 v19, v19
	v_cmp_ngt_f32_e32 vcc, s96, v13
	v_ldexp_f32 v19, v19, v21
	v_mul_f32_e32 v21, 0xbfb8aa3b, v24
	v_rndne_f32_e32 v25, v21
	v_sub_f32_e32 v26, v21, v25
	v_fma_mix_f32 v21, v18, s93, -v21 op_sel_hi:[1,0,0]
	v_cvt_i32_f32_e32 v25, v25
	v_fma_mix_f32 v21, v18, s94, v21 op_sel_hi:[1,0,0]
	v_cndmask_b32_e32 v20, v54, v20, vcc
	v_add_f32_e32 v21, v26, v21
	v_exp_f32_e32 v26, v21
	v_cmp_nlt_f32_e32 vcc, s95, v22
	s_nop 1
	v_cndmask_b32_e32 v19, 0, v19, vcc
	v_cmp_ngt_f32_e32 vcc, s96, v22
	s_nop 1
	v_cndmask_b32_e32 v21, v54, v19, vcc
	v_ldexp_f32 v19, v26, v25
	v_mul_f32_e32 v25, 0xbfb8aa3b, v23
	v_rndne_f32_e32 v26, v25
	v_sub_f32_e32 v27, v25, v26
	v_fma_mix_f32 v25, v18, s93, -v25 op_sel:[1,0,0] op_sel_hi:[1,0,0]
	v_cvt_i32_f32_e32 v26, v26
	v_fma_mix_f32 v18, v18, s94, v25 op_sel:[1,0,0] op_sel_hi:[1,0,0]
	v_cmp_nlt_f32_e32 vcc, s95, v24
	v_add_f32_e32 v18, v27, v18
	v_exp_f32_e32 v25, v18
	v_pk_add_f32 v[20:21], v[20:21], 1.0 op_sel_hi:[1,0]
	v_cndmask_b32_e32 v18, 0, v19, vcc
	v_cmp_ngt_f32_e32 vcc, s96, v24
	v_ldexp_f32 v19, v25, v26
	v_div_scale_f32 v25, s[26:27], v21, v21, v22
	v_rcp_f32_e32 v26, v25
	v_cndmask_b32_e32 v18, v54, v18, vcc
	v_cmp_nlt_f32_e32 vcc, s95, v23
	v_fma_f32 v27, -v25, v26, 1.0
	s_nop 0
	v_cndmask_b32_e32 v19, 0, v19, vcc
	v_cmp_ngt_f32_e32 vcc, s96, v23
	v_fmac_f32_e32 v26, v27, v26
	s_nop 0
	v_cndmask_b32_e32 v19, v54, v19, vcc
	v_div_scale_f32 v27, vcc, v22, v21, v22
	v_mul_f32_e32 v28, v27, v26
	v_fma_f32 v29, -v25, v28, v27
	v_fmac_f32_e32 v28, v29, v26
	v_fma_f32 v25, -v25, v28, v27
	v_div_scale_f32 v27, s[26:27], v20, v20, v13
	v_rcp_f32_e32 v29, v27
	v_div_fmas_f32 v25, v25, v26, v28
	v_div_fixup_f32 v21, v25, v21, v22
	v_pk_add_f32 v[18:19], v[18:19], 1.0 op_sel_hi:[1,0]
	v_fma_f32 v22, -v27, v29, 1.0
	v_fmac_f32_e32 v29, v22, v29
	v_div_scale_f32 v22, vcc, v13, v20, v13
	v_mul_f32_e32 v25, v22, v29
	v_fma_f32 v26, -v27, v25, v22
	v_fmac_f32_e32 v25, v26, v29
	v_div_scale_f32 v26, s[26:27], v19, v19, v23
	v_fma_f32 v22, -v27, v25, v22
	v_rcp_f32_e32 v27, v26
	v_div_fmas_f32 v22, v22, v29, v25
	v_div_fixup_f32 v20, v22, v20, v13
	v_pk_mul_f32 v[14:15], v[14:15], v[20:21]
	v_fma_f32 v13, -v26, v27, 1.0
	v_fmac_f32_e32 v27, v13, v27
	v_div_scale_f32 v13, vcc, v23, v19, v23
	v_mul_f32_e32 v22, v13, v27
	v_fma_f32 v25, -v26, v22, v13
	v_fmac_f32_e32 v22, v25, v27
	v_div_scale_f32 v25, s[26:27], v18, v18, v24
	v_fma_f32 v13, -v26, v22, v13
	v_rcp_f32_e32 v26, v25
	v_div_fmas_f32 v13, v13, v27, v22
	v_div_fixup_f32 v19, v13, v19, v23
	v_cvt_f16_f32_e32 v14, v14
	v_fma_f32 v13, -v25, v26, 1.0
	v_fmac_f32_e32 v26, v13, v26
	v_div_scale_f32 v13, vcc, v24, v18, v24
	v_mul_f32_e32 v22, v13, v26
	v_fma_f32 v23, -v25, v22, v13
	v_fmac_f32_e32 v22, v23, v26
	v_fma_f32 v13, -v25, v22, v13
	v_div_fmas_f32 v13, v13, v26, v22
	v_div_fixup_f32 v18, v13, v18, v24
	v_pk_mul_f32 v[16:17], v[16:17], v[18:19]
	v_cvt_f16_f32_e32 v13, v15
	v_cvt_f16_f32_e32 v17, v17
	;; [unrolled: 1-line block ×3, first 2 shown]
	v_pack_b32_f16 v15, v14, v13
	v_pack_b32_f16 v14, v16, v17
	ds_write_b64 v47, v[14:15]
	; wave barrier
	ds_read_u16 v17, v44 offset:128
	ds_read_u16 v16, v45 offset:256
	;; [unrolled: 1-line block ×3, first 2 shown]
	v_lshl_add_u64 v[14:15], s[64:65], 1, v[8:9]
	s_and_saveexec_b64 s[26:27], s[18:19]
	s_cbranch_execnz .LBB69_98
; %bb.90:                               ;   in Loop: Header=BB69_12 Depth=1
	s_or_b64 exec, exec, s[26:27]
	s_and_saveexec_b64 s[18:19], s[20:21]
	s_cbranch_execnz .LBB69_99
.LBB69_91:                              ;   in Loop: Header=BB69_12 Depth=1
	s_or_b64 exec, exec, s[18:19]
	s_and_saveexec_b64 s[18:19], s[22:23]
	s_cbranch_execnz .LBB69_100
.LBB69_92:                              ;   in Loop: Header=BB69_12 Depth=1
	s_or_b64 exec, exec, s[18:19]
	s_and_saveexec_b64 s[18:19], s[24:25]
	s_cbranch_execz .LBB69_11
	s_branch .LBB69_101
.LBB69_93:                              ;   in Loop: Header=BB69_12 Depth=1
	global_load_ushort v19, v[16:17], off offset:128
	s_or_b64 exec, exec, s[26:27]
	s_and_saveexec_b64 s[26:27], s[22:23]
	s_cbranch_execz .LBB69_24
.LBB69_94:                              ;   in Loop: Header=BB69_12 Depth=1
	global_load_ushort v18, v[16:17], off offset:256
	s_or_b64 exec, exec, s[26:27]
	v_mov_b32_e32 v20, 0
	s_and_saveexec_b64 s[26:27], s[24:25]
	s_cbranch_execnz .LBB69_25
	s_branch .LBB69_26
.LBB69_95:                              ;   in Loop: Header=BB69_12 Depth=1
	ds_read_u16 v22, v43
	s_waitcnt lgkmcnt(0)
	global_store_short v[18:19], v22, off
	s_or_b64 exec, exec, s[26:27]
	s_and_saveexec_b64 s[26:27], s[20:21]
	s_cbranch_execz .LBB69_78
.LBB69_96:                              ;   in Loop: Header=BB69_12 Depth=1
	s_waitcnt lgkmcnt(2)
	global_store_short v[18:19], v21, off offset:128
	s_or_b64 exec, exec, s[26:27]
	s_and_saveexec_b64 s[26:27], s[22:23]
	s_cbranch_execz .LBB69_79
.LBB69_97:                              ;   in Loop: Header=BB69_12 Depth=1
	s_waitcnt lgkmcnt(1)
	global_store_short v[18:19], v20, off offset:256
	s_or_b64 exec, exec, s[26:27]
	s_and_saveexec_b64 s[26:27], s[24:25]
	s_cbranch_execnz .LBB69_80
	s_branch .LBB69_81
.LBB69_98:                              ;   in Loop: Header=BB69_12 Depth=1
	ds_read_u16 v18, v43
	s_waitcnt lgkmcnt(0)
	global_store_short v[14:15], v18, off
	s_or_b64 exec, exec, s[26:27]
	s_and_saveexec_b64 s[18:19], s[20:21]
	s_cbranch_execz .LBB69_91
.LBB69_99:                              ;   in Loop: Header=BB69_12 Depth=1
	s_waitcnt lgkmcnt(2)
	global_store_short v[14:15], v17, off offset:128
	s_or_b64 exec, exec, s[18:19]
	s_and_saveexec_b64 s[18:19], s[22:23]
	s_cbranch_execz .LBB69_92
.LBB69_100:                             ;   in Loop: Header=BB69_12 Depth=1
	s_waitcnt lgkmcnt(1)
	global_store_short v[14:15], v16, off offset:256
	s_or_b64 exec, exec, s[18:19]
	s_and_saveexec_b64 s[18:19], s[24:25]
	s_cbranch_execz .LBB69_11
.LBB69_101:                             ;   in Loop: Header=BB69_12 Depth=1
	s_waitcnt lgkmcnt(0)
	global_store_short v[14:15], v13, off offset:384
	s_branch .LBB69_11
.LBB69_102:
	s_endpgm
	.section	.rodata,"a",@progbits
	.p2align	6, 0x0
	.amdhsa_kernel _Z25selective_scan_fwd_kernelI32Selective_Scan_fwd_kernel_traitsILi64ELi4ELi1ELb0ELb1ELb1ELb1ELb0EN3c104HalfEfS2_EEv13SSMParamsBase
		.amdhsa_group_segment_fixed_size 0
		.amdhsa_private_segment_fixed_size 0
		.amdhsa_kernarg_size 248
		.amdhsa_user_sgpr_count 2
		.amdhsa_user_sgpr_dispatch_ptr 0
		.amdhsa_user_sgpr_queue_ptr 0
		.amdhsa_user_sgpr_kernarg_segment_ptr 1
		.amdhsa_user_sgpr_dispatch_id 0
		.amdhsa_user_sgpr_kernarg_preload_length 0
		.amdhsa_user_sgpr_kernarg_preload_offset 0
		.amdhsa_user_sgpr_private_segment_size 0
		.amdhsa_uses_dynamic_stack 0
		.amdhsa_enable_private_segment 0
		.amdhsa_system_sgpr_workgroup_id_x 1
		.amdhsa_system_sgpr_workgroup_id_y 1
		.amdhsa_system_sgpr_workgroup_id_z 0
		.amdhsa_system_sgpr_workgroup_info 0
		.amdhsa_system_vgpr_workitem_id 0
		.amdhsa_next_free_vgpr 66
		.amdhsa_next_free_sgpr 99
		.amdhsa_accum_offset 68
		.amdhsa_reserve_vcc 1
		.amdhsa_float_round_mode_32 0
		.amdhsa_float_round_mode_16_64 0
		.amdhsa_float_denorm_mode_32 3
		.amdhsa_float_denorm_mode_16_64 3
		.amdhsa_dx10_clamp 1
		.amdhsa_ieee_mode 1
		.amdhsa_fp16_overflow 0
		.amdhsa_tg_split 0
		.amdhsa_exception_fp_ieee_invalid_op 0
		.amdhsa_exception_fp_denorm_src 0
		.amdhsa_exception_fp_ieee_div_zero 0
		.amdhsa_exception_fp_ieee_overflow 0
		.amdhsa_exception_fp_ieee_underflow 0
		.amdhsa_exception_fp_ieee_inexact 0
		.amdhsa_exception_int_div_zero 0
	.end_amdhsa_kernel
	.section	.text._Z25selective_scan_fwd_kernelI32Selective_Scan_fwd_kernel_traitsILi64ELi4ELi1ELb0ELb1ELb1ELb1ELb0EN3c104HalfEfS2_EEv13SSMParamsBase,"axG",@progbits,_Z25selective_scan_fwd_kernelI32Selective_Scan_fwd_kernel_traitsILi64ELi4ELi1ELb0ELb1ELb1ELb1ELb0EN3c104HalfEfS2_EEv13SSMParamsBase,comdat
.Lfunc_end69:
	.size	_Z25selective_scan_fwd_kernelI32Selective_Scan_fwd_kernel_traitsILi64ELi4ELi1ELb0ELb1ELb1ELb1ELb0EN3c104HalfEfS2_EEv13SSMParamsBase, .Lfunc_end69-_Z25selective_scan_fwd_kernelI32Selective_Scan_fwd_kernel_traitsILi64ELi4ELi1ELb0ELb1ELb1ELb1ELb0EN3c104HalfEfS2_EEv13SSMParamsBase
                                        ; -- End function
	.section	.AMDGPU.csdata,"",@progbits
; Kernel info:
; codeLenInByte = 7300
; NumSgprs: 105
; NumVgprs: 66
; NumAgprs: 0
; TotalNumVgprs: 66
; ScratchSize: 0
; MemoryBound: 0
; FloatMode: 240
; IeeeMode: 1
; LDSByteSize: 0 bytes/workgroup (compile time only)
; SGPRBlocks: 13
; VGPRBlocks: 8
; NumSGPRsForWavesPerEU: 105
; NumVGPRsForWavesPerEU: 66
; AccumOffset: 68
; Occupancy: 7
; WaveLimiterHint : 0
; COMPUTE_PGM_RSRC2:SCRATCH_EN: 0
; COMPUTE_PGM_RSRC2:USER_SGPR: 2
; COMPUTE_PGM_RSRC2:TRAP_HANDLER: 0
; COMPUTE_PGM_RSRC2:TGID_X_EN: 1
; COMPUTE_PGM_RSRC2:TGID_Y_EN: 1
; COMPUTE_PGM_RSRC2:TGID_Z_EN: 0
; COMPUTE_PGM_RSRC2:TIDIG_COMP_CNT: 0
; COMPUTE_PGM_RSRC3_GFX90A:ACCUM_OFFSET: 16
; COMPUTE_PGM_RSRC3_GFX90A:TG_SPLIT: 0
	.section	.text._Z25selective_scan_fwd_kernelI32Selective_Scan_fwd_kernel_traitsILi64ELi4ELi1ELb0ELb1ELb1ELb0ELb1EN3c104HalfEfS2_EEv13SSMParamsBase,"axG",@progbits,_Z25selective_scan_fwd_kernelI32Selective_Scan_fwd_kernel_traitsILi64ELi4ELi1ELb0ELb1ELb1ELb0ELb1EN3c104HalfEfS2_EEv13SSMParamsBase,comdat
	.protected	_Z25selective_scan_fwd_kernelI32Selective_Scan_fwd_kernel_traitsILi64ELi4ELi1ELb0ELb1ELb1ELb0ELb1EN3c104HalfEfS2_EEv13SSMParamsBase ; -- Begin function _Z25selective_scan_fwd_kernelI32Selective_Scan_fwd_kernel_traitsILi64ELi4ELi1ELb0ELb1ELb1ELb0ELb1EN3c104HalfEfS2_EEv13SSMParamsBase
	.globl	_Z25selective_scan_fwd_kernelI32Selective_Scan_fwd_kernel_traitsILi64ELi4ELi1ELb0ELb1ELb1ELb0ELb1EN3c104HalfEfS2_EEv13SSMParamsBase
	.p2align	8
	.type	_Z25selective_scan_fwd_kernelI32Selective_Scan_fwd_kernel_traitsILi64ELi4ELi1ELb0ELb1ELb1ELb0ELb1EN3c104HalfEfS2_EEv13SSMParamsBase,@function
_Z25selective_scan_fwd_kernelI32Selective_Scan_fwd_kernel_traitsILi64ELi4ELi1ELb0ELb1ELb1ELb0ELb1EN3c104HalfEfS2_EEv13SSMParamsBase: ; @_Z25selective_scan_fwd_kernelI32Selective_Scan_fwd_kernel_traitsILi64ELi4ELi1ELb0ELb1ELb1ELb0ELb1EN3c104HalfEfS2_EEv13SSMParamsBase
; %bb.0:
	s_load_dword s27, s[0:1], 0x18
	s_load_dwordx4 s[4:7], s[0:1], 0xe0
	s_load_dwordx2 s[10:11], s[0:1], 0xf0
	s_mov_b32 s20, s3
	s_ashr_i32 s3, s2, 31
	s_waitcnt lgkmcnt(0)
	s_abs_i32 s26, s27
	v_cvt_f32_u32_e32 v1, s26
	s_lshl_b64 s[8:9], s[2:3], 2
	s_add_u32 s24, s4, s8
	s_addc_u32 s25, s5, s9
	v_rcp_iflag_f32_e32 v1, v1
	s_cmp_eq_u64 s[10:11], 0
	v_mul_f32_e32 v1, 0x4f7ffffe, v1
	v_cvt_u32_f32_e32 v1, v1
	s_nop 0
	v_readfirstlane_b32 s28, v1
	s_cbranch_scc1 .LBB70_86
; %bb.1:
	s_add_u32 s4, s10, s2
	s_addc_u32 s5, s11, s3
	v_mov_b32_e32 v1, 0
	global_load_ubyte v1, v1, s[4:5]
	s_waitcnt vmcnt(0)
	v_and_b32_e32 v1, 1, v1
	v_cmp_eq_u32_e64 s[52:53], 1, v1
	s_load_dwordx2 s[4:5], s[0:1], 0x20
	s_cmp_eq_u64 s[6:7], 0
	s_cbranch_scc1 .LBB70_3
.LBB70_2:
	s_add_u32 s2, s6, s8
	s_addc_u32 s3, s7, s9
	s_load_dword s2, s[2:3], 0x0
	s_waitcnt lgkmcnt(0)
	s_ashr_i32 s3, s2, 31
.LBB70_3:
	s_waitcnt lgkmcnt(0)
	s_cmp_eq_u64 s[4:5], s[2:3]
	s_cbranch_scc1 .LBB70_85
; %bb.4:
	s_load_dwordx16 s[4:19], s[0:1], 0x88
	s_load_dwordx2 s[22:23], s[24:25], 0x0
	s_mov_b32 s33, 0
	s_mov_b32 s78, 0
	s_waitcnt lgkmcnt(0)
	s_cmp_eq_u64 s[10:11], 0
	s_cbranch_scc1 .LBB70_6
; %bb.5:
	s_ashr_i32 s21, s20, 31
	s_lshl_b64 s[24:25], s[20:21], 2
	s_add_u32 s10, s10, s24
	s_addc_u32 s11, s11, s25
	s_load_dword s78, s[10:11], 0x0
.LBB70_6:
	s_cmp_eq_u64 s[16:17], 0
	s_cbranch_scc1 .LBB70_8
; %bb.7:
	s_ashr_i32 s21, s20, 31
	s_lshl_b64 s[10:11], s[20:21], 2
	s_add_u32 s10, s16, s10
	s_addc_u32 s11, s17, s11
	s_load_dword s33, s[10:11], 0x0
.LBB70_8:
	s_sub_i32 s79, s23, s22
	s_cmp_lt_i32 s79, 1
	s_cbranch_scc1 .LBB70_85
; %bb.9:
	s_sub_i32 s3, 0, s26
	s_mul_i32 s3, s3, s28
	s_mul_hi_u32 s3, s28, s3
	s_load_dwordx8 s[40:47], s[0:1], 0x2c
	s_load_dwordx2 s[16:17], s[0:1], 0x5c
	s_load_dwordx4 s[48:51], s[0:1], 0x4c
	s_abs_i32 s21, s20
	s_add_i32 s28, s28, s3
	s_load_dwordx4 s[36:39], s[0:1], 0x7c
	s_load_dwordx2 s[10:11], s[0:1], 0x6c
	s_load_dwordx2 s[24:25], s[0:1], 0xc8
	s_mul_hi_u32 s3, s21, s28
	s_waitcnt lgkmcnt(0)
	s_load_dword s39, s[0:1], 0xc
	s_load_dword s23, s[0:1], 0x28
	s_ashr_i32 s0, s20, 31
	s_ashr_i32 s1, s27, 31
	s_xor_b32 s0, s0, s1
	s_mul_i32 s1, s3, s26
	s_sub_i32 s1, s21, s1
	s_add_i32 s21, s3, 1
	s_sub_i32 s27, s1, s26
	s_cmp_ge_u32 s1, s26
	s_cselect_b32 s3, s21, s3
	s_cselect_b32 s1, s27, s1
	s_add_i32 s21, s3, 1
	s_cmp_ge_u32 s1, s26
	s_cselect_b32 s1, s21, s3
	s_xor_b32 s1, s1, s0
	s_mul_i32 s54, s22, s50
	s_mov_b32 s55, 0
	s_sub_i32 s3, s1, s0
	s_lshl_b64 s[0:1], s[54:55], 1
	s_add_u32 s12, s12, s0
	s_mul_i32 s54, s51, s20
	s_addc_u32 s13, s13, s1
	s_lshl_b64 s[0:1], s[54:55], 1
	s_add_u32 s50, s12, s0
	s_mul_i32 s54, s22, s16
	s_addc_u32 s51, s13, s1
	;; [unrolled: 4-line block ×9, first 2 shown]
	s_lshl_b64 s[0:1], s[54:55], 1
	s_add_u32 s2, s24, s0
	s_mul_i32 s54, s37, s20
	v_mbcnt_lo_u32_b32 v2, -1, 0
	s_addc_u32 s3, s25, s1
	s_lshl_b64 s[0:1], s[54:55], 1
	v_mbcnt_hi_u32_b32 v2, -1, v2
	s_add_u32 s45, s2, s0
	v_lshrrev_b32_e32 v3, 5, v2
	s_addc_u32 s49, s3, s1
	s_add_i32 s0, s79, 0x7ff
	v_and_b32_e32 v3, 2, v3
	s_lshr_b32 s81, s0, 11
	v_add_u32_e32 v36, 64, v2
	v_or_b32_e32 v37, 0x80, v2
	v_add_u32_e32 v38, 0xc0, v2
	v_add_u32_e32 v3, v3, v2
	v_lshl_add_u32 v39, v3, 1, 0
	v_lshrrev_b32_e32 v3, 5, v36
	v_lshrrev_b32_e32 v4, 5, v37
	;; [unrolled: 1-line block ×3, first 2 shown]
	s_waitcnt lgkmcnt(0)
	s_bitcmp1_b32 s23, 0
	v_and_b32_e32 v3, 6, v3
	v_and_b32_e32 v4, 6, v4
	;; [unrolled: 1-line block ×3, first 2 shown]
	s_cselect_b64 s[58:59], -1, 0
	s_cmp_gt_i32 s39, 0
	v_add_lshl_u32 v3, v3, v2, 1
	v_add_lshl_u32 v4, v4, v2, 1
	;; [unrolled: 1-line block ×3, first 2 shown]
	s_cselect_b64 s[60:61], -1, 0
	s_add_i32 s0, 0, 0x210
	s_mul_i32 s54, s22, s10
	v_add_u32_e32 v44, s0, v3
	v_add_u32_e32 v45, s0, v4
	;; [unrolled: 1-line block ×3, first 2 shown]
	s_and_b32 s2, s79, 0xff
	s_add_i32 s82, s81, -1
	s_lshl_b64 s[0:1], s[54:55], 1
	s_add_u32 s3, s18, s0
	s_mul_i32 s54, s11, s20
	s_addc_u32 s4, s19, s1
	s_lshl_b64 s[0:1], s[54:55], 1
	s_add_u32 s18, s3, s0
	v_add_u32_e32 v40, 0, v3
	s_addc_u32 s19, s4, s1
	v_and_b32_e32 v3, 15, v2
	s_cmp_eq_u32 s2, 0
	v_cmp_eq_u32_e64 s[0:1], 0, v3
	v_cmp_lt_u32_e64 s[2:3], 1, v3
	v_cmp_lt_u32_e64 s[4:5], 3, v3
	;; [unrolled: 1-line block ×3, first 2 shown]
	v_and_b32_e32 v3, 16, v2
	v_add_u32_e32 v41, 0, v4
	v_lshrrev_b32_e32 v6, 3, v2
	v_cmp_ne_u32_e64 s[8:9], 0, v3
	v_add_u32_e32 v3, -1, v2
	v_and_b32_e32 v4, 64, v2
	v_and_b32_e32 v6, 14, v6
	v_cmp_lt_i32_e32 vcc, v3, v4
	v_mov_b32_e32 v1, 0
	v_lshlrev_b32_e32 v7, 2, v0
	v_lshl_add_u32 v6, v2, 2, v6
	v_cmp_eq_u32_e64 s[12:13], 63, v0
	v_cndmask_b32_e32 v3, v3, v2, vcc
	v_cmp_gt_u32_e64 s[14:15], 64, v0
	v_cmp_eq_u32_e64 s[16:17], 0, v0
	v_lshlrev_b32_e32 v0, 1, v2
                                        ; implicit-def: $vgpr8
	v_add_u32_e32 v42, 0, v5
	v_lshl_add_u32 v43, v6, 1, 0
	s_cselect_b64 s[62:63], -1, 0
	v_cmp_lt_u32_e64 s[10:11], 31, v2
	v_lshlrev_b32_e32 v47, 2, v3
	v_lshl_add_u64 v[4:5], s[18:19], 0, v[0:1]
	v_or_b32_e32 v3, 1, v7
	v_or_b32_e32 v6, 2, v7
	;; [unrolled: 1-line block ×3, first 2 shown]
	v_lshlrev_b32_e32 v0, 1, v2
	s_mov_b32 s83, 0x41a00000
	s_mov_b32 s84, 0x3fb8aa3b
	;; [unrolled: 1-line block ×6, first 2 shown]
	v_mov_b32_e32 v49, 0x3ecc95a3
	s_mov_b32 s89, 0x3f317218
	s_mov_b32 s90, 0x33800000
	s_add_i32 s91, 0, 0x428
	s_mov_b32 s92, 0xc2fc0000
	v_mov_b32_e32 v50, 0x7f800000
	v_mov_b32_e32 v8, 0x3f317218
	;; [unrolled: 1-line block ×4, first 2 shown]
	s_mov_b32 s93, 0
	s_branch .LBB70_11
.LBB70_10:                              ;   in Loop: Header=BB70_11 Depth=1
	s_or_b64 exec, exec, s[18:19]
	s_add_u32 s56, s56, 0x200
	s_addc_u32 s57, s57, 0
	s_add_u32 s50, s50, 0x200
	s_addc_u32 s51, s51, 0
	;; [unrolled: 2-line block ×4, first 2 shown]
	s_add_i32 s93, s93, 1
	s_cmp_eq_u32 s93, s81
	s_cbranch_scc1 .LBB70_85
.LBB70_11:                              ; =>This Loop Header: Depth=1
                                        ;     Child Loop BB70_36 Depth 2
	s_lshl_b32 s64, s93, 8
	s_sub_i32 s34, s79, s64
	v_lshl_add_u64 v[10:11], s[50:51], 0, v[0:1]
	v_cmp_gt_u32_e64 s[18:19], s34, v2
	s_waitcnt lgkmcnt(1)
	v_mov_b32_e32 v12, 0
	s_waitcnt lgkmcnt(0)
	; wave barrier
	s_and_saveexec_b64 s[20:21], s[18:19]
	s_cbranch_execz .LBB70_13
; %bb.12:                               ;   in Loop: Header=BB70_11 Depth=1
	global_load_ushort v12, v[10:11], off
.LBB70_13:                              ;   in Loop: Header=BB70_11 Depth=1
	s_or_b64 exec, exec, s[20:21]
	v_cmp_gt_u32_e64 s[20:21], s34, v36
	v_mov_b32_e32 v13, 0
	v_mov_b32_e32 v14, 0
	s_and_saveexec_b64 s[22:23], s[20:21]
	s_cbranch_execz .LBB70_15
; %bb.14:                               ;   in Loop: Header=BB70_11 Depth=1
	global_load_ushort v14, v[10:11], off offset:128
.LBB70_15:                              ;   in Loop: Header=BB70_11 Depth=1
	s_or_b64 exec, exec, s[22:23]
	v_cmp_gt_u32_e64 s[22:23], s34, v37
	s_and_saveexec_b64 s[24:25], s[22:23]
	s_cbranch_execz .LBB70_17
; %bb.16:                               ;   in Loop: Header=BB70_11 Depth=1
	global_load_ushort v13, v[10:11], off offset:256
.LBB70_17:                              ;   in Loop: Header=BB70_11 Depth=1
	s_or_b64 exec, exec, s[24:25]
	v_cmp_gt_u32_e64 s[24:25], s34, v38
	s_waitcnt lgkmcnt(0)
	v_mov_b32_e32 v9, 0
	v_mov_b32_e32 v15, 0
	s_and_saveexec_b64 s[26:27], s[24:25]
	s_cbranch_execz .LBB70_19
; %bb.18:                               ;   in Loop: Header=BB70_11 Depth=1
	global_load_ushort v15, v[10:11], off offset:384
.LBB70_19:                              ;   in Loop: Header=BB70_11 Depth=1
	s_or_b64 exec, exec, s[26:27]
	s_waitcnt vmcnt(0)
	ds_write_b16 v39, v12
	ds_write_b16 v40, v14 offset:128
	ds_write_b16 v41, v13 offset:256
	;; [unrolled: 1-line block ×3, first 2 shown]
	; wave barrier
	ds_read_b64 v[12:13], v43
	v_lshl_add_u64 v[10:11], s[56:57], 0, v[0:1]
	s_waitcnt lgkmcnt(0)
	; wave barrier
	s_waitcnt lgkmcnt(0)
	s_and_saveexec_b64 s[26:27], s[18:19]
	s_cbranch_execz .LBB70_21
; %bb.20:                               ;   in Loop: Header=BB70_11 Depth=1
	global_load_ushort v9, v[10:11], off
.LBB70_21:                              ;   in Loop: Header=BB70_11 Depth=1
	s_or_b64 exec, exec, s[26:27]
	v_mov_b32_e32 v14, 0
	v_mov_b32_e32 v15, 0
	s_and_saveexec_b64 s[26:27], s[20:21]
	s_cbranch_execnz .LBB70_79
; %bb.22:                               ;   in Loop: Header=BB70_11 Depth=1
	s_or_b64 exec, exec, s[26:27]
	s_and_saveexec_b64 s[26:27], s[22:23]
	s_cbranch_execnz .LBB70_80
.LBB70_23:                              ;   in Loop: Header=BB70_11 Depth=1
	s_or_b64 exec, exec, s[26:27]
	v_mov_b32_e32 v16, 0
	s_and_saveexec_b64 s[26:27], s[24:25]
	s_cbranch_execz .LBB70_25
.LBB70_24:                              ;   in Loop: Header=BB70_11 Depth=1
	global_load_ushort v16, v[10:11], off offset:384
.LBB70_25:                              ;   in Loop: Header=BB70_11 Depth=1
	s_or_b64 exec, exec, s[26:27]
	s_waitcnt vmcnt(0)
	ds_write_b16 v39, v9
	ds_write_b16 v40, v15 offset:128
	ds_write_b16 v41, v14 offset:256
	;; [unrolled: 1-line block ×3, first 2 shown]
	; wave barrier
	ds_read_b64 v[14:15], v43
	s_waitcnt lgkmcnt(0)
	v_cvt_f32_f16_e32 v9, v14
	v_add_f32_e32 v53, s33, v9
	v_cmp_ge_f32_e32 vcc, s83, v53
	s_and_b64 s[26:27], s[58:59], vcc
	s_and_saveexec_b64 s[28:29], s[26:27]
	s_cbranch_execz .LBB70_27
; %bb.26:                               ;   in Loop: Header=BB70_11 Depth=1
	v_mul_f32_e32 v9, 0x3fb8aa3b, v53
	v_rndne_f32_e32 v10, v9
	v_sub_f32_e32 v11, v9, v10
	v_fma_f32 v9, v53, s84, -v9
	v_fmac_f32_e32 v9, 0x32a5705f, v53
	v_add_f32_e32 v9, v11, v9
	v_cvt_i32_f32_e32 v10, v10
	v_exp_f32_e32 v9, v9
	v_cmp_ngt_f32_e32 vcc, s85, v53
	v_ldexp_f32 v9, v9, v10
	s_nop 0
	v_cndmask_b32_e32 v9, 0, v9, vcc
	v_cmp_nlt_f32_e32 vcc, s86, v53
	s_nop 1
	v_cndmask_b32_e32 v30, v50, v9, vcc
	v_add_f32_e32 v9, 1.0, v30
	v_add_f32_e32 v10, -1.0, v9
	v_sub_f32_e32 v11, v10, v9
	v_add_f32_e32 v11, 1.0, v11
	v_sub_f32_e32 v10, v30, v10
	v_add_f32_e32 v16, v10, v11
	v_frexp_mant_f32_e32 v17, v9
	v_cvt_f64_f32_e32 v[10:11], v9
	v_frexp_exp_i32_f64_e32 v10, v[10:11]
	v_cmp_gt_f32_e32 vcc, s88, v17
	v_cmp_gt_f32_e64 s[26:27], s90, v30
	s_nop 0
	v_subbrev_co_u32_e32 v22, vcc, 0, v10, vcc
	v_sub_u32_e32 v10, 0, v22
	v_ldexp_f32 v9, v9, v10
	v_ldexp_f32 v10, v16, v10
	v_add_f32_e32 v16, -1.0, v9
	v_add_f32_e32 v11, 1.0, v16
	v_sub_f32_e32 v11, v9, v11
	v_add_f32_e32 v17, v10, v11
	v_add_f32_e32 v11, 1.0, v9
	v_add_f32_e32 v18, -1.0, v11
	v_sub_f32_e32 v9, v9, v18
	v_add_f32_e32 v9, v10, v9
	v_add_f32_e32 v23, v11, v9
	v_rcp_f32_e32 v24, v23
	v_sub_f32_e32 v10, v11, v23
	v_add_f32_e32 v11, v16, v17
	v_add_f32_e32 v9, v9, v10
	v_mul_f32_e32 v26, v11, v24
	v_sub_f32_e32 v10, v16, v11
	v_mul_f32_e32 v16, v23, v26
	v_fma_f32 v18, v26, v23, -v16
	v_fmac_f32_e32 v18, v26, v9
	v_add_f32_e32 v25, v17, v10
	v_add_f32_e32 v10, v16, v18
	v_sub_f32_e32 v17, v11, v10
	v_pk_add_f32 v[20:21], v[10:11], v[16:17] neg_lo:[0,1] neg_hi:[0,1]
	v_mov_b32_e32 v19, v10
	v_pk_add_f32 v[10:11], v[20:21], v[18:19] neg_lo:[0,1] neg_hi:[0,1]
	v_cmp_eq_f32_e32 vcc, s87, v30
	v_add_f32_e32 v11, v25, v11
	v_add_f32_e32 v10, v10, v11
	;; [unrolled: 1-line block ×3, first 2 shown]
	v_mul_f32_e32 v25, v24, v11
	v_mul_f32_e32 v16, v23, v25
	v_fma_f32 v18, v25, v23, -v16
	v_fmac_f32_e32 v18, v25, v9
	v_sub_f32_e32 v9, v17, v11
	v_add_f32_e32 v9, v10, v9
	v_add_f32_e32 v10, v16, v18
	v_sub_f32_e32 v17, v11, v10
	v_pk_add_f32 v[20:21], v[10:11], v[16:17] neg_lo:[0,1] neg_hi:[0,1]
	v_mov_b32_e32 v19, v10
	v_pk_add_f32 v[10:11], v[20:21], v[18:19] neg_lo:[0,1] neg_hi:[0,1]
	s_or_b64 vcc, s[26:27], vcc
	v_add_f32_e32 v9, v9, v11
	v_add_f32_e32 v9, v10, v9
	;; [unrolled: 1-line block ×4, first 2 shown]
	v_sub_f32_e32 v10, v11, v26
	v_mul_f32_e32 v9, v24, v9
	v_sub_f32_e32 v10, v25, v10
	v_add_f32_e32 v16, v10, v9
	v_add_f32_e32 v18, v11, v16
	v_cvt_f32_i32_e32 v10, v22
	v_mul_f32_e32 v19, v18, v18
	v_sub_f32_e32 v11, v18, v11
	v_fmamk_f32 v9, v19, 0x3e9b6dac, v49
	v_sub_f32_e32 v11, v16, v11
	v_fmaak_f32 v9, v19, v9, 0x3f2aaada
	v_ldexp_f32 v20, v11, 1
	v_mul_f32_e32 v11, v18, v19
	v_ldexp_f32 v17, v18, 1
	v_pk_mul_f32 v[18:19], v[10:11], v[8:9]
	s_nop 0
	v_fma_f32 v16, v10, s89, -v18
	v_fmac_f32_e32 v16, 0xb102e308, v10
	v_pk_add_f32 v[10:11], v[18:19], v[16:17]
	s_nop 0
	v_sub_f32_e32 v9, v11, v17
	v_sub_f32_e32 v9, v19, v9
	v_add_f32_e32 v21, v20, v9
	v_mov_b32_e32 v20, v18
	v_pk_add_f32 v[18:19], v[10:11], v[18:19] neg_lo:[0,1] neg_hi:[0,1]
	v_pk_add_f32 v[22:23], v[10:11], v[20:21]
	v_mov_b32_e32 v17, v10
	v_mov_b32_e32 v19, v23
	v_pk_add_f32 v[24:25], v[16:17], v[18:19] neg_lo:[0,1] neg_hi:[0,1]
	v_pk_add_f32 v[16:17], v[16:17], v[18:19]
	v_mov_b32_e32 v20, v21
	v_mov_b32_e32 v18, v17
	v_pk_add_f32 v[26:27], v[18:19], v[10:11] neg_lo:[0,1] neg_hi:[0,1]
	v_mov_b32_e32 v16, v23
	v_mov_b32_e32 v9, v26
	v_pk_add_f32 v[28:29], v[22:23], v[8:9] neg_lo:[0,1] neg_hi:[0,1]
	v_mov_b32_e32 v22, v11
	v_mov_b32_e32 v23, v26
	;; [unrolled: 1-line block ×3, first 2 shown]
	v_pk_add_f32 v[16:17], v[16:17], v[22:23] neg_lo:[0,1] neg_hi:[0,1]
	v_mov_b32_e32 v21, v10
	v_pk_add_f32 v[10:11], v[20:21], v[16:17] neg_lo:[0,1] neg_hi:[0,1]
	v_mov_b32_e32 v28, v24
	v_pk_add_f32 v[16:17], v[28:29], v[10:11]
	s_nop 0
	v_mov_b32_e32 v20, v17
	v_pk_add_f32 v[20:21], v[16:17], v[20:21]
	s_nop 0
	v_pk_add_f32 v[18:19], v[18:19], v[20:21]
	v_mov_b32_e32 v11, v20
	v_mov_b32_e32 v17, v18
	v_pk_add_f32 v[22:23], v[16:17], v[24:25] neg_lo:[0,1] neg_hi:[0,1]
	s_nop 0
	v_sub_f32_e32 v9, v16, v22
	v_pk_add_f32 v[10:11], v[10:11], v[22:23] neg_lo:[0,1] neg_hi:[0,1]
	v_sub_f32_e32 v9, v24, v9
	v_add_f32_e32 v9, v10, v9
	v_add_f32_e32 v9, v9, v11
	;; [unrolled: 1-line block ×3, first 2 shown]
	v_cndmask_b32_e32 v53, v9, v30, vcc
.LBB70_27:                              ;   in Loop: Header=BB70_11 Depth=1
	s_or_b64 exec, exec, s[28:29]
	v_cvt_f32_f16_sdwa v9, v14 dst_sel:DWORD dst_unused:UNUSED_PAD src0_sel:WORD_1
	v_add_f32_e32 v54, s33, v9
	v_cmp_ge_f32_e32 vcc, s83, v54
	s_and_b64 s[26:27], s[58:59], vcc
	s_and_saveexec_b64 s[28:29], s[26:27]
	s_cbranch_execz .LBB70_29
; %bb.28:                               ;   in Loop: Header=BB70_11 Depth=1
	v_mul_f32_e32 v9, 0x3fb8aa3b, v54
	v_rndne_f32_e32 v10, v9
	v_sub_f32_e32 v11, v9, v10
	v_fma_f32 v9, v54, s84, -v9
	v_fmac_f32_e32 v9, 0x32a5705f, v54
	v_add_f32_e32 v9, v11, v9
	v_cvt_i32_f32_e32 v10, v10
	v_exp_f32_e32 v9, v9
	v_cmp_ngt_f32_e32 vcc, s85, v54
	v_ldexp_f32 v9, v9, v10
	s_nop 0
	v_cndmask_b32_e32 v9, 0, v9, vcc
	v_cmp_nlt_f32_e32 vcc, s86, v54
	s_nop 1
	v_cndmask_b32_e32 v28, v50, v9, vcc
	v_add_f32_e32 v9, 1.0, v28
	v_add_f32_e32 v10, -1.0, v9
	v_sub_f32_e32 v11, v10, v9
	v_add_f32_e32 v11, 1.0, v11
	v_sub_f32_e32 v10, v28, v10
	v_add_f32_e32 v14, v10, v11
	v_frexp_mant_f32_e32 v16, v9
	v_cvt_f64_f32_e32 v[10:11], v9
	v_frexp_exp_i32_f64_e32 v10, v[10:11]
	v_cmp_gt_f32_e32 vcc, s88, v16
	v_cmp_gt_f32_e64 s[26:27], s90, v28
	s_nop 0
	v_subbrev_co_u32_e32 v22, vcc, 0, v10, vcc
	v_sub_u32_e32 v10, 0, v22
	v_ldexp_f32 v9, v9, v10
	v_ldexp_f32 v10, v14, v10
	v_add_f32_e32 v14, -1.0, v9
	v_add_f32_e32 v11, 1.0, v14
	v_sub_f32_e32 v11, v9, v11
	v_add_f32_e32 v16, v10, v11
	v_add_f32_e32 v11, 1.0, v9
	v_add_f32_e32 v17, -1.0, v11
	v_sub_f32_e32 v9, v9, v17
	v_add_f32_e32 v9, v10, v9
	v_add_f32_e32 v23, v11, v9
	v_rcp_f32_e32 v24, v23
	v_sub_f32_e32 v10, v11, v23
	v_add_f32_e32 v11, v14, v16
	v_add_f32_e32 v9, v9, v10
	v_sub_f32_e32 v10, v14, v11
	v_mul_f32_e32 v25, v11, v24
	v_add_f32_e32 v14, v16, v10
	v_mul_f32_e32 v16, v23, v25
	v_fma_f32 v18, v25, v23, -v16
	v_fmac_f32_e32 v18, v25, v9
	v_add_f32_e32 v10, v16, v18
	v_sub_f32_e32 v17, v11, v10
	v_pk_add_f32 v[20:21], v[10:11], v[16:17] neg_lo:[0,1] neg_hi:[0,1]
	v_mov_b32_e32 v19, v10
	v_pk_add_f32 v[10:11], v[20:21], v[18:19] neg_lo:[0,1] neg_hi:[0,1]
	v_cmp_eq_f32_e32 vcc, s87, v28
	v_add_f32_e32 v11, v14, v11
	v_add_f32_e32 v10, v10, v11
	;; [unrolled: 1-line block ×3, first 2 shown]
	v_mul_f32_e32 v14, v24, v11
	v_mul_f32_e32 v16, v23, v14
	v_fma_f32 v18, v14, v23, -v16
	v_fmac_f32_e32 v18, v14, v9
	v_sub_f32_e32 v9, v17, v11
	v_add_f32_e32 v9, v10, v9
	v_add_f32_e32 v10, v16, v18
	v_sub_f32_e32 v17, v11, v10
	v_pk_add_f32 v[20:21], v[10:11], v[16:17] neg_lo:[0,1] neg_hi:[0,1]
	v_mov_b32_e32 v19, v10
	v_pk_add_f32 v[10:11], v[20:21], v[18:19] neg_lo:[0,1] neg_hi:[0,1]
	s_or_b64 vcc, s[26:27], vcc
	v_add_f32_e32 v9, v9, v11
	v_add_f32_e32 v9, v10, v9
	;; [unrolled: 1-line block ×4, first 2 shown]
	v_sub_f32_e32 v10, v11, v25
	v_mul_f32_e32 v9, v24, v9
	v_sub_f32_e32 v10, v14, v10
	v_add_f32_e32 v14, v10, v9
	v_add_f32_e32 v16, v11, v14
	v_cvt_f32_i32_e32 v10, v22
	v_mul_f32_e32 v18, v16, v16
	v_sub_f32_e32 v11, v16, v11
	v_fmamk_f32 v9, v18, 0x3e9b6dac, v49
	v_sub_f32_e32 v11, v14, v11
	v_fmaak_f32 v9, v18, v9, 0x3f2aaada
	v_ldexp_f32 v14, v11, 1
	v_mul_f32_e32 v11, v16, v18
	v_pk_mul_f32 v[18:19], v[10:11], v[8:9]
	v_ldexp_f32 v17, v16, 1
	v_fma_f32 v16, v10, s89, -v18
	v_fmac_f32_e32 v16, 0xb102e308, v10
	v_pk_add_f32 v[10:11], v[18:19], v[16:17]
	v_mov_b32_e32 v20, v18
	v_sub_f32_e32 v9, v11, v17
	v_sub_f32_e32 v9, v19, v9
	v_add_f32_e32 v21, v14, v9
	v_pk_add_f32 v[18:19], v[10:11], v[18:19] neg_lo:[0,1] neg_hi:[0,1]
	v_pk_add_f32 v[22:23], v[10:11], v[20:21]
	v_mov_b32_e32 v17, v10
	v_mov_b32_e32 v19, v23
	v_pk_add_f32 v[24:25], v[16:17], v[18:19] neg_lo:[0,1] neg_hi:[0,1]
	v_pk_add_f32 v[16:17], v[16:17], v[18:19]
	s_nop 0
	v_mov_b32_e32 v14, v17
	v_pk_add_f32 v[18:19], v[14:15], v[10:11] neg_lo:[0,1] neg_hi:[0,1]
	v_mov_b32_e32 v16, v23
	v_mov_b32_e32 v9, v18
	v_pk_add_f32 v[26:27], v[22:23], v[8:9] neg_lo:[0,1] neg_hi:[0,1]
	v_mov_b32_e32 v22, v11
	v_mov_b32_e32 v23, v18
	;; [unrolled: 1-line block ×3, first 2 shown]
	v_pk_add_f32 v[16:17], v[16:17], v[22:23] neg_lo:[0,1] neg_hi:[0,1]
	v_mov_b32_e32 v18, v21
	v_mov_b32_e32 v19, v10
	v_pk_add_f32 v[10:11], v[18:19], v[16:17] neg_lo:[0,1] neg_hi:[0,1]
	v_mov_b32_e32 v26, v24
	v_pk_add_f32 v[16:17], v[26:27], v[10:11]
	s_nop 0
	v_mov_b32_e32 v18, v17
	v_pk_add_f32 v[18:19], v[16:17], v[18:19]
	s_nop 0
	v_pk_add_f32 v[20:21], v[14:15], v[18:19]
	v_mov_b32_e32 v11, v18
	v_mov_b32_e32 v17, v20
	v_pk_add_f32 v[22:23], v[16:17], v[24:25] neg_lo:[0,1] neg_hi:[0,1]
	s_nop 0
	v_sub_f32_e32 v9, v16, v22
	v_pk_add_f32 v[10:11], v[10:11], v[22:23] neg_lo:[0,1] neg_hi:[0,1]
	v_sub_f32_e32 v9, v24, v9
	v_add_f32_e32 v9, v10, v9
	v_add_f32_e32 v9, v9, v11
	;; [unrolled: 1-line block ×3, first 2 shown]
	v_cndmask_b32_e32 v54, v9, v28, vcc
.LBB70_29:                              ;   in Loop: Header=BB70_11 Depth=1
	s_or_b64 exec, exec, s[28:29]
	v_cvt_f32_f16_e32 v9, v15
	v_add_f32_e32 v11, s33, v9
	v_cmp_ge_f32_e32 vcc, s83, v11
	s_and_b64 s[26:27], s[58:59], vcc
	s_and_saveexec_b64 s[28:29], s[26:27]
	s_cbranch_execz .LBB70_31
; %bb.30:                               ;   in Loop: Header=BB70_11 Depth=1
	v_mul_f32_e32 v9, 0x3fb8aa3b, v11
	v_rndne_f32_e32 v10, v9
	v_sub_f32_e32 v14, v9, v10
	v_fma_f32 v9, v11, s84, -v9
	v_fmac_f32_e32 v9, 0x32a5705f, v11
	v_add_f32_e32 v9, v14, v9
	v_cvt_i32_f32_e32 v10, v10
	v_exp_f32_e32 v9, v9
	v_cmp_ngt_f32_e32 vcc, s85, v11
	v_ldexp_f32 v9, v9, v10
	s_nop 0
	v_cndmask_b32_e32 v9, 0, v9, vcc
	v_cmp_nlt_f32_e32 vcc, s86, v11
	s_nop 1
	v_cndmask_b32_e32 v28, v50, v9, vcc
	v_add_f32_e32 v9, 1.0, v28
	v_add_f32_e32 v10, -1.0, v9
	v_sub_f32_e32 v11, v10, v9
	v_add_f32_e32 v11, 1.0, v11
	v_sub_f32_e32 v10, v28, v10
	v_add_f32_e32 v14, v10, v11
	v_frexp_mant_f32_e32 v16, v9
	v_cvt_f64_f32_e32 v[10:11], v9
	v_frexp_exp_i32_f64_e32 v10, v[10:11]
	v_cmp_gt_f32_e32 vcc, s88, v16
	v_cmp_gt_f32_e64 s[26:27], s90, v28
	s_nop 0
	v_subbrev_co_u32_e32 v22, vcc, 0, v10, vcc
	v_sub_u32_e32 v10, 0, v22
	v_ldexp_f32 v9, v9, v10
	v_ldexp_f32 v10, v14, v10
	v_add_f32_e32 v14, -1.0, v9
	v_add_f32_e32 v11, 1.0, v14
	v_sub_f32_e32 v11, v9, v11
	v_add_f32_e32 v16, v10, v11
	v_add_f32_e32 v11, 1.0, v9
	v_add_f32_e32 v17, -1.0, v11
	v_sub_f32_e32 v9, v9, v17
	v_add_f32_e32 v9, v10, v9
	v_add_f32_e32 v23, v11, v9
	v_rcp_f32_e32 v24, v23
	v_sub_f32_e32 v10, v11, v23
	v_add_f32_e32 v11, v14, v16
	v_add_f32_e32 v9, v9, v10
	v_sub_f32_e32 v10, v14, v11
	v_mul_f32_e32 v25, v11, v24
	v_add_f32_e32 v14, v16, v10
	v_mul_f32_e32 v16, v23, v25
	v_fma_f32 v18, v25, v23, -v16
	v_fmac_f32_e32 v18, v25, v9
	v_add_f32_e32 v10, v16, v18
	v_sub_f32_e32 v17, v11, v10
	v_pk_add_f32 v[20:21], v[10:11], v[16:17] neg_lo:[0,1] neg_hi:[0,1]
	v_mov_b32_e32 v19, v10
	v_pk_add_f32 v[10:11], v[20:21], v[18:19] neg_lo:[0,1] neg_hi:[0,1]
	v_cmp_eq_f32_e32 vcc, s87, v28
	v_add_f32_e32 v11, v14, v11
	v_add_f32_e32 v10, v10, v11
	;; [unrolled: 1-line block ×3, first 2 shown]
	v_mul_f32_e32 v14, v24, v11
	v_mul_f32_e32 v16, v23, v14
	v_fma_f32 v18, v14, v23, -v16
	v_fmac_f32_e32 v18, v14, v9
	v_sub_f32_e32 v9, v17, v11
	v_add_f32_e32 v9, v10, v9
	v_add_f32_e32 v10, v16, v18
	v_sub_f32_e32 v17, v11, v10
	v_pk_add_f32 v[20:21], v[10:11], v[16:17] neg_lo:[0,1] neg_hi:[0,1]
	v_mov_b32_e32 v19, v10
	v_pk_add_f32 v[10:11], v[20:21], v[18:19] neg_lo:[0,1] neg_hi:[0,1]
	s_or_b64 vcc, s[26:27], vcc
	v_add_f32_e32 v9, v9, v11
	v_add_f32_e32 v9, v10, v9
	;; [unrolled: 1-line block ×4, first 2 shown]
	v_sub_f32_e32 v10, v11, v25
	v_mul_f32_e32 v9, v24, v9
	v_sub_f32_e32 v10, v14, v10
	v_add_f32_e32 v14, v10, v9
	v_add_f32_e32 v16, v11, v14
	v_cvt_f32_i32_e32 v10, v22
	v_mul_f32_e32 v18, v16, v16
	v_sub_f32_e32 v11, v16, v11
	v_fmamk_f32 v9, v18, 0x3e9b6dac, v49
	v_sub_f32_e32 v11, v14, v11
	v_fmaak_f32 v9, v18, v9, 0x3f2aaada
	v_ldexp_f32 v14, v11, 1
	v_mul_f32_e32 v11, v16, v18
	v_pk_mul_f32 v[18:19], v[10:11], v[8:9]
	v_ldexp_f32 v17, v16, 1
	v_fma_f32 v16, v10, s89, -v18
	v_fmac_f32_e32 v16, 0xb102e308, v10
	v_pk_add_f32 v[10:11], v[18:19], v[16:17]
	v_mov_b32_e32 v20, v18
	v_sub_f32_e32 v9, v11, v17
	v_sub_f32_e32 v9, v19, v9
	v_add_f32_e32 v21, v14, v9
	v_pk_add_f32 v[18:19], v[10:11], v[18:19] neg_lo:[0,1] neg_hi:[0,1]
	v_pk_add_f32 v[22:23], v[10:11], v[20:21]
	v_mov_b32_e32 v17, v10
	v_mov_b32_e32 v19, v23
	v_pk_add_f32 v[24:25], v[16:17], v[18:19] neg_lo:[0,1] neg_hi:[0,1]
	v_pk_add_f32 v[16:17], v[16:17], v[18:19]
	s_nop 0
	v_mov_b32_e32 v14, v17
	v_pk_add_f32 v[18:19], v[14:15], v[10:11] neg_lo:[0,1] neg_hi:[0,1]
	v_mov_b32_e32 v16, v23
	v_mov_b32_e32 v9, v18
	v_pk_add_f32 v[26:27], v[22:23], v[8:9] neg_lo:[0,1] neg_hi:[0,1]
	v_mov_b32_e32 v22, v11
	v_mov_b32_e32 v23, v18
	;; [unrolled: 1-line block ×3, first 2 shown]
	v_pk_add_f32 v[16:17], v[16:17], v[22:23] neg_lo:[0,1] neg_hi:[0,1]
	v_mov_b32_e32 v18, v21
	v_mov_b32_e32 v19, v10
	v_pk_add_f32 v[10:11], v[18:19], v[16:17] neg_lo:[0,1] neg_hi:[0,1]
	v_mov_b32_e32 v26, v24
	v_pk_add_f32 v[16:17], v[26:27], v[10:11]
	s_nop 0
	v_mov_b32_e32 v18, v17
	v_pk_add_f32 v[18:19], v[16:17], v[18:19]
	s_nop 0
	v_pk_add_f32 v[20:21], v[14:15], v[18:19]
	v_mov_b32_e32 v11, v18
	v_mov_b32_e32 v17, v20
	v_pk_add_f32 v[22:23], v[16:17], v[24:25] neg_lo:[0,1] neg_hi:[0,1]
	s_nop 0
	v_sub_f32_e32 v9, v16, v22
	v_pk_add_f32 v[10:11], v[10:11], v[22:23] neg_lo:[0,1] neg_hi:[0,1]
	v_sub_f32_e32 v9, v24, v9
	v_add_f32_e32 v9, v10, v9
	v_add_f32_e32 v9, v9, v11
	;; [unrolled: 1-line block ×3, first 2 shown]
	v_cndmask_b32_e32 v11, v9, v28, vcc
.LBB70_31:                              ;   in Loop: Header=BB70_11 Depth=1
	s_or_b64 exec, exec, s[28:29]
	v_cvt_f32_f16_sdwa v9, v15 dst_sel:DWORD dst_unused:UNUSED_PAD src0_sel:WORD_1
	v_add_f32_e32 v10, s33, v9
	v_cmp_ge_f32_e32 vcc, s83, v10
	s_and_b64 s[26:27], s[58:59], vcc
	s_and_saveexec_b64 s[28:29], s[26:27]
	s_cbranch_execz .LBB70_33
; %bb.32:                               ;   in Loop: Header=BB70_11 Depth=1
	v_mul_f32_e32 v9, 0x3fb8aa3b, v10
	v_rndne_f32_e32 v14, v9
	v_sub_f32_e32 v15, v9, v14
	v_fma_f32 v9, v10, s84, -v9
	v_fmac_f32_e32 v9, 0x32a5705f, v10
	v_add_f32_e32 v9, v15, v9
	v_cvt_i32_f32_e32 v14, v14
	v_exp_f32_e32 v9, v9
	v_cmp_ngt_f32_e32 vcc, s85, v10
	v_ldexp_f32 v9, v9, v14
	s_nop 0
	v_cndmask_b32_e32 v9, 0, v9, vcc
	v_cmp_nlt_f32_e32 vcc, s86, v10
	s_nop 1
	v_cndmask_b32_e32 v28, v50, v9, vcc
	v_add_f32_e32 v9, 1.0, v28
	v_add_f32_e32 v10, -1.0, v9
	v_sub_f32_e32 v14, v10, v9
	v_add_f32_e32 v14, 1.0, v14
	v_sub_f32_e32 v10, v28, v10
	v_add_f32_e32 v10, v10, v14
	v_frexp_mant_f32_e32 v16, v9
	v_cvt_f64_f32_e32 v[14:15], v9
	v_frexp_exp_i32_f64_e32 v14, v[14:15]
	v_cmp_gt_f32_e32 vcc, s88, v16
	v_cmp_gt_f32_e64 s[26:27], s90, v28
	s_nop 0
	v_subbrev_co_u32_e32 v22, vcc, 0, v14, vcc
	v_sub_u32_e32 v14, 0, v22
	v_ldexp_f32 v9, v9, v14
	v_ldexp_f32 v10, v10, v14
	v_add_f32_e32 v14, -1.0, v9
	v_add_f32_e32 v15, 1.0, v14
	v_sub_f32_e32 v15, v9, v15
	v_add_f32_e32 v16, v10, v15
	v_add_f32_e32 v15, 1.0, v9
	v_add_f32_e32 v17, -1.0, v15
	v_sub_f32_e32 v9, v9, v17
	v_add_f32_e32 v9, v10, v9
	v_add_f32_e32 v10, v15, v9
	v_rcp_f32_e32 v23, v10
	v_sub_f32_e32 v15, v15, v10
	v_add_f32_e32 v9, v9, v15
	v_add_f32_e32 v15, v14, v16
	v_sub_f32_e32 v14, v14, v15
	v_mul_f32_e32 v25, v15, v23
	v_add_f32_e32 v24, v16, v14
	v_mul_f32_e32 v16, v10, v25
	v_fma_f32 v18, v25, v10, -v16
	v_fmac_f32_e32 v18, v25, v9
	v_add_f32_e32 v14, v16, v18
	v_sub_f32_e32 v17, v15, v14
	v_pk_add_f32 v[20:21], v[14:15], v[16:17] neg_lo:[0,1] neg_hi:[0,1]
	v_mov_b32_e32 v19, v14
	v_pk_add_f32 v[14:15], v[20:21], v[18:19] neg_lo:[0,1] neg_hi:[0,1]
	v_cmp_eq_f32_e32 vcc, s87, v28
	v_add_f32_e32 v15, v24, v15
	v_add_f32_e32 v14, v14, v15
	;; [unrolled: 1-line block ×3, first 2 shown]
	v_mul_f32_e32 v24, v23, v15
	v_mul_f32_e32 v16, v10, v24
	v_fma_f32 v18, v24, v10, -v16
	v_fmac_f32_e32 v18, v24, v9
	v_sub_f32_e32 v9, v17, v15
	v_add_f32_e32 v9, v14, v9
	v_add_f32_e32 v14, v16, v18
	v_sub_f32_e32 v17, v15, v14
	v_pk_add_f32 v[20:21], v[14:15], v[16:17] neg_lo:[0,1] neg_hi:[0,1]
	v_mov_b32_e32 v19, v14
	v_pk_add_f32 v[14:15], v[20:21], v[18:19] neg_lo:[0,1] neg_hi:[0,1]
	v_add_f32_e32 v10, v25, v24
	v_add_f32_e32 v9, v9, v15
	;; [unrolled: 1-line block ×4, first 2 shown]
	v_sub_f32_e32 v14, v10, v25
	v_mul_f32_e32 v9, v23, v9
	v_sub_f32_e32 v14, v24, v14
	v_add_f32_e32 v15, v14, v9
	v_add_f32_e32 v16, v10, v15
	v_cvt_f32_i32_e32 v14, v22
	v_mul_f32_e32 v18, v16, v16
	v_fmamk_f32 v9, v18, 0x3e9b6dac, v49
	v_sub_f32_e32 v10, v16, v10
	v_fmaak_f32 v9, v18, v9, 0x3f2aaada
	v_sub_f32_e32 v10, v15, v10
	v_mul_f32_e32 v15, v16, v18
	v_pk_mul_f32 v[18:19], v[14:15], v[8:9]
	v_ldexp_f32 v17, v16, 1
	v_fma_f32 v16, v14, s89, -v18
	v_fmac_f32_e32 v16, 0xb102e308, v14
	v_pk_add_f32 v[14:15], v[18:19], v[16:17]
	v_ldexp_f32 v10, v10, 1
	v_sub_f32_e32 v9, v15, v17
	v_sub_f32_e32 v9, v19, v9
	v_add_f32_e32 v21, v10, v9
	v_mov_b32_e32 v20, v18
	v_pk_add_f32 v[18:19], v[14:15], v[18:19] neg_lo:[0,1] neg_hi:[0,1]
	v_pk_add_f32 v[22:23], v[14:15], v[20:21]
	v_mov_b32_e32 v17, v14
	v_mov_b32_e32 v19, v23
	v_pk_add_f32 v[24:25], v[16:17], v[18:19] neg_lo:[0,1] neg_hi:[0,1]
	v_pk_add_f32 v[16:17], v[16:17], v[18:19]
	s_or_b64 vcc, s[26:27], vcc
	v_mov_b32_e32 v10, v17
	v_pk_add_f32 v[18:19], v[10:11], v[14:15] neg_lo:[0,1] neg_hi:[0,1]
	v_mov_b32_e32 v16, v23
	v_mov_b32_e32 v9, v18
	v_pk_add_f32 v[26:27], v[22:23], v[8:9] neg_lo:[0,1] neg_hi:[0,1]
	v_mov_b32_e32 v22, v15
	v_mov_b32_e32 v23, v18
	v_mov_b32_e32 v25, v17
	v_pk_add_f32 v[16:17], v[16:17], v[22:23] neg_lo:[0,1] neg_hi:[0,1]
	v_mov_b32_e32 v18, v21
	v_mov_b32_e32 v19, v14
	v_pk_add_f32 v[14:15], v[18:19], v[16:17] neg_lo:[0,1] neg_hi:[0,1]
	v_mov_b32_e32 v26, v24
	v_pk_add_f32 v[16:17], v[26:27], v[14:15]
	s_nop 0
	v_mov_b32_e32 v18, v17
	v_pk_add_f32 v[18:19], v[16:17], v[18:19]
	s_nop 0
	v_pk_add_f32 v[20:21], v[10:11], v[18:19]
	v_mov_b32_e32 v15, v18
	v_mov_b32_e32 v17, v20
	v_pk_add_f32 v[22:23], v[16:17], v[24:25] neg_lo:[0,1] neg_hi:[0,1]
	s_nop 0
	v_sub_f32_e32 v9, v16, v22
	v_pk_add_f32 v[14:15], v[14:15], v[22:23] neg_lo:[0,1] neg_hi:[0,1]
	v_sub_f32_e32 v9, v24, v9
	v_add_f32_e32 v9, v14, v9
	v_add_f32_e32 v9, v9, v15
	;; [unrolled: 1-line block ×3, first 2 shown]
	v_cndmask_b32_e32 v10, v9, v28, vcc
.LBB70_33:                              ;   in Loop: Header=BB70_11 Depth=1
	s_or_b64 exec, exec, s[28:29]
	v_cvt_f32_f16_e32 v20, v13
	v_cvt_f32_f16_sdwa v21, v12 dst_sel:DWORD dst_unused:UNUSED_PAD src0_sel:WORD_1
	v_cvt_f32_f16_e32 v22, v12
	v_cvt_f32_f16_sdwa v9, v13 dst_sel:DWORD dst_unused:UNUSED_PAD src0_sel:WORD_1
	v_mul_f32_e32 v14, s78, v20
	v_mul_f32_e32 v13, s78, v21
	;; [unrolled: 1-line block ×4, first 2 shown]
	s_and_b64 vcc, exec, s[60:61]
	s_waitcnt lgkmcnt(0)
	; wave barrier
	s_cbranch_vccz .LBB70_75
; %bb.34:                               ;   in Loop: Header=BB70_11 Depth=1
	s_cmp_lg_u32 s93, 0
	s_cselect_b64 s[66:67], -1, 0
	s_cmp_eq_u32 s93, s82
	v_cmp_gt_u32_e32 vcc, s34, v7
	s_cselect_b64 s[68:69], -1, 0
	s_or_b64 s[26:27], s[62:63], vcc
	v_cmp_gt_u32_e32 vcc, s34, v6
	s_mov_b32 s54, 0
	v_cmp_gt_u32_e64 s[28:29], s34, v3
	s_or_b64 s[30:31], s[62:63], vcc
	v_cmp_gt_u32_e32 vcc, s34, v48
	v_mul_f32_e32 v9, v10, v9
	v_lshl_add_u64 v[16:17], s[42:43], 0, v[0:1]
	v_lshl_add_u64 v[18:19], s[46:47], 0, v[0:1]
	v_mul_f32_e32 v55, v11, v20
	v_mul_f32_e32 v56, v54, v21
	;; [unrolled: 1-line block ×3, first 2 shown]
	s_or_b64 s[28:29], s[62:63], s[28:29]
	s_or_b64 s[34:35], s[62:63], vcc
	s_mov_b32 s70, s54
	s_mov_b32 s72, s54
	;; [unrolled: 1-line block ×5, first 2 shown]
	s_branch .LBB70_36
.LBB70_35:                              ;   in Loop: Header=BB70_36 Depth=2
	s_or_b64 exec, exec, s[36:37]
	v_mul_f32_e32 v22, v29, v28
	v_fma_f32 v23, v29, v31, v24
	v_cndmask_b32_e64 v24, v23, v24, s[16:17]
	v_cndmask_b32_e64 v22, v22, v29, s[16:17]
	s_waitcnt lgkmcnt(0)
	v_fmac_f32_e32 v24, v34, v22
	v_fmac_f32_e32 v25, v24, v27
	v_cvt_f32_f16_sdwa v23, v21 dst_sel:DWORD dst_unused:UNUSED_PAD src0_sel:WORD_1
	v_cvt_f32_f16_e32 v22, v21
	v_cvt_f32_f16_sdwa v21, v20 dst_sel:DWORD dst_unused:UNUSED_PAD src0_sel:WORD_1
	v_cvt_f32_f16_e32 v20, v20
	v_fmac_f32_e32 v26, v25, v33
	v_fmac_f32_e32 v30, v26, v32
	v_mov_b32_e32 v27, v30
	s_add_i32 s94, s94, 8
	s_add_i32 s65, s65, -1
	s_add_i32 s74, s74, s38
	s_add_i32 s72, s72, s48
	;; [unrolled: 1-line block ×4, first 2 shown]
	v_pk_fma_f32 v[14:15], v[26:27], v[22:23], v[14:15]
	s_cmp_eq_u32 s65, 0
	v_pk_fma_f32 v[12:13], v[24:25], v[20:21], v[12:13]
	s_cbranch_scc1 .LBB70_75
.LBB70_36:                              ;   Parent Loop BB70_11 Depth=1
                                        ; =>  This Inner Loop Header: Depth=2
	s_lshl_b64 s[36:37], s[54:55], 2
	s_add_u32 s36, s40, s36
	s_addc_u32 s37, s80, s37
	global_load_dword v26, v1, s[36:37]
	s_mov_b32 s71, s55
	v_lshl_add_u64 v[20:21], s[70:71], 1, v[16:17]
	v_mov_b32_e32 v22, 0
	v_mov_b32_e32 v23, 0
	s_and_saveexec_b64 s[36:37], s[18:19]
	s_cbranch_execnz .LBB70_48
; %bb.37:                               ;   in Loop: Header=BB70_36 Depth=2
	s_or_b64 exec, exec, s[36:37]
	s_and_saveexec_b64 s[36:37], s[20:21]
	s_cbranch_execnz .LBB70_49
.LBB70_38:                              ;   in Loop: Header=BB70_36 Depth=2
	s_or_b64 exec, exec, s[36:37]
	v_mov_b32_e32 v24, 0
	s_and_saveexec_b64 s[36:37], s[22:23]
	s_cbranch_execnz .LBB70_50
.LBB70_39:                              ;   in Loop: Header=BB70_36 Depth=2
	s_or_b64 exec, exec, s[36:37]
	s_and_saveexec_b64 s[36:37], s[24:25]
	s_cbranch_execz .LBB70_41
.LBB70_40:                              ;   in Loop: Header=BB70_36 Depth=2
	global_load_ushort v20, v[20:21], off offset:384
	s_waitcnt vmcnt(0)
	v_lshl_or_b32 v24, v20, 16, v24
.LBB70_41:                              ;   in Loop: Header=BB70_36 Depth=2
	s_or_b64 exec, exec, s[36:37]
	s_waitcnt vmcnt(0)
	ds_write_b16 v39, v23
	ds_write_b16 v40, v22 offset:128
	ds_write_b16 v41, v24 offset:256
	ds_write_b16_d16_hi v42, v24 offset:384
	; wave barrier
	ds_read_b64 v[24:25], v43
	s_mov_b32 s73, s55
	v_lshl_add_u64 v[20:21], s[72:73], 1, v[18:19]
	v_mov_b32_e32 v22, 0
	v_mov_b32_e32 v23, 0
	s_and_saveexec_b64 s[36:37], s[18:19]
	s_cbranch_execnz .LBB70_51
; %bb.42:                               ;   in Loop: Header=BB70_36 Depth=2
	s_or_b64 exec, exec, s[36:37]
	s_and_saveexec_b64 s[36:37], s[20:21]
	s_cbranch_execnz .LBB70_52
.LBB70_43:                              ;   in Loop: Header=BB70_36 Depth=2
	s_or_b64 exec, exec, s[36:37]
	v_mov_b32_e32 v27, 0
	s_and_saveexec_b64 s[36:37], s[22:23]
	s_cbranch_execnz .LBB70_53
.LBB70_44:                              ;   in Loop: Header=BB70_36 Depth=2
	s_or_b64 exec, exec, s[36:37]
	s_and_saveexec_b64 s[36:37], s[24:25]
	s_cbranch_execz .LBB70_46
.LBB70_45:                              ;   in Loop: Header=BB70_36 Depth=2
	global_load_ushort v20, v[20:21], off offset:384
	s_waitcnt vmcnt(0)
	v_lshl_or_b32 v27, v20, 16, v27
.LBB70_46:                              ;   in Loop: Header=BB70_36 Depth=2
	s_or_b64 exec, exec, s[36:37]
	s_waitcnt vmcnt(0)
	ds_write_b16 v39, v23 offset:528
	ds_write_b16 v44, v22 offset:128
	;; [unrolled: 1-line block ×3, first 2 shown]
	ds_write_b16_d16_hi v46, v27 offset:384
	; wave barrier
	ds_read_b64 v[20:21], v43 offset:528
	s_andn2_b64 vcc, exec, s[66:67]
	s_cbranch_vccnz .LBB70_54
; %bb.47:                               ;   in Loop: Header=BB70_36 Depth=2
	v_mov_b32_e32 v22, s94
	ds_read_b64 v[22:23], v22
	s_cbranch_execz .LBB70_55
	s_branch .LBB70_58
.LBB70_48:                              ;   in Loop: Header=BB70_36 Depth=2
	global_load_ushort v23, v[20:21], off
	s_or_b64 exec, exec, s[36:37]
	s_and_saveexec_b64 s[36:37], s[20:21]
	s_cbranch_execz .LBB70_38
.LBB70_49:                              ;   in Loop: Header=BB70_36 Depth=2
	global_load_ushort v22, v[20:21], off offset:128
	s_or_b64 exec, exec, s[36:37]
	v_mov_b32_e32 v24, 0
	s_and_saveexec_b64 s[36:37], s[22:23]
	s_cbranch_execz .LBB70_39
.LBB70_50:                              ;   in Loop: Header=BB70_36 Depth=2
	global_load_ushort v24, v[20:21], off offset:256
	s_or_b64 exec, exec, s[36:37]
	s_and_saveexec_b64 s[36:37], s[24:25]
	s_cbranch_execnz .LBB70_40
	s_branch .LBB70_41
.LBB70_51:                              ;   in Loop: Header=BB70_36 Depth=2
	global_load_ushort v23, v[20:21], off
	s_or_b64 exec, exec, s[36:37]
	s_and_saveexec_b64 s[36:37], s[20:21]
	s_cbranch_execz .LBB70_43
.LBB70_52:                              ;   in Loop: Header=BB70_36 Depth=2
	global_load_ushort v22, v[20:21], off offset:128
	s_or_b64 exec, exec, s[36:37]
	v_mov_b32_e32 v27, 0
	s_and_saveexec_b64 s[36:37], s[22:23]
	s_cbranch_execz .LBB70_44
.LBB70_53:                              ;   in Loop: Header=BB70_36 Depth=2
	global_load_ushort v27, v[20:21], off offset:256
	s_or_b64 exec, exec, s[36:37]
	s_and_saveexec_b64 s[36:37], s[24:25]
	s_cbranch_execnz .LBB70_45
	s_branch .LBB70_46
.LBB70_54:                              ;   in Loop: Header=BB70_36 Depth=2
                                        ; implicit-def: $vgpr23
.LBB70_55:                              ;   in Loop: Header=BB70_36 Depth=2
	s_andn2_b64 vcc, exec, s[52:53]
	s_waitcnt lgkmcnt(0)
	v_mov_b32_e32 v23, 0
	s_cbranch_vccnz .LBB70_57
; %bb.56:                               ;   in Loop: Header=BB70_36 Depth=2
	s_mov_b32 s75, s55
	s_lshl_b64 s[36:37], s[74:75], 1
	s_add_u32 s36, s45, s36
	s_addc_u32 s37, s49, s37
	global_load_ushort v22, v1, s[36:37]
	s_waitcnt vmcnt(0)
	v_cvt_f32_f16_e32 v23, v22
.LBB70_57:                              ;   in Loop: Header=BB70_36 Depth=2
	v_mov_b32_e32 v22, 1.0
.LBB70_58:                              ;   in Loop: Header=BB70_36 Depth=2
	v_mul_f32_e32 v26, 0x3fb8aa3b, v26
	s_waitcnt lgkmcnt(5)
	v_cvt_f32_f16_e32 v27, v24
	v_cvt_f32_f16_sdwa v28, v24 dst_sel:DWORD dst_unused:UNUSED_PAD src0_sel:WORD_1
	v_mul_f32_e32 v24, v26, v53
	v_cmp_gt_f32_e32 vcc, s92, v24
	v_cvt_f32_f16_e32 v32, v25
	v_cvt_f32_f16_sdwa v33, v25 dst_sel:DWORD dst_unused:UNUSED_PAD src0_sel:WORD_1
	v_cndmask_b32_e32 v24, 0, v51, vcc
	v_fmac_f32_e32 v24, v26, v53
	v_exp_f32_e32 v24, v24
	v_cndmask_b32_e32 v25, 1.0, v52, vcc
	v_mul_f32_e32 v25, v24, v25
	v_mul_f32_e32 v24, v57, v27
	;; [unrolled: 1-line block ×3, first 2 shown]
	v_cmp_gt_f32_e32 vcc, s92, v27
	v_cndmask_b32_e64 v29, 1.0, v25, s[26:27]
	v_cndmask_b32_e64 v24, 0, v24, s[26:27]
	v_cndmask_b32_e32 v27, 0, v51, vcc
	v_fmac_f32_e32 v27, v26, v54
	v_exp_f32_e32 v27, v27
	v_cndmask_b32_e32 v25, 1.0, v52, vcc
	v_mul_f32_e32 v27, v27, v25
	v_pk_mul_f32 v[30:31], v[26:27], v[10:11] op_sel_hi:[0,1]
	v_cmp_gt_f32_e32 vcc, s92, v30
	v_mul_f32_e32 v25, v56, v28
	v_cmp_gt_f32_e64 s[36:37], s92, v31
	v_cndmask_b32_e32 v28, 0, v51, vcc
	v_add_f32_e32 v28, v30, v28
	v_cndmask_b32_e64 v30, 0, v51, s[36:37]
	v_exp_f32_e32 v28, v28
	v_add_f32_e32 v30, v31, v30
	v_exp_f32_e32 v30, v30
	v_cndmask_b32_e32 v31, 1.0, v52, vcc
	v_mul_f32_e32 v28, v28, v31
	v_cndmask_b32_e64 v31, 1.0, v52, s[36:37]
	v_cndmask_b32_e64 v25, 0, v25, s[28:29]
	v_cndmask_b32_e64 v27, 1.0, v27, s[28:29]
	v_mul_f32_e32 v31, v30, v31
	v_mul_f32_e32 v26, v55, v32
	;; [unrolled: 1-line block ×3, first 2 shown]
	v_cndmask_b32_e64 v33, 1.0, v31, s[30:31]
	v_cndmask_b32_e64 v32, 1.0, v28, s[34:35]
	v_fma_f32 v28, v27, v24, v25
	v_cndmask_b32_e64 v26, 0, v26, s[30:31]
	v_mul_f32_e32 v28, v28, v33
	v_pk_add_f32 v[34:35], v[28:29], v[26:27]
	v_pk_mul_f32 v[58:59], v[28:29], v[26:27]
	v_cndmask_b32_e64 v30, 0, v30, s[34:35]
	v_mov_b32_e32 v35, v59
	v_pk_mul_f32 v[58:59], v[34:35], v[32:33]
	v_mov_b32_e32 v31, v32
	v_pk_fma_f32 v[60:61], v[34:35], v[32:33], v[30:31]
	v_pk_mul_f32 v[58:59], v[58:59], v[30:31]
	s_nop 0
	v_mov_b32_dpp v31, v60 row_shr:1 row_mask:0xf bank_mask:0xf
	v_mov_b32_dpp v28, v59 row_shr:1 row_mask:0xf bank_mask:0xf
	v_mul_f32_e32 v58, v59, v28
	v_fma_f32 v28, v59, v31, v60
	v_cndmask_b32_e64 v35, v28, v60, s[0:1]
	v_cndmask_b32_e64 v28, v28, v60, s[0:1]
	;; [unrolled: 1-line block ×4, first 2 shown]
	v_mov_b32_dpp v59, v28 row_shr:2 row_mask:0xf bank_mask:0xf
	v_mov_b32_dpp v58, v31 row_shr:2 row_mask:0xf bank_mask:0xf
	s_and_saveexec_b64 s[36:37], s[2:3]
; %bb.59:                               ;   in Loop: Header=BB70_36 Depth=2
	v_fmac_f32_e32 v28, v31, v59
	v_mul_f32_e32 v31, v31, v58
	v_mov_b32_e32 v34, v31
	v_mov_b32_e32 v35, v28
; %bb.60:                               ;   in Loop: Header=BB70_36 Depth=2
	s_or_b64 exec, exec, s[36:37]
	v_mov_b32_dpp v58, v31 row_shr:4 row_mask:0xf bank_mask:0xf
	v_mov_b32_dpp v59, v28 row_shr:4 row_mask:0xf bank_mask:0xf
	s_and_saveexec_b64 s[36:37], s[4:5]
; %bb.61:                               ;   in Loop: Header=BB70_36 Depth=2
	v_fmac_f32_e32 v28, v31, v59
	v_mul_f32_e32 v31, v31, v58
	v_mov_b32_e32 v34, v31
	v_mov_b32_e32 v35, v28
; %bb.62:                               ;   in Loop: Header=BB70_36 Depth=2
	s_or_b64 exec, exec, s[36:37]
	;; [unrolled: 10-line block ×3, first 2 shown]
	v_mov_b32_dpp v58, v31 row_bcast:15 row_mask:0xf bank_mask:0xf
	v_mov_b32_dpp v59, v28 row_bcast:15 row_mask:0xf bank_mask:0xf
	s_and_saveexec_b64 s[36:37], s[8:9]
; %bb.65:                               ;   in Loop: Header=BB70_36 Depth=2
	v_fmac_f32_e32 v28, v31, v59
	v_mul_f32_e32 v31, v31, v58
	v_mov_b32_e32 v34, v31
	v_mov_b32_e32 v35, v28
; %bb.66:                               ;   in Loop: Header=BB70_36 Depth=2
	s_or_b64 exec, exec, s[36:37]
	v_mov_b32_dpp v58, v31 row_bcast:31 row_mask:0xf bank_mask:0xf
	v_mov_b32_dpp v59, v28 row_bcast:31 row_mask:0xf bank_mask:0xf
	v_mul_f32_e32 v58, v31, v58
	v_fmac_f32_e32 v28, v31, v59
	v_cndmask_b32_e64 v34, v34, v58, s[10:11]
	v_cndmask_b32_e64 v35, v35, v28, s[10:11]
	s_and_saveexec_b64 s[36:37], s[12:13]
	s_cbranch_execz .LBB70_68
; %bb.67:                               ;   in Loop: Header=BB70_36 Depth=2
	ds_write_b64 v1, v[34:35] offset:1056
.LBB70_68:                              ;   in Loop: Header=BB70_36 Depth=2
	s_or_b64 exec, exec, s[36:37]
	ds_bpermute_b32 v28, v47, v34
	ds_bpermute_b32 v31, v47, v35
	s_waitcnt lgkmcnt(2)
	v_mov_b32_e32 v35, v23
	s_waitcnt lgkmcnt(0)
	; wave barrier
	s_waitcnt lgkmcnt(0)
	s_and_saveexec_b64 s[36:37], s[14:15]
	s_cbranch_execz .LBB70_72
; %bb.69:                               ;   in Loop: Header=BB70_36 Depth=2
	ds_read_b64 v[34:35], v1 offset:1056
	s_and_saveexec_b64 s[76:77], s[16:17]
	s_cbranch_execz .LBB70_71
; %bb.70:                               ;   in Loop: Header=BB70_36 Depth=2
	ds_write_b64 v1, v[22:23] offset:1056
.LBB70_71:                              ;   in Loop: Header=BB70_36 Depth=2
	s_or_b64 exec, exec, s[76:77]
	s_waitcnt lgkmcnt(0)
	v_fmac_f32_e32 v35, v23, v34
	v_mul_f32_e32 v22, v22, v34
	v_mov_b32_e32 v23, v35
.LBB70_72:                              ;   in Loop: Header=BB70_36 Depth=2
	s_or_b64 exec, exec, s[36:37]
	s_waitcnt lgkmcnt(0)
	; wave barrier
	ds_read_b32 v34, v1 offset:1060
	s_and_saveexec_b64 s[36:37], s[16:17]
	s_cbranch_execz .LBB70_35
; %bb.73:                               ;   in Loop: Header=BB70_36 Depth=2
	v_mov_b32_e32 v58, s94
	s_andn2_b64 vcc, exec, s[68:69]
	ds_write_b64 v58, v[22:23]
	s_cbranch_vccnz .LBB70_35
; %bb.74:                               ;   in Loop: Header=BB70_36 Depth=2
	s_mov_b32 s75, s55
	v_cvt_f16_f32_e32 v22, v35
	s_lshl_b64 s[76:77], s[74:75], 1
	s_add_u32 s76, s45, s76
	s_addc_u32 s77, s49, s77
	global_store_short v1, v22, s[76:77]
	s_branch .LBB70_35
.LBB70_75:                              ;   in Loop: Header=BB70_11 Depth=1
	v_cvt_f16_f32_e32 v9, v15
	v_cvt_f16_f32_e32 v10, v14
	v_cvt_f16_f32_e32 v13, v13
	v_cvt_f16_f32_e32 v12, v12
	v_pack_b32_f16 v11, v10, v9
	; wave barrier
	v_pack_b32_f16 v10, v12, v13
	ds_write_b64 v43, v[10:11]
	; wave barrier
	ds_read_u16 v13, v40 offset:128
	ds_read_u16 v12, v41 offset:256
	;; [unrolled: 1-line block ×3, first 2 shown]
	s_mov_b32 s65, s55
	v_lshl_add_u64 v[10:11], s[64:65], 1, v[4:5]
	s_and_saveexec_b64 s[26:27], s[18:19]
	s_cbranch_execnz .LBB70_81
; %bb.76:                               ;   in Loop: Header=BB70_11 Depth=1
	s_or_b64 exec, exec, s[26:27]
	s_and_saveexec_b64 s[18:19], s[20:21]
	s_cbranch_execnz .LBB70_82
.LBB70_77:                              ;   in Loop: Header=BB70_11 Depth=1
	s_or_b64 exec, exec, s[18:19]
	s_and_saveexec_b64 s[18:19], s[22:23]
	s_cbranch_execnz .LBB70_83
.LBB70_78:                              ;   in Loop: Header=BB70_11 Depth=1
	s_or_b64 exec, exec, s[18:19]
	s_and_saveexec_b64 s[18:19], s[24:25]
	s_cbranch_execz .LBB70_10
	s_branch .LBB70_84
.LBB70_79:                              ;   in Loop: Header=BB70_11 Depth=1
	global_load_ushort v15, v[10:11], off offset:128
	s_or_b64 exec, exec, s[26:27]
	s_and_saveexec_b64 s[26:27], s[22:23]
	s_cbranch_execz .LBB70_23
.LBB70_80:                              ;   in Loop: Header=BB70_11 Depth=1
	global_load_ushort v14, v[10:11], off offset:256
	s_or_b64 exec, exec, s[26:27]
	v_mov_b32_e32 v16, 0
	s_and_saveexec_b64 s[26:27], s[24:25]
	s_cbranch_execnz .LBB70_24
	s_branch .LBB70_25
.LBB70_81:                              ;   in Loop: Header=BB70_11 Depth=1
	ds_read_u16 v14, v39
	s_waitcnt lgkmcnt(0)
	global_store_short v[10:11], v14, off
	s_or_b64 exec, exec, s[26:27]
	s_and_saveexec_b64 s[18:19], s[20:21]
	s_cbranch_execz .LBB70_77
.LBB70_82:                              ;   in Loop: Header=BB70_11 Depth=1
	s_waitcnt lgkmcnt(2)
	global_store_short v[10:11], v13, off offset:128
	s_or_b64 exec, exec, s[18:19]
	s_and_saveexec_b64 s[18:19], s[22:23]
	s_cbranch_execz .LBB70_78
.LBB70_83:                              ;   in Loop: Header=BB70_11 Depth=1
	s_waitcnt lgkmcnt(1)
	global_store_short v[10:11], v12, off offset:256
	s_or_b64 exec, exec, s[18:19]
	s_and_saveexec_b64 s[18:19], s[24:25]
	s_cbranch_execz .LBB70_10
.LBB70_84:                              ;   in Loop: Header=BB70_11 Depth=1
	s_waitcnt lgkmcnt(0)
	global_store_short v[10:11], v9, off offset:384
	s_branch .LBB70_10
.LBB70_85:
	s_endpgm
.LBB70_86:
	s_mov_b64 s[52:53], 0
	s_load_dwordx2 s[4:5], s[0:1], 0x20
	s_cmp_eq_u64 s[6:7], 0
	s_cbranch_scc0 .LBB70_2
	s_branch .LBB70_3
	.section	.rodata,"a",@progbits
	.p2align	6, 0x0
	.amdhsa_kernel _Z25selective_scan_fwd_kernelI32Selective_Scan_fwd_kernel_traitsILi64ELi4ELi1ELb0ELb1ELb1ELb0ELb1EN3c104HalfEfS2_EEv13SSMParamsBase
		.amdhsa_group_segment_fixed_size 0
		.amdhsa_private_segment_fixed_size 0
		.amdhsa_kernarg_size 248
		.amdhsa_user_sgpr_count 2
		.amdhsa_user_sgpr_dispatch_ptr 0
		.amdhsa_user_sgpr_queue_ptr 0
		.amdhsa_user_sgpr_kernarg_segment_ptr 1
		.amdhsa_user_sgpr_dispatch_id 0
		.amdhsa_user_sgpr_kernarg_preload_length 0
		.amdhsa_user_sgpr_kernarg_preload_offset 0
		.amdhsa_user_sgpr_private_segment_size 0
		.amdhsa_uses_dynamic_stack 0
		.amdhsa_enable_private_segment 0
		.amdhsa_system_sgpr_workgroup_id_x 1
		.amdhsa_system_sgpr_workgroup_id_y 1
		.amdhsa_system_sgpr_workgroup_id_z 0
		.amdhsa_system_sgpr_workgroup_info 0
		.amdhsa_system_vgpr_workitem_id 0
		.amdhsa_next_free_vgpr 62
		.amdhsa_next_free_sgpr 95
		.amdhsa_accum_offset 64
		.amdhsa_reserve_vcc 1
		.amdhsa_float_round_mode_32 0
		.amdhsa_float_round_mode_16_64 0
		.amdhsa_float_denorm_mode_32 3
		.amdhsa_float_denorm_mode_16_64 3
		.amdhsa_dx10_clamp 1
		.amdhsa_ieee_mode 1
		.amdhsa_fp16_overflow 0
		.amdhsa_tg_split 0
		.amdhsa_exception_fp_ieee_invalid_op 0
		.amdhsa_exception_fp_denorm_src 0
		.amdhsa_exception_fp_ieee_div_zero 0
		.amdhsa_exception_fp_ieee_overflow 0
		.amdhsa_exception_fp_ieee_underflow 0
		.amdhsa_exception_fp_ieee_inexact 0
		.amdhsa_exception_int_div_zero 0
	.end_amdhsa_kernel
	.section	.text._Z25selective_scan_fwd_kernelI32Selective_Scan_fwd_kernel_traitsILi64ELi4ELi1ELb0ELb1ELb1ELb0ELb1EN3c104HalfEfS2_EEv13SSMParamsBase,"axG",@progbits,_Z25selective_scan_fwd_kernelI32Selective_Scan_fwd_kernel_traitsILi64ELi4ELi1ELb0ELb1ELb1ELb0ELb1EN3c104HalfEfS2_EEv13SSMParamsBase,comdat
.Lfunc_end70:
	.size	_Z25selective_scan_fwd_kernelI32Selective_Scan_fwd_kernel_traitsILi64ELi4ELi1ELb0ELb1ELb1ELb0ELb1EN3c104HalfEfS2_EEv13SSMParamsBase, .Lfunc_end70-_Z25selective_scan_fwd_kernelI32Selective_Scan_fwd_kernel_traitsILi64ELi4ELi1ELb0ELb1ELb1ELb0ELb1EN3c104HalfEfS2_EEv13SSMParamsBase
                                        ; -- End function
	.section	.AMDGPU.csdata,"",@progbits
; Kernel info:
; codeLenInByte = 6176
; NumSgprs: 101
; NumVgprs: 62
; NumAgprs: 0
; TotalNumVgprs: 62
; ScratchSize: 0
; MemoryBound: 0
; FloatMode: 240
; IeeeMode: 1
; LDSByteSize: 0 bytes/workgroup (compile time only)
; SGPRBlocks: 12
; VGPRBlocks: 7
; NumSGPRsForWavesPerEU: 101
; NumVGPRsForWavesPerEU: 62
; AccumOffset: 64
; Occupancy: 7
; WaveLimiterHint : 1
; COMPUTE_PGM_RSRC2:SCRATCH_EN: 0
; COMPUTE_PGM_RSRC2:USER_SGPR: 2
; COMPUTE_PGM_RSRC2:TRAP_HANDLER: 0
; COMPUTE_PGM_RSRC2:TGID_X_EN: 1
; COMPUTE_PGM_RSRC2:TGID_Y_EN: 1
; COMPUTE_PGM_RSRC2:TGID_Z_EN: 0
; COMPUTE_PGM_RSRC2:TIDIG_COMP_CNT: 0
; COMPUTE_PGM_RSRC3_GFX90A:ACCUM_OFFSET: 15
; COMPUTE_PGM_RSRC3_GFX90A:TG_SPLIT: 0
	.section	.text._Z25selective_scan_fwd_kernelI32Selective_Scan_fwd_kernel_traitsILi64ELi4ELi1ELb0ELb1ELb1ELb0ELb0EN3c104HalfEfS2_EEv13SSMParamsBase,"axG",@progbits,_Z25selective_scan_fwd_kernelI32Selective_Scan_fwd_kernel_traitsILi64ELi4ELi1ELb0ELb1ELb1ELb0ELb0EN3c104HalfEfS2_EEv13SSMParamsBase,comdat
	.protected	_Z25selective_scan_fwd_kernelI32Selective_Scan_fwd_kernel_traitsILi64ELi4ELi1ELb0ELb1ELb1ELb0ELb0EN3c104HalfEfS2_EEv13SSMParamsBase ; -- Begin function _Z25selective_scan_fwd_kernelI32Selective_Scan_fwd_kernel_traitsILi64ELi4ELi1ELb0ELb1ELb1ELb0ELb0EN3c104HalfEfS2_EEv13SSMParamsBase
	.globl	_Z25selective_scan_fwd_kernelI32Selective_Scan_fwd_kernel_traitsILi64ELi4ELi1ELb0ELb1ELb1ELb0ELb0EN3c104HalfEfS2_EEv13SSMParamsBase
	.p2align	8
	.type	_Z25selective_scan_fwd_kernelI32Selective_Scan_fwd_kernel_traitsILi64ELi4ELi1ELb0ELb1ELb1ELb0ELb0EN3c104HalfEfS2_EEv13SSMParamsBase,@function
_Z25selective_scan_fwd_kernelI32Selective_Scan_fwd_kernel_traitsILi64ELi4ELi1ELb0ELb1ELb1ELb0ELb0EN3c104HalfEfS2_EEv13SSMParamsBase: ; @_Z25selective_scan_fwd_kernelI32Selective_Scan_fwd_kernel_traitsILi64ELi4ELi1ELb0ELb1ELb1ELb0ELb0EN3c104HalfEfS2_EEv13SSMParamsBase
; %bb.0:
	s_load_dword s25, s[0:1], 0x18
	s_load_dwordx4 s[4:7], s[0:1], 0xe8
	s_mov_b32 s20, s3
	s_waitcnt lgkmcnt(0)
	s_abs_i32 s24, s25
	v_cvt_f32_u32_e32 v1, s24
	s_cmp_eq_u64 s[6:7], 0
	v_rcp_iflag_f32_e32 v1, v1
	s_nop 0
	v_mul_f32_e32 v1, 0x4f7ffffe, v1
	v_cvt_u32_f32_e32 v1, v1
	s_nop 0
	v_readfirstlane_b32 s26, v1
	s_cbranch_scc1 .LBB71_3
; %bb.1:
	s_ashr_i32 s3, s2, 31
	s_add_u32 s6, s6, s2
	s_addc_u32 s7, s7, s3
	v_mov_b32_e32 v1, 0
	global_load_ubyte v1, v1, s[6:7]
	s_waitcnt vmcnt(0)
	v_and_b32_e32 v1, 1, v1
	v_cmp_eq_u32_e64 s[52:53], 1, v1
	s_load_dwordx2 s[6:7], s[0:1], 0x20
	s_cmp_eq_u64 s[4:5], 0
	s_cbranch_scc1 .LBB71_4
.LBB71_2:
	s_ashr_i32 s3, s2, 31
	s_lshl_b64 s[8:9], s[2:3], 2
	s_add_u32 s4, s4, s8
	s_addc_u32 s5, s5, s9
	s_load_dword s22, s[4:5], 0x0
	s_waitcnt lgkmcnt(0)
	s_ashr_i32 s23, s22, 31
	s_cmp_eq_u64 s[6:7], s[22:23]
	s_cbranch_scc0 .LBB71_5
	s_branch .LBB71_86
.LBB71_3:
	s_mov_b64 s[52:53], 0
	s_load_dwordx2 s[6:7], s[0:1], 0x20
	s_cmp_eq_u64 s[4:5], 0
	s_cbranch_scc0 .LBB71_2
.LBB71_4:
	s_mov_b32 s22, s2
	s_ashr_i32 s23, s22, 31
	s_waitcnt lgkmcnt(0)
	s_cmp_eq_u64 s[6:7], s[22:23]
	s_cbranch_scc1 .LBB71_86
.LBB71_5:
	s_load_dwordx16 s[4:19], s[0:1], 0x88
	s_load_dwordx2 s[54:55], s[0:1], 0x8
	s_mov_b32 s33, 0
	s_mov_b32 s80, 0
	s_waitcnt lgkmcnt(0)
	s_cmp_eq_u64 s[10:11], 0
	s_cbranch_scc1 .LBB71_7
; %bb.6:
	s_ashr_i32 s21, s20, 31
	s_lshl_b64 s[28:29], s[20:21], 2
	s_add_u32 s10, s10, s28
	s_addc_u32 s11, s11, s29
	s_load_dword s80, s[10:11], 0x0
.LBB71_7:
	s_cmp_eq_u64 s[16:17], 0
	s_cbranch_scc1 .LBB71_9
; %bb.8:
	s_ashr_i32 s21, s20, 31
	s_lshl_b64 s[10:11], s[20:21], 2
	s_add_u32 s10, s16, s10
	s_addc_u32 s11, s17, s11
	s_load_dword s33, s[10:11], 0x0
.LBB71_9:
	s_cmp_lt_i32 s54, 1
	s_cbranch_scc1 .LBB71_86
; %bb.10:
	s_sub_i32 s3, 0, s24
	s_mul_i32 s3, s3, s26
	s_mul_hi_u32 s3, s26, s3
	s_abs_i32 s21, s20
	s_add_i32 s3, s26, s3
	s_load_dwordx8 s[40:47], s[0:1], 0x2c
	s_load_dwordx2 s[16:17], s[0:1], 0x5c
	s_load_dwordx4 s[48:51], s[0:1], 0x4c
	s_load_dwordx4 s[36:39], s[0:1], 0x7c
	s_load_dwordx2 s[10:11], s[0:1], 0x6c
	s_load_dwordx2 s[26:27], s[0:1], 0xc8
	s_mul_hi_u32 s3, s21, s3
	s_load_dword s23, s[0:1], 0x28
	s_ashr_i32 s0, s20, 31
	s_ashr_i32 s1, s25, 31
	s_xor_b32 s0, s0, s1
	s_mul_i32 s1, s3, s24
	s_sub_i32 s1, s21, s1
	s_add_i32 s21, s3, 1
	s_sub_i32 s25, s1, s24
	s_cmp_ge_u32 s1, s24
	s_cselect_b32 s3, s21, s3
	s_cselect_b32 s1, s25, s1
	s_add_i32 s21, s3, 1
	s_cmp_ge_u32 s1, s24
	s_cselect_b32 s1, s21, s3
	s_xor_b32 s1, s1, s0
	s_waitcnt lgkmcnt(0)
	s_mul_i32 s56, s50, s2
	s_mov_b32 s57, 0
	s_sub_i32 s3, s1, s0
	s_lshl_b64 s[0:1], s[56:57], 1
	s_add_u32 s12, s12, s0
	s_mul_i32 s56, s51, s20
	s_addc_u32 s13, s13, s1
	s_lshl_b64 s[0:1], s[56:57], 1
	s_add_u32 s50, s12, s0
	s_mul_i32 s56, s16, s2
	s_addc_u32 s51, s13, s1
	;; [unrolled: 4-line block ×9, first 2 shown]
	s_lshl_b64 s[0:1], s[56:57], 1
	s_add_u32 s3, s26, s0
	s_mul_i32 s56, s37, s20
	v_mbcnt_lo_u32_b32 v2, -1, 0
	s_addc_u32 s4, s27, s1
	s_lshl_b64 s[0:1], s[56:57], 1
	v_mbcnt_hi_u32_b32 v2, -1, v2
	s_add_u32 s45, s3, s0
	v_lshrrev_b32_e32 v3, 5, v2
	s_addc_u32 s49, s4, s1
	s_add_i32 s0, s54, 0x7ff
	v_and_b32_e32 v3, 2, v3
	s_lshr_b32 s81, s0, 11
	v_add_u32_e32 v36, 64, v2
	v_or_b32_e32 v37, 0x80, v2
	v_add_u32_e32 v38, 0xc0, v2
	v_add_u32_e32 v3, v3, v2
	v_lshl_add_u32 v39, v3, 1, 0
	v_lshrrev_b32_e32 v3, 5, v36
	v_lshrrev_b32_e32 v4, 5, v37
	;; [unrolled: 1-line block ×3, first 2 shown]
	s_bitcmp1_b32 s23, 0
	v_and_b32_e32 v3, 6, v3
	v_and_b32_e32 v4, 6, v4
	;; [unrolled: 1-line block ×3, first 2 shown]
	s_cselect_b64 s[60:61], -1, 0
	s_cmp_gt_i32 s55, 0
	v_add_lshl_u32 v3, v3, v2, 1
	v_add_lshl_u32 v4, v4, v2, 1
	;; [unrolled: 1-line block ×3, first 2 shown]
	s_cselect_b64 s[62:63], -1, 0
	s_add_i32 s0, 0, 0x210
	s_mul_i32 s56, s10, s2
	v_add_u32_e32 v44, s0, v3
	v_add_u32_e32 v45, s0, v4
	;; [unrolled: 1-line block ×3, first 2 shown]
	s_and_b32 s3, s54, 0xff
	s_add_i32 s82, s81, -1
	s_lshl_b64 s[0:1], s[56:57], 1
	s_add_u32 s2, s18, s0
	s_mul_i32 s56, s11, s20
	s_addc_u32 s4, s19, s1
	s_lshl_b64 s[0:1], s[56:57], 1
	s_add_u32 s18, s2, s0
	v_add_u32_e32 v40, 0, v3
	s_addc_u32 s19, s4, s1
	v_and_b32_e32 v3, 15, v2
	s_cmp_eq_u32 s3, 0
	v_cmp_eq_u32_e64 s[0:1], 0, v3
	v_cmp_lt_u32_e64 s[2:3], 1, v3
	v_cmp_lt_u32_e64 s[4:5], 3, v3
	;; [unrolled: 1-line block ×3, first 2 shown]
	v_and_b32_e32 v3, 16, v2
	v_add_u32_e32 v41, 0, v4
	v_lshrrev_b32_e32 v6, 3, v2
	v_cmp_ne_u32_e64 s[8:9], 0, v3
	v_add_u32_e32 v3, -1, v2
	v_and_b32_e32 v4, 64, v2
	v_and_b32_e32 v6, 14, v6
	v_cmp_lt_i32_e32 vcc, v3, v4
	v_mov_b32_e32 v1, 0
	v_lshlrev_b32_e32 v7, 2, v0
	v_lshl_add_u32 v6, v2, 2, v6
	v_cmp_eq_u32_e64 s[12:13], 63, v0
	v_cndmask_b32_e32 v3, v3, v2, vcc
	v_cmp_gt_u32_e64 s[14:15], 64, v0
	v_cmp_eq_u32_e64 s[16:17], 0, v0
	v_lshlrev_b32_e32 v0, 1, v2
                                        ; implicit-def: $vgpr8
	v_add_u32_e32 v42, 0, v5
	v_lshl_add_u32 v43, v6, 1, 0
	s_cselect_b64 s[64:65], -1, 0
	v_cmp_lt_u32_e64 s[10:11], 31, v2
	v_lshlrev_b32_e32 v47, 2, v3
	v_lshl_add_u64 v[4:5], s[18:19], 0, v[0:1]
	v_or_b32_e32 v3, 1, v7
	v_or_b32_e32 v6, 2, v7
	;; [unrolled: 1-line block ×3, first 2 shown]
	v_lshlrev_b32_e32 v0, 1, v2
	s_mov_b32 s83, 0x41a00000
	s_mov_b32 s84, 0x3fb8aa3b
	;; [unrolled: 1-line block ×6, first 2 shown]
	v_mov_b32_e32 v49, 0x3ecc95a3
	s_mov_b32 s89, 0x3f317218
	s_mov_b32 s90, 0x33800000
	s_add_i32 s91, 0, 0x428
	s_mov_b32 s92, 0xc2fc0000
	v_mov_b32_e32 v50, 0x7f800000
	v_mov_b32_e32 v8, 0x3f317218
	;; [unrolled: 1-line block ×4, first 2 shown]
	s_mov_b32 s93, 0
	s_branch .LBB71_12
.LBB71_11:                              ;   in Loop: Header=BB71_12 Depth=1
	s_or_b64 exec, exec, s[18:19]
	s_add_u32 s58, s58, 0x200
	s_addc_u32 s59, s59, 0
	s_add_u32 s50, s50, 0x200
	s_addc_u32 s51, s51, 0
	;; [unrolled: 2-line block ×4, first 2 shown]
	s_add_i32 s93, s93, 1
	s_cmp_eq_u32 s93, s81
	s_cbranch_scc1 .LBB71_86
.LBB71_12:                              ; =>This Loop Header: Depth=1
                                        ;     Child Loop BB71_37 Depth 2
	s_lshl_b32 s66, s93, 8
	s_sub_i32 s34, s54, s66
	v_lshl_add_u64 v[10:11], s[50:51], 0, v[0:1]
	v_cmp_gt_u32_e64 s[18:19], s34, v2
	s_waitcnt lgkmcnt(1)
	v_mov_b32_e32 v12, 0
	s_waitcnt lgkmcnt(0)
	; wave barrier
	s_and_saveexec_b64 s[20:21], s[18:19]
	s_cbranch_execz .LBB71_14
; %bb.13:                               ;   in Loop: Header=BB71_12 Depth=1
	global_load_ushort v12, v[10:11], off
.LBB71_14:                              ;   in Loop: Header=BB71_12 Depth=1
	s_or_b64 exec, exec, s[20:21]
	v_cmp_gt_u32_e64 s[20:21], s34, v36
	v_mov_b32_e32 v13, 0
	v_mov_b32_e32 v14, 0
	s_and_saveexec_b64 s[22:23], s[20:21]
	s_cbranch_execz .LBB71_16
; %bb.15:                               ;   in Loop: Header=BB71_12 Depth=1
	global_load_ushort v14, v[10:11], off offset:128
.LBB71_16:                              ;   in Loop: Header=BB71_12 Depth=1
	s_or_b64 exec, exec, s[22:23]
	v_cmp_gt_u32_e64 s[22:23], s34, v37
	s_and_saveexec_b64 s[24:25], s[22:23]
	s_cbranch_execz .LBB71_18
; %bb.17:                               ;   in Loop: Header=BB71_12 Depth=1
	global_load_ushort v13, v[10:11], off offset:256
.LBB71_18:                              ;   in Loop: Header=BB71_12 Depth=1
	s_or_b64 exec, exec, s[24:25]
	v_cmp_gt_u32_e64 s[24:25], s34, v38
	s_waitcnt lgkmcnt(0)
	v_mov_b32_e32 v9, 0
	v_mov_b32_e32 v15, 0
	s_and_saveexec_b64 s[26:27], s[24:25]
	s_cbranch_execz .LBB71_20
; %bb.19:                               ;   in Loop: Header=BB71_12 Depth=1
	global_load_ushort v15, v[10:11], off offset:384
.LBB71_20:                              ;   in Loop: Header=BB71_12 Depth=1
	s_or_b64 exec, exec, s[26:27]
	s_waitcnt vmcnt(0)
	ds_write_b16 v39, v12
	ds_write_b16 v40, v14 offset:128
	ds_write_b16 v41, v13 offset:256
	;; [unrolled: 1-line block ×3, first 2 shown]
	; wave barrier
	ds_read_b64 v[12:13], v43
	v_lshl_add_u64 v[10:11], s[58:59], 0, v[0:1]
	s_waitcnt lgkmcnt(0)
	; wave barrier
	s_waitcnt lgkmcnt(0)
	s_and_saveexec_b64 s[26:27], s[18:19]
	s_cbranch_execz .LBB71_22
; %bb.21:                               ;   in Loop: Header=BB71_12 Depth=1
	global_load_ushort v9, v[10:11], off
.LBB71_22:                              ;   in Loop: Header=BB71_12 Depth=1
	s_or_b64 exec, exec, s[26:27]
	v_mov_b32_e32 v14, 0
	v_mov_b32_e32 v15, 0
	s_and_saveexec_b64 s[26:27], s[20:21]
	s_cbranch_execnz .LBB71_80
; %bb.23:                               ;   in Loop: Header=BB71_12 Depth=1
	s_or_b64 exec, exec, s[26:27]
	s_and_saveexec_b64 s[26:27], s[22:23]
	s_cbranch_execnz .LBB71_81
.LBB71_24:                              ;   in Loop: Header=BB71_12 Depth=1
	s_or_b64 exec, exec, s[26:27]
	v_mov_b32_e32 v16, 0
	s_and_saveexec_b64 s[26:27], s[24:25]
	s_cbranch_execz .LBB71_26
.LBB71_25:                              ;   in Loop: Header=BB71_12 Depth=1
	global_load_ushort v16, v[10:11], off offset:384
.LBB71_26:                              ;   in Loop: Header=BB71_12 Depth=1
	s_or_b64 exec, exec, s[26:27]
	s_waitcnt vmcnt(0)
	ds_write_b16 v39, v9
	ds_write_b16 v40, v15 offset:128
	ds_write_b16 v41, v14 offset:256
	;; [unrolled: 1-line block ×3, first 2 shown]
	; wave barrier
	ds_read_b64 v[14:15], v43
	s_waitcnt lgkmcnt(0)
	v_cvt_f32_f16_e32 v9, v14
	v_add_f32_e32 v53, s33, v9
	v_cmp_ge_f32_e32 vcc, s83, v53
	s_and_b64 s[26:27], s[60:61], vcc
	s_and_saveexec_b64 s[28:29], s[26:27]
	s_cbranch_execz .LBB71_28
; %bb.27:                               ;   in Loop: Header=BB71_12 Depth=1
	v_mul_f32_e32 v9, 0x3fb8aa3b, v53
	v_rndne_f32_e32 v10, v9
	v_sub_f32_e32 v11, v9, v10
	v_fma_f32 v9, v53, s84, -v9
	v_fmac_f32_e32 v9, 0x32a5705f, v53
	v_add_f32_e32 v9, v11, v9
	v_cvt_i32_f32_e32 v10, v10
	v_exp_f32_e32 v9, v9
	v_cmp_ngt_f32_e32 vcc, s85, v53
	v_ldexp_f32 v9, v9, v10
	s_nop 0
	v_cndmask_b32_e32 v9, 0, v9, vcc
	v_cmp_nlt_f32_e32 vcc, s86, v53
	s_nop 1
	v_cndmask_b32_e32 v30, v50, v9, vcc
	v_add_f32_e32 v9, 1.0, v30
	v_add_f32_e32 v10, -1.0, v9
	v_sub_f32_e32 v11, v10, v9
	v_add_f32_e32 v11, 1.0, v11
	v_sub_f32_e32 v10, v30, v10
	v_add_f32_e32 v16, v10, v11
	v_frexp_mant_f32_e32 v17, v9
	v_cvt_f64_f32_e32 v[10:11], v9
	v_frexp_exp_i32_f64_e32 v10, v[10:11]
	v_cmp_gt_f32_e32 vcc, s88, v17
	v_cmp_gt_f32_e64 s[26:27], s90, v30
	s_nop 0
	v_subbrev_co_u32_e32 v22, vcc, 0, v10, vcc
	v_sub_u32_e32 v10, 0, v22
	v_ldexp_f32 v9, v9, v10
	v_ldexp_f32 v10, v16, v10
	v_add_f32_e32 v16, -1.0, v9
	v_add_f32_e32 v11, 1.0, v16
	v_sub_f32_e32 v11, v9, v11
	v_add_f32_e32 v17, v10, v11
	v_add_f32_e32 v11, 1.0, v9
	v_add_f32_e32 v18, -1.0, v11
	v_sub_f32_e32 v9, v9, v18
	v_add_f32_e32 v9, v10, v9
	v_add_f32_e32 v23, v11, v9
	v_rcp_f32_e32 v24, v23
	v_sub_f32_e32 v10, v11, v23
	v_add_f32_e32 v11, v16, v17
	v_add_f32_e32 v9, v9, v10
	v_mul_f32_e32 v26, v11, v24
	v_sub_f32_e32 v10, v16, v11
	v_mul_f32_e32 v16, v23, v26
	v_fma_f32 v18, v26, v23, -v16
	v_fmac_f32_e32 v18, v26, v9
	v_add_f32_e32 v25, v17, v10
	v_add_f32_e32 v10, v16, v18
	v_sub_f32_e32 v17, v11, v10
	v_pk_add_f32 v[20:21], v[10:11], v[16:17] neg_lo:[0,1] neg_hi:[0,1]
	v_mov_b32_e32 v19, v10
	v_pk_add_f32 v[10:11], v[20:21], v[18:19] neg_lo:[0,1] neg_hi:[0,1]
	v_cmp_eq_f32_e32 vcc, s87, v30
	v_add_f32_e32 v11, v25, v11
	v_add_f32_e32 v10, v10, v11
	;; [unrolled: 1-line block ×3, first 2 shown]
	v_mul_f32_e32 v25, v24, v11
	v_mul_f32_e32 v16, v23, v25
	v_fma_f32 v18, v25, v23, -v16
	v_fmac_f32_e32 v18, v25, v9
	v_sub_f32_e32 v9, v17, v11
	v_add_f32_e32 v9, v10, v9
	v_add_f32_e32 v10, v16, v18
	v_sub_f32_e32 v17, v11, v10
	v_pk_add_f32 v[20:21], v[10:11], v[16:17] neg_lo:[0,1] neg_hi:[0,1]
	v_mov_b32_e32 v19, v10
	v_pk_add_f32 v[10:11], v[20:21], v[18:19] neg_lo:[0,1] neg_hi:[0,1]
	s_or_b64 vcc, s[26:27], vcc
	v_add_f32_e32 v9, v9, v11
	v_add_f32_e32 v9, v10, v9
	v_add_f32_e32 v11, v26, v25
	v_add_f32_e32 v9, v17, v9
	v_sub_f32_e32 v10, v11, v26
	v_mul_f32_e32 v9, v24, v9
	v_sub_f32_e32 v10, v25, v10
	v_add_f32_e32 v16, v10, v9
	v_add_f32_e32 v18, v11, v16
	v_cvt_f32_i32_e32 v10, v22
	v_mul_f32_e32 v19, v18, v18
	v_sub_f32_e32 v11, v18, v11
	v_fmamk_f32 v9, v19, 0x3e9b6dac, v49
	v_sub_f32_e32 v11, v16, v11
	v_fmaak_f32 v9, v19, v9, 0x3f2aaada
	v_ldexp_f32 v20, v11, 1
	v_mul_f32_e32 v11, v18, v19
	v_ldexp_f32 v17, v18, 1
	v_pk_mul_f32 v[18:19], v[10:11], v[8:9]
	s_nop 0
	v_fma_f32 v16, v10, s89, -v18
	v_fmac_f32_e32 v16, 0xb102e308, v10
	v_pk_add_f32 v[10:11], v[18:19], v[16:17]
	s_nop 0
	v_sub_f32_e32 v9, v11, v17
	v_sub_f32_e32 v9, v19, v9
	v_add_f32_e32 v21, v20, v9
	v_mov_b32_e32 v20, v18
	v_pk_add_f32 v[18:19], v[10:11], v[18:19] neg_lo:[0,1] neg_hi:[0,1]
	v_pk_add_f32 v[22:23], v[10:11], v[20:21]
	v_mov_b32_e32 v17, v10
	v_mov_b32_e32 v19, v23
	v_pk_add_f32 v[24:25], v[16:17], v[18:19] neg_lo:[0,1] neg_hi:[0,1]
	v_pk_add_f32 v[16:17], v[16:17], v[18:19]
	v_mov_b32_e32 v20, v21
	v_mov_b32_e32 v18, v17
	v_pk_add_f32 v[26:27], v[18:19], v[10:11] neg_lo:[0,1] neg_hi:[0,1]
	v_mov_b32_e32 v16, v23
	v_mov_b32_e32 v9, v26
	v_pk_add_f32 v[28:29], v[22:23], v[8:9] neg_lo:[0,1] neg_hi:[0,1]
	v_mov_b32_e32 v22, v11
	v_mov_b32_e32 v23, v26
	;; [unrolled: 1-line block ×3, first 2 shown]
	v_pk_add_f32 v[16:17], v[16:17], v[22:23] neg_lo:[0,1] neg_hi:[0,1]
	v_mov_b32_e32 v21, v10
	v_pk_add_f32 v[10:11], v[20:21], v[16:17] neg_lo:[0,1] neg_hi:[0,1]
	v_mov_b32_e32 v28, v24
	v_pk_add_f32 v[16:17], v[28:29], v[10:11]
	s_nop 0
	v_mov_b32_e32 v20, v17
	v_pk_add_f32 v[20:21], v[16:17], v[20:21]
	s_nop 0
	v_pk_add_f32 v[18:19], v[18:19], v[20:21]
	v_mov_b32_e32 v11, v20
	v_mov_b32_e32 v17, v18
	v_pk_add_f32 v[22:23], v[16:17], v[24:25] neg_lo:[0,1] neg_hi:[0,1]
	s_nop 0
	v_sub_f32_e32 v9, v16, v22
	v_pk_add_f32 v[10:11], v[10:11], v[22:23] neg_lo:[0,1] neg_hi:[0,1]
	v_sub_f32_e32 v9, v24, v9
	v_add_f32_e32 v9, v10, v9
	v_add_f32_e32 v9, v9, v11
	;; [unrolled: 1-line block ×3, first 2 shown]
	v_cndmask_b32_e32 v53, v9, v30, vcc
.LBB71_28:                              ;   in Loop: Header=BB71_12 Depth=1
	s_or_b64 exec, exec, s[28:29]
	v_cvt_f32_f16_sdwa v9, v14 dst_sel:DWORD dst_unused:UNUSED_PAD src0_sel:WORD_1
	v_add_f32_e32 v54, s33, v9
	v_cmp_ge_f32_e32 vcc, s83, v54
	s_and_b64 s[26:27], s[60:61], vcc
	s_and_saveexec_b64 s[28:29], s[26:27]
	s_cbranch_execz .LBB71_30
; %bb.29:                               ;   in Loop: Header=BB71_12 Depth=1
	v_mul_f32_e32 v9, 0x3fb8aa3b, v54
	v_rndne_f32_e32 v10, v9
	v_sub_f32_e32 v11, v9, v10
	v_fma_f32 v9, v54, s84, -v9
	v_fmac_f32_e32 v9, 0x32a5705f, v54
	v_add_f32_e32 v9, v11, v9
	v_cvt_i32_f32_e32 v10, v10
	v_exp_f32_e32 v9, v9
	v_cmp_ngt_f32_e32 vcc, s85, v54
	v_ldexp_f32 v9, v9, v10
	s_nop 0
	v_cndmask_b32_e32 v9, 0, v9, vcc
	v_cmp_nlt_f32_e32 vcc, s86, v54
	s_nop 1
	v_cndmask_b32_e32 v28, v50, v9, vcc
	v_add_f32_e32 v9, 1.0, v28
	v_add_f32_e32 v10, -1.0, v9
	v_sub_f32_e32 v11, v10, v9
	v_add_f32_e32 v11, 1.0, v11
	v_sub_f32_e32 v10, v28, v10
	v_add_f32_e32 v14, v10, v11
	v_frexp_mant_f32_e32 v16, v9
	v_cvt_f64_f32_e32 v[10:11], v9
	v_frexp_exp_i32_f64_e32 v10, v[10:11]
	v_cmp_gt_f32_e32 vcc, s88, v16
	v_cmp_gt_f32_e64 s[26:27], s90, v28
	s_nop 0
	v_subbrev_co_u32_e32 v22, vcc, 0, v10, vcc
	v_sub_u32_e32 v10, 0, v22
	v_ldexp_f32 v9, v9, v10
	v_ldexp_f32 v10, v14, v10
	v_add_f32_e32 v14, -1.0, v9
	v_add_f32_e32 v11, 1.0, v14
	v_sub_f32_e32 v11, v9, v11
	v_add_f32_e32 v16, v10, v11
	v_add_f32_e32 v11, 1.0, v9
	v_add_f32_e32 v17, -1.0, v11
	v_sub_f32_e32 v9, v9, v17
	v_add_f32_e32 v9, v10, v9
	v_add_f32_e32 v23, v11, v9
	v_rcp_f32_e32 v24, v23
	v_sub_f32_e32 v10, v11, v23
	v_add_f32_e32 v11, v14, v16
	v_add_f32_e32 v9, v9, v10
	v_sub_f32_e32 v10, v14, v11
	v_mul_f32_e32 v25, v11, v24
	v_add_f32_e32 v14, v16, v10
	v_mul_f32_e32 v16, v23, v25
	v_fma_f32 v18, v25, v23, -v16
	v_fmac_f32_e32 v18, v25, v9
	v_add_f32_e32 v10, v16, v18
	v_sub_f32_e32 v17, v11, v10
	v_pk_add_f32 v[20:21], v[10:11], v[16:17] neg_lo:[0,1] neg_hi:[0,1]
	v_mov_b32_e32 v19, v10
	v_pk_add_f32 v[10:11], v[20:21], v[18:19] neg_lo:[0,1] neg_hi:[0,1]
	v_cmp_eq_f32_e32 vcc, s87, v28
	v_add_f32_e32 v11, v14, v11
	v_add_f32_e32 v10, v10, v11
	;; [unrolled: 1-line block ×3, first 2 shown]
	v_mul_f32_e32 v14, v24, v11
	v_mul_f32_e32 v16, v23, v14
	v_fma_f32 v18, v14, v23, -v16
	v_fmac_f32_e32 v18, v14, v9
	v_sub_f32_e32 v9, v17, v11
	v_add_f32_e32 v9, v10, v9
	v_add_f32_e32 v10, v16, v18
	v_sub_f32_e32 v17, v11, v10
	v_pk_add_f32 v[20:21], v[10:11], v[16:17] neg_lo:[0,1] neg_hi:[0,1]
	v_mov_b32_e32 v19, v10
	v_pk_add_f32 v[10:11], v[20:21], v[18:19] neg_lo:[0,1] neg_hi:[0,1]
	s_or_b64 vcc, s[26:27], vcc
	v_add_f32_e32 v9, v9, v11
	v_add_f32_e32 v9, v10, v9
	;; [unrolled: 1-line block ×4, first 2 shown]
	v_sub_f32_e32 v10, v11, v25
	v_mul_f32_e32 v9, v24, v9
	v_sub_f32_e32 v10, v14, v10
	v_add_f32_e32 v14, v10, v9
	v_add_f32_e32 v16, v11, v14
	v_cvt_f32_i32_e32 v10, v22
	v_mul_f32_e32 v18, v16, v16
	v_sub_f32_e32 v11, v16, v11
	v_fmamk_f32 v9, v18, 0x3e9b6dac, v49
	v_sub_f32_e32 v11, v14, v11
	v_fmaak_f32 v9, v18, v9, 0x3f2aaada
	v_ldexp_f32 v14, v11, 1
	v_mul_f32_e32 v11, v16, v18
	v_pk_mul_f32 v[18:19], v[10:11], v[8:9]
	v_ldexp_f32 v17, v16, 1
	v_fma_f32 v16, v10, s89, -v18
	v_fmac_f32_e32 v16, 0xb102e308, v10
	v_pk_add_f32 v[10:11], v[18:19], v[16:17]
	v_mov_b32_e32 v20, v18
	v_sub_f32_e32 v9, v11, v17
	v_sub_f32_e32 v9, v19, v9
	v_add_f32_e32 v21, v14, v9
	v_pk_add_f32 v[18:19], v[10:11], v[18:19] neg_lo:[0,1] neg_hi:[0,1]
	v_pk_add_f32 v[22:23], v[10:11], v[20:21]
	v_mov_b32_e32 v17, v10
	v_mov_b32_e32 v19, v23
	v_pk_add_f32 v[24:25], v[16:17], v[18:19] neg_lo:[0,1] neg_hi:[0,1]
	v_pk_add_f32 v[16:17], v[16:17], v[18:19]
	s_nop 0
	v_mov_b32_e32 v14, v17
	v_pk_add_f32 v[18:19], v[14:15], v[10:11] neg_lo:[0,1] neg_hi:[0,1]
	v_mov_b32_e32 v16, v23
	v_mov_b32_e32 v9, v18
	v_pk_add_f32 v[26:27], v[22:23], v[8:9] neg_lo:[0,1] neg_hi:[0,1]
	v_mov_b32_e32 v22, v11
	v_mov_b32_e32 v23, v18
	;; [unrolled: 1-line block ×3, first 2 shown]
	v_pk_add_f32 v[16:17], v[16:17], v[22:23] neg_lo:[0,1] neg_hi:[0,1]
	v_mov_b32_e32 v18, v21
	v_mov_b32_e32 v19, v10
	v_pk_add_f32 v[10:11], v[18:19], v[16:17] neg_lo:[0,1] neg_hi:[0,1]
	v_mov_b32_e32 v26, v24
	v_pk_add_f32 v[16:17], v[26:27], v[10:11]
	s_nop 0
	v_mov_b32_e32 v18, v17
	v_pk_add_f32 v[18:19], v[16:17], v[18:19]
	s_nop 0
	v_pk_add_f32 v[20:21], v[14:15], v[18:19]
	v_mov_b32_e32 v11, v18
	v_mov_b32_e32 v17, v20
	v_pk_add_f32 v[22:23], v[16:17], v[24:25] neg_lo:[0,1] neg_hi:[0,1]
	s_nop 0
	v_sub_f32_e32 v9, v16, v22
	v_pk_add_f32 v[10:11], v[10:11], v[22:23] neg_lo:[0,1] neg_hi:[0,1]
	v_sub_f32_e32 v9, v24, v9
	v_add_f32_e32 v9, v10, v9
	v_add_f32_e32 v9, v9, v11
	;; [unrolled: 1-line block ×3, first 2 shown]
	v_cndmask_b32_e32 v54, v9, v28, vcc
.LBB71_30:                              ;   in Loop: Header=BB71_12 Depth=1
	s_or_b64 exec, exec, s[28:29]
	v_cvt_f32_f16_e32 v9, v15
	v_add_f32_e32 v11, s33, v9
	v_cmp_ge_f32_e32 vcc, s83, v11
	s_and_b64 s[26:27], s[60:61], vcc
	s_and_saveexec_b64 s[28:29], s[26:27]
	s_cbranch_execz .LBB71_32
; %bb.31:                               ;   in Loop: Header=BB71_12 Depth=1
	v_mul_f32_e32 v9, 0x3fb8aa3b, v11
	v_rndne_f32_e32 v10, v9
	v_sub_f32_e32 v14, v9, v10
	v_fma_f32 v9, v11, s84, -v9
	v_fmac_f32_e32 v9, 0x32a5705f, v11
	v_add_f32_e32 v9, v14, v9
	v_cvt_i32_f32_e32 v10, v10
	v_exp_f32_e32 v9, v9
	v_cmp_ngt_f32_e32 vcc, s85, v11
	v_ldexp_f32 v9, v9, v10
	s_nop 0
	v_cndmask_b32_e32 v9, 0, v9, vcc
	v_cmp_nlt_f32_e32 vcc, s86, v11
	s_nop 1
	v_cndmask_b32_e32 v28, v50, v9, vcc
	v_add_f32_e32 v9, 1.0, v28
	v_add_f32_e32 v10, -1.0, v9
	v_sub_f32_e32 v11, v10, v9
	v_add_f32_e32 v11, 1.0, v11
	v_sub_f32_e32 v10, v28, v10
	v_add_f32_e32 v14, v10, v11
	v_frexp_mant_f32_e32 v16, v9
	v_cvt_f64_f32_e32 v[10:11], v9
	v_frexp_exp_i32_f64_e32 v10, v[10:11]
	v_cmp_gt_f32_e32 vcc, s88, v16
	v_cmp_gt_f32_e64 s[26:27], s90, v28
	s_nop 0
	v_subbrev_co_u32_e32 v22, vcc, 0, v10, vcc
	v_sub_u32_e32 v10, 0, v22
	v_ldexp_f32 v9, v9, v10
	v_ldexp_f32 v10, v14, v10
	v_add_f32_e32 v14, -1.0, v9
	v_add_f32_e32 v11, 1.0, v14
	v_sub_f32_e32 v11, v9, v11
	v_add_f32_e32 v16, v10, v11
	v_add_f32_e32 v11, 1.0, v9
	v_add_f32_e32 v17, -1.0, v11
	v_sub_f32_e32 v9, v9, v17
	v_add_f32_e32 v9, v10, v9
	v_add_f32_e32 v23, v11, v9
	v_rcp_f32_e32 v24, v23
	v_sub_f32_e32 v10, v11, v23
	v_add_f32_e32 v11, v14, v16
	v_add_f32_e32 v9, v9, v10
	v_sub_f32_e32 v10, v14, v11
	v_mul_f32_e32 v25, v11, v24
	v_add_f32_e32 v14, v16, v10
	v_mul_f32_e32 v16, v23, v25
	v_fma_f32 v18, v25, v23, -v16
	v_fmac_f32_e32 v18, v25, v9
	v_add_f32_e32 v10, v16, v18
	v_sub_f32_e32 v17, v11, v10
	v_pk_add_f32 v[20:21], v[10:11], v[16:17] neg_lo:[0,1] neg_hi:[0,1]
	v_mov_b32_e32 v19, v10
	v_pk_add_f32 v[10:11], v[20:21], v[18:19] neg_lo:[0,1] neg_hi:[0,1]
	v_cmp_eq_f32_e32 vcc, s87, v28
	v_add_f32_e32 v11, v14, v11
	v_add_f32_e32 v10, v10, v11
	v_add_f32_e32 v11, v17, v10
	v_mul_f32_e32 v14, v24, v11
	v_mul_f32_e32 v16, v23, v14
	v_fma_f32 v18, v14, v23, -v16
	v_fmac_f32_e32 v18, v14, v9
	v_sub_f32_e32 v9, v17, v11
	v_add_f32_e32 v9, v10, v9
	v_add_f32_e32 v10, v16, v18
	v_sub_f32_e32 v17, v11, v10
	v_pk_add_f32 v[20:21], v[10:11], v[16:17] neg_lo:[0,1] neg_hi:[0,1]
	v_mov_b32_e32 v19, v10
	v_pk_add_f32 v[10:11], v[20:21], v[18:19] neg_lo:[0,1] neg_hi:[0,1]
	s_or_b64 vcc, s[26:27], vcc
	v_add_f32_e32 v9, v9, v11
	v_add_f32_e32 v9, v10, v9
	;; [unrolled: 1-line block ×4, first 2 shown]
	v_sub_f32_e32 v10, v11, v25
	v_mul_f32_e32 v9, v24, v9
	v_sub_f32_e32 v10, v14, v10
	v_add_f32_e32 v14, v10, v9
	v_add_f32_e32 v16, v11, v14
	v_cvt_f32_i32_e32 v10, v22
	v_mul_f32_e32 v18, v16, v16
	v_sub_f32_e32 v11, v16, v11
	v_fmamk_f32 v9, v18, 0x3e9b6dac, v49
	v_sub_f32_e32 v11, v14, v11
	v_fmaak_f32 v9, v18, v9, 0x3f2aaada
	v_ldexp_f32 v14, v11, 1
	v_mul_f32_e32 v11, v16, v18
	v_pk_mul_f32 v[18:19], v[10:11], v[8:9]
	v_ldexp_f32 v17, v16, 1
	v_fma_f32 v16, v10, s89, -v18
	v_fmac_f32_e32 v16, 0xb102e308, v10
	v_pk_add_f32 v[10:11], v[18:19], v[16:17]
	v_mov_b32_e32 v20, v18
	v_sub_f32_e32 v9, v11, v17
	v_sub_f32_e32 v9, v19, v9
	v_add_f32_e32 v21, v14, v9
	v_pk_add_f32 v[18:19], v[10:11], v[18:19] neg_lo:[0,1] neg_hi:[0,1]
	v_pk_add_f32 v[22:23], v[10:11], v[20:21]
	v_mov_b32_e32 v17, v10
	v_mov_b32_e32 v19, v23
	v_pk_add_f32 v[24:25], v[16:17], v[18:19] neg_lo:[0,1] neg_hi:[0,1]
	v_pk_add_f32 v[16:17], v[16:17], v[18:19]
	s_nop 0
	v_mov_b32_e32 v14, v17
	v_pk_add_f32 v[18:19], v[14:15], v[10:11] neg_lo:[0,1] neg_hi:[0,1]
	v_mov_b32_e32 v16, v23
	v_mov_b32_e32 v9, v18
	v_pk_add_f32 v[26:27], v[22:23], v[8:9] neg_lo:[0,1] neg_hi:[0,1]
	v_mov_b32_e32 v22, v11
	v_mov_b32_e32 v23, v18
	;; [unrolled: 1-line block ×3, first 2 shown]
	v_pk_add_f32 v[16:17], v[16:17], v[22:23] neg_lo:[0,1] neg_hi:[0,1]
	v_mov_b32_e32 v18, v21
	v_mov_b32_e32 v19, v10
	v_pk_add_f32 v[10:11], v[18:19], v[16:17] neg_lo:[0,1] neg_hi:[0,1]
	v_mov_b32_e32 v26, v24
	v_pk_add_f32 v[16:17], v[26:27], v[10:11]
	s_nop 0
	v_mov_b32_e32 v18, v17
	v_pk_add_f32 v[18:19], v[16:17], v[18:19]
	s_nop 0
	v_pk_add_f32 v[20:21], v[14:15], v[18:19]
	v_mov_b32_e32 v11, v18
	v_mov_b32_e32 v17, v20
	v_pk_add_f32 v[22:23], v[16:17], v[24:25] neg_lo:[0,1] neg_hi:[0,1]
	s_nop 0
	v_sub_f32_e32 v9, v16, v22
	v_pk_add_f32 v[10:11], v[10:11], v[22:23] neg_lo:[0,1] neg_hi:[0,1]
	v_sub_f32_e32 v9, v24, v9
	v_add_f32_e32 v9, v10, v9
	v_add_f32_e32 v9, v9, v11
	;; [unrolled: 1-line block ×3, first 2 shown]
	v_cndmask_b32_e32 v11, v9, v28, vcc
.LBB71_32:                              ;   in Loop: Header=BB71_12 Depth=1
	s_or_b64 exec, exec, s[28:29]
	v_cvt_f32_f16_sdwa v9, v15 dst_sel:DWORD dst_unused:UNUSED_PAD src0_sel:WORD_1
	v_add_f32_e32 v10, s33, v9
	v_cmp_ge_f32_e32 vcc, s83, v10
	s_and_b64 s[26:27], s[60:61], vcc
	s_and_saveexec_b64 s[28:29], s[26:27]
	s_cbranch_execz .LBB71_34
; %bb.33:                               ;   in Loop: Header=BB71_12 Depth=1
	v_mul_f32_e32 v9, 0x3fb8aa3b, v10
	v_rndne_f32_e32 v14, v9
	v_sub_f32_e32 v15, v9, v14
	v_fma_f32 v9, v10, s84, -v9
	v_fmac_f32_e32 v9, 0x32a5705f, v10
	v_add_f32_e32 v9, v15, v9
	v_cvt_i32_f32_e32 v14, v14
	v_exp_f32_e32 v9, v9
	v_cmp_ngt_f32_e32 vcc, s85, v10
	v_ldexp_f32 v9, v9, v14
	s_nop 0
	v_cndmask_b32_e32 v9, 0, v9, vcc
	v_cmp_nlt_f32_e32 vcc, s86, v10
	s_nop 1
	v_cndmask_b32_e32 v28, v50, v9, vcc
	v_add_f32_e32 v9, 1.0, v28
	v_add_f32_e32 v10, -1.0, v9
	v_sub_f32_e32 v14, v10, v9
	v_add_f32_e32 v14, 1.0, v14
	v_sub_f32_e32 v10, v28, v10
	v_add_f32_e32 v10, v10, v14
	v_frexp_mant_f32_e32 v16, v9
	v_cvt_f64_f32_e32 v[14:15], v9
	v_frexp_exp_i32_f64_e32 v14, v[14:15]
	v_cmp_gt_f32_e32 vcc, s88, v16
	v_cmp_gt_f32_e64 s[26:27], s90, v28
	s_nop 0
	v_subbrev_co_u32_e32 v22, vcc, 0, v14, vcc
	v_sub_u32_e32 v14, 0, v22
	v_ldexp_f32 v9, v9, v14
	v_ldexp_f32 v10, v10, v14
	v_add_f32_e32 v14, -1.0, v9
	v_add_f32_e32 v15, 1.0, v14
	v_sub_f32_e32 v15, v9, v15
	v_add_f32_e32 v16, v10, v15
	v_add_f32_e32 v15, 1.0, v9
	v_add_f32_e32 v17, -1.0, v15
	v_sub_f32_e32 v9, v9, v17
	v_add_f32_e32 v9, v10, v9
	v_add_f32_e32 v10, v15, v9
	v_rcp_f32_e32 v23, v10
	v_sub_f32_e32 v15, v15, v10
	v_add_f32_e32 v9, v9, v15
	v_add_f32_e32 v15, v14, v16
	v_sub_f32_e32 v14, v14, v15
	v_mul_f32_e32 v25, v15, v23
	v_add_f32_e32 v24, v16, v14
	v_mul_f32_e32 v16, v10, v25
	v_fma_f32 v18, v25, v10, -v16
	v_fmac_f32_e32 v18, v25, v9
	v_add_f32_e32 v14, v16, v18
	v_sub_f32_e32 v17, v15, v14
	v_pk_add_f32 v[20:21], v[14:15], v[16:17] neg_lo:[0,1] neg_hi:[0,1]
	v_mov_b32_e32 v19, v14
	v_pk_add_f32 v[14:15], v[20:21], v[18:19] neg_lo:[0,1] neg_hi:[0,1]
	v_cmp_eq_f32_e32 vcc, s87, v28
	v_add_f32_e32 v15, v24, v15
	v_add_f32_e32 v14, v14, v15
	;; [unrolled: 1-line block ×3, first 2 shown]
	v_mul_f32_e32 v24, v23, v15
	v_mul_f32_e32 v16, v10, v24
	v_fma_f32 v18, v24, v10, -v16
	v_fmac_f32_e32 v18, v24, v9
	v_sub_f32_e32 v9, v17, v15
	v_add_f32_e32 v9, v14, v9
	v_add_f32_e32 v14, v16, v18
	v_sub_f32_e32 v17, v15, v14
	v_pk_add_f32 v[20:21], v[14:15], v[16:17] neg_lo:[0,1] neg_hi:[0,1]
	v_mov_b32_e32 v19, v14
	v_pk_add_f32 v[14:15], v[20:21], v[18:19] neg_lo:[0,1] neg_hi:[0,1]
	v_add_f32_e32 v10, v25, v24
	v_add_f32_e32 v9, v9, v15
	;; [unrolled: 1-line block ×4, first 2 shown]
	v_sub_f32_e32 v14, v10, v25
	v_mul_f32_e32 v9, v23, v9
	v_sub_f32_e32 v14, v24, v14
	v_add_f32_e32 v15, v14, v9
	v_add_f32_e32 v16, v10, v15
	v_cvt_f32_i32_e32 v14, v22
	v_mul_f32_e32 v18, v16, v16
	v_fmamk_f32 v9, v18, 0x3e9b6dac, v49
	v_sub_f32_e32 v10, v16, v10
	v_fmaak_f32 v9, v18, v9, 0x3f2aaada
	v_sub_f32_e32 v10, v15, v10
	v_mul_f32_e32 v15, v16, v18
	v_pk_mul_f32 v[18:19], v[14:15], v[8:9]
	v_ldexp_f32 v17, v16, 1
	v_fma_f32 v16, v14, s89, -v18
	v_fmac_f32_e32 v16, 0xb102e308, v14
	v_pk_add_f32 v[14:15], v[18:19], v[16:17]
	v_ldexp_f32 v10, v10, 1
	v_sub_f32_e32 v9, v15, v17
	v_sub_f32_e32 v9, v19, v9
	v_add_f32_e32 v21, v10, v9
	v_mov_b32_e32 v20, v18
	v_pk_add_f32 v[18:19], v[14:15], v[18:19] neg_lo:[0,1] neg_hi:[0,1]
	v_pk_add_f32 v[22:23], v[14:15], v[20:21]
	v_mov_b32_e32 v17, v14
	v_mov_b32_e32 v19, v23
	v_pk_add_f32 v[24:25], v[16:17], v[18:19] neg_lo:[0,1] neg_hi:[0,1]
	v_pk_add_f32 v[16:17], v[16:17], v[18:19]
	s_or_b64 vcc, s[26:27], vcc
	v_mov_b32_e32 v10, v17
	v_pk_add_f32 v[18:19], v[10:11], v[14:15] neg_lo:[0,1] neg_hi:[0,1]
	v_mov_b32_e32 v16, v23
	v_mov_b32_e32 v9, v18
	v_pk_add_f32 v[26:27], v[22:23], v[8:9] neg_lo:[0,1] neg_hi:[0,1]
	v_mov_b32_e32 v22, v15
	v_mov_b32_e32 v23, v18
	;; [unrolled: 1-line block ×3, first 2 shown]
	v_pk_add_f32 v[16:17], v[16:17], v[22:23] neg_lo:[0,1] neg_hi:[0,1]
	v_mov_b32_e32 v18, v21
	v_mov_b32_e32 v19, v14
	v_pk_add_f32 v[14:15], v[18:19], v[16:17] neg_lo:[0,1] neg_hi:[0,1]
	v_mov_b32_e32 v26, v24
	v_pk_add_f32 v[16:17], v[26:27], v[14:15]
	s_nop 0
	v_mov_b32_e32 v18, v17
	v_pk_add_f32 v[18:19], v[16:17], v[18:19]
	s_nop 0
	v_pk_add_f32 v[20:21], v[10:11], v[18:19]
	v_mov_b32_e32 v15, v18
	v_mov_b32_e32 v17, v20
	v_pk_add_f32 v[22:23], v[16:17], v[24:25] neg_lo:[0,1] neg_hi:[0,1]
	s_nop 0
	v_sub_f32_e32 v9, v16, v22
	v_pk_add_f32 v[14:15], v[14:15], v[22:23] neg_lo:[0,1] neg_hi:[0,1]
	v_sub_f32_e32 v9, v24, v9
	v_add_f32_e32 v9, v14, v9
	v_add_f32_e32 v9, v9, v15
	;; [unrolled: 1-line block ×3, first 2 shown]
	v_cndmask_b32_e32 v10, v9, v28, vcc
.LBB71_34:                              ;   in Loop: Header=BB71_12 Depth=1
	s_or_b64 exec, exec, s[28:29]
	v_cvt_f32_f16_e32 v20, v13
	v_cvt_f32_f16_sdwa v21, v12 dst_sel:DWORD dst_unused:UNUSED_PAD src0_sel:WORD_1
	v_cvt_f32_f16_e32 v22, v12
	v_cvt_f32_f16_sdwa v9, v13 dst_sel:DWORD dst_unused:UNUSED_PAD src0_sel:WORD_1
	v_mul_f32_e32 v14, s80, v20
	v_mul_f32_e32 v13, s80, v21
	;; [unrolled: 1-line block ×4, first 2 shown]
	s_and_b64 vcc, exec, s[62:63]
	s_waitcnt lgkmcnt(0)
	; wave barrier
	s_cbranch_vccz .LBB71_76
; %bb.35:                               ;   in Loop: Header=BB71_12 Depth=1
	s_cmp_lg_u32 s93, 0
	s_cselect_b64 s[68:69], -1, 0
	s_cmp_eq_u32 s93, s82
	v_cmp_gt_u32_e32 vcc, s34, v7
	s_cselect_b64 s[70:71], -1, 0
	s_or_b64 s[26:27], s[64:65], vcc
	v_cmp_gt_u32_e32 vcc, s34, v6
	s_mov_b32 s56, 0
	v_cmp_gt_u32_e64 s[28:29], s34, v3
	s_or_b64 s[30:31], s[64:65], vcc
	v_cmp_gt_u32_e32 vcc, s34, v48
	v_mul_f32_e32 v9, v10, v9
	v_lshl_add_u64 v[16:17], s[42:43], 0, v[0:1]
	v_lshl_add_u64 v[18:19], s[46:47], 0, v[0:1]
	v_mul_f32_e32 v55, v11, v20
	v_mul_f32_e32 v56, v54, v21
	;; [unrolled: 1-line block ×3, first 2 shown]
	s_or_b64 s[28:29], s[64:65], s[28:29]
	s_or_b64 s[34:35], s[64:65], vcc
	s_mov_b32 s72, s56
	s_mov_b32 s74, s56
	;; [unrolled: 1-line block ×5, first 2 shown]
	s_branch .LBB71_37
.LBB71_36:                              ;   in Loop: Header=BB71_37 Depth=2
	s_or_b64 exec, exec, s[36:37]
	v_mul_f32_e32 v22, v29, v28
	v_fma_f32 v23, v29, v31, v24
	v_cndmask_b32_e64 v24, v23, v24, s[16:17]
	v_cndmask_b32_e64 v22, v22, v29, s[16:17]
	s_waitcnt lgkmcnt(0)
	v_fmac_f32_e32 v24, v34, v22
	v_fmac_f32_e32 v25, v24, v27
	v_cvt_f32_f16_sdwa v23, v21 dst_sel:DWORD dst_unused:UNUSED_PAD src0_sel:WORD_1
	v_cvt_f32_f16_e32 v22, v21
	v_cvt_f32_f16_sdwa v21, v20 dst_sel:DWORD dst_unused:UNUSED_PAD src0_sel:WORD_1
	v_cvt_f32_f16_e32 v20, v20
	v_fmac_f32_e32 v26, v25, v33
	v_fmac_f32_e32 v30, v26, v32
	v_mov_b32_e32 v27, v30
	s_add_i32 s94, s94, 8
	s_add_i32 s67, s67, -1
	s_add_i32 s76, s76, s38
	s_add_i32 s74, s74, s48
	;; [unrolled: 1-line block ×4, first 2 shown]
	v_pk_fma_f32 v[14:15], v[26:27], v[22:23], v[14:15]
	s_cmp_eq_u32 s67, 0
	v_pk_fma_f32 v[12:13], v[24:25], v[20:21], v[12:13]
	s_cbranch_scc1 .LBB71_76
.LBB71_37:                              ;   Parent Loop BB71_12 Depth=1
                                        ; =>  This Inner Loop Header: Depth=2
	s_lshl_b64 s[36:37], s[56:57], 2
	s_add_u32 s36, s39, s36
	s_addc_u32 s37, s40, s37
	global_load_dword v26, v1, s[36:37]
	s_mov_b32 s73, s57
	v_lshl_add_u64 v[20:21], s[72:73], 1, v[16:17]
	v_mov_b32_e32 v22, 0
	v_mov_b32_e32 v23, 0
	s_and_saveexec_b64 s[36:37], s[18:19]
	s_cbranch_execnz .LBB71_49
; %bb.38:                               ;   in Loop: Header=BB71_37 Depth=2
	s_or_b64 exec, exec, s[36:37]
	s_and_saveexec_b64 s[36:37], s[20:21]
	s_cbranch_execnz .LBB71_50
.LBB71_39:                              ;   in Loop: Header=BB71_37 Depth=2
	s_or_b64 exec, exec, s[36:37]
	v_mov_b32_e32 v24, 0
	s_and_saveexec_b64 s[36:37], s[22:23]
	s_cbranch_execnz .LBB71_51
.LBB71_40:                              ;   in Loop: Header=BB71_37 Depth=2
	s_or_b64 exec, exec, s[36:37]
	s_and_saveexec_b64 s[36:37], s[24:25]
	s_cbranch_execz .LBB71_42
.LBB71_41:                              ;   in Loop: Header=BB71_37 Depth=2
	global_load_ushort v20, v[20:21], off offset:384
	s_waitcnt vmcnt(0)
	v_lshl_or_b32 v24, v20, 16, v24
.LBB71_42:                              ;   in Loop: Header=BB71_37 Depth=2
	s_or_b64 exec, exec, s[36:37]
	s_waitcnt vmcnt(0)
	ds_write_b16 v39, v23
	ds_write_b16 v40, v22 offset:128
	ds_write_b16 v41, v24 offset:256
	ds_write_b16_d16_hi v42, v24 offset:384
	; wave barrier
	ds_read_b64 v[24:25], v43
	s_mov_b32 s75, s57
	v_lshl_add_u64 v[20:21], s[74:75], 1, v[18:19]
	v_mov_b32_e32 v22, 0
	v_mov_b32_e32 v23, 0
	s_and_saveexec_b64 s[36:37], s[18:19]
	s_cbranch_execnz .LBB71_52
; %bb.43:                               ;   in Loop: Header=BB71_37 Depth=2
	s_or_b64 exec, exec, s[36:37]
	s_and_saveexec_b64 s[36:37], s[20:21]
	s_cbranch_execnz .LBB71_53
.LBB71_44:                              ;   in Loop: Header=BB71_37 Depth=2
	s_or_b64 exec, exec, s[36:37]
	v_mov_b32_e32 v27, 0
	s_and_saveexec_b64 s[36:37], s[22:23]
	s_cbranch_execnz .LBB71_54
.LBB71_45:                              ;   in Loop: Header=BB71_37 Depth=2
	s_or_b64 exec, exec, s[36:37]
	s_and_saveexec_b64 s[36:37], s[24:25]
	s_cbranch_execz .LBB71_47
.LBB71_46:                              ;   in Loop: Header=BB71_37 Depth=2
	global_load_ushort v20, v[20:21], off offset:384
	s_waitcnt vmcnt(0)
	v_lshl_or_b32 v27, v20, 16, v27
.LBB71_47:                              ;   in Loop: Header=BB71_37 Depth=2
	s_or_b64 exec, exec, s[36:37]
	s_waitcnt vmcnt(0)
	ds_write_b16 v39, v23 offset:528
	ds_write_b16 v44, v22 offset:128
	;; [unrolled: 1-line block ×3, first 2 shown]
	ds_write_b16_d16_hi v46, v27 offset:384
	; wave barrier
	ds_read_b64 v[20:21], v43 offset:528
	s_andn2_b64 vcc, exec, s[68:69]
	s_cbranch_vccnz .LBB71_55
; %bb.48:                               ;   in Loop: Header=BB71_37 Depth=2
	v_mov_b32_e32 v22, s94
	ds_read_b64 v[22:23], v22
	s_cbranch_execz .LBB71_56
	s_branch .LBB71_59
.LBB71_49:                              ;   in Loop: Header=BB71_37 Depth=2
	global_load_ushort v23, v[20:21], off
	s_or_b64 exec, exec, s[36:37]
	s_and_saveexec_b64 s[36:37], s[20:21]
	s_cbranch_execz .LBB71_39
.LBB71_50:                              ;   in Loop: Header=BB71_37 Depth=2
	global_load_ushort v22, v[20:21], off offset:128
	s_or_b64 exec, exec, s[36:37]
	v_mov_b32_e32 v24, 0
	s_and_saveexec_b64 s[36:37], s[22:23]
	s_cbranch_execz .LBB71_40
.LBB71_51:                              ;   in Loop: Header=BB71_37 Depth=2
	global_load_ushort v24, v[20:21], off offset:256
	s_or_b64 exec, exec, s[36:37]
	s_and_saveexec_b64 s[36:37], s[24:25]
	s_cbranch_execnz .LBB71_41
	s_branch .LBB71_42
.LBB71_52:                              ;   in Loop: Header=BB71_37 Depth=2
	global_load_ushort v23, v[20:21], off
	s_or_b64 exec, exec, s[36:37]
	s_and_saveexec_b64 s[36:37], s[20:21]
	s_cbranch_execz .LBB71_44
.LBB71_53:                              ;   in Loop: Header=BB71_37 Depth=2
	global_load_ushort v22, v[20:21], off offset:128
	s_or_b64 exec, exec, s[36:37]
	v_mov_b32_e32 v27, 0
	s_and_saveexec_b64 s[36:37], s[22:23]
	s_cbranch_execz .LBB71_45
.LBB71_54:                              ;   in Loop: Header=BB71_37 Depth=2
	global_load_ushort v27, v[20:21], off offset:256
	s_or_b64 exec, exec, s[36:37]
	s_and_saveexec_b64 s[36:37], s[24:25]
	s_cbranch_execnz .LBB71_46
	s_branch .LBB71_47
.LBB71_55:                              ;   in Loop: Header=BB71_37 Depth=2
                                        ; implicit-def: $vgpr23
.LBB71_56:                              ;   in Loop: Header=BB71_37 Depth=2
	s_andn2_b64 vcc, exec, s[52:53]
	s_waitcnt lgkmcnt(0)
	v_mov_b32_e32 v23, 0
	s_cbranch_vccnz .LBB71_58
; %bb.57:                               ;   in Loop: Header=BB71_37 Depth=2
	s_mov_b32 s77, s57
	s_lshl_b64 s[36:37], s[76:77], 1
	s_add_u32 s36, s45, s36
	s_addc_u32 s37, s49, s37
	global_load_ushort v22, v1, s[36:37]
	s_waitcnt vmcnt(0)
	v_cvt_f32_f16_e32 v23, v22
.LBB71_58:                              ;   in Loop: Header=BB71_37 Depth=2
	v_mov_b32_e32 v22, 1.0
.LBB71_59:                              ;   in Loop: Header=BB71_37 Depth=2
	v_mul_f32_e32 v26, 0x3fb8aa3b, v26
	s_waitcnt lgkmcnt(5)
	v_cvt_f32_f16_e32 v27, v24
	v_cvt_f32_f16_sdwa v28, v24 dst_sel:DWORD dst_unused:UNUSED_PAD src0_sel:WORD_1
	v_mul_f32_e32 v24, v26, v53
	v_cmp_gt_f32_e32 vcc, s92, v24
	v_cvt_f32_f16_e32 v32, v25
	v_cvt_f32_f16_sdwa v33, v25 dst_sel:DWORD dst_unused:UNUSED_PAD src0_sel:WORD_1
	v_cndmask_b32_e32 v24, 0, v51, vcc
	v_fmac_f32_e32 v24, v26, v53
	v_exp_f32_e32 v24, v24
	v_cndmask_b32_e32 v25, 1.0, v52, vcc
	v_mul_f32_e32 v25, v24, v25
	v_mul_f32_e32 v24, v57, v27
	v_mul_f32_e32 v27, v26, v54
	v_cmp_gt_f32_e32 vcc, s92, v27
	v_cndmask_b32_e64 v29, 1.0, v25, s[26:27]
	v_cndmask_b32_e64 v24, 0, v24, s[26:27]
	v_cndmask_b32_e32 v27, 0, v51, vcc
	v_fmac_f32_e32 v27, v26, v54
	v_exp_f32_e32 v27, v27
	v_cndmask_b32_e32 v25, 1.0, v52, vcc
	v_mul_f32_e32 v27, v27, v25
	v_pk_mul_f32 v[30:31], v[26:27], v[10:11] op_sel_hi:[0,1]
	v_cmp_gt_f32_e32 vcc, s92, v30
	v_mul_f32_e32 v25, v56, v28
	v_cmp_gt_f32_e64 s[36:37], s92, v31
	v_cndmask_b32_e32 v28, 0, v51, vcc
	v_add_f32_e32 v28, v30, v28
	v_cndmask_b32_e64 v30, 0, v51, s[36:37]
	v_exp_f32_e32 v28, v28
	v_add_f32_e32 v30, v31, v30
	v_exp_f32_e32 v30, v30
	v_cndmask_b32_e32 v31, 1.0, v52, vcc
	v_mul_f32_e32 v28, v28, v31
	v_cndmask_b32_e64 v31, 1.0, v52, s[36:37]
	v_cndmask_b32_e64 v25, 0, v25, s[28:29]
	v_cndmask_b32_e64 v27, 1.0, v27, s[28:29]
	v_mul_f32_e32 v31, v30, v31
	v_mul_f32_e32 v26, v55, v32
	;; [unrolled: 1-line block ×3, first 2 shown]
	v_cndmask_b32_e64 v33, 1.0, v31, s[30:31]
	v_cndmask_b32_e64 v32, 1.0, v28, s[34:35]
	v_fma_f32 v28, v27, v24, v25
	v_cndmask_b32_e64 v26, 0, v26, s[30:31]
	v_mul_f32_e32 v28, v28, v33
	v_pk_add_f32 v[34:35], v[28:29], v[26:27]
	v_pk_mul_f32 v[58:59], v[28:29], v[26:27]
	v_cndmask_b32_e64 v30, 0, v30, s[34:35]
	v_mov_b32_e32 v35, v59
	v_pk_mul_f32 v[58:59], v[34:35], v[32:33]
	v_mov_b32_e32 v31, v32
	v_pk_fma_f32 v[60:61], v[34:35], v[32:33], v[30:31]
	v_pk_mul_f32 v[58:59], v[58:59], v[30:31]
	s_nop 0
	v_mov_b32_dpp v31, v60 row_shr:1 row_mask:0xf bank_mask:0xf
	v_mov_b32_dpp v28, v59 row_shr:1 row_mask:0xf bank_mask:0xf
	v_mul_f32_e32 v58, v59, v28
	v_fma_f32 v28, v59, v31, v60
	v_cndmask_b32_e64 v35, v28, v60, s[0:1]
	v_cndmask_b32_e64 v28, v28, v60, s[0:1]
	;; [unrolled: 1-line block ×4, first 2 shown]
	v_mov_b32_dpp v59, v28 row_shr:2 row_mask:0xf bank_mask:0xf
	v_mov_b32_dpp v58, v31 row_shr:2 row_mask:0xf bank_mask:0xf
	s_and_saveexec_b64 s[36:37], s[2:3]
; %bb.60:                               ;   in Loop: Header=BB71_37 Depth=2
	v_fmac_f32_e32 v28, v31, v59
	v_mul_f32_e32 v31, v31, v58
	v_mov_b32_e32 v34, v31
	v_mov_b32_e32 v35, v28
; %bb.61:                               ;   in Loop: Header=BB71_37 Depth=2
	s_or_b64 exec, exec, s[36:37]
	v_mov_b32_dpp v58, v31 row_shr:4 row_mask:0xf bank_mask:0xf
	v_mov_b32_dpp v59, v28 row_shr:4 row_mask:0xf bank_mask:0xf
	s_and_saveexec_b64 s[36:37], s[4:5]
; %bb.62:                               ;   in Loop: Header=BB71_37 Depth=2
	v_fmac_f32_e32 v28, v31, v59
	v_mul_f32_e32 v31, v31, v58
	v_mov_b32_e32 v34, v31
	v_mov_b32_e32 v35, v28
; %bb.63:                               ;   in Loop: Header=BB71_37 Depth=2
	s_or_b64 exec, exec, s[36:37]
	;; [unrolled: 10-line block ×3, first 2 shown]
	v_mov_b32_dpp v58, v31 row_bcast:15 row_mask:0xf bank_mask:0xf
	v_mov_b32_dpp v59, v28 row_bcast:15 row_mask:0xf bank_mask:0xf
	s_and_saveexec_b64 s[36:37], s[8:9]
; %bb.66:                               ;   in Loop: Header=BB71_37 Depth=2
	v_fmac_f32_e32 v28, v31, v59
	v_mul_f32_e32 v31, v31, v58
	v_mov_b32_e32 v34, v31
	v_mov_b32_e32 v35, v28
; %bb.67:                               ;   in Loop: Header=BB71_37 Depth=2
	s_or_b64 exec, exec, s[36:37]
	v_mov_b32_dpp v58, v31 row_bcast:31 row_mask:0xf bank_mask:0xf
	v_mov_b32_dpp v59, v28 row_bcast:31 row_mask:0xf bank_mask:0xf
	v_mul_f32_e32 v58, v31, v58
	v_fmac_f32_e32 v28, v31, v59
	v_cndmask_b32_e64 v34, v34, v58, s[10:11]
	v_cndmask_b32_e64 v35, v35, v28, s[10:11]
	s_and_saveexec_b64 s[36:37], s[12:13]
	s_cbranch_execz .LBB71_69
; %bb.68:                               ;   in Loop: Header=BB71_37 Depth=2
	ds_write_b64 v1, v[34:35] offset:1056
.LBB71_69:                              ;   in Loop: Header=BB71_37 Depth=2
	s_or_b64 exec, exec, s[36:37]
	ds_bpermute_b32 v28, v47, v34
	ds_bpermute_b32 v31, v47, v35
	s_waitcnt lgkmcnt(2)
	v_mov_b32_e32 v35, v23
	s_waitcnt lgkmcnt(0)
	; wave barrier
	s_waitcnt lgkmcnt(0)
	s_and_saveexec_b64 s[36:37], s[14:15]
	s_cbranch_execz .LBB71_73
; %bb.70:                               ;   in Loop: Header=BB71_37 Depth=2
	ds_read_b64 v[34:35], v1 offset:1056
	s_and_saveexec_b64 s[78:79], s[16:17]
	s_cbranch_execz .LBB71_72
; %bb.71:                               ;   in Loop: Header=BB71_37 Depth=2
	ds_write_b64 v1, v[22:23] offset:1056
.LBB71_72:                              ;   in Loop: Header=BB71_37 Depth=2
	s_or_b64 exec, exec, s[78:79]
	s_waitcnt lgkmcnt(0)
	v_fmac_f32_e32 v35, v23, v34
	v_mul_f32_e32 v22, v22, v34
	v_mov_b32_e32 v23, v35
.LBB71_73:                              ;   in Loop: Header=BB71_37 Depth=2
	s_or_b64 exec, exec, s[36:37]
	s_waitcnt lgkmcnt(0)
	; wave barrier
	ds_read_b32 v34, v1 offset:1060
	s_and_saveexec_b64 s[36:37], s[16:17]
	s_cbranch_execz .LBB71_36
; %bb.74:                               ;   in Loop: Header=BB71_37 Depth=2
	v_mov_b32_e32 v58, s94
	s_andn2_b64 vcc, exec, s[70:71]
	ds_write_b64 v58, v[22:23]
	s_cbranch_vccnz .LBB71_36
; %bb.75:                               ;   in Loop: Header=BB71_37 Depth=2
	s_mov_b32 s77, s57
	v_cvt_f16_f32_e32 v22, v35
	s_lshl_b64 s[78:79], s[76:77], 1
	s_add_u32 s78, s45, s78
	s_addc_u32 s79, s49, s79
	global_store_short v1, v22, s[78:79]
	s_branch .LBB71_36
.LBB71_76:                              ;   in Loop: Header=BB71_12 Depth=1
	v_cvt_f16_f32_e32 v9, v15
	v_cvt_f16_f32_e32 v10, v14
	;; [unrolled: 1-line block ×4, first 2 shown]
	v_pack_b32_f16 v11, v10, v9
	; wave barrier
	v_pack_b32_f16 v10, v12, v13
	ds_write_b64 v43, v[10:11]
	; wave barrier
	ds_read_u16 v13, v40 offset:128
	ds_read_u16 v12, v41 offset:256
	;; [unrolled: 1-line block ×3, first 2 shown]
	s_mov_b32 s67, s57
	v_lshl_add_u64 v[10:11], s[66:67], 1, v[4:5]
	s_and_saveexec_b64 s[26:27], s[18:19]
	s_cbranch_execnz .LBB71_82
; %bb.77:                               ;   in Loop: Header=BB71_12 Depth=1
	s_or_b64 exec, exec, s[26:27]
	s_and_saveexec_b64 s[18:19], s[20:21]
	s_cbranch_execnz .LBB71_83
.LBB71_78:                              ;   in Loop: Header=BB71_12 Depth=1
	s_or_b64 exec, exec, s[18:19]
	s_and_saveexec_b64 s[18:19], s[22:23]
	s_cbranch_execnz .LBB71_84
.LBB71_79:                              ;   in Loop: Header=BB71_12 Depth=1
	s_or_b64 exec, exec, s[18:19]
	s_and_saveexec_b64 s[18:19], s[24:25]
	s_cbranch_execz .LBB71_11
	s_branch .LBB71_85
.LBB71_80:                              ;   in Loop: Header=BB71_12 Depth=1
	global_load_ushort v15, v[10:11], off offset:128
	s_or_b64 exec, exec, s[26:27]
	s_and_saveexec_b64 s[26:27], s[22:23]
	s_cbranch_execz .LBB71_24
.LBB71_81:                              ;   in Loop: Header=BB71_12 Depth=1
	global_load_ushort v14, v[10:11], off offset:256
	s_or_b64 exec, exec, s[26:27]
	v_mov_b32_e32 v16, 0
	s_and_saveexec_b64 s[26:27], s[24:25]
	s_cbranch_execnz .LBB71_25
	s_branch .LBB71_26
.LBB71_82:                              ;   in Loop: Header=BB71_12 Depth=1
	ds_read_u16 v14, v39
	s_waitcnt lgkmcnt(0)
	global_store_short v[10:11], v14, off
	s_or_b64 exec, exec, s[26:27]
	s_and_saveexec_b64 s[18:19], s[20:21]
	s_cbranch_execz .LBB71_78
.LBB71_83:                              ;   in Loop: Header=BB71_12 Depth=1
	s_waitcnt lgkmcnt(2)
	global_store_short v[10:11], v13, off offset:128
	s_or_b64 exec, exec, s[18:19]
	s_and_saveexec_b64 s[18:19], s[22:23]
	s_cbranch_execz .LBB71_79
.LBB71_84:                              ;   in Loop: Header=BB71_12 Depth=1
	s_waitcnt lgkmcnt(1)
	global_store_short v[10:11], v12, off offset:256
	s_or_b64 exec, exec, s[18:19]
	s_and_saveexec_b64 s[18:19], s[24:25]
	s_cbranch_execz .LBB71_11
.LBB71_85:                              ;   in Loop: Header=BB71_12 Depth=1
	s_waitcnt lgkmcnt(0)
	global_store_short v[10:11], v9, off offset:384
	s_branch .LBB71_11
.LBB71_86:
	s_endpgm
	.section	.rodata,"a",@progbits
	.p2align	6, 0x0
	.amdhsa_kernel _Z25selective_scan_fwd_kernelI32Selective_Scan_fwd_kernel_traitsILi64ELi4ELi1ELb0ELb1ELb1ELb0ELb0EN3c104HalfEfS2_EEv13SSMParamsBase
		.amdhsa_group_segment_fixed_size 0
		.amdhsa_private_segment_fixed_size 0
		.amdhsa_kernarg_size 248
		.amdhsa_user_sgpr_count 2
		.amdhsa_user_sgpr_dispatch_ptr 0
		.amdhsa_user_sgpr_queue_ptr 0
		.amdhsa_user_sgpr_kernarg_segment_ptr 1
		.amdhsa_user_sgpr_dispatch_id 0
		.amdhsa_user_sgpr_kernarg_preload_length 0
		.amdhsa_user_sgpr_kernarg_preload_offset 0
		.amdhsa_user_sgpr_private_segment_size 0
		.amdhsa_uses_dynamic_stack 0
		.amdhsa_enable_private_segment 0
		.amdhsa_system_sgpr_workgroup_id_x 1
		.amdhsa_system_sgpr_workgroup_id_y 1
		.amdhsa_system_sgpr_workgroup_id_z 0
		.amdhsa_system_sgpr_workgroup_info 0
		.amdhsa_system_vgpr_workitem_id 0
		.amdhsa_next_free_vgpr 62
		.amdhsa_next_free_sgpr 95
		.amdhsa_accum_offset 64
		.amdhsa_reserve_vcc 1
		.amdhsa_float_round_mode_32 0
		.amdhsa_float_round_mode_16_64 0
		.amdhsa_float_denorm_mode_32 3
		.amdhsa_float_denorm_mode_16_64 3
		.amdhsa_dx10_clamp 1
		.amdhsa_ieee_mode 1
		.amdhsa_fp16_overflow 0
		.amdhsa_tg_split 0
		.amdhsa_exception_fp_ieee_invalid_op 0
		.amdhsa_exception_fp_denorm_src 0
		.amdhsa_exception_fp_ieee_div_zero 0
		.amdhsa_exception_fp_ieee_overflow 0
		.amdhsa_exception_fp_ieee_underflow 0
		.amdhsa_exception_fp_ieee_inexact 0
		.amdhsa_exception_int_div_zero 0
	.end_amdhsa_kernel
	.section	.text._Z25selective_scan_fwd_kernelI32Selective_Scan_fwd_kernel_traitsILi64ELi4ELi1ELb0ELb1ELb1ELb0ELb0EN3c104HalfEfS2_EEv13SSMParamsBase,"axG",@progbits,_Z25selective_scan_fwd_kernelI32Selective_Scan_fwd_kernel_traitsILi64ELi4ELi1ELb0ELb1ELb1ELb0ELb0EN3c104HalfEfS2_EEv13SSMParamsBase,comdat
.Lfunc_end71:
	.size	_Z25selective_scan_fwd_kernelI32Selective_Scan_fwd_kernel_traitsILi64ELi4ELi1ELb0ELb1ELb1ELb0ELb0EN3c104HalfEfS2_EEv13SSMParamsBase, .Lfunc_end71-_Z25selective_scan_fwd_kernelI32Selective_Scan_fwd_kernel_traitsILi64ELi4ELi1ELb0ELb1ELb1ELb0ELb0EN3c104HalfEfS2_EEv13SSMParamsBase
                                        ; -- End function
	.section	.AMDGPU.csdata,"",@progbits
; Kernel info:
; codeLenInByte = 6168
; NumSgprs: 101
; NumVgprs: 62
; NumAgprs: 0
; TotalNumVgprs: 62
; ScratchSize: 0
; MemoryBound: 0
; FloatMode: 240
; IeeeMode: 1
; LDSByteSize: 0 bytes/workgroup (compile time only)
; SGPRBlocks: 12
; VGPRBlocks: 7
; NumSGPRsForWavesPerEU: 101
; NumVGPRsForWavesPerEU: 62
; AccumOffset: 64
; Occupancy: 7
; WaveLimiterHint : 0
; COMPUTE_PGM_RSRC2:SCRATCH_EN: 0
; COMPUTE_PGM_RSRC2:USER_SGPR: 2
; COMPUTE_PGM_RSRC2:TRAP_HANDLER: 0
; COMPUTE_PGM_RSRC2:TGID_X_EN: 1
; COMPUTE_PGM_RSRC2:TGID_Y_EN: 1
; COMPUTE_PGM_RSRC2:TGID_Z_EN: 0
; COMPUTE_PGM_RSRC2:TIDIG_COMP_CNT: 0
; COMPUTE_PGM_RSRC3_GFX90A:ACCUM_OFFSET: 15
; COMPUTE_PGM_RSRC3_GFX90A:TG_SPLIT: 0
	.section	.text._Z25selective_scan_fwd_kernelI32Selective_Scan_fwd_kernel_traitsILi64ELi8ELi1ELb1ELb1ELb1ELb1ELb1EN3c104HalfEfS2_EEv13SSMParamsBase,"axG",@progbits,_Z25selective_scan_fwd_kernelI32Selective_Scan_fwd_kernel_traitsILi64ELi8ELi1ELb1ELb1ELb1ELb1ELb1EN3c104HalfEfS2_EEv13SSMParamsBase,comdat
	.protected	_Z25selective_scan_fwd_kernelI32Selective_Scan_fwd_kernel_traitsILi64ELi8ELi1ELb1ELb1ELb1ELb1ELb1EN3c104HalfEfS2_EEv13SSMParamsBase ; -- Begin function _Z25selective_scan_fwd_kernelI32Selective_Scan_fwd_kernel_traitsILi64ELi8ELi1ELb1ELb1ELb1ELb1ELb1EN3c104HalfEfS2_EEv13SSMParamsBase
	.globl	_Z25selective_scan_fwd_kernelI32Selective_Scan_fwd_kernel_traitsILi64ELi8ELi1ELb1ELb1ELb1ELb1ELb1EN3c104HalfEfS2_EEv13SSMParamsBase
	.p2align	8
	.type	_Z25selective_scan_fwd_kernelI32Selective_Scan_fwd_kernel_traitsILi64ELi8ELi1ELb1ELb1ELb1ELb1ELb1EN3c104HalfEfS2_EEv13SSMParamsBase,@function
_Z25selective_scan_fwd_kernelI32Selective_Scan_fwd_kernel_traitsILi64ELi8ELi1ELb1ELb1ELb1ELb1ELb1EN3c104HalfEfS2_EEv13SSMParamsBase: ; @_Z25selective_scan_fwd_kernelI32Selective_Scan_fwd_kernel_traitsILi64ELi8ELi1ELb1ELb1ELb1ELb1ELb1EN3c104HalfEfS2_EEv13SSMParamsBase
; %bb.0:
	s_load_dword s37, s[0:1], 0x18
	s_load_dwordx4 s[4:7], s[0:1], 0xe8
	s_load_dwordx8 s[20:27], s[0:1], 0xc8
	s_mov_b32 s34, s3
	s_ashr_i32 s3, s2, 31
	s_lshl_b64 s[8:9], s[2:3], 2
	s_waitcnt lgkmcnt(0)
	s_abs_i32 s36, s37
	v_cvt_f32_u32_e32 v1, s36
	s_add_u32 s28, s26, s8
	s_addc_u32 s29, s27, s9
	s_cmp_eq_u64 s[6:7], 0
	v_rcp_iflag_f32_e32 v1, v1
	s_nop 0
	v_mul_f32_e32 v1, 0x4f7ffffe, v1
	v_cvt_u32_f32_e32 v1, v1
	s_nop 0
	v_readfirstlane_b32 s38, v1
	s_cbranch_scc1 .LBB72_169
; %bb.1:
	s_add_u32 s6, s6, s2
	s_addc_u32 s7, s7, s3
	v_mov_b32_e32 v1, 0
	global_load_ubyte v1, v1, s[6:7]
	s_waitcnt vmcnt(0)
	v_and_b32_e32 v1, 1, v1
	v_cmp_eq_u32_e64 s[68:69], 1, v1
	s_load_dwordx2 s[6:7], s[0:1], 0x20
	s_cmp_eq_u64 s[4:5], 0
	s_cbranch_scc1 .LBB72_3
.LBB72_2:
	s_add_u32 s2, s4, s8
	s_addc_u32 s3, s5, s9
	s_load_dword s2, s[2:3], 0x0
	s_waitcnt lgkmcnt(0)
	s_ashr_i32 s3, s2, 31
.LBB72_3:
	s_waitcnt lgkmcnt(0)
	s_cmp_eq_u64 s[6:7], s[2:3]
	s_cbranch_scc1 .LBB72_168
; %bb.4:
	s_load_dwordx16 s[4:19], s[0:1], 0x88
	s_load_dwordx2 s[26:27], s[28:29], 0x0
	s_mov_b32 s33, 0
	s_mov_b32 s92, 0
	s_waitcnt lgkmcnt(0)
	s_cmp_eq_u64 s[10:11], 0
	s_cbranch_scc1 .LBB72_6
; %bb.5:
	s_ashr_i32 s35, s34, 31
	s_lshl_b64 s[28:29], s[34:35], 2
	s_add_u32 s10, s10, s28
	s_addc_u32 s11, s11, s29
	s_load_dword s92, s[10:11], 0x0
.LBB72_6:
	s_cmp_eq_u64 s[16:17], 0
	s_cbranch_scc1 .LBB72_8
; %bb.7:
	s_ashr_i32 s35, s34, 31
	s_lshl_b64 s[10:11], s[34:35], 2
	s_add_u32 s10, s16, s10
	s_addc_u32 s11, s17, s11
	s_load_dword s33, s[10:11], 0x0
.LBB72_8:
	s_sub_i32 s35, s27, s26
	s_cmp_lt_i32 s35, 1
	s_cbranch_scc1 .LBB72_168
; %bb.9:
	s_sub_i32 s3, 0, s36
	s_mul_i32 s3, s3, s38
	s_mul_hi_u32 s3, s38, s3
	s_abs_i32 s16, s34
	s_add_i32 s38, s38, s3
	s_load_dwordx8 s[52:59], s[0:1], 0x2c
	s_load_dwordx2 s[10:11], s[0:1], 0x7c
	s_load_dwordx4 s[28:31], s[0:1], 0x6c
	s_load_dwordx8 s[60:67], s[0:1], 0x4c
	s_load_dword s94, s[0:1], 0x84
	s_mul_hi_u32 s3, s16, s38
	s_load_dword s38, s[0:1], 0xc
	s_load_dword s17, s[0:1], 0x28
	s_ashr_i32 s0, s34, 31
	s_ashr_i32 s1, s37, 31
	s_xor_b32 s0, s0, s1
	s_mul_i32 s1, s3, s36
	s_sub_i32 s1, s16, s1
	s_add_i32 s16, s3, 1
	s_sub_i32 s27, s1, s36
	s_cmp_ge_u32 s1, s36
	s_cselect_b32 s3, s16, s3
	s_cselect_b32 s1, s27, s1
	s_add_i32 s16, s3, 1
	s_cmp_ge_u32 s1, s36
	s_cselect_b32 s1, s16, s3
	s_xor_b32 s1, s1, s0
	s_waitcnt lgkmcnt(0)
	s_mul_i32 s70, s26, s62
	s_mov_b32 s71, 0
	s_sub_i32 s3, s1, s0
	s_lshl_b64 s[0:1], s[70:71], 1
	s_add_u32 s12, s12, s0
	s_mul_i32 s70, s63, s34
	s_addc_u32 s13, s13, s1
	s_lshl_b64 s[0:1], s[70:71], 1
	s_add_u32 s62, s12, s0
	s_mul_i32 s70, s26, s64
	s_addc_u32 s63, s13, s1
	;; [unrolled: 4-line block ×10, first 2 shown]
	s_lshl_b64 s[0:1], s[70:71], 1
	v_mbcnt_lo_u32_b32 v1, -1, 0
	s_add_u32 s57, s2, s0
	v_mbcnt_hi_u32_b32 v10, -1, v1
	s_addc_u32 s61, s3, s1
	s_add_i32 s0, s35, 0x7ff
	v_lshrrev_b32_e32 v1, 5, v10
	s_lshr_b32 s1, s0, 11
	v_and_b32_e32 v1, 2, v1
	v_add_u32_e32 v40, 64, v10
	v_or_b32_e32 v41, 0x80, v10
	v_add_u32_e32 v42, 0xc0, v10
	v_or_b32_e32 v43, 0x100, v10
	;; [unrolled: 2-line block ×3, first 2 shown]
	v_add_u32_e32 v46, 0x1c0, v10
	v_add_u32_e32 v1, v1, v10
	s_bitcmp1_b32 s17, 0
	v_lshl_add_u32 v47, v1, 1, 0
	v_lshrrev_b32_e32 v1, 5, v40
	v_lshrrev_b32_e32 v2, 5, v41
	;; [unrolled: 1-line block ×7, first 2 shown]
	s_cselect_b64 s[72:73], -1, 0
                                        ; implicit-def: $vgpr95 : SGPR spill to VGPR lane
	s_cmp_gt_i32 s38, 0
	v_and_b32_e32 v1, 6, v1
	v_and_b32_e32 v2, 6, v2
	;; [unrolled: 1-line block ×7, first 2 shown]
	v_writelane_b32 v95, s38, 0
	s_cselect_b64 s[2:3], -1, 0
	v_add_lshl_u32 v1, v1, v10, 1
	v_add_lshl_u32 v2, v2, v10, 1
	;; [unrolled: 1-line block ×7, first 2 shown]
	v_writelane_b32 v95, s2, 1
	s_add_i32 s0, 0, 0x420
	v_add_u32_e32 v56, s0, v1
	v_writelane_b32 v95, s3, 2
	v_add_u32_e32 v57, s0, v2
	v_add_u32_e32 v58, s0, v3
	;; [unrolled: 1-line block ×6, first 2 shown]
	s_and_b32 s0, s35, 0x1ff
	v_writelane_b32 v95, s35, 3
	s_cmp_eq_u32 s0, 0
	s_cselect_b64 s[76:77], -1, 0
	v_writelane_b32 v95, s1, 4
	s_add_i32 s0, s1, -1
	s_mul_i32 s70, s26, s28
	v_writelane_b32 v95, s0, 5
	s_lshl_b64 s[0:1], s[70:71], 1
	s_add_u32 s14, s18, s0
	s_mul_i32 s70, s29, s34
	s_addc_u32 s15, s19, s1
	s_lshl_b64 s[12:13], s[70:71], 1
	s_add_u32 s18, s14, s12
	s_mul_i32 s70, s26, s66
	s_addc_u32 s19, s15, s13
	s_lshl_b64 s[12:13], s[70:71], 1
	s_add_u32 s14, s22, s12
	s_mul_i32 s70, s67, s34
	v_lshrrev_b32_e32 v8, 2, v10
	s_addc_u32 s15, s23, s13
	s_lshl_b64 s[12:13], s[70:71], 1
	v_and_b32_e32 v8, 30, v8
	s_add_u32 s20, s14, s12
	s_mul_i32 s70, s26, s30
	v_lshl_add_u32 v8, v10, 3, v8
	s_addc_u32 s21, s15, s13
	s_lshl_b64 s[14:15], s[70:71], 1
	v_mov_b32_e32 v9, 0
	v_add_u32_e32 v48, 0, v1
	v_lshl_add_u32 v55, v8, 1, 0
	v_and_b32_e32 v1, 15, v10
	s_add_u32 s22, s24, s14
	v_lshlrev_b32_e32 v8, 1, v10
	s_mul_i32 s70, s31, s34
	v_cmp_ne_u32_e64 s[0:1], 0, v1
	v_cmp_lt_u32_e64 s[2:3], 1, v1
	v_cmp_lt_u32_e64 s[4:5], 3, v1
	;; [unrolled: 1-line block ×3, first 2 shown]
	v_and_b32_e32 v1, 16, v10
	s_addc_u32 s23, s25, s15
	v_lshl_add_u64 v[12:13], s[18:19], 0, v[8:9]
	s_lshl_b64 s[18:19], s[70:71], 1
	v_add_u32_e32 v49, 0, v2
	v_cmp_ne_u32_e64 s[8:9], 0, v1
	v_add_u32_e32 v1, -1, v10
	v_and_b32_e32 v2, 64, v10
	s_add_u32 s18, s22, s18
	v_cmp_lt_i32_e32 vcc, v1, v2
	s_addc_u32 s19, s23, s19
	v_lshlrev_b32_e32 v11, 3, v0
	v_cndmask_b32_e32 v1, v1, v10, vcc
	v_lshl_add_u64 v[16:17], s[18:19], 0, v[8:9]
	s_add_i32 s18, 0, 0x848
	v_add_u32_e32 v50, 0, v3
	v_add_u32_e32 v51, 0, v4
	v_add_u32_e32 v52, 0, v5
	v_add_u32_e32 v53, 0, v6
	v_add_u32_e32 v54, 0, v7
	v_cmp_lt_u32_e64 s[10:11], 31, v10
	v_cmp_eq_u32_e64 s[12:13], 63, v0
	v_lshlrev_b32_e32 v63, 2, v1
	v_cmp_gt_u32_e64 s[14:15], 64, v0
	v_cmp_eq_u32_e64 s[16:17], 0, v0
	v_lshl_add_u64 v[14:15], s[20:21], 0, v[8:9]
	v_or_b32_e32 v70, 7, v11
	v_lshlrev_b32_e32 v8, 1, v10
	s_mov_b32 s40, 0x41a00000
	s_mov_b32 s41, 0x3fb8aa3b
	;; [unrolled: 1-line block ×6, first 2 shown]
	v_mov_b32_e32 v71, 0x3ecc95a3
	s_mov_b32 s46, 0x3f317218
	s_mov_b32 s47, 0x33800000
	v_writelane_b32 v95, s18, 6
	s_mov_b32 s98, 0xc2fc0000
	s_mov_b32 s74, 0xbfb8aa3b
	;; [unrolled: 1-line block ×5, first 2 shown]
	v_mov_b32_e32 v72, 0x7f800000
	v_mov_b32_e32 v18, 0x3f317218
	;; [unrolled: 1-line block ×4, first 2 shown]
	s_mov_b32 s95, 0
                                        ; implicit-def: $vgpr0
	s_branch .LBB72_11
.LBB72_10:                              ;   in Loop: Header=BB72_11 Depth=1
	s_or_b64 exec, exec, s[18:19]
	s_add_u32 s64, s64, 0x400
	s_addc_u32 s65, s65, 0
	s_add_u32 s62, s62, 0x400
	s_addc_u32 s63, s63, 0
	;; [unrolled: 2-line block ×4, first 2 shown]
	s_add_i32 s95, s95, 1
	v_readlane_b32 s18, v95, 4
	s_cmp_lg_u32 s95, s18
	s_cbranch_scc0 .LBB72_168
.LBB72_11:                              ; =>This Loop Header: Depth=1
                                        ;     Child Loop BB72_60 Depth 2
	s_lshl_b32 s66, s95, 9
	v_readlane_b32 s18, v95, 3
	s_sub_i32 s50, s18, s66
	v_lshl_add_u64 v[0:1], s[62:63], 0, v[8:9]
	v_cmp_gt_u32_e64 s[18:19], s50, v10
	s_waitcnt lgkmcnt(0)
	v_mov_b32_e32 v2, 0
	s_waitcnt lgkmcnt(0)
	; wave barrier
	s_and_saveexec_b64 s[20:21], s[18:19]
	s_cbranch_execz .LBB72_13
; %bb.12:                               ;   in Loop: Header=BB72_11 Depth=1
	global_load_ushort v2, v[0:1], off
.LBB72_13:                              ;   in Loop: Header=BB72_11 Depth=1
	s_or_b64 exec, exec, s[20:21]
	v_cmp_gt_u32_e64 s[20:21], s50, v40
	v_mov_b32_e32 v3, 0
	v_mov_b32_e32 v4, 0
	s_and_saveexec_b64 s[22:23], s[20:21]
	s_cbranch_execz .LBB72_15
; %bb.14:                               ;   in Loop: Header=BB72_11 Depth=1
	global_load_ushort v4, v[0:1], off offset:128
.LBB72_15:                              ;   in Loop: Header=BB72_11 Depth=1
	s_or_b64 exec, exec, s[22:23]
	v_cmp_gt_u32_e64 s[22:23], s50, v41
	s_and_saveexec_b64 s[24:25], s[22:23]
	s_cbranch_execz .LBB72_17
; %bb.16:                               ;   in Loop: Header=BB72_11 Depth=1
	global_load_ushort v3, v[0:1], off offset:256
.LBB72_17:                              ;   in Loop: Header=BB72_11 Depth=1
	s_or_b64 exec, exec, s[24:25]
	v_cmp_gt_u32_e64 s[24:25], s50, v42
	v_mov_b32_e32 v5, 0
	v_mov_b32_e32 v7, 0
	s_and_saveexec_b64 s[26:27], s[24:25]
	s_cbranch_execz .LBB72_19
; %bb.18:                               ;   in Loop: Header=BB72_11 Depth=1
	global_load_ushort v7, v[0:1], off offset:384
.LBB72_19:                              ;   in Loop: Header=BB72_11 Depth=1
	s_or_b64 exec, exec, s[26:27]
	v_cmp_gt_u32_e64 s[26:27], s50, v43
	s_and_saveexec_b64 s[28:29], s[26:27]
	s_cbranch_execz .LBB72_21
; %bb.20:                               ;   in Loop: Header=BB72_11 Depth=1
	global_load_ushort v5, v[0:1], off offset:512
.LBB72_21:                              ;   in Loop: Header=BB72_11 Depth=1
	;; [unrolled: 16-line block ×3, first 2 shown]
	s_or_b64 exec, exec, s[34:35]
	v_cmp_gt_u32_e64 s[34:35], s50, v46
	v_mov_b32_e32 v6, 0
	v_mov_b32_e32 v21, 0
	s_and_saveexec_b64 s[36:37], s[34:35]
	s_cbranch_execz .LBB72_27
; %bb.26:                               ;   in Loop: Header=BB72_11 Depth=1
	global_load_ushort v21, v[0:1], off offset:896
.LBB72_27:                              ;   in Loop: Header=BB72_11 Depth=1
	s_or_b64 exec, exec, s[36:37]
	s_waitcnt vmcnt(0)
	ds_write_b16 v47, v2
	ds_write_b16 v48, v4 offset:128
	ds_write_b16 v49, v3 offset:256
	ds_write_b16 v50, v7 offset:384
	ds_write_b16 v51, v5 offset:512
	ds_write_b16 v52, v20 offset:640
	ds_write_b16 v53, v19 offset:768
	ds_write_b16 v54, v21 offset:896
	; wave barrier
	ds_read_b128 v[0:3], v55
	v_lshl_add_u64 v[4:5], s[64:65], 0, v[8:9]
	s_waitcnt lgkmcnt(0)
	; wave barrier
	s_waitcnt lgkmcnt(0)
	s_and_saveexec_b64 s[36:37], s[18:19]
	s_cbranch_execz .LBB72_29
; %bb.28:                               ;   in Loop: Header=BB72_11 Depth=1
	global_load_ushort v6, v[4:5], off
.LBB72_29:                              ;   in Loop: Header=BB72_11 Depth=1
	s_or_b64 exec, exec, s[36:37]
	v_mov_b32_e32 v7, 0
	v_mov_b32_e32 v19, 0
	s_and_saveexec_b64 s[36:37], s[20:21]
	s_cbranch_execz .LBB72_31
; %bb.30:                               ;   in Loop: Header=BB72_11 Depth=1
	global_load_ushort v19, v[4:5], off offset:128
.LBB72_31:                              ;   in Loop: Header=BB72_11 Depth=1
	s_or_b64 exec, exec, s[36:37]
	s_and_saveexec_b64 s[36:37], s[22:23]
	s_cbranch_execz .LBB72_33
; %bb.32:                               ;   in Loop: Header=BB72_11 Depth=1
	global_load_ushort v7, v[4:5], off offset:256
.LBB72_33:                              ;   in Loop: Header=BB72_11 Depth=1
	s_or_b64 exec, exec, s[36:37]
	v_mov_b32_e32 v20, 0
	v_mov_b32_e32 v21, 0
	s_and_saveexec_b64 s[36:37], s[24:25]
	s_cbranch_execz .LBB72_35
; %bb.34:                               ;   in Loop: Header=BB72_11 Depth=1
	global_load_ushort v21, v[4:5], off offset:384
.LBB72_35:                              ;   in Loop: Header=BB72_11 Depth=1
	s_or_b64 exec, exec, s[36:37]
	s_and_saveexec_b64 s[36:37], s[26:27]
	s_cbranch_execz .LBB72_37
; %bb.36:                               ;   in Loop: Header=BB72_11 Depth=1
	global_load_ushort v20, v[4:5], off offset:512
.LBB72_37:                              ;   in Loop: Header=BB72_11 Depth=1
	s_or_b64 exec, exec, s[36:37]
	v_mov_b32_e32 v22, 0
	v_mov_b32_e32 v23, 0
	s_and_saveexec_b64 s[36:37], s[28:29]
	s_cbranch_execnz .LBB72_151
; %bb.38:                               ;   in Loop: Header=BB72_11 Depth=1
	s_or_b64 exec, exec, s[36:37]
	s_and_saveexec_b64 s[36:37], s[30:31]
	s_cbranch_execnz .LBB72_152
.LBB72_39:                              ;   in Loop: Header=BB72_11 Depth=1
	s_or_b64 exec, exec, s[36:37]
	v_mov_b32_e32 v24, 0
	s_and_saveexec_b64 s[36:37], s[34:35]
	s_cbranch_execz .LBB72_41
.LBB72_40:                              ;   in Loop: Header=BB72_11 Depth=1
	global_load_ushort v24, v[4:5], off offset:896
.LBB72_41:                              ;   in Loop: Header=BB72_11 Depth=1
	s_or_b64 exec, exec, s[36:37]
	s_waitcnt vmcnt(0)
	ds_write_b16 v47, v6
	ds_write_b16 v48, v19 offset:128
	ds_write_b16 v49, v7 offset:256
	ds_write_b16 v50, v21 offset:384
	ds_write_b16 v51, v20 offset:512
	ds_write_b16 v52, v23 offset:640
	ds_write_b16 v53, v22 offset:768
	ds_write_b16 v54, v24 offset:896
	; wave barrier
	ds_read_b128 v[4:7], v55
	s_waitcnt lgkmcnt(0)
	v_cvt_f32_f16_e32 v19, v4
	v_add_f32_e32 v75, s33, v19
	v_cmp_ge_f32_e32 vcc, s40, v75
	s_and_b64 s[36:37], s[72:73], vcc
	s_and_saveexec_b64 s[38:39], s[36:37]
	s_cbranch_execz .LBB72_43
; %bb.42:                               ;   in Loop: Header=BB72_11 Depth=1
	v_mul_f32_e32 v19, 0x3fb8aa3b, v75
	v_rndne_f32_e32 v20, v19
	v_sub_f32_e32 v21, v19, v20
	v_fma_f32 v19, v75, s41, -v19
	v_fmac_f32_e32 v19, 0x32a5705f, v75
	v_add_f32_e32 v19, v21, v19
	v_cvt_i32_f32_e32 v20, v20
	v_exp_f32_e32 v19, v19
	v_cmp_ngt_f32_e32 vcc, s42, v75
	v_ldexp_f32 v19, v19, v20
	s_nop 0
	v_cndmask_b32_e32 v19, 0, v19, vcc
	v_cmp_nlt_f32_e32 vcc, s43, v75
	s_nop 1
	v_cndmask_b32_e32 v36, v72, v19, vcc
	v_add_f32_e32 v19, 1.0, v36
	v_add_f32_e32 v20, -1.0, v19
	v_sub_f32_e32 v21, v20, v19
	v_add_f32_e32 v21, 1.0, v21
	v_sub_f32_e32 v20, v36, v20
	v_add_f32_e32 v22, v20, v21
	v_frexp_mant_f32_e32 v23, v19
	v_cvt_f64_f32_e32 v[20:21], v19
	v_frexp_exp_i32_f64_e32 v20, v[20:21]
	v_cmp_gt_f32_e32 vcc, s45, v23
	v_cmp_gt_f32_e64 s[36:37], s47, v36
	s_nop 0
	v_subbrev_co_u32_e32 v28, vcc, 0, v20, vcc
	v_sub_u32_e32 v20, 0, v28
	v_ldexp_f32 v19, v19, v20
	v_ldexp_f32 v20, v22, v20
	v_add_f32_e32 v22, -1.0, v19
	v_add_f32_e32 v21, 1.0, v22
	v_sub_f32_e32 v21, v19, v21
	v_add_f32_e32 v23, v20, v21
	v_add_f32_e32 v21, 1.0, v19
	v_add_f32_e32 v24, -1.0, v21
	v_sub_f32_e32 v19, v19, v24
	v_add_f32_e32 v19, v20, v19
	v_add_f32_e32 v29, v21, v19
	v_rcp_f32_e32 v30, v29
	v_sub_f32_e32 v20, v21, v29
	v_add_f32_e32 v21, v22, v23
	v_add_f32_e32 v19, v19, v20
	v_mul_f32_e32 v32, v21, v30
	v_sub_f32_e32 v20, v22, v21
	v_mul_f32_e32 v22, v29, v32
	v_fma_f32 v24, v32, v29, -v22
	v_fmac_f32_e32 v24, v32, v19
	v_add_f32_e32 v31, v23, v20
	v_add_f32_e32 v20, v22, v24
	v_sub_f32_e32 v23, v21, v20
	v_pk_add_f32 v[26:27], v[20:21], v[22:23] neg_lo:[0,1] neg_hi:[0,1]
	v_mov_b32_e32 v25, v20
	v_pk_add_f32 v[20:21], v[26:27], v[24:25] neg_lo:[0,1] neg_hi:[0,1]
	v_cmp_eq_f32_e32 vcc, s44, v36
	v_add_f32_e32 v21, v31, v21
	v_add_f32_e32 v20, v20, v21
	v_add_f32_e32 v21, v23, v20
	v_mul_f32_e32 v31, v30, v21
	v_mul_f32_e32 v22, v29, v31
	v_fma_f32 v24, v31, v29, -v22
	v_fmac_f32_e32 v24, v31, v19
	v_sub_f32_e32 v19, v23, v21
	v_add_f32_e32 v19, v20, v19
	v_add_f32_e32 v20, v22, v24
	v_sub_f32_e32 v23, v21, v20
	v_pk_add_f32 v[26:27], v[20:21], v[22:23] neg_lo:[0,1] neg_hi:[0,1]
	v_mov_b32_e32 v25, v20
	v_pk_add_f32 v[20:21], v[26:27], v[24:25] neg_lo:[0,1] neg_hi:[0,1]
	s_or_b64 vcc, s[36:37], vcc
	v_add_f32_e32 v19, v19, v21
	v_add_f32_e32 v19, v20, v19
	v_add_f32_e32 v21, v32, v31
	v_add_f32_e32 v19, v23, v19
	v_sub_f32_e32 v20, v21, v32
	v_mul_f32_e32 v19, v30, v19
	v_sub_f32_e32 v20, v31, v20
	v_add_f32_e32 v22, v20, v19
	v_add_f32_e32 v24, v21, v22
	v_cvt_f32_i32_e32 v20, v28
	v_mul_f32_e32 v25, v24, v24
	v_sub_f32_e32 v21, v24, v21
	v_fmamk_f32 v19, v25, 0x3e9b6dac, v71
	v_sub_f32_e32 v21, v22, v21
	v_fmaak_f32 v19, v25, v19, 0x3f2aaada
	v_ldexp_f32 v26, v21, 1
	v_mul_f32_e32 v21, v24, v25
	v_ldexp_f32 v23, v24, 1
	v_pk_mul_f32 v[24:25], v[20:21], v[18:19]
	s_nop 0
	v_fma_f32 v22, v20, s46, -v24
	v_fmac_f32_e32 v22, 0xb102e308, v20
	v_pk_add_f32 v[20:21], v[24:25], v[22:23]
	s_nop 0
	v_sub_f32_e32 v19, v21, v23
	v_sub_f32_e32 v19, v25, v19
	v_add_f32_e32 v27, v26, v19
	v_mov_b32_e32 v26, v24
	v_pk_add_f32 v[24:25], v[20:21], v[24:25] neg_lo:[0,1] neg_hi:[0,1]
	v_pk_add_f32 v[28:29], v[20:21], v[26:27]
	v_mov_b32_e32 v23, v20
	v_mov_b32_e32 v25, v29
	v_pk_add_f32 v[30:31], v[22:23], v[24:25] neg_lo:[0,1] neg_hi:[0,1]
	v_pk_add_f32 v[22:23], v[22:23], v[24:25]
	v_mov_b32_e32 v26, v27
	v_mov_b32_e32 v24, v23
	v_pk_add_f32 v[32:33], v[24:25], v[20:21] neg_lo:[0,1] neg_hi:[0,1]
	v_mov_b32_e32 v22, v29
	v_mov_b32_e32 v19, v32
	v_pk_add_f32 v[34:35], v[28:29], v[18:19] neg_lo:[0,1] neg_hi:[0,1]
	v_mov_b32_e32 v28, v21
	v_mov_b32_e32 v29, v32
	;; [unrolled: 1-line block ×3, first 2 shown]
	v_pk_add_f32 v[22:23], v[22:23], v[28:29] neg_lo:[0,1] neg_hi:[0,1]
	v_mov_b32_e32 v27, v20
	v_pk_add_f32 v[20:21], v[26:27], v[22:23] neg_lo:[0,1] neg_hi:[0,1]
	v_mov_b32_e32 v34, v30
	v_pk_add_f32 v[22:23], v[34:35], v[20:21]
	s_nop 0
	v_mov_b32_e32 v26, v23
	v_pk_add_f32 v[26:27], v[22:23], v[26:27]
	s_nop 0
	v_pk_add_f32 v[24:25], v[24:25], v[26:27]
	v_mov_b32_e32 v21, v26
	v_mov_b32_e32 v23, v24
	v_pk_add_f32 v[28:29], v[22:23], v[30:31] neg_lo:[0,1] neg_hi:[0,1]
	s_nop 0
	v_sub_f32_e32 v19, v22, v28
	v_pk_add_f32 v[20:21], v[20:21], v[28:29] neg_lo:[0,1] neg_hi:[0,1]
	v_sub_f32_e32 v19, v30, v19
	v_add_f32_e32 v19, v20, v19
	v_add_f32_e32 v19, v19, v21
	v_add_f32_e32 v19, v24, v19
	v_cndmask_b32_e32 v75, v19, v36, vcc
.LBB72_43:                              ;   in Loop: Header=BB72_11 Depth=1
	s_or_b64 exec, exec, s[38:39]
	v_cvt_f32_f16_sdwa v4, v4 dst_sel:DWORD dst_unused:UNUSED_PAD src0_sel:WORD_1
	v_add_f32_e32 v76, s33, v4
	v_cmp_ge_f32_e32 vcc, s40, v76
	s_and_b64 s[36:37], s[72:73], vcc
	s_and_saveexec_b64 s[38:39], s[36:37]
	s_cbranch_execz .LBB72_45
; %bb.44:                               ;   in Loop: Header=BB72_11 Depth=1
	v_mul_f32_e32 v4, 0x3fb8aa3b, v76
	v_rndne_f32_e32 v19, v4
	v_sub_f32_e32 v20, v4, v19
	v_fma_f32 v4, v76, s41, -v4
	v_fmac_f32_e32 v4, 0x32a5705f, v76
	v_add_f32_e32 v4, v20, v4
	v_cvt_i32_f32_e32 v19, v19
	v_exp_f32_e32 v4, v4
	v_cmp_ngt_f32_e32 vcc, s42, v76
	v_ldexp_f32 v4, v4, v19
	s_nop 0
	v_cndmask_b32_e32 v4, 0, v4, vcc
	v_cmp_nlt_f32_e32 vcc, s43, v76
	s_nop 1
	v_cndmask_b32_e32 v34, v72, v4, vcc
	v_add_f32_e32 v4, 1.0, v34
	v_add_f32_e32 v19, -1.0, v4
	v_sub_f32_e32 v20, v19, v4
	v_add_f32_e32 v20, 1.0, v20
	v_sub_f32_e32 v19, v34, v19
	v_add_f32_e32 v19, v19, v20
	v_frexp_mant_f32_e32 v22, v4
	v_cvt_f64_f32_e32 v[20:21], v4
	v_frexp_exp_i32_f64_e32 v20, v[20:21]
	v_cmp_gt_f32_e32 vcc, s45, v22
	v_cmp_gt_f32_e64 s[36:37], s47, v34
	s_nop 0
	v_subbrev_co_u32_e32 v28, vcc, 0, v20, vcc
	v_sub_u32_e32 v20, 0, v28
	v_ldexp_f32 v4, v4, v20
	v_ldexp_f32 v19, v19, v20
	v_add_f32_e32 v20, -1.0, v4
	v_add_f32_e32 v21, 1.0, v20
	v_sub_f32_e32 v21, v4, v21
	v_add_f32_e32 v22, v19, v21
	v_add_f32_e32 v21, 1.0, v4
	v_add_f32_e32 v23, -1.0, v21
	v_sub_f32_e32 v4, v4, v23
	v_add_f32_e32 v4, v19, v4
	v_add_f32_e32 v19, v21, v4
	v_rcp_f32_e32 v29, v19
	v_sub_f32_e32 v21, v21, v19
	v_add_f32_e32 v4, v4, v21
	v_add_f32_e32 v21, v20, v22
	v_sub_f32_e32 v20, v20, v21
	v_mul_f32_e32 v31, v21, v29
	v_add_f32_e32 v30, v22, v20
	v_mul_f32_e32 v22, v19, v31
	v_fma_f32 v24, v31, v19, -v22
	v_fmac_f32_e32 v24, v31, v4
	v_add_f32_e32 v20, v22, v24
	v_sub_f32_e32 v23, v21, v20
	v_pk_add_f32 v[26:27], v[20:21], v[22:23] neg_lo:[0,1] neg_hi:[0,1]
	v_mov_b32_e32 v25, v20
	v_pk_add_f32 v[20:21], v[26:27], v[24:25] neg_lo:[0,1] neg_hi:[0,1]
	v_cmp_eq_f32_e32 vcc, s44, v34
	v_add_f32_e32 v21, v30, v21
	v_add_f32_e32 v20, v20, v21
	;; [unrolled: 1-line block ×3, first 2 shown]
	v_mul_f32_e32 v30, v29, v21
	v_mul_f32_e32 v22, v19, v30
	v_fma_f32 v24, v30, v19, -v22
	v_fmac_f32_e32 v24, v30, v4
	v_sub_f32_e32 v4, v23, v21
	v_add_f32_e32 v4, v20, v4
	v_add_f32_e32 v20, v22, v24
	v_sub_f32_e32 v23, v21, v20
	v_pk_add_f32 v[26:27], v[20:21], v[22:23] neg_lo:[0,1] neg_hi:[0,1]
	v_mov_b32_e32 v25, v20
	v_pk_add_f32 v[20:21], v[26:27], v[24:25] neg_lo:[0,1] neg_hi:[0,1]
	s_or_b64 vcc, s[36:37], vcc
	v_add_f32_e32 v4, v4, v21
	v_add_f32_e32 v4, v20, v4
	;; [unrolled: 1-line block ×4, first 2 shown]
	v_sub_f32_e32 v19, v21, v31
	v_mul_f32_e32 v4, v29, v4
	v_sub_f32_e32 v19, v30, v19
	v_add_f32_e32 v4, v19, v4
	v_add_f32_e32 v22, v21, v4
	v_cvt_f32_i32_e32 v20, v28
	v_mul_f32_e32 v24, v22, v22
	v_fmamk_f32 v19, v24, 0x3e9b6dac, v71
	v_sub_f32_e32 v21, v22, v21
	v_fmaak_f32 v19, v24, v19, 0x3f2aaada
	v_sub_f32_e32 v4, v4, v21
	v_mul_f32_e32 v21, v22, v24
	v_pk_mul_f32 v[24:25], v[20:21], v[18:19]
	v_ldexp_f32 v23, v22, 1
	v_fma_f32 v22, v20, s46, -v24
	v_fmac_f32_e32 v22, 0xb102e308, v20
	v_pk_add_f32 v[20:21], v[24:25], v[22:23]
	v_ldexp_f32 v4, v4, 1
	v_sub_f32_e32 v19, v21, v23
	v_sub_f32_e32 v19, v25, v19
	v_add_f32_e32 v27, v4, v19
	v_mov_b32_e32 v26, v24
	v_pk_add_f32 v[24:25], v[20:21], v[24:25] neg_lo:[0,1] neg_hi:[0,1]
	v_pk_add_f32 v[28:29], v[20:21], v[26:27]
	v_mov_b32_e32 v23, v20
	v_mov_b32_e32 v25, v29
	v_pk_add_f32 v[30:31], v[22:23], v[24:25] neg_lo:[0,1] neg_hi:[0,1]
	v_pk_add_f32 v[22:23], v[22:23], v[24:25]
	s_nop 0
	v_mov_b32_e32 v4, v23
	v_pk_add_f32 v[24:25], v[4:5], v[20:21] neg_lo:[0,1] neg_hi:[0,1]
	v_mov_b32_e32 v22, v29
	v_mov_b32_e32 v19, v24
	v_pk_add_f32 v[32:33], v[28:29], v[18:19] neg_lo:[0,1] neg_hi:[0,1]
	v_mov_b32_e32 v28, v21
	v_mov_b32_e32 v29, v24
	;; [unrolled: 1-line block ×3, first 2 shown]
	v_pk_add_f32 v[22:23], v[22:23], v[28:29] neg_lo:[0,1] neg_hi:[0,1]
	v_mov_b32_e32 v24, v27
	v_mov_b32_e32 v25, v20
	v_pk_add_f32 v[20:21], v[24:25], v[22:23] neg_lo:[0,1] neg_hi:[0,1]
	v_mov_b32_e32 v32, v30
	v_pk_add_f32 v[22:23], v[32:33], v[20:21]
	s_nop 0
	v_mov_b32_e32 v24, v23
	v_pk_add_f32 v[24:25], v[22:23], v[24:25]
	s_nop 0
	v_pk_add_f32 v[26:27], v[4:5], v[24:25]
	v_mov_b32_e32 v21, v24
	v_mov_b32_e32 v23, v26
	v_pk_add_f32 v[28:29], v[22:23], v[30:31] neg_lo:[0,1] neg_hi:[0,1]
	s_nop 0
	v_sub_f32_e32 v4, v22, v28
	v_pk_add_f32 v[20:21], v[20:21], v[28:29] neg_lo:[0,1] neg_hi:[0,1]
	v_sub_f32_e32 v4, v30, v4
	v_add_f32_e32 v4, v20, v4
	v_add_f32_e32 v4, v4, v21
	;; [unrolled: 1-line block ×3, first 2 shown]
	v_cndmask_b32_e32 v76, v4, v34, vcc
.LBB72_45:                              ;   in Loop: Header=BB72_11 Depth=1
	s_or_b64 exec, exec, s[38:39]
	v_cvt_f32_f16_e32 v4, v5
	v_add_f32_e32 v77, s33, v4
	v_cmp_ge_f32_e32 vcc, s40, v77
	s_and_b64 s[36:37], s[72:73], vcc
	s_and_saveexec_b64 s[38:39], s[36:37]
	s_cbranch_execz .LBB72_47
; %bb.46:                               ;   in Loop: Header=BB72_11 Depth=1
	v_mul_f32_e32 v4, 0x3fb8aa3b, v77
	v_rndne_f32_e32 v19, v4
	v_sub_f32_e32 v20, v4, v19
	v_fma_f32 v4, v77, s41, -v4
	v_fmac_f32_e32 v4, 0x32a5705f, v77
	v_add_f32_e32 v4, v20, v4
	v_cvt_i32_f32_e32 v19, v19
	v_exp_f32_e32 v4, v4
	v_cmp_ngt_f32_e32 vcc, s42, v77
	v_ldexp_f32 v4, v4, v19
	s_nop 0
	v_cndmask_b32_e32 v4, 0, v4, vcc
	v_cmp_nlt_f32_e32 vcc, s43, v77
	s_nop 1
	v_cndmask_b32_e32 v34, v72, v4, vcc
	v_add_f32_e32 v4, 1.0, v34
	v_add_f32_e32 v19, -1.0, v4
	v_sub_f32_e32 v20, v19, v4
	v_add_f32_e32 v20, 1.0, v20
	v_sub_f32_e32 v19, v34, v19
	v_add_f32_e32 v19, v19, v20
	v_frexp_mant_f32_e32 v22, v4
	v_cvt_f64_f32_e32 v[20:21], v4
	v_frexp_exp_i32_f64_e32 v20, v[20:21]
	v_cmp_gt_f32_e32 vcc, s45, v22
	v_cmp_gt_f32_e64 s[36:37], s47, v34
	s_nop 0
	v_subbrev_co_u32_e32 v28, vcc, 0, v20, vcc
	v_sub_u32_e32 v20, 0, v28
	v_ldexp_f32 v4, v4, v20
	v_ldexp_f32 v19, v19, v20
	v_add_f32_e32 v20, -1.0, v4
	v_add_f32_e32 v21, 1.0, v20
	v_sub_f32_e32 v21, v4, v21
	v_add_f32_e32 v22, v19, v21
	v_add_f32_e32 v21, 1.0, v4
	v_add_f32_e32 v23, -1.0, v21
	v_sub_f32_e32 v4, v4, v23
	v_add_f32_e32 v4, v19, v4
	v_add_f32_e32 v19, v21, v4
	v_rcp_f32_e32 v29, v19
	v_sub_f32_e32 v21, v21, v19
	v_add_f32_e32 v4, v4, v21
	v_add_f32_e32 v21, v20, v22
	v_sub_f32_e32 v20, v20, v21
	v_mul_f32_e32 v31, v21, v29
	v_add_f32_e32 v30, v22, v20
	v_mul_f32_e32 v22, v19, v31
	v_fma_f32 v24, v31, v19, -v22
	v_fmac_f32_e32 v24, v31, v4
	v_add_f32_e32 v20, v22, v24
	v_sub_f32_e32 v23, v21, v20
	v_pk_add_f32 v[26:27], v[20:21], v[22:23] neg_lo:[0,1] neg_hi:[0,1]
	v_mov_b32_e32 v25, v20
	v_pk_add_f32 v[20:21], v[26:27], v[24:25] neg_lo:[0,1] neg_hi:[0,1]
	v_cmp_eq_f32_e32 vcc, s44, v34
	v_add_f32_e32 v21, v30, v21
	v_add_f32_e32 v20, v20, v21
	;; [unrolled: 1-line block ×3, first 2 shown]
	v_mul_f32_e32 v30, v29, v21
	v_mul_f32_e32 v22, v19, v30
	v_fma_f32 v24, v30, v19, -v22
	v_fmac_f32_e32 v24, v30, v4
	v_sub_f32_e32 v4, v23, v21
	v_add_f32_e32 v4, v20, v4
	v_add_f32_e32 v20, v22, v24
	v_sub_f32_e32 v23, v21, v20
	v_pk_add_f32 v[26:27], v[20:21], v[22:23] neg_lo:[0,1] neg_hi:[0,1]
	v_mov_b32_e32 v25, v20
	v_pk_add_f32 v[20:21], v[26:27], v[24:25] neg_lo:[0,1] neg_hi:[0,1]
	s_or_b64 vcc, s[36:37], vcc
	v_add_f32_e32 v4, v4, v21
	v_add_f32_e32 v4, v20, v4
	;; [unrolled: 1-line block ×4, first 2 shown]
	v_sub_f32_e32 v19, v21, v31
	v_mul_f32_e32 v4, v29, v4
	v_sub_f32_e32 v19, v30, v19
	v_add_f32_e32 v4, v19, v4
	v_add_f32_e32 v22, v21, v4
	v_cvt_f32_i32_e32 v20, v28
	v_mul_f32_e32 v24, v22, v22
	v_fmamk_f32 v19, v24, 0x3e9b6dac, v71
	v_sub_f32_e32 v21, v22, v21
	v_fmaak_f32 v19, v24, v19, 0x3f2aaada
	v_sub_f32_e32 v4, v4, v21
	v_mul_f32_e32 v21, v22, v24
	v_pk_mul_f32 v[24:25], v[20:21], v[18:19]
	v_ldexp_f32 v23, v22, 1
	v_fma_f32 v22, v20, s46, -v24
	v_fmac_f32_e32 v22, 0xb102e308, v20
	v_pk_add_f32 v[20:21], v[24:25], v[22:23]
	v_ldexp_f32 v4, v4, 1
	v_sub_f32_e32 v19, v21, v23
	v_sub_f32_e32 v19, v25, v19
	v_add_f32_e32 v27, v4, v19
	v_mov_b32_e32 v26, v24
	v_pk_add_f32 v[24:25], v[20:21], v[24:25] neg_lo:[0,1] neg_hi:[0,1]
	v_pk_add_f32 v[28:29], v[20:21], v[26:27]
	v_mov_b32_e32 v23, v20
	v_mov_b32_e32 v25, v29
	v_pk_add_f32 v[30:31], v[22:23], v[24:25] neg_lo:[0,1] neg_hi:[0,1]
	v_pk_add_f32 v[22:23], v[22:23], v[24:25]
	s_nop 0
	v_mov_b32_e32 v4, v23
	v_pk_add_f32 v[24:25], v[4:5], v[20:21] neg_lo:[0,1] neg_hi:[0,1]
	v_mov_b32_e32 v22, v29
	v_mov_b32_e32 v19, v24
	v_pk_add_f32 v[32:33], v[28:29], v[18:19] neg_lo:[0,1] neg_hi:[0,1]
	v_mov_b32_e32 v28, v21
	v_mov_b32_e32 v29, v24
	;; [unrolled: 1-line block ×3, first 2 shown]
	v_pk_add_f32 v[22:23], v[22:23], v[28:29] neg_lo:[0,1] neg_hi:[0,1]
	v_mov_b32_e32 v24, v27
	v_mov_b32_e32 v25, v20
	v_pk_add_f32 v[20:21], v[24:25], v[22:23] neg_lo:[0,1] neg_hi:[0,1]
	v_mov_b32_e32 v32, v30
	v_pk_add_f32 v[22:23], v[32:33], v[20:21]
	s_nop 0
	v_mov_b32_e32 v24, v23
	v_pk_add_f32 v[24:25], v[22:23], v[24:25]
	s_nop 0
	v_pk_add_f32 v[26:27], v[4:5], v[24:25]
	v_mov_b32_e32 v21, v24
	v_mov_b32_e32 v23, v26
	v_pk_add_f32 v[28:29], v[22:23], v[30:31] neg_lo:[0,1] neg_hi:[0,1]
	s_nop 0
	v_sub_f32_e32 v4, v22, v28
	v_pk_add_f32 v[20:21], v[20:21], v[28:29] neg_lo:[0,1] neg_hi:[0,1]
	v_sub_f32_e32 v4, v30, v4
	v_add_f32_e32 v4, v20, v4
	v_add_f32_e32 v4, v4, v21
	;; [unrolled: 1-line block ×3, first 2 shown]
	v_cndmask_b32_e32 v77, v4, v34, vcc
.LBB72_47:                              ;   in Loop: Header=BB72_11 Depth=1
	s_or_b64 exec, exec, s[38:39]
	v_cvt_f32_f16_sdwa v4, v5 dst_sel:DWORD dst_unused:UNUSED_PAD src0_sel:WORD_1
	v_add_f32_e32 v78, s33, v4
	v_cmp_ge_f32_e32 vcc, s40, v78
	s_and_b64 s[36:37], s[72:73], vcc
	s_and_saveexec_b64 s[38:39], s[36:37]
	s_cbranch_execz .LBB72_49
; %bb.48:                               ;   in Loop: Header=BB72_11 Depth=1
	v_mul_f32_e32 v4, 0x3fb8aa3b, v78
	v_rndne_f32_e32 v5, v4
	v_sub_f32_e32 v19, v4, v5
	v_fma_f32 v4, v78, s41, -v4
	v_fmac_f32_e32 v4, 0x32a5705f, v78
	v_add_f32_e32 v4, v19, v4
	v_cvt_i32_f32_e32 v5, v5
	v_exp_f32_e32 v4, v4
	v_cmp_ngt_f32_e32 vcc, s42, v78
	v_ldexp_f32 v4, v4, v5
	s_nop 0
	v_cndmask_b32_e32 v4, 0, v4, vcc
	v_cmp_nlt_f32_e32 vcc, s43, v78
	s_nop 1
	v_cndmask_b32_e32 v34, v72, v4, vcc
	v_add_f32_e32 v19, 1.0, v34
	v_add_f32_e32 v4, -1.0, v19
	v_sub_f32_e32 v5, v4, v19
	v_add_f32_e32 v5, 1.0, v5
	v_sub_f32_e32 v4, v34, v4
	v_add_f32_e32 v20, v4, v5
	v_frexp_mant_f32_e32 v21, v19
	v_cvt_f64_f32_e32 v[4:5], v19
	v_frexp_exp_i32_f64_e32 v4, v[4:5]
	v_cmp_gt_f32_e32 vcc, s45, v21
	v_cmp_gt_f32_e64 s[36:37], s47, v34
	s_nop 0
	v_subbrev_co_u32_e32 v26, vcc, 0, v4, vcc
	v_sub_u32_e32 v4, 0, v26
	v_ldexp_f32 v5, v19, v4
	v_add_f32_e32 v19, -1.0, v5
	v_add_f32_e32 v21, 1.0, v5
	v_ldexp_f32 v4, v20, v4
	v_add_f32_e32 v20, 1.0, v19
	v_add_f32_e32 v22, -1.0, v21
	v_sub_f32_e32 v20, v5, v20
	v_sub_f32_e32 v5, v5, v22
	v_add_f32_e32 v20, v4, v20
	v_add_f32_e32 v4, v4, v5
	;; [unrolled: 1-line block ×3, first 2 shown]
	v_rcp_f32_e32 v29, v27
	v_sub_f32_e32 v5, v21, v27
	v_add_f32_e32 v28, v4, v5
	v_add_f32_e32 v5, v19, v20
	v_sub_f32_e32 v4, v19, v5
	v_mul_f32_e32 v30, v5, v29
	v_add_f32_e32 v19, v20, v4
	v_mul_f32_e32 v20, v27, v30
	v_fma_f32 v22, v30, v27, -v20
	v_fmac_f32_e32 v22, v30, v28
	v_add_f32_e32 v4, v20, v22
	v_sub_f32_e32 v21, v5, v4
	v_pk_add_f32 v[24:25], v[4:5], v[20:21] neg_lo:[0,1] neg_hi:[0,1]
	v_mov_b32_e32 v23, v4
	v_pk_add_f32 v[4:5], v[24:25], v[22:23] neg_lo:[0,1] neg_hi:[0,1]
	v_cmp_eq_f32_e32 vcc, s44, v34
	v_add_f32_e32 v5, v19, v5
	v_add_f32_e32 v4, v4, v5
	;; [unrolled: 1-line block ×3, first 2 shown]
	v_mul_f32_e32 v19, v29, v5
	v_mul_f32_e32 v20, v27, v19
	v_fma_f32 v22, v19, v27, -v20
	v_fmac_f32_e32 v22, v19, v28
	v_sub_f32_e32 v21, v21, v5
	v_add_f32_e32 v27, v4, v21
	v_add_f32_e32 v4, v20, v22
	v_sub_f32_e32 v21, v5, v4
	v_pk_add_f32 v[24:25], v[4:5], v[20:21] neg_lo:[0,1] neg_hi:[0,1]
	v_mov_b32_e32 v23, v4
	v_pk_add_f32 v[4:5], v[24:25], v[22:23] neg_lo:[0,1] neg_hi:[0,1]
	s_or_b64 vcc, s[36:37], vcc
	v_add_f32_e32 v5, v27, v5
	v_add_f32_e32 v4, v4, v5
	;; [unrolled: 1-line block ×4, first 2 shown]
	v_sub_f32_e32 v20, v5, v30
	v_mul_f32_e32 v4, v29, v4
	v_sub_f32_e32 v19, v19, v20
	v_add_f32_e32 v20, v19, v4
	v_add_f32_e32 v22, v5, v20
	v_mul_f32_e32 v23, v22, v22
	v_fmamk_f32 v4, v23, 0x3e9b6dac, v71
	v_fmaak_f32 v19, v23, v4, 0x3f2aaada
	v_cvt_f32_i32_e32 v4, v26
	v_sub_f32_e32 v5, v22, v5
	v_sub_f32_e32 v5, v20, v5
	v_ldexp_f32 v24, v5, 1
	v_mul_f32_e32 v5, v22, v23
	v_ldexp_f32 v21, v22, 1
	v_pk_mul_f32 v[22:23], v[4:5], v[18:19]
	s_nop 0
	v_fma_f32 v20, v4, s46, -v22
	v_fmac_f32_e32 v20, 0xb102e308, v4
	v_pk_add_f32 v[4:5], v[22:23], v[20:21]
	s_nop 0
	v_sub_f32_e32 v19, v5, v21
	v_sub_f32_e32 v19, v23, v19
	v_add_f32_e32 v25, v24, v19
	v_mov_b32_e32 v24, v22
	v_pk_add_f32 v[22:23], v[4:5], v[22:23] neg_lo:[0,1] neg_hi:[0,1]
	v_pk_add_f32 v[26:27], v[4:5], v[24:25]
	v_mov_b32_e32 v21, v4
	v_mov_b32_e32 v23, v27
	v_pk_add_f32 v[28:29], v[20:21], v[22:23] neg_lo:[0,1] neg_hi:[0,1]
	v_pk_add_f32 v[20:21], v[20:21], v[22:23]
	v_mov_b32_e32 v24, v25
	v_mov_b32_e32 v22, v21
	v_pk_add_f32 v[30:31], v[22:23], v[4:5] neg_lo:[0,1] neg_hi:[0,1]
	v_mov_b32_e32 v20, v27
	v_mov_b32_e32 v19, v30
	v_pk_add_f32 v[32:33], v[26:27], v[18:19] neg_lo:[0,1] neg_hi:[0,1]
	v_mov_b32_e32 v26, v5
	v_mov_b32_e32 v27, v30
	;; [unrolled: 1-line block ×3, first 2 shown]
	v_pk_add_f32 v[20:21], v[20:21], v[26:27] neg_lo:[0,1] neg_hi:[0,1]
	v_mov_b32_e32 v25, v4
	v_pk_add_f32 v[4:5], v[24:25], v[20:21] neg_lo:[0,1] neg_hi:[0,1]
	v_mov_b32_e32 v32, v28
	v_pk_add_f32 v[20:21], v[32:33], v[4:5]
	s_nop 0
	v_mov_b32_e32 v24, v21
	v_pk_add_f32 v[24:25], v[20:21], v[24:25]
	s_nop 0
	v_pk_add_f32 v[22:23], v[22:23], v[24:25]
	v_mov_b32_e32 v5, v24
	v_mov_b32_e32 v21, v22
	v_pk_add_f32 v[26:27], v[20:21], v[28:29] neg_lo:[0,1] neg_hi:[0,1]
	s_nop 0
	v_sub_f32_e32 v19, v20, v26
	v_pk_add_f32 v[4:5], v[4:5], v[26:27] neg_lo:[0,1] neg_hi:[0,1]
	v_sub_f32_e32 v19, v28, v19
	v_add_f32_e32 v4, v4, v19
	v_add_f32_e32 v4, v4, v5
	;; [unrolled: 1-line block ×3, first 2 shown]
	v_cndmask_b32_e32 v78, v4, v34, vcc
.LBB72_49:                              ;   in Loop: Header=BB72_11 Depth=1
	s_or_b64 exec, exec, s[38:39]
	v_cvt_f32_f16_e32 v4, v6
	v_add_f32_e32 v79, s33, v4
	v_cmp_ge_f32_e32 vcc, s40, v79
	s_and_b64 s[36:37], s[72:73], vcc
	s_and_saveexec_b64 s[38:39], s[36:37]
	s_cbranch_execz .LBB72_51
; %bb.50:                               ;   in Loop: Header=BB72_11 Depth=1
	v_mul_f32_e32 v4, 0x3fb8aa3b, v79
	v_rndne_f32_e32 v5, v4
	v_sub_f32_e32 v19, v4, v5
	v_fma_f32 v4, v79, s41, -v4
	v_fmac_f32_e32 v4, 0x32a5705f, v79
	v_add_f32_e32 v4, v19, v4
	v_cvt_i32_f32_e32 v5, v5
	v_exp_f32_e32 v4, v4
	v_cmp_ngt_f32_e32 vcc, s42, v79
	v_ldexp_f32 v4, v4, v5
	s_nop 0
	v_cndmask_b32_e32 v4, 0, v4, vcc
	v_cmp_nlt_f32_e32 vcc, s43, v79
	s_nop 1
	v_cndmask_b32_e32 v34, v72, v4, vcc
	v_add_f32_e32 v19, 1.0, v34
	v_add_f32_e32 v4, -1.0, v19
	v_sub_f32_e32 v5, v4, v19
	v_add_f32_e32 v5, 1.0, v5
	v_sub_f32_e32 v4, v34, v4
	v_add_f32_e32 v20, v4, v5
	v_frexp_mant_f32_e32 v21, v19
	v_cvt_f64_f32_e32 v[4:5], v19
	v_frexp_exp_i32_f64_e32 v4, v[4:5]
	v_cmp_gt_f32_e32 vcc, s45, v21
	v_cmp_gt_f32_e64 s[36:37], s47, v34
	s_nop 0
	v_subbrev_co_u32_e32 v26, vcc, 0, v4, vcc
	v_sub_u32_e32 v4, 0, v26
	v_ldexp_f32 v5, v19, v4
	v_add_f32_e32 v19, -1.0, v5
	v_add_f32_e32 v21, 1.0, v5
	v_ldexp_f32 v4, v20, v4
	v_add_f32_e32 v20, 1.0, v19
	v_add_f32_e32 v22, -1.0, v21
	v_sub_f32_e32 v20, v5, v20
	v_sub_f32_e32 v5, v5, v22
	v_add_f32_e32 v20, v4, v20
	v_add_f32_e32 v4, v4, v5
	;; [unrolled: 1-line block ×3, first 2 shown]
	v_rcp_f32_e32 v29, v27
	v_sub_f32_e32 v5, v21, v27
	v_add_f32_e32 v28, v4, v5
	v_add_f32_e32 v5, v19, v20
	v_sub_f32_e32 v4, v19, v5
	v_mul_f32_e32 v30, v5, v29
	v_add_f32_e32 v19, v20, v4
	v_mul_f32_e32 v20, v27, v30
	v_fma_f32 v22, v30, v27, -v20
	v_fmac_f32_e32 v22, v30, v28
	v_add_f32_e32 v4, v20, v22
	v_sub_f32_e32 v21, v5, v4
	v_pk_add_f32 v[24:25], v[4:5], v[20:21] neg_lo:[0,1] neg_hi:[0,1]
	v_mov_b32_e32 v23, v4
	v_pk_add_f32 v[4:5], v[24:25], v[22:23] neg_lo:[0,1] neg_hi:[0,1]
	v_cmp_eq_f32_e32 vcc, s44, v34
	v_add_f32_e32 v5, v19, v5
	v_add_f32_e32 v4, v4, v5
	;; [unrolled: 1-line block ×3, first 2 shown]
	v_mul_f32_e32 v19, v29, v5
	v_mul_f32_e32 v20, v27, v19
	v_fma_f32 v22, v19, v27, -v20
	v_fmac_f32_e32 v22, v19, v28
	v_sub_f32_e32 v21, v21, v5
	v_add_f32_e32 v27, v4, v21
	v_add_f32_e32 v4, v20, v22
	v_sub_f32_e32 v21, v5, v4
	v_pk_add_f32 v[24:25], v[4:5], v[20:21] neg_lo:[0,1] neg_hi:[0,1]
	v_mov_b32_e32 v23, v4
	v_pk_add_f32 v[4:5], v[24:25], v[22:23] neg_lo:[0,1] neg_hi:[0,1]
	s_or_b64 vcc, s[36:37], vcc
	v_add_f32_e32 v5, v27, v5
	v_add_f32_e32 v4, v4, v5
	;; [unrolled: 1-line block ×4, first 2 shown]
	v_sub_f32_e32 v20, v5, v30
	v_mul_f32_e32 v4, v29, v4
	v_sub_f32_e32 v19, v19, v20
	v_add_f32_e32 v20, v19, v4
	v_add_f32_e32 v22, v5, v20
	v_mul_f32_e32 v23, v22, v22
	v_fmamk_f32 v4, v23, 0x3e9b6dac, v71
	v_fmaak_f32 v19, v23, v4, 0x3f2aaada
	v_cvt_f32_i32_e32 v4, v26
	v_sub_f32_e32 v5, v22, v5
	v_sub_f32_e32 v5, v20, v5
	v_ldexp_f32 v24, v5, 1
	v_mul_f32_e32 v5, v22, v23
	v_ldexp_f32 v21, v22, 1
	v_pk_mul_f32 v[22:23], v[4:5], v[18:19]
	s_nop 0
	v_fma_f32 v20, v4, s46, -v22
	v_fmac_f32_e32 v20, 0xb102e308, v4
	v_pk_add_f32 v[4:5], v[22:23], v[20:21]
	s_nop 0
	v_sub_f32_e32 v19, v5, v21
	v_sub_f32_e32 v19, v23, v19
	v_add_f32_e32 v25, v24, v19
	v_mov_b32_e32 v24, v22
	v_pk_add_f32 v[22:23], v[4:5], v[22:23] neg_lo:[0,1] neg_hi:[0,1]
	v_pk_add_f32 v[26:27], v[4:5], v[24:25]
	v_mov_b32_e32 v21, v4
	v_mov_b32_e32 v23, v27
	v_pk_add_f32 v[28:29], v[20:21], v[22:23] neg_lo:[0,1] neg_hi:[0,1]
	v_pk_add_f32 v[20:21], v[20:21], v[22:23]
	v_mov_b32_e32 v24, v25
	v_mov_b32_e32 v22, v21
	v_pk_add_f32 v[30:31], v[22:23], v[4:5] neg_lo:[0,1] neg_hi:[0,1]
	v_mov_b32_e32 v20, v27
	v_mov_b32_e32 v19, v30
	v_pk_add_f32 v[32:33], v[26:27], v[18:19] neg_lo:[0,1] neg_hi:[0,1]
	v_mov_b32_e32 v26, v5
	v_mov_b32_e32 v27, v30
	;; [unrolled: 1-line block ×3, first 2 shown]
	v_pk_add_f32 v[20:21], v[20:21], v[26:27] neg_lo:[0,1] neg_hi:[0,1]
	v_mov_b32_e32 v25, v4
	v_pk_add_f32 v[4:5], v[24:25], v[20:21] neg_lo:[0,1] neg_hi:[0,1]
	v_mov_b32_e32 v32, v28
	v_pk_add_f32 v[20:21], v[32:33], v[4:5]
	s_nop 0
	v_mov_b32_e32 v24, v21
	v_pk_add_f32 v[24:25], v[20:21], v[24:25]
	s_nop 0
	v_pk_add_f32 v[22:23], v[22:23], v[24:25]
	v_mov_b32_e32 v5, v24
	v_mov_b32_e32 v21, v22
	v_pk_add_f32 v[26:27], v[20:21], v[28:29] neg_lo:[0,1] neg_hi:[0,1]
	s_nop 0
	v_sub_f32_e32 v19, v20, v26
	v_pk_add_f32 v[4:5], v[4:5], v[26:27] neg_lo:[0,1] neg_hi:[0,1]
	v_sub_f32_e32 v19, v28, v19
	v_add_f32_e32 v4, v4, v19
	v_add_f32_e32 v4, v4, v5
	v_add_f32_e32 v4, v22, v4
	v_cndmask_b32_e32 v79, v4, v34, vcc
.LBB72_51:                              ;   in Loop: Header=BB72_11 Depth=1
	s_or_b64 exec, exec, s[38:39]
	v_cvt_f32_f16_sdwa v4, v6 dst_sel:DWORD dst_unused:UNUSED_PAD src0_sel:WORD_1
	v_add_f32_e32 v80, s33, v4
	v_cmp_ge_f32_e32 vcc, s40, v80
	s_and_b64 s[36:37], s[72:73], vcc
	s_and_saveexec_b64 s[38:39], s[36:37]
	s_cbranch_execz .LBB72_53
; %bb.52:                               ;   in Loop: Header=BB72_11 Depth=1
	v_mul_f32_e32 v4, 0x3fb8aa3b, v80
	v_rndne_f32_e32 v5, v4
	v_sub_f32_e32 v6, v4, v5
	v_fma_f32 v4, v80, s41, -v4
	v_fmac_f32_e32 v4, 0x32a5705f, v80
	v_add_f32_e32 v4, v6, v4
	v_cvt_i32_f32_e32 v5, v5
	v_exp_f32_e32 v4, v4
	v_cmp_ngt_f32_e32 vcc, s42, v80
	v_ldexp_f32 v4, v4, v5
	s_nop 0
	v_cndmask_b32_e32 v4, 0, v4, vcc
	v_cmp_nlt_f32_e32 vcc, s43, v80
	s_nop 1
	v_cndmask_b32_e32 v32, v72, v4, vcc
	v_add_f32_e32 v6, 1.0, v32
	v_add_f32_e32 v4, -1.0, v6
	v_sub_f32_e32 v5, v4, v6
	v_add_f32_e32 v5, 1.0, v5
	v_sub_f32_e32 v4, v32, v4
	v_add_f32_e32 v19, v4, v5
	v_frexp_mant_f32_e32 v20, v6
	v_cvt_f64_f32_e32 v[4:5], v6
	v_frexp_exp_i32_f64_e32 v4, v[4:5]
	v_cmp_gt_f32_e32 vcc, s45, v20
	v_cmp_gt_f32_e64 s[36:37], s47, v32
	s_nop 0
	v_subbrev_co_u32_e32 v26, vcc, 0, v4, vcc
	v_sub_u32_e32 v4, 0, v26
	v_ldexp_f32 v5, v6, v4
	v_add_f32_e32 v6, -1.0, v5
	v_add_f32_e32 v20, 1.0, v5
	v_ldexp_f32 v4, v19, v4
	v_add_f32_e32 v19, 1.0, v6
	v_add_f32_e32 v21, -1.0, v20
	v_sub_f32_e32 v19, v5, v19
	v_sub_f32_e32 v5, v5, v21
	v_add_f32_e32 v19, v4, v19
	v_add_f32_e32 v4, v4, v5
	;; [unrolled: 1-line block ×3, first 2 shown]
	v_rcp_f32_e32 v29, v27
	v_sub_f32_e32 v5, v20, v27
	v_add_f32_e32 v28, v4, v5
	v_add_f32_e32 v5, v6, v19
	v_sub_f32_e32 v4, v6, v5
	v_add_f32_e32 v6, v19, v4
	v_mul_f32_e32 v19, v5, v29
	v_mul_f32_e32 v20, v27, v19
	v_fma_f32 v22, v19, v27, -v20
	v_fmac_f32_e32 v22, v19, v28
	v_add_f32_e32 v4, v20, v22
	v_sub_f32_e32 v21, v5, v4
	v_pk_add_f32 v[24:25], v[4:5], v[20:21] neg_lo:[0,1] neg_hi:[0,1]
	v_mov_b32_e32 v23, v4
	v_pk_add_f32 v[4:5], v[24:25], v[22:23] neg_lo:[0,1] neg_hi:[0,1]
	v_cmp_eq_f32_e32 vcc, s44, v32
	v_add_f32_e32 v5, v6, v5
	v_add_f32_e32 v4, v4, v5
	;; [unrolled: 1-line block ×3, first 2 shown]
	v_mul_f32_e32 v6, v29, v5
	v_mul_f32_e32 v20, v27, v6
	v_fma_f32 v22, v6, v27, -v20
	v_fmac_f32_e32 v22, v6, v28
	v_sub_f32_e32 v21, v21, v5
	v_add_f32_e32 v27, v4, v21
	v_add_f32_e32 v4, v20, v22
	v_sub_f32_e32 v21, v5, v4
	v_pk_add_f32 v[24:25], v[4:5], v[20:21] neg_lo:[0,1] neg_hi:[0,1]
	v_mov_b32_e32 v23, v4
	v_pk_add_f32 v[4:5], v[24:25], v[22:23] neg_lo:[0,1] neg_hi:[0,1]
	s_or_b64 vcc, s[36:37], vcc
	v_add_f32_e32 v5, v27, v5
	v_add_f32_e32 v4, v4, v5
	;; [unrolled: 1-line block ×4, first 2 shown]
	v_sub_f32_e32 v19, v5, v19
	v_mul_f32_e32 v4, v29, v4
	v_sub_f32_e32 v6, v6, v19
	v_add_f32_e32 v6, v6, v4
	v_add_f32_e32 v20, v5, v6
	v_mul_f32_e32 v22, v20, v20
	v_fmamk_f32 v4, v22, 0x3e9b6dac, v71
	v_fmaak_f32 v19, v22, v4, 0x3f2aaada
	v_cvt_f32_i32_e32 v4, v26
	v_sub_f32_e32 v5, v20, v5
	v_sub_f32_e32 v5, v6, v5
	v_ldexp_f32 v6, v5, 1
	v_mul_f32_e32 v5, v20, v22
	v_pk_mul_f32 v[22:23], v[4:5], v[18:19]
	v_ldexp_f32 v21, v20, 1
	v_fma_f32 v20, v4, s46, -v22
	v_fmac_f32_e32 v20, 0xb102e308, v4
	v_pk_add_f32 v[4:5], v[22:23], v[20:21]
	v_mov_b32_e32 v24, v22
	v_sub_f32_e32 v19, v5, v21
	v_sub_f32_e32 v19, v23, v19
	v_add_f32_e32 v25, v6, v19
	v_pk_add_f32 v[22:23], v[4:5], v[22:23] neg_lo:[0,1] neg_hi:[0,1]
	v_pk_add_f32 v[26:27], v[4:5], v[24:25]
	v_mov_b32_e32 v21, v4
	v_mov_b32_e32 v23, v27
	v_pk_add_f32 v[28:29], v[20:21], v[22:23] neg_lo:[0,1] neg_hi:[0,1]
	v_pk_add_f32 v[20:21], v[20:21], v[22:23]
	s_nop 0
	v_mov_b32_e32 v6, v21
	v_pk_add_f32 v[22:23], v[6:7], v[4:5] neg_lo:[0,1] neg_hi:[0,1]
	v_mov_b32_e32 v20, v27
	v_mov_b32_e32 v19, v22
	v_pk_add_f32 v[30:31], v[26:27], v[18:19] neg_lo:[0,1] neg_hi:[0,1]
	v_mov_b32_e32 v26, v5
	v_mov_b32_e32 v27, v22
	;; [unrolled: 1-line block ×3, first 2 shown]
	v_pk_add_f32 v[20:21], v[20:21], v[26:27] neg_lo:[0,1] neg_hi:[0,1]
	v_mov_b32_e32 v22, v25
	v_mov_b32_e32 v23, v4
	v_pk_add_f32 v[4:5], v[22:23], v[20:21] neg_lo:[0,1] neg_hi:[0,1]
	v_mov_b32_e32 v30, v28
	v_pk_add_f32 v[20:21], v[30:31], v[4:5]
	s_nop 0
	v_mov_b32_e32 v22, v21
	v_pk_add_f32 v[22:23], v[20:21], v[22:23]
	s_nop 0
	v_pk_add_f32 v[24:25], v[6:7], v[22:23]
	v_mov_b32_e32 v5, v22
	v_mov_b32_e32 v21, v24
	v_pk_add_f32 v[26:27], v[20:21], v[28:29] neg_lo:[0,1] neg_hi:[0,1]
	s_nop 0
	v_sub_f32_e32 v6, v20, v26
	v_pk_add_f32 v[4:5], v[4:5], v[26:27] neg_lo:[0,1] neg_hi:[0,1]
	v_sub_f32_e32 v6, v28, v6
	v_add_f32_e32 v4, v4, v6
	v_add_f32_e32 v4, v4, v5
	;; [unrolled: 1-line block ×3, first 2 shown]
	v_cndmask_b32_e32 v80, v4, v32, vcc
.LBB72_53:                              ;   in Loop: Header=BB72_11 Depth=1
	s_or_b64 exec, exec, s[38:39]
	v_cvt_f32_f16_e32 v4, v7
	v_add_f32_e32 v81, s33, v4
	v_cmp_ge_f32_e32 vcc, s40, v81
	s_and_b64 s[36:37], s[72:73], vcc
	s_and_saveexec_b64 s[38:39], s[36:37]
	s_cbranch_execz .LBB72_55
; %bb.54:                               ;   in Loop: Header=BB72_11 Depth=1
	v_mul_f32_e32 v4, 0x3fb8aa3b, v81
	v_rndne_f32_e32 v5, v4
	v_sub_f32_e32 v6, v4, v5
	v_fma_f32 v4, v81, s41, -v4
	v_fmac_f32_e32 v4, 0x32a5705f, v81
	v_add_f32_e32 v4, v6, v4
	v_cvt_i32_f32_e32 v5, v5
	v_exp_f32_e32 v4, v4
	v_cmp_ngt_f32_e32 vcc, s42, v81
	v_ldexp_f32 v4, v4, v5
	s_nop 0
	v_cndmask_b32_e32 v4, 0, v4, vcc
	v_cmp_nlt_f32_e32 vcc, s43, v81
	s_nop 1
	v_cndmask_b32_e32 v32, v72, v4, vcc
	v_add_f32_e32 v6, 1.0, v32
	v_add_f32_e32 v4, -1.0, v6
	v_sub_f32_e32 v5, v4, v6
	v_add_f32_e32 v5, 1.0, v5
	v_sub_f32_e32 v4, v32, v4
	v_add_f32_e32 v19, v4, v5
	v_frexp_mant_f32_e32 v20, v6
	v_cvt_f64_f32_e32 v[4:5], v6
	v_frexp_exp_i32_f64_e32 v4, v[4:5]
	v_cmp_gt_f32_e32 vcc, s45, v20
	v_cmp_gt_f32_e64 s[36:37], s47, v32
	s_nop 0
	v_subbrev_co_u32_e32 v26, vcc, 0, v4, vcc
	v_sub_u32_e32 v4, 0, v26
	v_ldexp_f32 v5, v6, v4
	v_add_f32_e32 v6, -1.0, v5
	v_add_f32_e32 v20, 1.0, v5
	v_ldexp_f32 v4, v19, v4
	v_add_f32_e32 v19, 1.0, v6
	v_add_f32_e32 v21, -1.0, v20
	v_sub_f32_e32 v19, v5, v19
	v_sub_f32_e32 v5, v5, v21
	v_add_f32_e32 v19, v4, v19
	v_add_f32_e32 v4, v4, v5
	;; [unrolled: 1-line block ×3, first 2 shown]
	v_rcp_f32_e32 v29, v27
	v_sub_f32_e32 v5, v20, v27
	v_add_f32_e32 v28, v4, v5
	v_add_f32_e32 v5, v6, v19
	v_sub_f32_e32 v4, v6, v5
	v_add_f32_e32 v6, v19, v4
	v_mul_f32_e32 v19, v5, v29
	v_mul_f32_e32 v20, v27, v19
	v_fma_f32 v22, v19, v27, -v20
	v_fmac_f32_e32 v22, v19, v28
	v_add_f32_e32 v4, v20, v22
	v_sub_f32_e32 v21, v5, v4
	v_pk_add_f32 v[24:25], v[4:5], v[20:21] neg_lo:[0,1] neg_hi:[0,1]
	v_mov_b32_e32 v23, v4
	v_pk_add_f32 v[4:5], v[24:25], v[22:23] neg_lo:[0,1] neg_hi:[0,1]
	v_cmp_eq_f32_e32 vcc, s44, v32
	v_add_f32_e32 v5, v6, v5
	v_add_f32_e32 v4, v4, v5
	v_add_f32_e32 v5, v21, v4
	v_mul_f32_e32 v6, v29, v5
	v_mul_f32_e32 v20, v27, v6
	v_fma_f32 v22, v6, v27, -v20
	v_fmac_f32_e32 v22, v6, v28
	v_sub_f32_e32 v21, v21, v5
	v_add_f32_e32 v27, v4, v21
	v_add_f32_e32 v4, v20, v22
	v_sub_f32_e32 v21, v5, v4
	v_pk_add_f32 v[24:25], v[4:5], v[20:21] neg_lo:[0,1] neg_hi:[0,1]
	v_mov_b32_e32 v23, v4
	v_pk_add_f32 v[4:5], v[24:25], v[22:23] neg_lo:[0,1] neg_hi:[0,1]
	s_or_b64 vcc, s[36:37], vcc
	v_add_f32_e32 v5, v27, v5
	v_add_f32_e32 v4, v4, v5
	;; [unrolled: 1-line block ×4, first 2 shown]
	v_sub_f32_e32 v19, v5, v19
	v_mul_f32_e32 v4, v29, v4
	v_sub_f32_e32 v6, v6, v19
	v_add_f32_e32 v6, v6, v4
	v_add_f32_e32 v20, v5, v6
	v_mul_f32_e32 v22, v20, v20
	v_fmamk_f32 v4, v22, 0x3e9b6dac, v71
	v_fmaak_f32 v19, v22, v4, 0x3f2aaada
	v_cvt_f32_i32_e32 v4, v26
	v_sub_f32_e32 v5, v20, v5
	v_sub_f32_e32 v5, v6, v5
	v_ldexp_f32 v6, v5, 1
	v_mul_f32_e32 v5, v20, v22
	v_pk_mul_f32 v[22:23], v[4:5], v[18:19]
	v_ldexp_f32 v21, v20, 1
	v_fma_f32 v20, v4, s46, -v22
	v_fmac_f32_e32 v20, 0xb102e308, v4
	v_pk_add_f32 v[4:5], v[22:23], v[20:21]
	v_mov_b32_e32 v24, v22
	v_sub_f32_e32 v19, v5, v21
	v_sub_f32_e32 v19, v23, v19
	v_add_f32_e32 v25, v6, v19
	v_pk_add_f32 v[22:23], v[4:5], v[22:23] neg_lo:[0,1] neg_hi:[0,1]
	v_pk_add_f32 v[26:27], v[4:5], v[24:25]
	v_mov_b32_e32 v21, v4
	v_mov_b32_e32 v23, v27
	v_pk_add_f32 v[28:29], v[20:21], v[22:23] neg_lo:[0,1] neg_hi:[0,1]
	v_pk_add_f32 v[20:21], v[20:21], v[22:23]
	s_nop 0
	v_mov_b32_e32 v6, v21
	v_pk_add_f32 v[22:23], v[6:7], v[4:5] neg_lo:[0,1] neg_hi:[0,1]
	v_mov_b32_e32 v20, v27
	v_mov_b32_e32 v19, v22
	v_pk_add_f32 v[30:31], v[26:27], v[18:19] neg_lo:[0,1] neg_hi:[0,1]
	v_mov_b32_e32 v26, v5
	v_mov_b32_e32 v27, v22
	;; [unrolled: 1-line block ×3, first 2 shown]
	v_pk_add_f32 v[20:21], v[20:21], v[26:27] neg_lo:[0,1] neg_hi:[0,1]
	v_mov_b32_e32 v22, v25
	v_mov_b32_e32 v23, v4
	v_pk_add_f32 v[4:5], v[22:23], v[20:21] neg_lo:[0,1] neg_hi:[0,1]
	v_mov_b32_e32 v30, v28
	v_pk_add_f32 v[20:21], v[30:31], v[4:5]
	s_nop 0
	v_mov_b32_e32 v22, v21
	v_pk_add_f32 v[22:23], v[20:21], v[22:23]
	s_nop 0
	v_pk_add_f32 v[24:25], v[6:7], v[22:23]
	v_mov_b32_e32 v5, v22
	v_mov_b32_e32 v21, v24
	v_pk_add_f32 v[26:27], v[20:21], v[28:29] neg_lo:[0,1] neg_hi:[0,1]
	s_nop 0
	v_sub_f32_e32 v6, v20, v26
	v_pk_add_f32 v[4:5], v[4:5], v[26:27] neg_lo:[0,1] neg_hi:[0,1]
	v_sub_f32_e32 v6, v28, v6
	v_add_f32_e32 v4, v4, v6
	v_add_f32_e32 v4, v4, v5
	;; [unrolled: 1-line block ×3, first 2 shown]
	v_cndmask_b32_e32 v81, v4, v32, vcc
.LBB72_55:                              ;   in Loop: Header=BB72_11 Depth=1
	s_or_b64 exec, exec, s[38:39]
	v_cvt_f32_f16_sdwa v4, v7 dst_sel:DWORD dst_unused:UNUSED_PAD src0_sel:WORD_1
	v_add_f32_e32 v19, s33, v4
	v_cmp_ge_f32_e32 vcc, s40, v19
	s_and_b64 s[36:37], s[72:73], vcc
	s_and_saveexec_b64 s[38:39], s[36:37]
	s_cbranch_execz .LBB72_57
; %bb.56:                               ;   in Loop: Header=BB72_11 Depth=1
	v_mul_f32_e32 v4, 0x3fb8aa3b, v19
	v_rndne_f32_e32 v5, v4
	v_sub_f32_e32 v6, v4, v5
	v_fma_f32 v4, v19, s41, -v4
	v_fmac_f32_e32 v4, 0x32a5705f, v19
	v_add_f32_e32 v4, v6, v4
	v_cvt_i32_f32_e32 v5, v5
	v_exp_f32_e32 v4, v4
	v_cmp_ngt_f32_e32 vcc, s42, v19
	v_ldexp_f32 v4, v4, v5
	s_nop 0
	v_cndmask_b32_e32 v4, 0, v4, vcc
	v_cmp_nlt_f32_e32 vcc, s43, v19
	s_nop 1
	v_cndmask_b32_e32 v32, v72, v4, vcc
	v_add_f32_e32 v6, 1.0, v32
	v_add_f32_e32 v4, -1.0, v6
	v_sub_f32_e32 v5, v4, v6
	v_add_f32_e32 v5, 1.0, v5
	v_sub_f32_e32 v4, v32, v4
	v_add_f32_e32 v7, v4, v5
	v_frexp_mant_f32_e32 v19, v6
	v_cvt_f64_f32_e32 v[4:5], v6
	v_frexp_exp_i32_f64_e32 v4, v[4:5]
	v_cmp_gt_f32_e32 vcc, s45, v19
	v_cmp_gt_f32_e64 s[36:37], s47, v32
	s_nop 0
	v_subbrev_co_u32_e32 v24, vcc, 0, v4, vcc
	v_sub_u32_e32 v4, 0, v24
	v_ldexp_f32 v5, v6, v4
	v_add_f32_e32 v6, -1.0, v5
	v_add_f32_e32 v19, 1.0, v5
	v_ldexp_f32 v4, v7, v4
	v_add_f32_e32 v7, 1.0, v6
	v_add_f32_e32 v20, -1.0, v19
	v_sub_f32_e32 v7, v5, v7
	v_sub_f32_e32 v5, v5, v20
	v_add_f32_e32 v7, v4, v7
	v_add_f32_e32 v4, v4, v5
	;; [unrolled: 1-line block ×3, first 2 shown]
	v_rcp_f32_e32 v26, v25
	v_sub_f32_e32 v5, v19, v25
	v_add_f32_e32 v19, v4, v5
	v_add_f32_e32 v5, v6, v7
	v_mul_f32_e32 v28, v5, v26
	v_sub_f32_e32 v4, v6, v5
	v_mul_f32_e32 v6, v25, v28
	v_fma_f32 v20, v28, v25, -v6
	v_fmac_f32_e32 v20, v28, v19
	v_add_f32_e32 v27, v7, v4
	v_add_f32_e32 v4, v6, v20
	v_sub_f32_e32 v7, v5, v4
	v_pk_add_f32 v[22:23], v[4:5], v[6:7] neg_lo:[0,1] neg_hi:[0,1]
	v_mov_b32_e32 v21, v4
	v_pk_add_f32 v[4:5], v[22:23], v[20:21] neg_lo:[0,1] neg_hi:[0,1]
	v_cmp_eq_f32_e32 vcc, s44, v32
	v_add_f32_e32 v5, v27, v5
	v_add_f32_e32 v4, v4, v5
	v_add_f32_e32 v5, v7, v4
	v_mul_f32_e32 v27, v26, v5
	v_mul_f32_e32 v6, v25, v27
	v_fma_f32 v20, v27, v25, -v6
	v_fmac_f32_e32 v20, v27, v19
	v_sub_f32_e32 v7, v7, v5
	v_add_f32_e32 v19, v4, v7
	v_add_f32_e32 v4, v6, v20
	v_sub_f32_e32 v7, v5, v4
	v_pk_add_f32 v[22:23], v[4:5], v[6:7] neg_lo:[0,1] neg_hi:[0,1]
	v_mov_b32_e32 v21, v4
	v_pk_add_f32 v[4:5], v[22:23], v[20:21] neg_lo:[0,1] neg_hi:[0,1]
	s_or_b64 vcc, s[36:37], vcc
	v_add_f32_e32 v5, v19, v5
	v_add_f32_e32 v4, v4, v5
	;; [unrolled: 1-line block ×4, first 2 shown]
	v_sub_f32_e32 v6, v5, v28
	v_mul_f32_e32 v4, v26, v4
	v_sub_f32_e32 v6, v27, v6
	v_add_f32_e32 v6, v6, v4
	v_add_f32_e32 v20, v5, v6
	v_mul_f32_e32 v21, v20, v20
	v_fmamk_f32 v4, v21, 0x3e9b6dac, v71
	v_fmaak_f32 v19, v21, v4, 0x3f2aaada
	v_cvt_f32_i32_e32 v4, v24
	v_sub_f32_e32 v5, v20, v5
	v_sub_f32_e32 v5, v6, v5
	v_ldexp_f32 v22, v5, 1
	v_mul_f32_e32 v5, v20, v21
	v_ldexp_f32 v7, v20, 1
	v_pk_mul_f32 v[20:21], v[4:5], v[18:19]
	s_nop 0
	v_fma_f32 v6, v4, s46, -v20
	v_fmac_f32_e32 v6, 0xb102e308, v4
	v_pk_add_f32 v[4:5], v[20:21], v[6:7]
	s_nop 0
	v_sub_f32_e32 v7, v5, v7
	v_sub_f32_e32 v7, v21, v7
	v_add_f32_e32 v23, v22, v7
	v_mov_b32_e32 v22, v20
	v_pk_add_f32 v[20:21], v[4:5], v[20:21] neg_lo:[0,1] neg_hi:[0,1]
	v_pk_add_f32 v[24:25], v[4:5], v[22:23]
	v_mov_b32_e32 v7, v4
	v_mov_b32_e32 v21, v25
	v_pk_add_f32 v[26:27], v[6:7], v[20:21] neg_lo:[0,1] neg_hi:[0,1]
	v_pk_add_f32 v[6:7], v[6:7], v[20:21]
	v_mov_b32_e32 v22, v23
	v_mov_b32_e32 v20, v7
	v_pk_add_f32 v[28:29], v[20:21], v[4:5] neg_lo:[0,1] neg_hi:[0,1]
	v_mov_b32_e32 v6, v25
	v_mov_b32_e32 v19, v28
	v_pk_add_f32 v[30:31], v[24:25], v[18:19] neg_lo:[0,1] neg_hi:[0,1]
	v_mov_b32_e32 v24, v5
	v_mov_b32_e32 v25, v28
	;; [unrolled: 1-line block ×3, first 2 shown]
	v_pk_add_f32 v[6:7], v[6:7], v[24:25] neg_lo:[0,1] neg_hi:[0,1]
	v_mov_b32_e32 v23, v4
	v_pk_add_f32 v[4:5], v[22:23], v[6:7] neg_lo:[0,1] neg_hi:[0,1]
	v_mov_b32_e32 v30, v26
	v_pk_add_f32 v[6:7], v[30:31], v[4:5]
	s_nop 0
	v_mov_b32_e32 v22, v7
	v_pk_add_f32 v[22:23], v[6:7], v[22:23]
	s_nop 0
	v_pk_add_f32 v[20:21], v[20:21], v[22:23]
	v_mov_b32_e32 v5, v22
	v_mov_b32_e32 v7, v20
	v_pk_add_f32 v[24:25], v[6:7], v[26:27] neg_lo:[0,1] neg_hi:[0,1]
	s_nop 0
	v_sub_f32_e32 v6, v6, v24
	v_pk_add_f32 v[4:5], v[4:5], v[24:25] neg_lo:[0,1] neg_hi:[0,1]
	v_sub_f32_e32 v6, v26, v6
	v_add_f32_e32 v4, v4, v6
	v_add_f32_e32 v4, v4, v5
	;; [unrolled: 1-line block ×3, first 2 shown]
	v_cndmask_b32_e32 v19, v4, v32, vcc
.LBB72_57:                              ;   in Loop: Header=BB72_11 Depth=1
	s_or_b64 exec, exec, s[38:39]
	v_cvt_f32_f16_e32 v4, v3
	v_cvt_f32_f16_sdwa v5, v2 dst_sel:DWORD dst_unused:UNUSED_PAD src0_sel:WORD_1
	v_cvt_f32_f16_e32 v2, v2
	v_cvt_f32_f16_sdwa v7, v3 dst_sel:DWORD dst_unused:UNUSED_PAD src0_sel:WORD_1
	v_cvt_f32_f16_sdwa v3, v1 dst_sel:DWORD dst_unused:UNUSED_PAD src0_sel:WORD_1
	v_cvt_f32_f16_e32 v1, v1
	v_cvt_f32_f16_sdwa v6, v0 dst_sel:DWORD dst_unused:UNUSED_PAD src0_sel:WORD_1
	v_cvt_f32_f16_e32 v0, v0
	v_readlane_b32 s36, v95, 1
	v_readlane_b32 s37, v95, 2
	v_mul_f32_e32 v22, s92, v4
	v_mul_f32_e32 v21, s92, v5
	;; [unrolled: 1-line block ×8, first 2 shown]
	s_and_b64 vcc, exec, s[36:37]
	s_waitcnt lgkmcnt(0)
	; wave barrier
	s_cbranch_vccz .LBB72_118
; %bb.58:                               ;   in Loop: Header=BB72_11 Depth=1
	s_cmp_lg_u32 s95, 0
	v_readlane_b32 s36, v95, 5
	v_mul_f32_e32 v89, v75, v0
	s_cselect_b64 s[78:79], -1, 0
	s_cmp_eq_u32 s95, s36
	v_cmp_gt_u32_e32 vcc, s50, v11
	v_or_b32_e32 v0, 1, v11
	s_cselect_b64 s[80:81], -1, 0
	s_or_b64 s[36:37], s[76:77], vcc
	v_cmp_gt_u32_e32 vcc, s50, v0
	v_or_b32_e32 v0, 2, v11
	s_or_b64 s[38:39], s[76:77], vcc
	v_cmp_gt_u32_e32 vcc, s50, v0
	v_or_b32_e32 v0, 3, v11
	;; [unrolled: 3-line block ×5, first 2 shown]
	s_or_b64 s[46:47], s[76:77], vcc
	v_cmp_gt_u32_e32 vcc, s50, v0
	s_mov_b32 s70, 0
	s_or_b64 s[48:49], s[76:77], vcc
	v_cmp_gt_u32_e32 vcc, s50, v70
	v_mul_f32_e32 v82, v19, v7
	v_lshl_add_u64 v[28:29], s[54:55], 0, v[8:9]
	v_lshl_add_u64 v[30:31], s[58:59], 0, v[8:9]
	v_mul_f32_e32 v83, v81, v4
	v_mul_f32_e32 v84, v80, v5
	;; [unrolled: 1-line block ×6, first 2 shown]
	s_or_b64 s[50:51], s[76:77], vcc
	s_mov_b32 s82, s70
	s_mov_b32 s84, s70
	;; [unrolled: 1-line block ×3, first 2 shown]
	v_readlane_b32 s67, v95, 0
	v_readlane_b32 s99, v95, 6
	s_branch .LBB72_60
.LBB72_59:                              ;   in Loop: Header=BB72_60 Depth=2
	s_or_b64 exec, exec, s[88:89]
	v_mul_f32_e32 v32, v90, v67
	v_fma_f32 v33, v90, v68, v4
	v_cndmask_b32_e64 v4, v33, v4, s[16:17]
	v_cndmask_b32_e64 v32, v32, v90, s[16:17]
	s_waitcnt lgkmcnt(0)
	v_fmac_f32_e32 v4, v38, v32
	v_fmac_f32_e32 v5, v4, v91
	;; [unrolled: 1-line block ×7, first 2 shown]
	v_cvt_f32_f16_sdwa v33, v0 dst_sel:DWORD dst_unused:UNUSED_PAD src0_sel:WORD_1
	v_cvt_f32_f16_sdwa v39, v1 dst_sel:DWORD dst_unused:UNUSED_PAD src0_sel:WORD_1
	v_cvt_f32_f16_e32 v32, v0
	v_cvt_f32_f16_e32 v38, v1
	v_cvt_f32_f16_sdwa v1, v2 dst_sel:DWORD dst_unused:UNUSED_PAD src0_sel:WORD_1
	v_cvt_f32_f16_sdwa v65, v3 dst_sel:DWORD dst_unused:UNUSED_PAD src0_sel:WORD_1
	v_cvt_f32_f16_e32 v64, v3
	v_cvt_f32_f16_e32 v0, v2
	v_fmac_f32_e32 v37, v36, v66
	s_add_i32 s99, s99, 8
	s_add_i32 s67, s67, -1
	s_add_i32 s86, s86, s94
	s_add_i32 s84, s84, s60
	;; [unrolled: 1-line block ×4, first 2 shown]
	v_pk_fma_f32 v[26:27], v[34:35], v[38:39], v[26:27]
	v_pk_fma_f32 v[24:25], v[4:5], v[32:33], v[24:25]
	;; [unrolled: 1-line block ×3, first 2 shown]
	s_cmp_eq_u32 s67, 0
	v_pk_fma_f32 v[20:21], v[6:7], v[0:1], v[20:21]
	s_cbranch_scc1 .LBB72_117
.LBB72_60:                              ;   Parent Loop BB72_11 Depth=1
                                        ; =>  This Inner Loop Header: Depth=2
	s_lshl_b64 s[88:89], s[70:71], 2
	s_add_u32 s88, s52, s88
	s_addc_u32 s89, s96, s89
	global_load_dword v34, v9, s[88:89]
	s_mov_b32 s83, s71
	v_lshl_add_u64 v[0:1], s[82:83], 1, v[28:29]
	v_mov_b32_e32 v2, 0
	v_mov_b32_e32 v3, 0
	s_and_saveexec_b64 s[88:89], s[18:19]
	s_cbranch_execnz .LBB72_80
; %bb.61:                               ;   in Loop: Header=BB72_60 Depth=2
	s_or_b64 exec, exec, s[88:89]
	s_and_saveexec_b64 s[88:89], s[20:21]
	s_cbranch_execnz .LBB72_81
.LBB72_62:                              ;   in Loop: Header=BB72_60 Depth=2
	s_or_b64 exec, exec, s[88:89]
	v_mov_b32_e32 v4, 0
	s_and_saveexec_b64 s[88:89], s[22:23]
	s_cbranch_execnz .LBB72_82
.LBB72_63:                              ;   in Loop: Header=BB72_60 Depth=2
	s_or_b64 exec, exec, s[88:89]
	s_and_saveexec_b64 s[88:89], s[24:25]
	s_cbranch_execnz .LBB72_83
.LBB72_64:                              ;   in Loop: Header=BB72_60 Depth=2
	s_or_b64 exec, exec, s[88:89]
	v_mov_b32_e32 v5, 0
	s_and_saveexec_b64 s[88:89], s[26:27]
	s_cbranch_execnz .LBB72_84
.LBB72_65:                              ;   in Loop: Header=BB72_60 Depth=2
	s_or_b64 exec, exec, s[88:89]
	s_and_saveexec_b64 s[88:89], s[28:29]
	s_cbranch_execnz .LBB72_85
.LBB72_66:                              ;   in Loop: Header=BB72_60 Depth=2
	s_or_b64 exec, exec, s[88:89]
	v_mov_b32_e32 v6, 0
	s_and_saveexec_b64 s[88:89], s[30:31]
	s_cbranch_execnz .LBB72_86
.LBB72_67:                              ;   in Loop: Header=BB72_60 Depth=2
	s_or_b64 exec, exec, s[88:89]
	s_and_saveexec_b64 s[88:89], s[34:35]
	s_cbranch_execz .LBB72_69
.LBB72_68:                              ;   in Loop: Header=BB72_60 Depth=2
	global_load_ushort v0, v[0:1], off offset:896
	s_waitcnt vmcnt(0)
	v_lshl_or_b32 v6, v0, 16, v6
.LBB72_69:                              ;   in Loop: Header=BB72_60 Depth=2
	s_or_b64 exec, exec, s[88:89]
	s_waitcnt vmcnt(0)
	ds_write_b16 v47, v3
	ds_write_b16 v48, v2 offset:128
	ds_write_b16 v49, v4 offset:256
	ds_write_b16_d16_hi v50, v4 offset:384
	ds_write_b16 v51, v5 offset:512
	ds_write_b16_d16_hi v52, v5 offset:640
	;; [unrolled: 2-line block ×3, first 2 shown]
	; wave barrier
	ds_read_b128 v[4:7], v55
	s_mov_b32 s85, s71
	v_lshl_add_u64 v[0:1], s[84:85], 1, v[30:31]
	v_mov_b32_e32 v2, 0
	v_mov_b32_e32 v3, 0
	s_and_saveexec_b64 s[88:89], s[18:19]
	s_cbranch_execnz .LBB72_87
; %bb.70:                               ;   in Loop: Header=BB72_60 Depth=2
	s_or_b64 exec, exec, s[88:89]
	s_and_saveexec_b64 s[88:89], s[20:21]
	s_cbranch_execnz .LBB72_88
.LBB72_71:                              ;   in Loop: Header=BB72_60 Depth=2
	s_or_b64 exec, exec, s[88:89]
	v_mov_b32_e32 v32, 0
	s_and_saveexec_b64 s[88:89], s[22:23]
	s_cbranch_execnz .LBB72_89
.LBB72_72:                              ;   in Loop: Header=BB72_60 Depth=2
	s_or_b64 exec, exec, s[88:89]
	s_and_saveexec_b64 s[88:89], s[24:25]
	s_cbranch_execnz .LBB72_90
.LBB72_73:                              ;   in Loop: Header=BB72_60 Depth=2
	s_or_b64 exec, exec, s[88:89]
	v_mov_b32_e32 v33, 0
	s_and_saveexec_b64 s[88:89], s[26:27]
	s_cbranch_execnz .LBB72_91
.LBB72_74:                              ;   in Loop: Header=BB72_60 Depth=2
	s_or_b64 exec, exec, s[88:89]
	s_and_saveexec_b64 s[88:89], s[28:29]
	s_cbranch_execnz .LBB72_92
.LBB72_75:                              ;   in Loop: Header=BB72_60 Depth=2
	s_or_b64 exec, exec, s[88:89]
	v_mov_b32_e32 v35, 0
	s_and_saveexec_b64 s[88:89], s[30:31]
	s_cbranch_execnz .LBB72_93
.LBB72_76:                              ;   in Loop: Header=BB72_60 Depth=2
	s_or_b64 exec, exec, s[88:89]
	s_and_saveexec_b64 s[88:89], s[34:35]
	s_cbranch_execz .LBB72_78
.LBB72_77:                              ;   in Loop: Header=BB72_60 Depth=2
	global_load_ushort v0, v[0:1], off offset:896
	s_waitcnt vmcnt(0)
	v_lshl_or_b32 v35, v0, 16, v35
.LBB72_78:                              ;   in Loop: Header=BB72_60 Depth=2
	s_or_b64 exec, exec, s[88:89]
	s_waitcnt vmcnt(0)
	ds_write_b16 v47, v3 offset:1056
	ds_write_b16 v56, v2 offset:128
	;; [unrolled: 1-line block ×3, first 2 shown]
	ds_write_b16_d16_hi v58, v32 offset:384
	ds_write_b16 v59, v33 offset:512
	ds_write_b16_d16_hi v60, v33 offset:640
	ds_write_b16 v61, v35 offset:768
	ds_write_b16_d16_hi v62, v35 offset:896
	; wave barrier
	ds_read_b128 v[0:3], v55 offset:1056
	s_andn2_b64 vcc, exec, s[78:79]
	s_cbranch_vccnz .LBB72_94
; %bb.79:                               ;   in Loop: Header=BB72_60 Depth=2
	v_mov_b32_e32 v32, s99
	ds_read_b64 v[32:33], v32
	s_cbranch_execz .LBB72_95
	s_branch .LBB72_98
.LBB72_80:                              ;   in Loop: Header=BB72_60 Depth=2
	global_load_ushort v3, v[0:1], off
	s_or_b64 exec, exec, s[88:89]
	s_and_saveexec_b64 s[88:89], s[20:21]
	s_cbranch_execz .LBB72_62
.LBB72_81:                              ;   in Loop: Header=BB72_60 Depth=2
	global_load_ushort v2, v[0:1], off offset:128
	s_or_b64 exec, exec, s[88:89]
	v_mov_b32_e32 v4, 0
	s_and_saveexec_b64 s[88:89], s[22:23]
	s_cbranch_execz .LBB72_63
.LBB72_82:                              ;   in Loop: Header=BB72_60 Depth=2
	global_load_ushort v4, v[0:1], off offset:256
	s_or_b64 exec, exec, s[88:89]
	s_and_saveexec_b64 s[88:89], s[24:25]
	s_cbranch_execz .LBB72_64
.LBB72_83:                              ;   in Loop: Header=BB72_60 Depth=2
	global_load_ushort v5, v[0:1], off offset:384
	s_waitcnt vmcnt(0)
	v_lshl_or_b32 v4, v5, 16, v4
	s_or_b64 exec, exec, s[88:89]
	v_mov_b32_e32 v5, 0
	s_and_saveexec_b64 s[88:89], s[26:27]
	s_cbranch_execz .LBB72_65
.LBB72_84:                              ;   in Loop: Header=BB72_60 Depth=2
	global_load_ushort v5, v[0:1], off offset:512
	s_or_b64 exec, exec, s[88:89]
	s_and_saveexec_b64 s[88:89], s[28:29]
	s_cbranch_execz .LBB72_66
.LBB72_85:                              ;   in Loop: Header=BB72_60 Depth=2
	global_load_ushort v6, v[0:1], off offset:640
	s_waitcnt vmcnt(0)
	v_lshl_or_b32 v5, v6, 16, v5
	s_or_b64 exec, exec, s[88:89]
	v_mov_b32_e32 v6, 0
	s_and_saveexec_b64 s[88:89], s[30:31]
	s_cbranch_execz .LBB72_67
.LBB72_86:                              ;   in Loop: Header=BB72_60 Depth=2
	global_load_ushort v6, v[0:1], off offset:768
	s_or_b64 exec, exec, s[88:89]
	s_and_saveexec_b64 s[88:89], s[34:35]
	s_cbranch_execnz .LBB72_68
	s_branch .LBB72_69
.LBB72_87:                              ;   in Loop: Header=BB72_60 Depth=2
	global_load_ushort v3, v[0:1], off
	s_or_b64 exec, exec, s[88:89]
	s_and_saveexec_b64 s[88:89], s[20:21]
	s_cbranch_execz .LBB72_71
.LBB72_88:                              ;   in Loop: Header=BB72_60 Depth=2
	global_load_ushort v2, v[0:1], off offset:128
	s_or_b64 exec, exec, s[88:89]
	v_mov_b32_e32 v32, 0
	s_and_saveexec_b64 s[88:89], s[22:23]
	s_cbranch_execz .LBB72_72
.LBB72_89:                              ;   in Loop: Header=BB72_60 Depth=2
	global_load_ushort v32, v[0:1], off offset:256
	s_or_b64 exec, exec, s[88:89]
	s_and_saveexec_b64 s[88:89], s[24:25]
	s_cbranch_execz .LBB72_73
.LBB72_90:                              ;   in Loop: Header=BB72_60 Depth=2
	global_load_ushort v33, v[0:1], off offset:384
	s_waitcnt vmcnt(0)
	v_lshl_or_b32 v32, v33, 16, v32
	s_or_b64 exec, exec, s[88:89]
	v_mov_b32_e32 v33, 0
	s_and_saveexec_b64 s[88:89], s[26:27]
	s_cbranch_execz .LBB72_74
.LBB72_91:                              ;   in Loop: Header=BB72_60 Depth=2
	global_load_ushort v33, v[0:1], off offset:512
	s_or_b64 exec, exec, s[88:89]
	s_and_saveexec_b64 s[88:89], s[28:29]
	s_cbranch_execz .LBB72_75
.LBB72_92:                              ;   in Loop: Header=BB72_60 Depth=2
	global_load_ushort v35, v[0:1], off offset:640
	s_waitcnt vmcnt(0)
	v_lshl_or_b32 v33, v35, 16, v33
	s_or_b64 exec, exec, s[88:89]
	v_mov_b32_e32 v35, 0
	s_and_saveexec_b64 s[88:89], s[30:31]
	s_cbranch_execz .LBB72_76
.LBB72_93:                              ;   in Loop: Header=BB72_60 Depth=2
	global_load_ushort v35, v[0:1], off offset:768
	s_or_b64 exec, exec, s[88:89]
	s_and_saveexec_b64 s[88:89], s[34:35]
	s_cbranch_execnz .LBB72_77
	s_branch .LBB72_78
.LBB72_94:                              ;   in Loop: Header=BB72_60 Depth=2
                                        ; implicit-def: $vgpr33
.LBB72_95:                              ;   in Loop: Header=BB72_60 Depth=2
	s_andn2_b64 vcc, exec, s[68:69]
	s_waitcnt lgkmcnt(0)
	v_mov_b32_e32 v33, 0
	s_cbranch_vccnz .LBB72_97
; %bb.96:                               ;   in Loop: Header=BB72_60 Depth=2
	s_mov_b32 s87, s71
	s_lshl_b64 s[88:89], s[86:87], 1
	s_add_u32 s88, s57, s88
	s_addc_u32 s89, s61, s89
	global_load_ushort v32, v9, s[88:89]
	s_waitcnt vmcnt(0)
	v_cvt_f32_f16_e32 v33, v32
.LBB72_97:                              ;   in Loop: Header=BB72_60 Depth=2
	v_mov_b32_e32 v32, 1.0
.LBB72_98:                              ;   in Loop: Header=BB72_60 Depth=2
	v_mul_f32_e32 v65, 0x3fb8aa3b, v34
	s_waitcnt lgkmcnt(9)
	v_cvt_f32_f16_e32 v35, v4
	v_cvt_f32_f16_sdwa v36, v4 dst_sel:DWORD dst_unused:UNUSED_PAD src0_sel:WORD_1
	v_mul_f32_e32 v4, v65, v75
	v_cmp_gt_f32_e32 vcc, s98, v4
	v_cvt_f32_f16_e32 v39, v6
	v_cvt_f32_f16_sdwa v64, v6 dst_sel:DWORD dst_unused:UNUSED_PAD src0_sel:WORD_1
	v_cndmask_b32_e32 v4, 0, v73, vcc
	v_mul_f32_e32 v6, v65, v76
	v_cvt_f32_f16_e32 v37, v5
	v_cvt_f32_f16_sdwa v38, v5 dst_sel:DWORD dst_unused:UNUSED_PAD src0_sel:WORD_1
	v_fmac_f32_e32 v4, v65, v75
	v_cndmask_b32_e32 v5, 1.0, v74, vcc
	v_cmp_gt_f32_e32 vcc, s98, v6
	v_exp_f32_e32 v4, v4
	v_cvt_f32_f16_e32 v66, v7
	v_cndmask_b32_e32 v6, 0, v73, vcc
	v_fmac_f32_e32 v6, v65, v76
	v_exp_f32_e32 v6, v6
	v_cvt_f32_f16_sdwa v67, v7 dst_sel:DWORD dst_unused:UNUSED_PAD src0_sel:WORD_1
	v_mul_f32_e32 v5, v4, v5
	v_mul_f32_e32 v7, v65, v77
	v_cndmask_b32_e64 v90, 1.0, v5, s[36:37]
	v_cndmask_b32_e32 v5, 1.0, v74, vcc
	v_cmp_gt_f32_e32 vcc, s98, v7
	v_mul_f32_e32 v6, v6, v5
	v_mul_f32_e32 v34, v65, v78
	v_cndmask_b32_e32 v7, 0, v73, vcc
	v_fmac_f32_e32 v7, v65, v77
	v_cndmask_b32_e64 v91, 1.0, v6, s[38:39]
	v_cndmask_b32_e32 v6, 1.0, v74, vcc
	v_cmp_gt_f32_e32 vcc, s98, v34
	v_exp_f32_e32 v7, v7
	v_mul_f32_e32 v4, v89, v35
	v_cndmask_b32_e32 v34, 0, v73, vcc
	v_fmac_f32_e32 v34, v65, v78
	v_exp_f32_e32 v35, v34
	v_mul_f32_e32 v6, v7, v6
	v_cndmask_b32_e64 v92, 1.0, v6, s[40:41]
	v_cndmask_b32_e32 v6, 1.0, v74, vcc
	v_mul_f32_e32 v6, v35, v6
	v_mul_f32_e32 v35, v65, v79
	v_cmp_gt_f32_e32 vcc, s98, v35
	v_mul_f32_e32 v5, v88, v36
	v_mul_f32_e32 v7, v87, v37
	v_cndmask_b32_e32 v35, 0, v73, vcc
	v_fmac_f32_e32 v35, v65, v79
	v_exp_f32_e32 v36, v35
	v_cndmask_b32_e64 v34, 0, v7, s[40:41]
	v_mul_f32_e32 v7, v86, v38
	v_cndmask_b32_e64 v93, 1.0, v6, s[42:43]
	v_cndmask_b32_e32 v6, 1.0, v74, vcc
	v_cndmask_b32_e64 v35, 0, v7, s[42:43]
	v_mul_f32_e32 v7, v36, v6
	v_mul_f32_e32 v36, v65, v80
	v_cmp_gt_f32_e32 vcc, s98, v36
	v_mul_f32_e32 v37, v65, v81
	v_cndmask_b32_e64 v94, 1.0, v7, s[44:45]
	v_cndmask_b32_e32 v36, 0, v73, vcc
	v_fmac_f32_e32 v36, v65, v80
	v_exp_f32_e32 v36, v36
	v_cndmask_b32_e32 v7, 1.0, v74, vcc
	v_cmp_gt_f32_e32 vcc, s98, v37
	v_mul_f32_e32 v38, v65, v19
	v_mul_f32_e32 v36, v36, v7
	v_cndmask_b32_e32 v37, 0, v73, vcc
	v_mul_f32_e32 v7, v84, v64
	v_fmac_f32_e32 v37, v65, v81
	v_cndmask_b32_e64 v64, 1.0, v36, s[46:47]
	v_cndmask_b32_e32 v36, 1.0, v74, vcc
	v_cmp_gt_f32_e32 vcc, s98, v38
	v_exp_f32_e32 v37, v37
	v_cndmask_b32_e64 v4, 0, v4, s[36:37]
	v_cndmask_b32_e32 v38, 0, v73, vcc
	v_fmac_f32_e32 v38, v65, v19
	v_exp_f32_e32 v38, v38
	v_mul_f32_e32 v37, v37, v36
	v_cndmask_b32_e64 v65, 1.0, v37, s[48:49]
	v_cndmask_b32_e32 v37, 1.0, v74, vcc
	v_cndmask_b32_e64 v5, 0, v5, s[38:39]
	v_mul_f32_e32 v38, v38, v37
	v_mul_f32_e32 v6, v85, v39
	;; [unrolled: 1-line block ×3, first 2 shown]
	v_cndmask_b32_e64 v66, 1.0, v38, s[50:51]
	v_mul_f32_e32 v38, v91, v90
	v_fma_f32 v39, v91, v4, v5
	v_mul_f32_e32 v38, v38, v92
	v_fma_f32 v39, v39, v92, v34
	v_cndmask_b32_e64 v6, 0, v6, s[44:45]
	v_mul_f32_e32 v38, v38, v93
	v_fma_f32 v39, v39, v93, v35
	v_cndmask_b32_e64 v7, 0, v7, s[46:47]
	;; [unrolled: 3-line block ×3, first 2 shown]
	v_mul_f32_e32 v37, v82, v67
	v_mul_f32_e32 v38, v38, v64
	v_fma_f32 v39, v39, v64, v7
	v_cndmask_b32_e64 v37, 0, v37, s[50:51]
	v_mul_f32_e32 v38, v38, v65
	v_fma_f32 v39, v39, v65, v36
	v_mul_f32_e32 v38, v38, v66
	v_fma_f32 v69, v39, v66, v37
	s_nop 0
	v_mov_b32_dpp v68, v38 row_shr:1 row_mask:0xf bank_mask:0xf
	v_mov_b32_dpp v67, v69 row_shr:1 row_mask:0xf bank_mask:0xf
	s_and_saveexec_b64 s[88:89], s[0:1]
; %bb.99:                               ;   in Loop: Header=BB72_60 Depth=2
	v_mul_f32_e32 v68, v38, v68
	v_fmac_f32_e32 v69, v38, v67
	v_mov_b32_e32 v38, v68
; %bb.100:                              ;   in Loop: Header=BB72_60 Depth=2
	s_or_b64 exec, exec, s[88:89]
	s_nop 0
	v_mov_b32_dpp v67, v38 row_shr:2 row_mask:0xf bank_mask:0xf
	v_mov_b32_dpp v68, v69 row_shr:2 row_mask:0xf bank_mask:0xf
	s_and_saveexec_b64 s[88:89], s[2:3]
; %bb.101:                              ;   in Loop: Header=BB72_60 Depth=2
	v_fmac_f32_e32 v69, v38, v68
	v_mul_f32_e32 v38, v38, v67
; %bb.102:                              ;   in Loop: Header=BB72_60 Depth=2
	s_or_b64 exec, exec, s[88:89]
	s_nop 0
	v_mov_b32_dpp v67, v38 row_shr:4 row_mask:0xf bank_mask:0xf
	v_mov_b32_dpp v68, v69 row_shr:4 row_mask:0xf bank_mask:0xf
	s_and_saveexec_b64 s[88:89], s[4:5]
; %bb.103:                              ;   in Loop: Header=BB72_60 Depth=2
	v_fmac_f32_e32 v69, v38, v68
	v_mul_f32_e32 v38, v38, v67
	;; [unrolled: 9-line block ×3, first 2 shown]
; %bb.106:                              ;   in Loop: Header=BB72_60 Depth=2
	s_or_b64 exec, exec, s[88:89]
	s_nop 0
	v_mov_b32_dpp v67, v38 row_bcast:15 row_mask:0xf bank_mask:0xf
	v_mov_b32_dpp v68, v69 row_bcast:15 row_mask:0xf bank_mask:0xf
	s_and_saveexec_b64 s[88:89], s[8:9]
; %bb.107:                              ;   in Loop: Header=BB72_60 Depth=2
	v_fmac_f32_e32 v69, v38, v68
	v_mul_f32_e32 v38, v38, v67
; %bb.108:                              ;   in Loop: Header=BB72_60 Depth=2
	s_or_b64 exec, exec, s[88:89]
	s_nop 0
	v_mov_b32_dpp v67, v38 row_bcast:31 row_mask:0xf bank_mask:0xf
	v_mov_b32_dpp v68, v69 row_bcast:31 row_mask:0xf bank_mask:0xf
	v_mov_b32_e32 v39, v69
	v_mul_f32_e32 v67, v38, v67
	v_fmac_f32_e32 v39, v38, v68
	v_cndmask_b32_e64 v38, v38, v67, s[10:11]
	v_cndmask_b32_e64 v39, v69, v39, s[10:11]
	s_and_saveexec_b64 s[88:89], s[12:13]
	s_cbranch_execz .LBB72_110
; %bb.109:                              ;   in Loop: Header=BB72_60 Depth=2
	ds_write_b64 v9, v[38:39] offset:2112
.LBB72_110:                             ;   in Loop: Header=BB72_60 Depth=2
	s_or_b64 exec, exec, s[88:89]
	ds_bpermute_b32 v67, v63, v38
	ds_bpermute_b32 v68, v63, v39
	s_waitcnt lgkmcnt(2)
	v_mov_b32_e32 v39, v33
	s_waitcnt lgkmcnt(0)
	; wave barrier
	s_waitcnt lgkmcnt(0)
	s_and_saveexec_b64 s[88:89], s[14:15]
	s_cbranch_execz .LBB72_114
; %bb.111:                              ;   in Loop: Header=BB72_60 Depth=2
	ds_read_b64 v[38:39], v9 offset:2112
	s_and_saveexec_b64 s[90:91], s[16:17]
	s_cbranch_execz .LBB72_113
; %bb.112:                              ;   in Loop: Header=BB72_60 Depth=2
	ds_write_b64 v9, v[32:33] offset:2112
.LBB72_113:                             ;   in Loop: Header=BB72_60 Depth=2
	s_or_b64 exec, exec, s[90:91]
	s_waitcnt lgkmcnt(0)
	v_fmac_f32_e32 v39, v33, v38
	v_mul_f32_e32 v32, v32, v38
	v_mov_b32_e32 v33, v39
.LBB72_114:                             ;   in Loop: Header=BB72_60 Depth=2
	s_or_b64 exec, exec, s[88:89]
	s_waitcnt lgkmcnt(0)
	; wave barrier
	ds_read_b32 v38, v9 offset:2116
	s_and_saveexec_b64 s[88:89], s[16:17]
	s_cbranch_execz .LBB72_59
; %bb.115:                              ;   in Loop: Header=BB72_60 Depth=2
	v_mov_b32_e32 v69, s99
	s_andn2_b64 vcc, exec, s[80:81]
	ds_write_b64 v69, v[32:33]
	s_cbranch_vccnz .LBB72_59
; %bb.116:                              ;   in Loop: Header=BB72_60 Depth=2
	s_mov_b32 s87, s71
	v_cvt_f16_f32_e32 v32, v39
	s_lshl_b64 s[90:91], s[86:87], 1
	s_add_u32 s90, s57, s90
	s_addc_u32 s91, s61, s91
	global_store_short v9, v32, s[90:91]
	s_branch .LBB72_59
.LBB72_117:                             ;   in Loop: Header=BB72_11 Depth=1
	s_mov_b32 s40, 0x41a00000
	s_mov_b32 s41, 0x3fb8aa3b
	;; [unrolled: 1-line block ×8, first 2 shown]
.LBB72_118:                             ;   in Loop: Header=BB72_11 Depth=1
	v_cvt_f16_f32_e32 v0, v24
	v_cvt_f16_f32_e32 v1, v26
	;; [unrolled: 1-line block ×8, first 2 shown]
	v_pack_b32_f16 v3, v3, v4
	v_pack_b32_f16 v2, v2, v5
	;; [unrolled: 1-line block ×4, first 2 shown]
	s_waitcnt lgkmcnt(0)
	; wave barrier
	ds_write_b128 v55, v[0:3]
	; wave barrier
	ds_read_u16 v19, v48 offset:128
	ds_read_u16 v7, v49 offset:256
	ds_read_u16 v6, v50 offset:384
	ds_read_u16 v5, v51 offset:512
	ds_read_u16 v4, v52 offset:640
	ds_read_u16 v3, v53 offset:768
	ds_read_u16 v2, v54 offset:896
	s_mov_b32 s67, s71
	v_lshl_add_u64 v[0:1], s[66:67], 1, v[12:13]
	s_and_saveexec_b64 s[36:37], s[18:19]
	s_cbranch_execnz .LBB72_153
; %bb.119:                              ;   in Loop: Header=BB72_11 Depth=1
	s_or_b64 exec, exec, s[36:37]
	s_and_saveexec_b64 s[36:37], s[20:21]
	s_cbranch_execnz .LBB72_154
.LBB72_120:                             ;   in Loop: Header=BB72_11 Depth=1
	s_or_b64 exec, exec, s[36:37]
	s_and_saveexec_b64 s[36:37], s[22:23]
	s_cbranch_execnz .LBB72_155
.LBB72_121:                             ;   in Loop: Header=BB72_11 Depth=1
	s_or_b64 exec, exec, s[36:37]
	s_and_saveexec_b64 s[36:37], s[24:25]
	s_cbranch_execnz .LBB72_156
.LBB72_122:                             ;   in Loop: Header=BB72_11 Depth=1
	s_or_b64 exec, exec, s[36:37]
	s_and_saveexec_b64 s[36:37], s[26:27]
	s_cbranch_execnz .LBB72_157
.LBB72_123:                             ;   in Loop: Header=BB72_11 Depth=1
	s_or_b64 exec, exec, s[36:37]
	s_and_saveexec_b64 s[36:37], s[28:29]
	s_cbranch_execnz .LBB72_158
.LBB72_124:                             ;   in Loop: Header=BB72_11 Depth=1
	s_or_b64 exec, exec, s[36:37]
	s_and_saveexec_b64 s[36:37], s[30:31]
	s_cbranch_execnz .LBB72_159
.LBB72_125:                             ;   in Loop: Header=BB72_11 Depth=1
	s_or_b64 exec, exec, s[36:37]
	s_and_saveexec_b64 s[36:37], s[34:35]
	s_cbranch_execz .LBB72_127
.LBB72_126:                             ;   in Loop: Header=BB72_11 Depth=1
	s_waitcnt lgkmcnt(0)
	global_store_short v[0:1], v2, off offset:896
.LBB72_127:                             ;   in Loop: Header=BB72_11 Depth=1
	s_or_b64 exec, exec, s[36:37]
	v_lshl_add_u64 v[0:1], s[66:67], 1, v[14:15]
	s_waitcnt lgkmcnt(0)
	v_mov_b32_e32 v2, 0
	v_mov_b32_e32 v3, 0
	s_waitcnt lgkmcnt(0)
	; wave barrier
	s_and_saveexec_b64 s[36:37], s[18:19]
	s_cbranch_execz .LBB72_129
; %bb.128:                              ;   in Loop: Header=BB72_11 Depth=1
	global_load_ushort v3, v[0:1], off
.LBB72_129:                             ;   in Loop: Header=BB72_11 Depth=1
	s_or_b64 exec, exec, s[36:37]
	s_and_saveexec_b64 s[36:37], s[20:21]
	s_cbranch_execz .LBB72_131
; %bb.130:                              ;   in Loop: Header=BB72_11 Depth=1
	global_load_ushort v2, v[0:1], off offset:128
.LBB72_131:                             ;   in Loop: Header=BB72_11 Depth=1
	s_or_b64 exec, exec, s[36:37]
	v_mov_b32_e32 v4, 0
	v_mov_b32_e32 v5, 0
	s_and_saveexec_b64 s[36:37], s[22:23]
	s_cbranch_execz .LBB72_133
; %bb.132:                              ;   in Loop: Header=BB72_11 Depth=1
	global_load_ushort v5, v[0:1], off offset:256
.LBB72_133:                             ;   in Loop: Header=BB72_11 Depth=1
	s_or_b64 exec, exec, s[36:37]
	s_and_saveexec_b64 s[36:37], s[24:25]
	s_cbranch_execz .LBB72_135
; %bb.134:                              ;   in Loop: Header=BB72_11 Depth=1
	global_load_ushort v4, v[0:1], off offset:384
.LBB72_135:                             ;   in Loop: Header=BB72_11 Depth=1
	s_or_b64 exec, exec, s[36:37]
	v_mov_b32_e32 v6, 0
	v_mov_b32_e32 v7, 0
	s_and_saveexec_b64 s[36:37], s[26:27]
	s_cbranch_execz .LBB72_137
; %bb.136:                              ;   in Loop: Header=BB72_11 Depth=1
	global_load_ushort v7, v[0:1], off offset:512
.LBB72_137:                             ;   in Loop: Header=BB72_11 Depth=1
	s_or_b64 exec, exec, s[36:37]
	s_and_saveexec_b64 s[36:37], s[28:29]
	s_cbranch_execz .LBB72_139
; %bb.138:                              ;   in Loop: Header=BB72_11 Depth=1
	global_load_ushort v6, v[0:1], off offset:640
.LBB72_139:                             ;   in Loop: Header=BB72_11 Depth=1
	s_or_b64 exec, exec, s[36:37]
	v_mov_b32_e32 v19, 0
	v_mov_b32_e32 v28, 0
	s_and_saveexec_b64 s[36:37], s[30:31]
	s_cbranch_execz .LBB72_141
; %bb.140:                              ;   in Loop: Header=BB72_11 Depth=1
	global_load_ushort v28, v[0:1], off offset:768
.LBB72_141:                             ;   in Loop: Header=BB72_11 Depth=1
	s_or_b64 exec, exec, s[36:37]
	s_and_saveexec_b64 s[36:37], s[34:35]
	s_cbranch_execz .LBB72_143
; %bb.142:                              ;   in Loop: Header=BB72_11 Depth=1
	global_load_ushort v19, v[0:1], off offset:896
.LBB72_143:                             ;   in Loop: Header=BB72_11 Depth=1
	s_or_b64 exec, exec, s[36:37]
	s_waitcnt vmcnt(0)
	ds_write_b16 v47, v3
	ds_write_b16 v48, v2 offset:128
	ds_write_b16 v49, v5 offset:256
	;; [unrolled: 1-line block ×7, first 2 shown]
	; wave barrier
	ds_read_b128 v[0:3], v55
	s_waitcnt lgkmcnt(0)
	; wave barrier
	s_waitcnt lgkmcnt(0)
	v_cvt_f32_f16_e32 v6, v0
	v_cvt_f32_f16_e32 v28, v1
	v_cvt_f32_f16_sdwa v19, v1 dst_sel:DWORD dst_unused:UNUSED_PAD src0_sel:WORD_1
	v_mul_f32_e32 v4, 0xbfb8aa3b, v6
	v_rndne_f32_e32 v5, v4
	v_sub_f32_e32 v7, v4, v5
	v_fma_mix_f32 v4, v0, s74, -v4 op_sel_hi:[1,0,0]
	v_cvt_i32_f32_e32 v5, v5
	v_fma_mix_f32 v4, v0, s75, v4 op_sel_hi:[1,0,0]
	v_cmp_nlt_f32_e32 vcc, s97, v6
	v_add_f32_e32 v4, v7, v4
	v_exp_f32_e32 v4, v4
	v_cvt_f32_f16_sdwa v7, v0 dst_sel:DWORD dst_unused:UNUSED_PAD src0_sel:WORD_1
	v_ldexp_f32 v4, v4, v5
	v_mul_f32_e32 v5, 0xbfb8aa3b, v7
	v_rndne_f32_e32 v29, v5
	v_sub_f32_e32 v30, v5, v29
	v_fma_mix_f32 v5, v0, s74, -v5 op_sel:[1,0,0] op_sel_hi:[1,0,0]
	v_cndmask_b32_e32 v4, 0, v4, vcc
	v_fma_mix_f32 v0, v0, s75, v5 op_sel:[1,0,0] op_sel_hi:[1,0,0]
	v_cvt_i32_f32_e32 v5, v29
	v_add_f32_e32 v0, v30, v0
	v_exp_f32_e32 v0, v0
	v_cmp_ngt_f32_e32 vcc, s93, v6
	v_ldexp_f32 v0, v0, v5
	v_mul_f32_e32 v5, 0xbfb8aa3b, v28
	v_rndne_f32_e32 v29, v5
	v_sub_f32_e32 v30, v5, v29
	v_fma_mix_f32 v5, v1, s74, -v5 op_sel_hi:[1,0,0]
	v_cvt_i32_f32_e32 v29, v29
	v_fma_mix_f32 v5, v1, s75, v5 op_sel_hi:[1,0,0]
	v_cndmask_b32_e32 v4, v72, v4, vcc
	v_add_f32_e32 v5, v30, v5
	v_exp_f32_e32 v30, v5
	v_cmp_nlt_f32_e32 vcc, s97, v7
	s_nop 1
	v_cndmask_b32_e32 v0, 0, v0, vcc
	v_cmp_ngt_f32_e32 vcc, s93, v7
	s_nop 1
	v_cndmask_b32_e32 v5, v72, v0, vcc
	v_ldexp_f32 v0, v30, v29
	v_mul_f32_e32 v29, 0xbfb8aa3b, v19
	v_rndne_f32_e32 v30, v29
	v_sub_f32_e32 v31, v29, v30
	v_fma_mix_f32 v29, v1, s74, -v29 op_sel:[1,0,0] op_sel_hi:[1,0,0]
	v_pk_add_f32 v[4:5], v[4:5], 1.0 op_sel_hi:[1,0]
	v_fma_mix_f32 v1, v1, s75, v29 op_sel:[1,0,0] op_sel_hi:[1,0,0]
	v_cvt_i32_f32_e32 v29, v30
	v_add_f32_e32 v1, v31, v1
	v_exp_f32_e32 v1, v1
	v_cmp_nlt_f32_e32 vcc, s97, v28
	v_ldexp_f32 v1, v1, v29
	v_div_scale_f32 v29, s[36:37], v5, v5, v7
	v_rcp_f32_e32 v30, v29
	v_cndmask_b32_e32 v0, 0, v0, vcc
	v_cmp_ngt_f32_e32 vcc, s93, v28
	v_fma_f32 v31, -v29, v30, 1.0
	s_nop 0
	v_cndmask_b32_e32 v0, v72, v0, vcc
	v_cmp_nlt_f32_e32 vcc, s97, v19
	v_fmac_f32_e32 v30, v31, v30
	s_nop 0
	v_cndmask_b32_e32 v1, 0, v1, vcc
	v_cmp_ngt_f32_e32 vcc, s93, v19
	s_nop 1
	v_cndmask_b32_e32 v1, v72, v1, vcc
	v_div_scale_f32 v31, vcc, v7, v5, v7
	v_mul_f32_e32 v32, v31, v30
	v_fma_f32 v33, -v29, v32, v31
	v_fmac_f32_e32 v32, v33, v30
	v_fma_f32 v29, -v29, v32, v31
	v_div_scale_f32 v31, s[36:37], v4, v4, v6
	v_rcp_f32_e32 v33, v31
	v_div_fmas_f32 v29, v29, v30, v32
	v_div_fixup_f32 v5, v29, v5, v7
	v_pk_add_f32 v[0:1], v[0:1], 1.0 op_sel_hi:[1,0]
	v_fma_f32 v7, -v31, v33, 1.0
	v_fmac_f32_e32 v33, v7, v33
	v_div_scale_f32 v7, vcc, v6, v4, v6
	v_mul_f32_e32 v29, v7, v33
	v_fma_f32 v30, -v31, v29, v7
	v_fmac_f32_e32 v29, v30, v33
	v_div_scale_f32 v30, s[36:37], v1, v1, v19
	v_fma_f32 v7, -v31, v29, v7
	v_rcp_f32_e32 v31, v30
	v_div_fmas_f32 v7, v7, v33, v29
	v_div_fixup_f32 v4, v7, v4, v6
	v_pk_mul_f32 v[4:5], v[24:25], v[4:5]
	v_fma_f32 v6, -v30, v31, 1.0
	v_fmac_f32_e32 v31, v6, v31
	v_div_scale_f32 v6, vcc, v19, v1, v19
	v_mul_f32_e32 v7, v6, v31
	v_fma_f32 v29, -v30, v7, v6
	v_fmac_f32_e32 v7, v29, v31
	v_div_scale_f32 v29, s[36:37], v0, v0, v28
	v_fma_f32 v6, -v30, v7, v6
	v_rcp_f32_e32 v30, v29
	v_div_fmas_f32 v6, v6, v31, v7
	v_div_fixup_f32 v1, v6, v1, v19
	v_cvt_f32_f16_sdwa v25, v3 dst_sel:DWORD dst_unused:UNUSED_PAD src0_sel:WORD_1
	v_fma_f32 v6, -v29, v30, 1.0
	v_fmac_f32_e32 v30, v6, v30
	v_div_scale_f32 v6, vcc, v28, v0, v28
	v_mul_f32_e32 v7, v6, v30
	v_fma_f32 v19, -v29, v7, v6
	v_fmac_f32_e32 v7, v19, v30
	v_fma_f32 v6, -v29, v7, v6
	v_div_fmas_f32 v6, v6, v30, v7
	v_div_fixup_f32 v0, v6, v0, v28
	v_cvt_f32_f16_e32 v6, v2
	v_pk_mul_f32 v[0:1], v[26:27], v[0:1]
	v_cvt_f32_f16_e32 v26, v3
	v_cvt_f16_f32_e32 v19, v0
	v_mul_f32_e32 v0, 0xbfb8aa3b, v6
	v_cvt_f16_f32_e32 v7, v1
	v_rndne_f32_e32 v1, v0
	v_sub_f32_e32 v24, v0, v1
	v_fma_mix_f32 v0, v2, s74, -v0 op_sel_hi:[1,0,0]
	v_cvt_i32_f32_e32 v1, v1
	v_fma_mix_f32 v0, v2, s75, v0 op_sel_hi:[1,0,0]
	v_cmp_nlt_f32_e32 vcc, s97, v6
	v_add_f32_e32 v0, v24, v0
	v_exp_f32_e32 v0, v0
	v_cvt_f32_f16_sdwa v24, v2 dst_sel:DWORD dst_unused:UNUSED_PAD src0_sel:WORD_1
	v_cvt_f16_f32_e32 v5, v5
	v_cvt_f16_f32_e32 v4, v4
	v_ldexp_f32 v0, v0, v1
	v_mul_f32_e32 v1, 0xbfb8aa3b, v24
	v_rndne_f32_e32 v27, v1
	v_sub_f32_e32 v28, v1, v27
	v_fma_mix_f32 v1, v2, s74, -v1 op_sel:[1,0,0] op_sel_hi:[1,0,0]
	v_cndmask_b32_e32 v0, 0, v0, vcc
	v_fma_mix_f32 v1, v2, s75, v1 op_sel:[1,0,0] op_sel_hi:[1,0,0]
	v_cvt_i32_f32_e32 v2, v27
	v_add_f32_e32 v1, v28, v1
	v_exp_f32_e32 v1, v1
	v_cmp_ngt_f32_e32 vcc, s93, v6
	v_ldexp_f32 v1, v1, v2
	v_mul_f32_e32 v2, 0xbfb8aa3b, v26
	v_rndne_f32_e32 v27, v2
	v_sub_f32_e32 v28, v2, v27
	v_fma_mix_f32 v2, v3, s74, -v2 op_sel_hi:[1,0,0]
	v_cvt_i32_f32_e32 v27, v27
	v_fma_mix_f32 v2, v3, s75, v2 op_sel_hi:[1,0,0]
	v_cndmask_b32_e32 v0, v72, v0, vcc
	v_add_f32_e32 v2, v28, v2
	v_exp_f32_e32 v2, v2
	v_cmp_nlt_f32_e32 vcc, s97, v24
	v_ldexp_f32 v2, v2, v27
	v_mul_f32_e32 v27, 0xbfb8aa3b, v25
	v_rndne_f32_e32 v28, v27
	v_sub_f32_e32 v29, v27, v28
	v_fma_mix_f32 v27, v3, s74, -v27 op_sel:[1,0,0] op_sel_hi:[1,0,0]
	v_cndmask_b32_e32 v1, 0, v1, vcc
	v_fma_mix_f32 v3, v3, s75, v27 op_sel:[1,0,0] op_sel_hi:[1,0,0]
	v_cvt_i32_f32_e32 v27, v28
	v_add_f32_e32 v3, v29, v3
	v_exp_f32_e32 v3, v3
	v_cmp_ngt_f32_e32 vcc, s93, v24
	v_ldexp_f32 v3, v3, v27
	s_nop 0
	v_cndmask_b32_e32 v1, v72, v1, vcc
	v_pk_add_f32 v[0:1], v[0:1], 1.0 op_sel_hi:[1,0]
	v_cmp_nlt_f32_e32 vcc, s97, v26
	v_div_scale_f32 v27, s[36:37], v1, v1, v24
	v_rcp_f32_e32 v28, v27
	v_cndmask_b32_e32 v2, 0, v2, vcc
	v_cmp_ngt_f32_e32 vcc, s93, v26
	v_fma_f32 v29, -v27, v28, 1.0
	s_nop 0
	v_cndmask_b32_e32 v2, v72, v2, vcc
	v_cmp_nlt_f32_e32 vcc, s97, v25
	v_fmac_f32_e32 v28, v29, v28
	s_nop 0
	v_cndmask_b32_e32 v3, 0, v3, vcc
	v_cmp_ngt_f32_e32 vcc, s93, v25
	s_nop 1
	v_cndmask_b32_e32 v3, v72, v3, vcc
	v_div_scale_f32 v29, vcc, v24, v1, v24
	v_mul_f32_e32 v30, v29, v28
	v_fma_f32 v31, -v27, v30, v29
	v_fmac_f32_e32 v30, v31, v28
	v_fma_f32 v27, -v27, v30, v29
	v_div_scale_f32 v29, s[36:37], v0, v0, v6
	v_rcp_f32_e32 v31, v29
	v_div_fmas_f32 v27, v27, v28, v30
	v_div_fixup_f32 v1, v27, v1, v24
	v_pk_add_f32 v[2:3], v[2:3], 1.0 op_sel_hi:[1,0]
	v_fma_f32 v24, -v29, v31, 1.0
	v_fmac_f32_e32 v31, v24, v31
	v_div_scale_f32 v24, vcc, v6, v0, v6
	v_mul_f32_e32 v27, v24, v31
	v_fma_f32 v28, -v29, v27, v24
	v_fmac_f32_e32 v27, v28, v31
	v_div_scale_f32 v28, s[36:37], v3, v3, v25
	v_fma_f32 v24, -v29, v27, v24
	v_rcp_f32_e32 v29, v28
	v_div_fmas_f32 v24, v24, v31, v27
	v_div_fixup_f32 v0, v24, v0, v6
	v_pk_mul_f32 v[0:1], v[20:21], v[0:1]
	v_fma_f32 v6, -v28, v29, 1.0
	v_fmac_f32_e32 v29, v6, v29
	v_div_scale_f32 v6, vcc, v25, v3, v25
	v_mul_f32_e32 v24, v6, v29
	v_fma_f32 v27, -v28, v24, v6
	v_fmac_f32_e32 v24, v27, v29
	v_div_scale_f32 v27, s[36:37], v2, v2, v26
	v_fma_f32 v6, -v28, v24, v6
	v_rcp_f32_e32 v28, v27
	v_div_fmas_f32 v6, v6, v29, v24
	v_div_fixup_f32 v3, v6, v3, v25
	v_cvt_f16_f32_e32 v1, v1
	v_fma_f32 v6, -v27, v28, 1.0
	v_fmac_f32_e32 v28, v6, v28
	v_div_scale_f32 v6, vcc, v26, v2, v26
	v_mul_f32_e32 v24, v6, v28
	v_fma_f32 v25, -v27, v24, v6
	v_fmac_f32_e32 v24, v25, v28
	v_fma_f32 v6, -v27, v24, v6
	v_div_fmas_f32 v6, v6, v28, v24
	v_div_fixup_f32 v2, v6, v2, v26
	v_pk_mul_f32 v[2:3], v[22:23], v[2:3]
	v_cvt_f16_f32_e32 v0, v0
	v_cvt_f16_f32_e32 v3, v3
	;; [unrolled: 1-line block ×3, first 2 shown]
	v_pack_b32_f16 v3, v2, v3
	v_pack_b32_f16 v2, v0, v1
	;; [unrolled: 1-line block ×4, first 2 shown]
	ds_write_b128 v55, v[0:3]
	; wave barrier
	ds_read_u16 v19, v48 offset:128
	ds_read_u16 v7, v49 offset:256
	;; [unrolled: 1-line block ×7, first 2 shown]
	v_lshl_add_u64 v[0:1], s[66:67], 1, v[16:17]
	s_and_saveexec_b64 s[36:37], s[18:19]
	s_cbranch_execnz .LBB72_160
; %bb.144:                              ;   in Loop: Header=BB72_11 Depth=1
	s_or_b64 exec, exec, s[36:37]
	s_and_saveexec_b64 s[18:19], s[20:21]
	s_cbranch_execnz .LBB72_161
.LBB72_145:                             ;   in Loop: Header=BB72_11 Depth=1
	s_or_b64 exec, exec, s[18:19]
	s_and_saveexec_b64 s[18:19], s[22:23]
	s_cbranch_execnz .LBB72_162
.LBB72_146:                             ;   in Loop: Header=BB72_11 Depth=1
	s_or_b64 exec, exec, s[18:19]
	s_and_saveexec_b64 s[18:19], s[24:25]
	s_cbranch_execnz .LBB72_163
.LBB72_147:                             ;   in Loop: Header=BB72_11 Depth=1
	s_or_b64 exec, exec, s[18:19]
	s_and_saveexec_b64 s[18:19], s[26:27]
	s_cbranch_execnz .LBB72_164
.LBB72_148:                             ;   in Loop: Header=BB72_11 Depth=1
	s_or_b64 exec, exec, s[18:19]
	s_and_saveexec_b64 s[18:19], s[28:29]
	s_cbranch_execnz .LBB72_165
.LBB72_149:                             ;   in Loop: Header=BB72_11 Depth=1
	s_or_b64 exec, exec, s[18:19]
	s_and_saveexec_b64 s[18:19], s[30:31]
	s_cbranch_execnz .LBB72_166
.LBB72_150:                             ;   in Loop: Header=BB72_11 Depth=1
	s_or_b64 exec, exec, s[18:19]
	s_and_saveexec_b64 s[18:19], s[34:35]
	s_cbranch_execz .LBB72_10
	s_branch .LBB72_167
.LBB72_151:                             ;   in Loop: Header=BB72_11 Depth=1
	global_load_ushort v23, v[4:5], off offset:640
	s_or_b64 exec, exec, s[36:37]
	s_and_saveexec_b64 s[36:37], s[30:31]
	s_cbranch_execz .LBB72_39
.LBB72_152:                             ;   in Loop: Header=BB72_11 Depth=1
	global_load_ushort v22, v[4:5], off offset:768
	s_or_b64 exec, exec, s[36:37]
	v_mov_b32_e32 v24, 0
	s_and_saveexec_b64 s[36:37], s[34:35]
	s_cbranch_execnz .LBB72_40
	s_branch .LBB72_41
.LBB72_153:                             ;   in Loop: Header=BB72_11 Depth=1
	ds_read_u16 v28, v47
	s_waitcnt lgkmcnt(0)
	global_store_short v[0:1], v28, off
	s_or_b64 exec, exec, s[36:37]
	s_and_saveexec_b64 s[36:37], s[20:21]
	s_cbranch_execz .LBB72_120
.LBB72_154:                             ;   in Loop: Header=BB72_11 Depth=1
	s_waitcnt lgkmcnt(6)
	global_store_short v[0:1], v19, off offset:128
	s_or_b64 exec, exec, s[36:37]
	s_and_saveexec_b64 s[36:37], s[22:23]
	s_cbranch_execz .LBB72_121
.LBB72_155:                             ;   in Loop: Header=BB72_11 Depth=1
	s_waitcnt lgkmcnt(5)
	global_store_short v[0:1], v7, off offset:256
	s_or_b64 exec, exec, s[36:37]
	s_and_saveexec_b64 s[36:37], s[24:25]
	s_cbranch_execz .LBB72_122
.LBB72_156:                             ;   in Loop: Header=BB72_11 Depth=1
	s_waitcnt lgkmcnt(4)
	global_store_short v[0:1], v6, off offset:384
	s_or_b64 exec, exec, s[36:37]
	s_and_saveexec_b64 s[36:37], s[26:27]
	s_cbranch_execz .LBB72_123
.LBB72_157:                             ;   in Loop: Header=BB72_11 Depth=1
	s_waitcnt lgkmcnt(3)
	global_store_short v[0:1], v5, off offset:512
	s_or_b64 exec, exec, s[36:37]
	s_and_saveexec_b64 s[36:37], s[28:29]
	s_cbranch_execz .LBB72_124
.LBB72_158:                             ;   in Loop: Header=BB72_11 Depth=1
	s_waitcnt lgkmcnt(2)
	global_store_short v[0:1], v4, off offset:640
	s_or_b64 exec, exec, s[36:37]
	s_and_saveexec_b64 s[36:37], s[30:31]
	s_cbranch_execz .LBB72_125
.LBB72_159:                             ;   in Loop: Header=BB72_11 Depth=1
	s_waitcnt lgkmcnt(1)
	global_store_short v[0:1], v3, off offset:768
	s_or_b64 exec, exec, s[36:37]
	s_and_saveexec_b64 s[36:37], s[34:35]
	s_cbranch_execnz .LBB72_126
	s_branch .LBB72_127
.LBB72_160:                             ;   in Loop: Header=BB72_11 Depth=1
	ds_read_u16 v20, v47
	s_waitcnt lgkmcnt(0)
	global_store_short v[0:1], v20, off
	s_or_b64 exec, exec, s[36:37]
	s_and_saveexec_b64 s[18:19], s[20:21]
	s_cbranch_execz .LBB72_145
.LBB72_161:                             ;   in Loop: Header=BB72_11 Depth=1
	s_waitcnt lgkmcnt(6)
	global_store_short v[0:1], v19, off offset:128
	s_or_b64 exec, exec, s[18:19]
	s_and_saveexec_b64 s[18:19], s[22:23]
	s_cbranch_execz .LBB72_146
.LBB72_162:                             ;   in Loop: Header=BB72_11 Depth=1
	s_waitcnt lgkmcnt(5)
	global_store_short v[0:1], v7, off offset:256
	s_or_b64 exec, exec, s[18:19]
	s_and_saveexec_b64 s[18:19], s[24:25]
	s_cbranch_execz .LBB72_147
.LBB72_163:                             ;   in Loop: Header=BB72_11 Depth=1
	s_waitcnt lgkmcnt(4)
	global_store_short v[0:1], v6, off offset:384
	s_or_b64 exec, exec, s[18:19]
	s_and_saveexec_b64 s[18:19], s[26:27]
	s_cbranch_execz .LBB72_148
.LBB72_164:                             ;   in Loop: Header=BB72_11 Depth=1
	s_waitcnt lgkmcnt(3)
	global_store_short v[0:1], v5, off offset:512
	s_or_b64 exec, exec, s[18:19]
	s_and_saveexec_b64 s[18:19], s[28:29]
	s_cbranch_execz .LBB72_149
.LBB72_165:                             ;   in Loop: Header=BB72_11 Depth=1
	s_waitcnt lgkmcnt(2)
	global_store_short v[0:1], v4, off offset:640
	s_or_b64 exec, exec, s[18:19]
	s_and_saveexec_b64 s[18:19], s[30:31]
	s_cbranch_execz .LBB72_150
.LBB72_166:                             ;   in Loop: Header=BB72_11 Depth=1
	s_waitcnt lgkmcnt(1)
	global_store_short v[0:1], v3, off offset:768
	s_or_b64 exec, exec, s[18:19]
	s_and_saveexec_b64 s[18:19], s[34:35]
	s_cbranch_execz .LBB72_10
.LBB72_167:                             ;   in Loop: Header=BB72_11 Depth=1
	s_waitcnt lgkmcnt(0)
	global_store_short v[0:1], v2, off offset:896
	s_branch .LBB72_10
.LBB72_168:
	s_endpgm
.LBB72_169:
	s_mov_b64 s[68:69], 0
	s_load_dwordx2 s[6:7], s[0:1], 0x20
	s_cmp_eq_u64 s[4:5], 0
	s_cbranch_scc0 .LBB72_2
	s_branch .LBB72_3
	.section	.rodata,"a",@progbits
	.p2align	6, 0x0
	.amdhsa_kernel _Z25selective_scan_fwd_kernelI32Selective_Scan_fwd_kernel_traitsILi64ELi8ELi1ELb1ELb1ELb1ELb1ELb1EN3c104HalfEfS2_EEv13SSMParamsBase
		.amdhsa_group_segment_fixed_size 0
		.amdhsa_private_segment_fixed_size 0
		.amdhsa_kernarg_size 248
		.amdhsa_user_sgpr_count 2
		.amdhsa_user_sgpr_dispatch_ptr 0
		.amdhsa_user_sgpr_queue_ptr 0
		.amdhsa_user_sgpr_kernarg_segment_ptr 1
		.amdhsa_user_sgpr_dispatch_id 0
		.amdhsa_user_sgpr_kernarg_preload_length 0
		.amdhsa_user_sgpr_kernarg_preload_offset 0
		.amdhsa_user_sgpr_private_segment_size 0
		.amdhsa_uses_dynamic_stack 0
		.amdhsa_enable_private_segment 0
		.amdhsa_system_sgpr_workgroup_id_x 1
		.amdhsa_system_sgpr_workgroup_id_y 1
		.amdhsa_system_sgpr_workgroup_id_z 0
		.amdhsa_system_sgpr_workgroup_info 0
		.amdhsa_system_vgpr_workitem_id 0
		.amdhsa_next_free_vgpr 96
		.amdhsa_next_free_sgpr 100
		.amdhsa_accum_offset 96
		.amdhsa_reserve_vcc 1
		.amdhsa_float_round_mode_32 0
		.amdhsa_float_round_mode_16_64 0
		.amdhsa_float_denorm_mode_32 3
		.amdhsa_float_denorm_mode_16_64 3
		.amdhsa_dx10_clamp 1
		.amdhsa_ieee_mode 1
		.amdhsa_fp16_overflow 0
		.amdhsa_tg_split 0
		.amdhsa_exception_fp_ieee_invalid_op 0
		.amdhsa_exception_fp_denorm_src 0
		.amdhsa_exception_fp_ieee_div_zero 0
		.amdhsa_exception_fp_ieee_overflow 0
		.amdhsa_exception_fp_ieee_underflow 0
		.amdhsa_exception_fp_ieee_inexact 0
		.amdhsa_exception_int_div_zero 0
	.end_amdhsa_kernel
	.section	.text._Z25selective_scan_fwd_kernelI32Selective_Scan_fwd_kernel_traitsILi64ELi8ELi1ELb1ELb1ELb1ELb1ELb1EN3c104HalfEfS2_EEv13SSMParamsBase,"axG",@progbits,_Z25selective_scan_fwd_kernelI32Selective_Scan_fwd_kernel_traitsILi64ELi8ELi1ELb1ELb1ELb1ELb1ELb1EN3c104HalfEfS2_EEv13SSMParamsBase,comdat
.Lfunc_end72:
	.size	_Z25selective_scan_fwd_kernelI32Selective_Scan_fwd_kernel_traitsILi64ELi8ELi1ELb1ELb1ELb1ELb1ELb1EN3c104HalfEfS2_EEv13SSMParamsBase, .Lfunc_end72-_Z25selective_scan_fwd_kernelI32Selective_Scan_fwd_kernel_traitsILi64ELi8ELi1ELb1ELb1ELb1ELb1ELb1EN3c104HalfEfS2_EEv13SSMParamsBase
                                        ; -- End function
	.section	.AMDGPU.csdata,"",@progbits
; Kernel info:
; codeLenInByte = 12628
; NumSgprs: 106
; NumVgprs: 96
; NumAgprs: 0
; TotalNumVgprs: 96
; ScratchSize: 0
; MemoryBound: 0
; FloatMode: 240
; IeeeMode: 1
; LDSByteSize: 0 bytes/workgroup (compile time only)
; SGPRBlocks: 13
; VGPRBlocks: 11
; NumSGPRsForWavesPerEU: 106
; NumVGPRsForWavesPerEU: 96
; AccumOffset: 96
; Occupancy: 5
; WaveLimiterHint : 1
; COMPUTE_PGM_RSRC2:SCRATCH_EN: 0
; COMPUTE_PGM_RSRC2:USER_SGPR: 2
; COMPUTE_PGM_RSRC2:TRAP_HANDLER: 0
; COMPUTE_PGM_RSRC2:TGID_X_EN: 1
; COMPUTE_PGM_RSRC2:TGID_Y_EN: 1
; COMPUTE_PGM_RSRC2:TGID_Z_EN: 0
; COMPUTE_PGM_RSRC2:TIDIG_COMP_CNT: 0
; COMPUTE_PGM_RSRC3_GFX90A:ACCUM_OFFSET: 23
; COMPUTE_PGM_RSRC3_GFX90A:TG_SPLIT: 0
	.section	.text._Z25selective_scan_fwd_kernelI32Selective_Scan_fwd_kernel_traitsILi64ELi8ELi1ELb1ELb1ELb1ELb1ELb0EN3c104HalfEfS2_EEv13SSMParamsBase,"axG",@progbits,_Z25selective_scan_fwd_kernelI32Selective_Scan_fwd_kernel_traitsILi64ELi8ELi1ELb1ELb1ELb1ELb1ELb0EN3c104HalfEfS2_EEv13SSMParamsBase,comdat
	.protected	_Z25selective_scan_fwd_kernelI32Selective_Scan_fwd_kernel_traitsILi64ELi8ELi1ELb1ELb1ELb1ELb1ELb0EN3c104HalfEfS2_EEv13SSMParamsBase ; -- Begin function _Z25selective_scan_fwd_kernelI32Selective_Scan_fwd_kernel_traitsILi64ELi8ELi1ELb1ELb1ELb1ELb1ELb0EN3c104HalfEfS2_EEv13SSMParamsBase
	.globl	_Z25selective_scan_fwd_kernelI32Selective_Scan_fwd_kernel_traitsILi64ELi8ELi1ELb1ELb1ELb1ELb1ELb0EN3c104HalfEfS2_EEv13SSMParamsBase
	.p2align	8
	.type	_Z25selective_scan_fwd_kernelI32Selective_Scan_fwd_kernel_traitsILi64ELi8ELi1ELb1ELb1ELb1ELb1ELb0EN3c104HalfEfS2_EEv13SSMParamsBase,@function
_Z25selective_scan_fwd_kernelI32Selective_Scan_fwd_kernel_traitsILi64ELi8ELi1ELb1ELb1ELb1ELb1ELb0EN3c104HalfEfS2_EEv13SSMParamsBase: ; @_Z25selective_scan_fwd_kernelI32Selective_Scan_fwd_kernel_traitsILi64ELi8ELi1ELb1ELb1ELb1ELb1ELb0EN3c104HalfEfS2_EEv13SSMParamsBase
; %bb.0:
	s_load_dword s35, s[0:1], 0x18
	s_load_dwordx4 s[4:7], s[0:1], 0xe8
	s_mov_b32 s28, s3
	s_waitcnt lgkmcnt(0)
	s_abs_i32 s34, s35
	v_cvt_f32_u32_e32 v1, s34
	s_cmp_eq_u64 s[6:7], 0
	v_rcp_iflag_f32_e32 v1, v1
	s_nop 0
	v_mul_f32_e32 v1, 0x4f7ffffe, v1
	v_cvt_u32_f32_e32 v1, v1
	s_nop 0
	v_readfirstlane_b32 s20, v1
	s_cbranch_scc1 .LBB73_3
; %bb.1:
	s_ashr_i32 s3, s2, 31
	s_add_u32 s6, s6, s2
	s_addc_u32 s7, s7, s3
	v_mov_b32_e32 v1, 0
	global_load_ubyte v1, v1, s[6:7]
	s_waitcnt vmcnt(0)
	v_and_b32_e32 v1, 1, v1
	v_cmp_eq_u32_e64 s[38:39], 1, v1
	s_load_dwordx2 s[6:7], s[0:1], 0x20
	s_cmp_eq_u64 s[4:5], 0
	s_cbranch_scc1 .LBB73_4
.LBB73_2:
	s_ashr_i32 s3, s2, 31
	s_lshl_b64 s[8:9], s[2:3], 2
	s_add_u32 s4, s4, s8
	s_addc_u32 s5, s5, s9
	s_load_dword s30, s[4:5], 0x0
	s_waitcnt lgkmcnt(0)
	s_ashr_i32 s31, s30, 31
	s_cmp_eq_u64 s[6:7], s[30:31]
	s_cbranch_scc0 .LBB73_5
	s_branch .LBB73_60
.LBB73_3:
	s_mov_b64 s[38:39], 0
	s_load_dwordx2 s[6:7], s[0:1], 0x20
	s_cmp_eq_u64 s[4:5], 0
	s_cbranch_scc0 .LBB73_2
.LBB73_4:
	s_mov_b32 s30, s2
	s_ashr_i32 s31, s30, 31
	s_waitcnt lgkmcnt(0)
	s_cmp_eq_u64 s[6:7], s[30:31]
	s_cbranch_scc1 .LBB73_60
.LBB73_5:
	s_load_dwordx16 s[4:19], s[0:1], 0x88
	s_load_dwordx2 s[56:57], s[0:1], 0x8
	s_mov_b32 s33, 0
	s_mov_b32 s78, 0
	s_waitcnt lgkmcnt(0)
	s_cmp_eq_u64 s[10:11], 0
	s_cbranch_scc1 .LBB73_7
; %bb.6:
	s_ashr_i32 s29, s28, 31
	s_lshl_b64 s[22:23], s[28:29], 2
	s_add_u32 s10, s10, s22
	s_addc_u32 s11, s11, s23
	s_load_dword s78, s[10:11], 0x0
.LBB73_7:
	s_cmp_eq_u64 s[16:17], 0
	s_cbranch_scc1 .LBB73_9
; %bb.8:
	s_ashr_i32 s29, s28, 31
	s_lshl_b64 s[10:11], s[28:29], 2
	s_add_u32 s10, s16, s10
	s_addc_u32 s11, s17, s11
	s_load_dword s33, s[10:11], 0x0
.LBB73_9:
	s_cmp_lt_i32 s56, 1
	s_cbranch_scc1 .LBB73_60
; %bb.10:
	s_sub_i32 s3, 0, s34
	s_mul_i32 s3, s3, s20
	s_mul_hi_u32 s3, s20, s3
	s_abs_i32 s29, s28
	s_add_i32 s3, s20, s3
	s_load_dwordx8 s[40:47], s[0:1], 0x2c
	s_load_dwordx2 s[16:17], s[0:1], 0x7c
	s_load_dwordx4 s[24:27], s[0:1], 0x6c
	s_load_dwordx8 s[48:55], s[0:1], 0x4c
	s_load_dwordx2 s[10:11], s[0:1], 0xd8
	s_load_dwordx4 s[20:23], s[0:1], 0xc8
	s_load_dword s79, s[0:1], 0x84
	s_mul_hi_u32 s3, s29, s3
	s_load_dword s31, s[0:1], 0x28
	s_ashr_i32 s0, s28, 31
	s_ashr_i32 s1, s35, 31
	s_xor_b32 s0, s0, s1
	s_mul_i32 s1, s3, s34
	s_sub_i32 s1, s29, s1
	s_add_i32 s29, s3, 1
	s_sub_i32 s35, s1, s34
	s_cmp_ge_u32 s1, s34
	s_cselect_b32 s3, s29, s3
	s_cselect_b32 s1, s35, s1
	s_add_i32 s29, s3, 1
	s_cmp_ge_u32 s1, s34
	s_cselect_b32 s1, s29, s3
	s_xor_b32 s1, s1, s0
	s_waitcnt lgkmcnt(0)
	s_mul_i32 s58, s50, s2
	s_mov_b32 s59, 0
	s_sub_i32 s3, s1, s0
	s_lshl_b64 s[0:1], s[58:59], 1
	s_add_u32 s12, s12, s0
	s_mul_i32 s58, s51, s28
	s_addc_u32 s13, s13, s1
	s_lshl_b64 s[0:1], s[58:59], 1
	s_add_u32 s50, s12, s0
	s_mul_i32 s58, s52, s2
	s_addc_u32 s51, s13, s1
	;; [unrolled: 4-line block ×10, first 2 shown]
	s_lshl_b64 s[0:1], s[58:59], 1
	s_add_u32 s45, s3, s0
	s_addc_u32 s49, s4, s1
	s_add_i32 s0, s56, 0x7ff
	s_lshr_b32 s81, s0, 11
	s_bitcmp1_b32 s31, 0
	s_cselect_b64 s[60:61], -1, 0
	s_cmp_gt_i32 s57, 0
	s_cselect_b64 s[62:63], -1, 0
	s_and_b32 s3, s56, 0x1ff
	s_cmp_eq_u32 s3, 0
	s_mul_i32 s58, s24, s2
	s_cselect_b64 s[64:65], -1, 0
	s_add_i32 s82, s81, -1
	s_lshl_b64 s[4:5], s[58:59], 1
	s_add_u32 s3, s18, s4
	s_mul_i32 s58, s25, s28
	s_addc_u32 s8, s19, s5
	s_lshl_b64 s[6:7], s[58:59], 1
	s_add_u32 s6, s3, s6
	v_mov_b32_e32 v21, 0
	s_addc_u32 s7, s8, s7
	v_lshlrev_b32_e32 v20, 4, v0
	s_mul_i32 s58, s26, s2
	v_lshl_add_u64 v[22:23], s[6:7], 0, v[20:21]
	s_lshl_b64 s[6:7], s[58:59], 1
	s_add_u32 s3, s10, s6
	s_mul_i32 s58, s27, s28
	s_addc_u32 s8, s11, s7
	s_lshl_b64 s[6:7], s[58:59], 1
	s_add_u32 s6, s3, s6
	s_mul_i32 s58, s54, s2
	s_addc_u32 s7, s8, s7
	s_lshl_b64 s[2:3], s[58:59], 1
	s_add_u32 s8, s22, s2
	s_mul_i32 s58, s55, s28
	s_addc_u32 s9, s23, s3
	s_lshl_b64 s[2:3], s[58:59], 1
	s_add_u32 s2, s8, s2
	s_addc_u32 s3, s9, s3
	v_cmp_gt_u32_e64 s[0:1], 64, v0
	v_lshlrev_b32_e32 v50, 3, v0
	v_cmp_eq_u32_e64 s[36:37], 63, v0
	v_cmp_eq_u32_e64 s[4:5], 0, v0
	v_lshl_add_u64 v[24:25], s[2:3], 0, v[20:21]
	v_lshl_add_u64 v[26:27], s[6:7], 0, v[20:21]
	v_lshlrev_b32_e32 v20, 4, v0
	v_mbcnt_lo_u32_b32 v0, -1, 0
	v_or_b32_e32 v53, 3, v50
	v_or_b32_e32 v54, 4, v50
	v_or_b32_e32 v55, 5, v50
	v_or_b32_e32 v56, 6, v50
	v_or_b32_e32 v57, 7, v50
	s_mov_b32 s83, 0x41a00000
	s_mov_b32 s84, 0x3fb8aa3b
	s_mov_b32 s85, 0xc2ce8ed0
	s_mov_b32 s86, 0x42b17218
	s_mov_b32 s87, 0x7f800000
	s_mov_b32 s88, 0x3f2aaaab
	v_mov_b32_e32 v58, 0x3ecc95a3
	s_mov_b32 s89, 0x3f317218
	s_mov_b32 s90, 0x33800000
	s_add_i32 s91, 0, 0x848
	s_mov_b32 s92, 0xc2fc0000
	s_mov_b32 s93, 0xbfb8aa3b
	;; [unrolled: 1-line block ×5, first 2 shown]
	v_mov_b32_e32 v59, 0x7f800000
	v_mov_b32_e32 v28, 0x3f317218
	v_mbcnt_hi_u32_b32 v60, -1, v0
	v_mov_b32_e32 v61, 0x42800000
	v_mov_b32_e32 v62, 0x1f800000
	s_mov_b32 s97, 0
                                        ; implicit-def: $vgpr1
                                        ; implicit-def: $vgpr68
                                        ; implicit-def: $vgpr7
                                        ; implicit-def: $vgpr67
                                        ; implicit-def: $vgpr65
                                        ; implicit-def: $vgpr64
                                        ; implicit-def: $vgpr0
                                        ; implicit-def: $vgpr63
                                        ; implicit-def: $vgpr66
                                        ; implicit-def: $vgpr69
                                        ; implicit-def: $vgpr70
                                        ; implicit-def: $vgpr8_vgpr9
	s_branch .LBB73_12
.LBB73_11:                              ;   in Loop: Header=BB73_12 Depth=1
	s_or_b64 exec, exec, s[6:7]
	s_waitcnt vmcnt(0)
	v_cvt_f32_f16_e32 v43, v8
	v_cvt_f32_f16_sdwa v40, v8 dst_sel:DWORD dst_unused:UNUSED_PAD src0_sel:WORD_1
	v_cvt_f32_f16_e32 v42, v9
	v_cvt_f32_f16_sdwa v39, v9 dst_sel:DWORD dst_unused:UNUSED_PAD src0_sel:WORD_1
	v_mul_f32_e32 v12, 0xbfb8aa3b, v43
	v_rndne_f32_e32 v13, v12
	v_sub_f32_e32 v14, v12, v13
	v_fma_mix_f32 v12, v8, s93, -v12 op_sel_hi:[1,0,0]
	v_cvt_i32_f32_e32 v15, v13
	v_fma_mix_f32 v12, v8, s94, v12 op_sel_hi:[1,0,0]
	v_cmp_nlt_f32_e32 vcc, s95, v43
	v_add_f32_e32 v12, v14, v12
	v_exp_f32_e32 v14, v12
	v_lshl_add_u64 v[12:13], s[2:3], 1, v[26:27]
	v_cvt_f32_f16_e32 v29, v10
	v_cvt_f32_f16_sdwa v38, v10 dst_sel:DWORD dst_unused:UNUSED_PAD src0_sel:WORD_1
	v_ldexp_f32 v14, v14, v15
	v_mul_f32_e32 v15, 0xbfb8aa3b, v40
	v_rndne_f32_e32 v16, v15
	v_sub_f32_e32 v17, v15, v16
	v_fma_mix_f32 v15, v8, s93, -v15 op_sel:[1,0,0] op_sel_hi:[1,0,0]
	v_cvt_i32_f32_e32 v16, v16
	v_fma_mix_f32 v15, v8, s94, v15 op_sel:[1,0,0] op_sel_hi:[1,0,0]
	v_cndmask_b32_e32 v14, 0, v14, vcc
	v_add_f32_e32 v15, v17, v15
	v_exp_f32_e32 v15, v15
	v_cmp_ngt_f32_e32 vcc, s96, v43
	v_cvt_f32_f16_e32 v18, v11
	v_cvt_f32_f16_sdwa v19, v11 dst_sel:DWORD dst_unused:UNUSED_PAD src0_sel:WORD_1
	v_ldexp_f32 v15, v15, v16
	v_mul_f32_e32 v16, 0xbfb8aa3b, v42
	v_rndne_f32_e32 v17, v16
	v_sub_f32_e32 v41, v16, v17
	v_fma_mix_f32 v16, v9, s93, -v16 op_sel_hi:[1,0,0]
	v_cvt_i32_f32_e32 v17, v17
	v_fma_mix_f32 v16, v9, s94, v16 op_sel_hi:[1,0,0]
	v_cndmask_b32_e32 v14, v59, v14, vcc
	v_add_f32_e32 v16, v41, v16
	v_exp_f32_e32 v16, v16
	v_cmp_nlt_f32_e32 vcc, s95, v40
	s_add_u32 s52, s52, 0x400
	s_addc_u32 s53, s53, 0
	v_ldexp_f32 v16, v16, v17
	v_mul_f32_e32 v17, 0xbfb8aa3b, v39
	v_rndne_f32_e32 v41, v17
	v_sub_f32_e32 v44, v17, v41
	v_fma_mix_f32 v17, v9, s93, -v17 op_sel:[1,0,0] op_sel_hi:[1,0,0]
	v_cvt_i32_f32_e32 v41, v41
	v_fma_mix_f32 v17, v9, s94, v17 op_sel:[1,0,0] op_sel_hi:[1,0,0]
	v_cndmask_b32_e32 v15, 0, v15, vcc
	v_add_f32_e32 v17, v44, v17
	v_exp_f32_e32 v17, v17
	v_cmp_ngt_f32_e32 vcc, s96, v40
	s_add_u32 s50, s50, 0x400
	s_addc_u32 s51, s51, 0
	v_cndmask_b32_e32 v15, v59, v15, vcc
	v_pk_add_f32 v[14:15], v[14:15], 1.0 op_sel_hi:[1,0]
	v_ldexp_f32 v17, v17, v41
	v_div_scale_f32 v41, s[2:3], v15, v15, v40
	v_rcp_f32_e32 v44, v41
	v_cmp_nlt_f32_e32 vcc, s95, v42
	s_add_u32 s42, s42, 0x400
	s_addc_u32 s43, s43, 0
	v_cndmask_b32_e32 v16, 0, v16, vcc
	v_cmp_ngt_f32_e32 vcc, s96, v42
	v_fma_f32 v45, -v41, v44, 1.0
	v_fmac_f32_e32 v44, v45, v44
	v_cndmask_b32_e32 v16, v59, v16, vcc
	v_cmp_nlt_f32_e32 vcc, s95, v39
	s_add_u32 s46, s46, 0x400
	s_addc_u32 s47, s47, 0
	v_cndmask_b32_e32 v17, 0, v17, vcc
	v_cmp_ngt_f32_e32 vcc, s96, v39
	s_add_i32 s97, s97, 1
	s_cmp_eq_u32 s97, s81
	v_cndmask_b32_e32 v17, v59, v17, vcc
	v_div_scale_f32 v45, vcc, v40, v15, v40
	v_mul_f32_e32 v46, v45, v44
	v_fma_f32 v47, -v41, v46, v45
	v_fmac_f32_e32 v46, v47, v44
	v_fma_f32 v41, -v41, v46, v45
	v_div_scale_f32 v45, s[2:3], v14, v14, v43
	v_rcp_f32_e32 v47, v45
	v_div_fmas_f32 v41, v41, v44, v46
	v_div_fixup_f32 v41, v41, v15, v40
	v_pk_add_f32 v[16:17], v[16:17], 1.0 op_sel_hi:[1,0]
	v_fma_f32 v15, -v45, v47, 1.0
	v_fmac_f32_e32 v47, v15, v47
	v_div_scale_f32 v15, vcc, v43, v14, v43
	v_mul_f32_e32 v40, v15, v47
	v_fma_f32 v44, -v45, v40, v15
	v_fmac_f32_e32 v40, v44, v47
	v_div_scale_f32 v44, s[2:3], v17, v17, v39
	v_fma_f32 v15, -v45, v40, v15
	v_rcp_f32_e32 v45, v44
	v_div_fmas_f32 v15, v15, v47, v40
	v_div_fixup_f32 v40, v15, v14, v43
	v_fma_f32 v14, -v44, v45, 1.0
	v_fmac_f32_e32 v45, v14, v45
	v_div_scale_f32 v14, vcc, v39, v17, v39
	v_mul_f32_e32 v15, v14, v45
	v_fma_f32 v43, -v44, v15, v14
	v_fmac_f32_e32 v15, v43, v45
	v_div_scale_f32 v43, s[2:3], v16, v16, v42
	v_fma_f32 v14, -v44, v15, v14
	v_rcp_f32_e32 v44, v43
	v_div_fmas_f32 v14, v14, v45, v15
	v_div_fixup_f32 v15, v14, v17, v39
	; wave barrier
	v_fma_f32 v14, -v43, v44, 1.0
	v_fmac_f32_e32 v44, v14, v44
	v_div_scale_f32 v14, vcc, v42, v16, v42
	v_mul_f32_e32 v17, v14, v44
	v_fma_f32 v39, -v43, v17, v14
	v_fmac_f32_e32 v17, v39, v44
	v_fma_f32 v14, -v43, v17, v14
	v_div_fmas_f32 v14, v14, v44, v17
	v_div_fixup_f32 v14, v14, v16, v42
	v_mul_f32_e32 v16, 0xbfb8aa3b, v29
	v_rndne_f32_e32 v17, v16
	v_pk_mul_f32 v[14:15], v[36:37], v[14:15]
	v_sub_f32_e32 v36, v16, v17
	v_fma_mix_f32 v16, v10, s93, -v16 op_sel_hi:[1,0,0]
	v_cvt_i32_f32_e32 v37, v17
	v_fma_mix_f32 v16, v10, s94, v16 op_sel_hi:[1,0,0]
	v_cmp_nlt_f32_e32 vcc, s95, v29
	v_add_f32_e32 v16, v36, v16
	v_exp_f32_e32 v36, v16
	v_pk_mul_f32 v[16:17], v[34:35], v[40:41]
	v_mul_f32_e32 v34, 0xbfb8aa3b, v38
	v_rndne_f32_e32 v35, v34
	v_cvt_f16_f32_e32 v39, v17
	v_ldexp_f32 v17, v36, v37
	v_sub_f32_e32 v36, v34, v35
	v_fma_mix_f32 v34, v10, s93, -v34 op_sel:[1,0,0] op_sel_hi:[1,0,0]
	v_cvt_i32_f32_e32 v35, v35
	v_fma_mix_f32 v34, v10, s94, v34 op_sel:[1,0,0] op_sel_hi:[1,0,0]
	v_cndmask_b32_e32 v17, 0, v17, vcc
	v_add_f32_e32 v34, v36, v34
	v_exp_f32_e32 v36, v34
	v_cmp_ngt_f32_e32 vcc, s96, v29
	v_cvt_f16_f32_e32 v15, v15
	v_cvt_f16_f32_e32 v14, v14
	v_cndmask_b32_e32 v34, v59, v17, vcc
	v_ldexp_f32 v17, v36, v35
	v_mul_f32_e32 v35, 0xbfb8aa3b, v18
	v_rndne_f32_e32 v36, v35
	v_sub_f32_e32 v37, v35, v36
	v_fma_mix_f32 v35, v11, s93, -v35 op_sel_hi:[1,0,0]
	v_cvt_i32_f32_e32 v36, v36
	v_fma_mix_f32 v35, v11, s94, v35 op_sel_hi:[1,0,0]
	v_cmp_nlt_f32_e32 vcc, s95, v38
	v_add_f32_e32 v35, v37, v35
	v_exp_f32_e32 v37, v35
	v_cndmask_b32_e32 v17, 0, v17, vcc
	v_cmp_ngt_f32_e32 vcc, s96, v38
	v_pack_b32_f16 v15, v14, v15
	s_nop 0
	v_cndmask_b32_e32 v35, v59, v17, vcc
	v_ldexp_f32 v17, v37, v36
	v_mul_f32_e32 v36, 0xbfb8aa3b, v19
	v_rndne_f32_e32 v37, v36
	v_sub_f32_e32 v40, v36, v37
	v_fma_mix_f32 v36, v11, s93, -v36 op_sel:[1,0,0] op_sel_hi:[1,0,0]
	v_cvt_i32_f32_e32 v37, v37
	v_fma_mix_f32 v36, v11, s94, v36 op_sel:[1,0,0] op_sel_hi:[1,0,0]
	v_cmp_nlt_f32_e32 vcc, s95, v18
	v_add_f32_e32 v36, v40, v36
	v_exp_f32_e32 v40, v36
	v_cndmask_b32_e32 v17, 0, v17, vcc
	v_cmp_ngt_f32_e32 vcc, s96, v18
	v_pk_add_f32 v[34:35], v[34:35], 1.0 op_sel_hi:[1,0]
	s_nop 0
	v_cndmask_b32_e32 v36, v59, v17, vcc
	v_ldexp_f32 v17, v40, v37
	v_div_scale_f32 v40, s[2:3], v35, v35, v38
	v_rcp_f32_e32 v41, v40
	v_cmp_nlt_f32_e32 vcc, s95, v19
	s_nop 1
	v_cndmask_b32_e32 v17, 0, v17, vcc
	v_cmp_ngt_f32_e32 vcc, s96, v19
	s_nop 1
	v_cndmask_b32_e32 v37, v59, v17, vcc
	v_fma_f32 v17, -v40, v41, 1.0
	v_fmac_f32_e32 v41, v17, v41
	v_div_scale_f32 v17, vcc, v38, v35, v38
	v_mul_f32_e32 v42, v17, v41
	v_fma_f32 v43, -v40, v42, v17
	v_fmac_f32_e32 v42, v43, v41
	v_fma_f32 v17, -v40, v42, v17
	v_div_scale_f32 v40, s[2:3], v34, v34, v29
	v_rcp_f32_e32 v43, v40
	v_div_fmas_f32 v17, v17, v41, v42
	v_div_fixup_f32 v35, v17, v35, v38
	v_pk_add_f32 v[36:37], v[36:37], 1.0 op_sel_hi:[1,0]
	v_fma_f32 v17, -v40, v43, 1.0
	v_fmac_f32_e32 v43, v17, v43
	v_div_scale_f32 v17, vcc, v29, v34, v29
	v_mul_f32_e32 v38, v17, v43
	v_fma_f32 v41, -v40, v38, v17
	v_fmac_f32_e32 v38, v41, v43
	v_fma_f32 v17, -v40, v38, v17
	v_div_scale_f32 v40, s[2:3], v37, v37, v19
	v_rcp_f32_e32 v41, v40
	v_div_fmas_f32 v17, v17, v43, v38
	v_div_fixup_f32 v34, v17, v34, v29
	v_pk_mul_f32 v[30:31], v[30:31], v[34:35]
	v_fma_f32 v17, -v40, v41, 1.0
	v_fmac_f32_e32 v41, v17, v41
	v_div_scale_f32 v17, vcc, v19, v37, v19
	v_mul_f32_e32 v29, v17, v41
	v_fma_f32 v38, -v40, v29, v17
	v_fmac_f32_e32 v29, v38, v41
	v_div_scale_f32 v38, s[2:3], v36, v36, v18
	v_fma_f32 v17, -v40, v29, v17
	v_rcp_f32_e32 v40, v38
	v_div_fmas_f32 v17, v17, v41, v29
	v_div_fixup_f32 v19, v17, v37, v19
	v_fma_f32 v17, -v38, v40, 1.0
	v_fmac_f32_e32 v40, v17, v40
	v_div_scale_f32 v17, vcc, v18, v36, v18
	v_mul_f32_e32 v29, v17, v40
	v_fma_f32 v37, -v38, v29, v17
	v_fmac_f32_e32 v29, v37, v40
	v_fma_f32 v17, -v38, v29, v17
	v_div_fmas_f32 v17, v17, v40, v29
	v_div_fixup_f32 v18, v17, v36, v18
	v_pk_mul_f32 v[18:19], v[32:33], v[18:19]
	v_cvt_f16_f32_e32 v29, v31
	v_cvt_f16_f32_e32 v17, v19
	;; [unrolled: 1-line block ×5, first 2 shown]
	v_pack_b32_f16 v17, v18, v17
	v_pack_b32_f16 v16, v19, v29
	;; [unrolled: 1-line block ×3, first 2 shown]
	global_store_dwordx4 v[12:13], v[14:17], off
	s_cbranch_scc1 .LBB73_60
.LBB73_12:                              ; =>This Loop Header: Depth=1
                                        ;     Child Loop BB73_33 Depth 2
	s_waitcnt lgkmcnt(0)
	; wave barrier
	s_and_saveexec_b64 s[2:3], s[0:1]
	s_cbranch_execz .LBB73_14
; %bb.13:                               ;   in Loop: Header=BB73_12 Depth=1
	global_load_dwordx4 v[0:3], v20, s[50:51]
	global_load_dwordx4 v[4:7], v20, s[52:53]
	s_waitcnt vmcnt(1)
	v_lshrrev_b32_e32 v63, 16, v0
	v_lshrrev_b32_e32 v66, 16, v1
	;; [unrolled: 1-line block ×4, first 2 shown]
	s_waitcnt vmcnt(0)
	v_lshrrev_b32_e32 v64, 16, v4
	v_lshrrev_b32_e32 v65, 16, v5
	;; [unrolled: 1-line block ×4, first 2 shown]
.LBB73_14:                              ;   in Loop: Header=BB73_12 Depth=1
	s_or_b64 exec, exec, s[2:3]
	v_cvt_f32_f16_e32 v12, v4
	v_add_f32_e32 v71, s33, v12
	v_cmp_ge_f32_e32 vcc, s83, v71
	s_and_b64 s[2:3], s[60:61], vcc
	s_and_saveexec_b64 s[6:7], s[2:3]
	s_cbranch_execz .LBB73_16
; %bb.15:                               ;   in Loop: Header=BB73_12 Depth=1
	v_mul_f32_e32 v12, 0x3fb8aa3b, v71
	v_rndne_f32_e32 v13, v12
	v_sub_f32_e32 v14, v12, v13
	v_fma_f32 v12, v71, s84, -v12
	v_fmac_f32_e32 v12, 0x32a5705f, v71
	v_add_f32_e32 v12, v14, v12
	v_cvt_i32_f32_e32 v13, v13
	v_exp_f32_e32 v12, v12
	v_cmp_ngt_f32_e32 vcc, s85, v71
	v_ldexp_f32 v12, v12, v13
	s_nop 0
	v_cndmask_b32_e32 v12, 0, v12, vcc
	v_cmp_nlt_f32_e32 vcc, s86, v71
	s_nop 1
	v_cndmask_b32_e32 v38, v59, v12, vcc
	v_add_f32_e32 v14, 1.0, v38
	v_add_f32_e32 v12, -1.0, v14
	v_sub_f32_e32 v13, v12, v14
	v_add_f32_e32 v13, 1.0, v13
	v_sub_f32_e32 v12, v38, v12
	v_add_f32_e32 v15, v12, v13
	v_frexp_mant_f32_e32 v16, v14
	v_cvt_f64_f32_e32 v[12:13], v14
	v_frexp_exp_i32_f64_e32 v12, v[12:13]
	v_cmp_gt_f32_e32 vcc, s88, v16
	v_cmp_gt_f32_e64 s[2:3], s90, v38
	s_nop 0
	v_subbrev_co_u32_e32 v30, vcc, 0, v12, vcc
	v_sub_u32_e32 v12, 0, v30
	v_ldexp_f32 v13, v14, v12
	v_add_f32_e32 v14, -1.0, v13
	v_add_f32_e32 v16, 1.0, v13
	v_ldexp_f32 v12, v15, v12
	v_add_f32_e32 v15, 1.0, v14
	v_add_f32_e32 v17, -1.0, v16
	v_sub_f32_e32 v15, v13, v15
	v_sub_f32_e32 v13, v13, v17
	v_add_f32_e32 v15, v12, v15
	v_add_f32_e32 v12, v12, v13
	;; [unrolled: 1-line block ×3, first 2 shown]
	v_rcp_f32_e32 v32, v29
	v_sub_f32_e32 v13, v16, v29
	v_add_f32_e32 v31, v12, v13
	v_add_f32_e32 v13, v14, v15
	v_mul_f32_e32 v34, v13, v32
	v_sub_f32_e32 v12, v14, v13
	v_mul_f32_e32 v14, v29, v34
	v_fma_f32 v16, v34, v29, -v14
	v_fmac_f32_e32 v16, v34, v31
	v_add_f32_e32 v33, v15, v12
	v_add_f32_e32 v12, v14, v16
	v_sub_f32_e32 v15, v13, v12
	v_pk_add_f32 v[18:19], v[12:13], v[14:15] neg_lo:[0,1] neg_hi:[0,1]
	v_mov_b32_e32 v17, v12
	v_pk_add_f32 v[12:13], v[18:19], v[16:17] neg_lo:[0,1] neg_hi:[0,1]
	v_cmp_eq_f32_e32 vcc, s87, v38
	v_add_f32_e32 v13, v33, v13
	v_add_f32_e32 v12, v12, v13
	;; [unrolled: 1-line block ×3, first 2 shown]
	v_mul_f32_e32 v33, v32, v13
	v_mul_f32_e32 v14, v29, v33
	v_fma_f32 v16, v33, v29, -v14
	v_fmac_f32_e32 v16, v33, v31
	v_sub_f32_e32 v15, v15, v13
	v_add_f32_e32 v29, v12, v15
	v_add_f32_e32 v12, v14, v16
	v_sub_f32_e32 v15, v13, v12
	v_pk_add_f32 v[18:19], v[12:13], v[14:15] neg_lo:[0,1] neg_hi:[0,1]
	v_mov_b32_e32 v17, v12
	v_pk_add_f32 v[12:13], v[18:19], v[16:17] neg_lo:[0,1] neg_hi:[0,1]
	s_or_b64 vcc, s[2:3], vcc
	v_add_f32_e32 v13, v29, v13
	v_add_f32_e32 v12, v12, v13
	;; [unrolled: 1-line block ×4, first 2 shown]
	v_sub_f32_e32 v14, v13, v34
	v_mul_f32_e32 v12, v32, v12
	v_sub_f32_e32 v14, v33, v14
	v_add_f32_e32 v14, v14, v12
	v_add_f32_e32 v16, v13, v14
	v_mul_f32_e32 v17, v16, v16
	v_fmamk_f32 v12, v17, 0x3e9b6dac, v58
	v_fmaak_f32 v29, v17, v12, 0x3f2aaada
	v_cvt_f32_i32_e32 v12, v30
	v_sub_f32_e32 v13, v16, v13
	v_sub_f32_e32 v13, v14, v13
	v_ldexp_f32 v18, v13, 1
	v_mul_f32_e32 v13, v16, v17
	v_ldexp_f32 v15, v16, 1
	v_pk_mul_f32 v[16:17], v[12:13], v[28:29]
	s_nop 0
	v_fma_f32 v14, v12, s89, -v16
	v_fmac_f32_e32 v14, 0xb102e308, v12
	v_pk_add_f32 v[12:13], v[16:17], v[14:15]
	s_nop 0
	v_sub_f32_e32 v15, v13, v15
	v_sub_f32_e32 v15, v17, v15
	v_add_f32_e32 v19, v18, v15
	v_mov_b32_e32 v18, v16
	v_pk_add_f32 v[16:17], v[12:13], v[16:17] neg_lo:[0,1] neg_hi:[0,1]
	v_pk_add_f32 v[30:31], v[12:13], v[18:19]
	v_mov_b32_e32 v15, v12
	v_mov_b32_e32 v17, v31
	v_pk_add_f32 v[32:33], v[14:15], v[16:17] neg_lo:[0,1] neg_hi:[0,1]
	v_pk_add_f32 v[14:15], v[14:15], v[16:17]
	v_mov_b32_e32 v18, v19
	v_mov_b32_e32 v16, v15
	v_pk_add_f32 v[34:35], v[16:17], v[12:13] neg_lo:[0,1] neg_hi:[0,1]
	v_mov_b32_e32 v14, v31
	v_mov_b32_e32 v17, v34
	v_pk_add_f32 v[36:37], v[30:31], v[16:17] neg_lo:[0,1] neg_hi:[0,1]
	v_mov_b32_e32 v30, v13
	v_mov_b32_e32 v31, v34
	;; [unrolled: 1-line block ×3, first 2 shown]
	v_pk_add_f32 v[14:15], v[14:15], v[30:31] neg_lo:[0,1] neg_hi:[0,1]
	v_mov_b32_e32 v19, v12
	v_pk_add_f32 v[12:13], v[18:19], v[14:15] neg_lo:[0,1] neg_hi:[0,1]
	v_mov_b32_e32 v36, v32
	v_pk_add_f32 v[14:15], v[36:37], v[12:13]
	s_nop 0
	v_mov_b32_e32 v18, v15
	v_pk_add_f32 v[18:19], v[14:15], v[18:19]
	s_nop 0
	v_pk_add_f32 v[16:17], v[16:17], v[18:19]
	v_mov_b32_e32 v13, v18
	v_mov_b32_e32 v15, v16
	v_pk_add_f32 v[30:31], v[14:15], v[32:33] neg_lo:[0,1] neg_hi:[0,1]
	s_nop 0
	v_sub_f32_e32 v14, v14, v30
	v_pk_add_f32 v[12:13], v[12:13], v[30:31] neg_lo:[0,1] neg_hi:[0,1]
	v_sub_f32_e32 v14, v32, v14
	v_add_f32_e32 v12, v12, v14
	v_add_f32_e32 v12, v12, v13
	;; [unrolled: 1-line block ×3, first 2 shown]
	v_cndmask_b32_e32 v71, v12, v38, vcc
.LBB73_16:                              ;   in Loop: Header=BB73_12 Depth=1
	s_or_b64 exec, exec, s[6:7]
	v_cvt_f32_f16_e32 v12, v64
	v_add_f32_e32 v72, s33, v12
	v_cmp_ge_f32_e32 vcc, s83, v72
	s_and_b64 s[2:3], s[60:61], vcc
	s_and_saveexec_b64 s[6:7], s[2:3]
	s_cbranch_execz .LBB73_18
; %bb.17:                               ;   in Loop: Header=BB73_12 Depth=1
	v_mul_f32_e32 v12, 0x3fb8aa3b, v72
	v_rndne_f32_e32 v13, v12
	v_sub_f32_e32 v14, v12, v13
	v_fma_f32 v12, v72, s84, -v12
	v_fmac_f32_e32 v12, 0x32a5705f, v72
	v_add_f32_e32 v12, v14, v12
	v_cvt_i32_f32_e32 v13, v13
	v_exp_f32_e32 v12, v12
	v_cmp_ngt_f32_e32 vcc, s85, v72
	v_ldexp_f32 v12, v12, v13
	s_nop 0
	v_cndmask_b32_e32 v12, 0, v12, vcc
	v_cmp_nlt_f32_e32 vcc, s86, v72
	s_nop 1
	v_cndmask_b32_e32 v38, v59, v12, vcc
	v_add_f32_e32 v14, 1.0, v38
	v_add_f32_e32 v12, -1.0, v14
	v_sub_f32_e32 v13, v12, v14
	v_add_f32_e32 v13, 1.0, v13
	v_sub_f32_e32 v12, v38, v12
	v_add_f32_e32 v15, v12, v13
	v_frexp_mant_f32_e32 v16, v14
	v_cvt_f64_f32_e32 v[12:13], v14
	v_frexp_exp_i32_f64_e32 v12, v[12:13]
	v_cmp_gt_f32_e32 vcc, s88, v16
	v_cmp_gt_f32_e64 s[2:3], s90, v38
	s_nop 0
	v_subbrev_co_u32_e32 v30, vcc, 0, v12, vcc
	v_sub_u32_e32 v12, 0, v30
	v_ldexp_f32 v13, v14, v12
	v_add_f32_e32 v14, -1.0, v13
	v_add_f32_e32 v16, 1.0, v13
	v_ldexp_f32 v12, v15, v12
	v_add_f32_e32 v15, 1.0, v14
	v_add_f32_e32 v17, -1.0, v16
	v_sub_f32_e32 v15, v13, v15
	v_sub_f32_e32 v13, v13, v17
	v_add_f32_e32 v15, v12, v15
	v_add_f32_e32 v12, v12, v13
	;; [unrolled: 1-line block ×3, first 2 shown]
	v_rcp_f32_e32 v32, v29
	v_sub_f32_e32 v13, v16, v29
	v_add_f32_e32 v31, v12, v13
	v_add_f32_e32 v13, v14, v15
	v_mul_f32_e32 v34, v13, v32
	v_sub_f32_e32 v12, v14, v13
	v_mul_f32_e32 v14, v29, v34
	v_fma_f32 v16, v34, v29, -v14
	v_fmac_f32_e32 v16, v34, v31
	v_add_f32_e32 v33, v15, v12
	v_add_f32_e32 v12, v14, v16
	v_sub_f32_e32 v15, v13, v12
	v_pk_add_f32 v[18:19], v[12:13], v[14:15] neg_lo:[0,1] neg_hi:[0,1]
	v_mov_b32_e32 v17, v12
	v_pk_add_f32 v[12:13], v[18:19], v[16:17] neg_lo:[0,1] neg_hi:[0,1]
	v_cmp_eq_f32_e32 vcc, s87, v38
	v_add_f32_e32 v13, v33, v13
	v_add_f32_e32 v12, v12, v13
	;; [unrolled: 1-line block ×3, first 2 shown]
	v_mul_f32_e32 v33, v32, v13
	v_mul_f32_e32 v14, v29, v33
	v_fma_f32 v16, v33, v29, -v14
	v_fmac_f32_e32 v16, v33, v31
	v_sub_f32_e32 v15, v15, v13
	v_add_f32_e32 v29, v12, v15
	v_add_f32_e32 v12, v14, v16
	v_sub_f32_e32 v15, v13, v12
	v_pk_add_f32 v[18:19], v[12:13], v[14:15] neg_lo:[0,1] neg_hi:[0,1]
	v_mov_b32_e32 v17, v12
	v_pk_add_f32 v[12:13], v[18:19], v[16:17] neg_lo:[0,1] neg_hi:[0,1]
	s_or_b64 vcc, s[2:3], vcc
	v_add_f32_e32 v13, v29, v13
	v_add_f32_e32 v12, v12, v13
	;; [unrolled: 1-line block ×4, first 2 shown]
	v_sub_f32_e32 v14, v13, v34
	v_mul_f32_e32 v12, v32, v12
	v_sub_f32_e32 v14, v33, v14
	v_add_f32_e32 v14, v14, v12
	v_add_f32_e32 v16, v13, v14
	v_mul_f32_e32 v17, v16, v16
	v_fmamk_f32 v12, v17, 0x3e9b6dac, v58
	v_fmaak_f32 v29, v17, v12, 0x3f2aaada
	v_cvt_f32_i32_e32 v12, v30
	v_sub_f32_e32 v13, v16, v13
	v_sub_f32_e32 v13, v14, v13
	v_ldexp_f32 v18, v13, 1
	v_mul_f32_e32 v13, v16, v17
	v_ldexp_f32 v15, v16, 1
	v_pk_mul_f32 v[16:17], v[12:13], v[28:29]
	s_nop 0
	v_fma_f32 v14, v12, s89, -v16
	v_fmac_f32_e32 v14, 0xb102e308, v12
	v_pk_add_f32 v[12:13], v[16:17], v[14:15]
	s_nop 0
	v_sub_f32_e32 v15, v13, v15
	v_sub_f32_e32 v15, v17, v15
	v_add_f32_e32 v19, v18, v15
	v_mov_b32_e32 v18, v16
	v_pk_add_f32 v[16:17], v[12:13], v[16:17] neg_lo:[0,1] neg_hi:[0,1]
	v_pk_add_f32 v[30:31], v[12:13], v[18:19]
	v_mov_b32_e32 v15, v12
	v_mov_b32_e32 v17, v31
	v_pk_add_f32 v[32:33], v[14:15], v[16:17] neg_lo:[0,1] neg_hi:[0,1]
	v_pk_add_f32 v[14:15], v[14:15], v[16:17]
	v_mov_b32_e32 v18, v19
	v_mov_b32_e32 v16, v15
	v_pk_add_f32 v[34:35], v[16:17], v[12:13] neg_lo:[0,1] neg_hi:[0,1]
	v_mov_b32_e32 v14, v31
	v_mov_b32_e32 v17, v34
	v_pk_add_f32 v[36:37], v[30:31], v[16:17] neg_lo:[0,1] neg_hi:[0,1]
	v_mov_b32_e32 v30, v13
	v_mov_b32_e32 v31, v34
	v_mov_b32_e32 v33, v15
	v_pk_add_f32 v[14:15], v[14:15], v[30:31] neg_lo:[0,1] neg_hi:[0,1]
	v_mov_b32_e32 v19, v12
	v_pk_add_f32 v[12:13], v[18:19], v[14:15] neg_lo:[0,1] neg_hi:[0,1]
	v_mov_b32_e32 v36, v32
	v_pk_add_f32 v[14:15], v[36:37], v[12:13]
	s_nop 0
	v_mov_b32_e32 v18, v15
	v_pk_add_f32 v[18:19], v[14:15], v[18:19]
	s_nop 0
	v_pk_add_f32 v[16:17], v[16:17], v[18:19]
	v_mov_b32_e32 v13, v18
	v_mov_b32_e32 v15, v16
	v_pk_add_f32 v[30:31], v[14:15], v[32:33] neg_lo:[0,1] neg_hi:[0,1]
	s_nop 0
	v_sub_f32_e32 v14, v14, v30
	v_pk_add_f32 v[12:13], v[12:13], v[30:31] neg_lo:[0,1] neg_hi:[0,1]
	v_sub_f32_e32 v14, v32, v14
	v_add_f32_e32 v12, v12, v14
	v_add_f32_e32 v12, v12, v13
	;; [unrolled: 1-line block ×3, first 2 shown]
	v_cndmask_b32_e32 v72, v12, v38, vcc
.LBB73_18:                              ;   in Loop: Header=BB73_12 Depth=1
	s_or_b64 exec, exec, s[6:7]
	v_cvt_f32_f16_e32 v12, v5
	v_add_f32_e32 v73, s33, v12
	v_cmp_ge_f32_e32 vcc, s83, v73
	s_and_b64 s[2:3], s[60:61], vcc
	s_and_saveexec_b64 s[6:7], s[2:3]
	s_cbranch_execz .LBB73_20
; %bb.19:                               ;   in Loop: Header=BB73_12 Depth=1
	v_mul_f32_e32 v12, 0x3fb8aa3b, v73
	v_rndne_f32_e32 v13, v12
	v_sub_f32_e32 v14, v12, v13
	v_fma_f32 v12, v73, s84, -v12
	v_fmac_f32_e32 v12, 0x32a5705f, v73
	v_add_f32_e32 v12, v14, v12
	v_cvt_i32_f32_e32 v13, v13
	v_exp_f32_e32 v12, v12
	v_cmp_ngt_f32_e32 vcc, s85, v73
	v_ldexp_f32 v12, v12, v13
	s_nop 0
	v_cndmask_b32_e32 v12, 0, v12, vcc
	v_cmp_nlt_f32_e32 vcc, s86, v73
	s_nop 1
	v_cndmask_b32_e32 v38, v59, v12, vcc
	v_add_f32_e32 v14, 1.0, v38
	v_add_f32_e32 v12, -1.0, v14
	v_sub_f32_e32 v13, v12, v14
	v_add_f32_e32 v13, 1.0, v13
	v_sub_f32_e32 v12, v38, v12
	v_add_f32_e32 v15, v12, v13
	v_frexp_mant_f32_e32 v16, v14
	v_cvt_f64_f32_e32 v[12:13], v14
	v_frexp_exp_i32_f64_e32 v12, v[12:13]
	v_cmp_gt_f32_e32 vcc, s88, v16
	v_cmp_gt_f32_e64 s[2:3], s90, v38
	s_nop 0
	v_subbrev_co_u32_e32 v30, vcc, 0, v12, vcc
	v_sub_u32_e32 v12, 0, v30
	v_ldexp_f32 v13, v14, v12
	v_add_f32_e32 v14, -1.0, v13
	v_add_f32_e32 v16, 1.0, v13
	v_ldexp_f32 v12, v15, v12
	v_add_f32_e32 v15, 1.0, v14
	v_add_f32_e32 v17, -1.0, v16
	v_sub_f32_e32 v15, v13, v15
	v_sub_f32_e32 v13, v13, v17
	v_add_f32_e32 v15, v12, v15
	v_add_f32_e32 v12, v12, v13
	;; [unrolled: 1-line block ×3, first 2 shown]
	v_rcp_f32_e32 v32, v29
	v_sub_f32_e32 v13, v16, v29
	v_add_f32_e32 v31, v12, v13
	v_add_f32_e32 v13, v14, v15
	v_mul_f32_e32 v34, v13, v32
	v_sub_f32_e32 v12, v14, v13
	v_mul_f32_e32 v14, v29, v34
	v_fma_f32 v16, v34, v29, -v14
	v_fmac_f32_e32 v16, v34, v31
	v_add_f32_e32 v33, v15, v12
	v_add_f32_e32 v12, v14, v16
	v_sub_f32_e32 v15, v13, v12
	v_pk_add_f32 v[18:19], v[12:13], v[14:15] neg_lo:[0,1] neg_hi:[0,1]
	v_mov_b32_e32 v17, v12
	v_pk_add_f32 v[12:13], v[18:19], v[16:17] neg_lo:[0,1] neg_hi:[0,1]
	v_cmp_eq_f32_e32 vcc, s87, v38
	v_add_f32_e32 v13, v33, v13
	v_add_f32_e32 v12, v12, v13
	;; [unrolled: 1-line block ×3, first 2 shown]
	v_mul_f32_e32 v33, v32, v13
	v_mul_f32_e32 v14, v29, v33
	v_fma_f32 v16, v33, v29, -v14
	v_fmac_f32_e32 v16, v33, v31
	v_sub_f32_e32 v15, v15, v13
	v_add_f32_e32 v29, v12, v15
	v_add_f32_e32 v12, v14, v16
	v_sub_f32_e32 v15, v13, v12
	v_pk_add_f32 v[18:19], v[12:13], v[14:15] neg_lo:[0,1] neg_hi:[0,1]
	v_mov_b32_e32 v17, v12
	v_pk_add_f32 v[12:13], v[18:19], v[16:17] neg_lo:[0,1] neg_hi:[0,1]
	s_or_b64 vcc, s[2:3], vcc
	v_add_f32_e32 v13, v29, v13
	v_add_f32_e32 v12, v12, v13
	;; [unrolled: 1-line block ×4, first 2 shown]
	v_sub_f32_e32 v14, v13, v34
	v_mul_f32_e32 v12, v32, v12
	v_sub_f32_e32 v14, v33, v14
	v_add_f32_e32 v14, v14, v12
	v_add_f32_e32 v16, v13, v14
	v_mul_f32_e32 v17, v16, v16
	v_fmamk_f32 v12, v17, 0x3e9b6dac, v58
	v_fmaak_f32 v29, v17, v12, 0x3f2aaada
	v_cvt_f32_i32_e32 v12, v30
	v_sub_f32_e32 v13, v16, v13
	v_sub_f32_e32 v13, v14, v13
	v_ldexp_f32 v18, v13, 1
	v_mul_f32_e32 v13, v16, v17
	v_ldexp_f32 v15, v16, 1
	v_pk_mul_f32 v[16:17], v[12:13], v[28:29]
	s_nop 0
	v_fma_f32 v14, v12, s89, -v16
	v_fmac_f32_e32 v14, 0xb102e308, v12
	v_pk_add_f32 v[12:13], v[16:17], v[14:15]
	s_nop 0
	v_sub_f32_e32 v15, v13, v15
	v_sub_f32_e32 v15, v17, v15
	v_add_f32_e32 v19, v18, v15
	v_mov_b32_e32 v18, v16
	v_pk_add_f32 v[16:17], v[12:13], v[16:17] neg_lo:[0,1] neg_hi:[0,1]
	v_pk_add_f32 v[30:31], v[12:13], v[18:19]
	v_mov_b32_e32 v15, v12
	v_mov_b32_e32 v17, v31
	v_pk_add_f32 v[32:33], v[14:15], v[16:17] neg_lo:[0,1] neg_hi:[0,1]
	v_pk_add_f32 v[14:15], v[14:15], v[16:17]
	v_mov_b32_e32 v18, v19
	v_mov_b32_e32 v16, v15
	v_pk_add_f32 v[34:35], v[16:17], v[12:13] neg_lo:[0,1] neg_hi:[0,1]
	v_mov_b32_e32 v14, v31
	v_mov_b32_e32 v17, v34
	v_pk_add_f32 v[36:37], v[30:31], v[16:17] neg_lo:[0,1] neg_hi:[0,1]
	v_mov_b32_e32 v30, v13
	v_mov_b32_e32 v31, v34
	;; [unrolled: 1-line block ×3, first 2 shown]
	v_pk_add_f32 v[14:15], v[14:15], v[30:31] neg_lo:[0,1] neg_hi:[0,1]
	v_mov_b32_e32 v19, v12
	v_pk_add_f32 v[12:13], v[18:19], v[14:15] neg_lo:[0,1] neg_hi:[0,1]
	v_mov_b32_e32 v36, v32
	v_pk_add_f32 v[14:15], v[36:37], v[12:13]
	s_nop 0
	v_mov_b32_e32 v18, v15
	v_pk_add_f32 v[18:19], v[14:15], v[18:19]
	s_nop 0
	v_pk_add_f32 v[16:17], v[16:17], v[18:19]
	v_mov_b32_e32 v13, v18
	v_mov_b32_e32 v15, v16
	v_pk_add_f32 v[30:31], v[14:15], v[32:33] neg_lo:[0,1] neg_hi:[0,1]
	s_nop 0
	v_sub_f32_e32 v14, v14, v30
	v_pk_add_f32 v[12:13], v[12:13], v[30:31] neg_lo:[0,1] neg_hi:[0,1]
	v_sub_f32_e32 v14, v32, v14
	v_add_f32_e32 v12, v12, v14
	v_add_f32_e32 v12, v12, v13
	;; [unrolled: 1-line block ×3, first 2 shown]
	v_cndmask_b32_e32 v73, v12, v38, vcc
.LBB73_20:                              ;   in Loop: Header=BB73_12 Depth=1
	s_or_b64 exec, exec, s[6:7]
	v_cvt_f32_f16_e32 v12, v65
	v_add_f32_e32 v74, s33, v12
	v_cmp_ge_f32_e32 vcc, s83, v74
	s_and_b64 s[2:3], s[60:61], vcc
	s_and_saveexec_b64 s[6:7], s[2:3]
	s_cbranch_execz .LBB73_22
; %bb.21:                               ;   in Loop: Header=BB73_12 Depth=1
	v_mul_f32_e32 v12, 0x3fb8aa3b, v74
	v_rndne_f32_e32 v13, v12
	v_sub_f32_e32 v14, v12, v13
	v_fma_f32 v12, v74, s84, -v12
	v_fmac_f32_e32 v12, 0x32a5705f, v74
	v_add_f32_e32 v12, v14, v12
	v_cvt_i32_f32_e32 v13, v13
	v_exp_f32_e32 v12, v12
	v_cmp_ngt_f32_e32 vcc, s85, v74
	v_ldexp_f32 v12, v12, v13
	s_nop 0
	v_cndmask_b32_e32 v12, 0, v12, vcc
	v_cmp_nlt_f32_e32 vcc, s86, v74
	s_nop 1
	v_cndmask_b32_e32 v38, v59, v12, vcc
	v_add_f32_e32 v14, 1.0, v38
	v_add_f32_e32 v12, -1.0, v14
	v_sub_f32_e32 v13, v12, v14
	v_add_f32_e32 v13, 1.0, v13
	v_sub_f32_e32 v12, v38, v12
	v_add_f32_e32 v15, v12, v13
	v_frexp_mant_f32_e32 v16, v14
	v_cvt_f64_f32_e32 v[12:13], v14
	v_frexp_exp_i32_f64_e32 v12, v[12:13]
	v_cmp_gt_f32_e32 vcc, s88, v16
	v_cmp_gt_f32_e64 s[2:3], s90, v38
	s_nop 0
	v_subbrev_co_u32_e32 v30, vcc, 0, v12, vcc
	v_sub_u32_e32 v12, 0, v30
	v_ldexp_f32 v13, v14, v12
	v_add_f32_e32 v14, -1.0, v13
	v_add_f32_e32 v16, 1.0, v13
	v_ldexp_f32 v12, v15, v12
	v_add_f32_e32 v15, 1.0, v14
	v_add_f32_e32 v17, -1.0, v16
	v_sub_f32_e32 v15, v13, v15
	v_sub_f32_e32 v13, v13, v17
	v_add_f32_e32 v15, v12, v15
	v_add_f32_e32 v12, v12, v13
	;; [unrolled: 1-line block ×3, first 2 shown]
	v_rcp_f32_e32 v32, v29
	v_sub_f32_e32 v13, v16, v29
	v_add_f32_e32 v31, v12, v13
	v_add_f32_e32 v13, v14, v15
	v_mul_f32_e32 v34, v13, v32
	v_sub_f32_e32 v12, v14, v13
	v_mul_f32_e32 v14, v29, v34
	v_fma_f32 v16, v34, v29, -v14
	v_fmac_f32_e32 v16, v34, v31
	v_add_f32_e32 v33, v15, v12
	v_add_f32_e32 v12, v14, v16
	v_sub_f32_e32 v15, v13, v12
	v_pk_add_f32 v[18:19], v[12:13], v[14:15] neg_lo:[0,1] neg_hi:[0,1]
	v_mov_b32_e32 v17, v12
	v_pk_add_f32 v[12:13], v[18:19], v[16:17] neg_lo:[0,1] neg_hi:[0,1]
	v_cmp_eq_f32_e32 vcc, s87, v38
	v_add_f32_e32 v13, v33, v13
	v_add_f32_e32 v12, v12, v13
	;; [unrolled: 1-line block ×3, first 2 shown]
	v_mul_f32_e32 v33, v32, v13
	v_mul_f32_e32 v14, v29, v33
	v_fma_f32 v16, v33, v29, -v14
	v_fmac_f32_e32 v16, v33, v31
	v_sub_f32_e32 v15, v15, v13
	v_add_f32_e32 v29, v12, v15
	v_add_f32_e32 v12, v14, v16
	v_sub_f32_e32 v15, v13, v12
	v_pk_add_f32 v[18:19], v[12:13], v[14:15] neg_lo:[0,1] neg_hi:[0,1]
	v_mov_b32_e32 v17, v12
	v_pk_add_f32 v[12:13], v[18:19], v[16:17] neg_lo:[0,1] neg_hi:[0,1]
	s_or_b64 vcc, s[2:3], vcc
	v_add_f32_e32 v13, v29, v13
	v_add_f32_e32 v12, v12, v13
	;; [unrolled: 1-line block ×4, first 2 shown]
	v_sub_f32_e32 v14, v13, v34
	v_mul_f32_e32 v12, v32, v12
	v_sub_f32_e32 v14, v33, v14
	v_add_f32_e32 v14, v14, v12
	v_add_f32_e32 v16, v13, v14
	v_mul_f32_e32 v17, v16, v16
	v_fmamk_f32 v12, v17, 0x3e9b6dac, v58
	v_fmaak_f32 v29, v17, v12, 0x3f2aaada
	v_cvt_f32_i32_e32 v12, v30
	v_sub_f32_e32 v13, v16, v13
	v_sub_f32_e32 v13, v14, v13
	v_ldexp_f32 v18, v13, 1
	v_mul_f32_e32 v13, v16, v17
	v_ldexp_f32 v15, v16, 1
	v_pk_mul_f32 v[16:17], v[12:13], v[28:29]
	s_nop 0
	v_fma_f32 v14, v12, s89, -v16
	v_fmac_f32_e32 v14, 0xb102e308, v12
	v_pk_add_f32 v[12:13], v[16:17], v[14:15]
	s_nop 0
	v_sub_f32_e32 v15, v13, v15
	v_sub_f32_e32 v15, v17, v15
	v_add_f32_e32 v19, v18, v15
	v_mov_b32_e32 v18, v16
	v_pk_add_f32 v[16:17], v[12:13], v[16:17] neg_lo:[0,1] neg_hi:[0,1]
	v_pk_add_f32 v[30:31], v[12:13], v[18:19]
	v_mov_b32_e32 v15, v12
	v_mov_b32_e32 v17, v31
	v_pk_add_f32 v[32:33], v[14:15], v[16:17] neg_lo:[0,1] neg_hi:[0,1]
	v_pk_add_f32 v[14:15], v[14:15], v[16:17]
	v_mov_b32_e32 v18, v19
	v_mov_b32_e32 v16, v15
	v_pk_add_f32 v[34:35], v[16:17], v[12:13] neg_lo:[0,1] neg_hi:[0,1]
	v_mov_b32_e32 v14, v31
	v_mov_b32_e32 v17, v34
	v_pk_add_f32 v[36:37], v[30:31], v[16:17] neg_lo:[0,1] neg_hi:[0,1]
	v_mov_b32_e32 v30, v13
	v_mov_b32_e32 v31, v34
	v_mov_b32_e32 v33, v15
	v_pk_add_f32 v[14:15], v[14:15], v[30:31] neg_lo:[0,1] neg_hi:[0,1]
	v_mov_b32_e32 v19, v12
	v_pk_add_f32 v[12:13], v[18:19], v[14:15] neg_lo:[0,1] neg_hi:[0,1]
	v_mov_b32_e32 v36, v32
	v_pk_add_f32 v[14:15], v[36:37], v[12:13]
	s_nop 0
	v_mov_b32_e32 v18, v15
	v_pk_add_f32 v[18:19], v[14:15], v[18:19]
	s_nop 0
	v_pk_add_f32 v[16:17], v[16:17], v[18:19]
	v_mov_b32_e32 v13, v18
	v_mov_b32_e32 v15, v16
	v_pk_add_f32 v[30:31], v[14:15], v[32:33] neg_lo:[0,1] neg_hi:[0,1]
	s_nop 0
	v_sub_f32_e32 v14, v14, v30
	v_pk_add_f32 v[12:13], v[12:13], v[30:31] neg_lo:[0,1] neg_hi:[0,1]
	v_sub_f32_e32 v14, v32, v14
	v_add_f32_e32 v12, v12, v14
	v_add_f32_e32 v12, v12, v13
	v_add_f32_e32 v12, v16, v12
	v_cndmask_b32_e32 v74, v12, v38, vcc
.LBB73_22:                              ;   in Loop: Header=BB73_12 Depth=1
	s_or_b64 exec, exec, s[6:7]
	v_cvt_f32_f16_e32 v12, v6
	v_add_f32_e32 v75, s33, v12
	v_cmp_ge_f32_e32 vcc, s83, v75
	s_and_b64 s[2:3], s[60:61], vcc
	s_and_saveexec_b64 s[6:7], s[2:3]
	s_cbranch_execz .LBB73_24
; %bb.23:                               ;   in Loop: Header=BB73_12 Depth=1
	v_mul_f32_e32 v12, 0x3fb8aa3b, v75
	v_rndne_f32_e32 v13, v12
	v_sub_f32_e32 v14, v12, v13
	v_fma_f32 v12, v75, s84, -v12
	v_fmac_f32_e32 v12, 0x32a5705f, v75
	v_add_f32_e32 v12, v14, v12
	v_cvt_i32_f32_e32 v13, v13
	v_exp_f32_e32 v12, v12
	v_cmp_ngt_f32_e32 vcc, s85, v75
	v_ldexp_f32 v12, v12, v13
	s_nop 0
	v_cndmask_b32_e32 v12, 0, v12, vcc
	v_cmp_nlt_f32_e32 vcc, s86, v75
	s_nop 1
	v_cndmask_b32_e32 v38, v59, v12, vcc
	v_add_f32_e32 v14, 1.0, v38
	v_add_f32_e32 v12, -1.0, v14
	v_sub_f32_e32 v13, v12, v14
	v_add_f32_e32 v13, 1.0, v13
	v_sub_f32_e32 v12, v38, v12
	v_add_f32_e32 v15, v12, v13
	v_frexp_mant_f32_e32 v16, v14
	v_cvt_f64_f32_e32 v[12:13], v14
	v_frexp_exp_i32_f64_e32 v12, v[12:13]
	v_cmp_gt_f32_e32 vcc, s88, v16
	v_cmp_gt_f32_e64 s[2:3], s90, v38
	s_nop 0
	v_subbrev_co_u32_e32 v30, vcc, 0, v12, vcc
	v_sub_u32_e32 v12, 0, v30
	v_ldexp_f32 v13, v14, v12
	v_add_f32_e32 v14, -1.0, v13
	v_add_f32_e32 v16, 1.0, v13
	v_ldexp_f32 v12, v15, v12
	v_add_f32_e32 v15, 1.0, v14
	v_add_f32_e32 v17, -1.0, v16
	v_sub_f32_e32 v15, v13, v15
	v_sub_f32_e32 v13, v13, v17
	v_add_f32_e32 v15, v12, v15
	v_add_f32_e32 v12, v12, v13
	;; [unrolled: 1-line block ×3, first 2 shown]
	v_rcp_f32_e32 v32, v29
	v_sub_f32_e32 v13, v16, v29
	v_add_f32_e32 v31, v12, v13
	v_add_f32_e32 v13, v14, v15
	v_mul_f32_e32 v34, v13, v32
	v_sub_f32_e32 v12, v14, v13
	v_mul_f32_e32 v14, v29, v34
	v_fma_f32 v16, v34, v29, -v14
	v_fmac_f32_e32 v16, v34, v31
	v_add_f32_e32 v33, v15, v12
	v_add_f32_e32 v12, v14, v16
	v_sub_f32_e32 v15, v13, v12
	v_pk_add_f32 v[18:19], v[12:13], v[14:15] neg_lo:[0,1] neg_hi:[0,1]
	v_mov_b32_e32 v17, v12
	v_pk_add_f32 v[12:13], v[18:19], v[16:17] neg_lo:[0,1] neg_hi:[0,1]
	v_cmp_eq_f32_e32 vcc, s87, v38
	v_add_f32_e32 v13, v33, v13
	v_add_f32_e32 v12, v12, v13
	;; [unrolled: 1-line block ×3, first 2 shown]
	v_mul_f32_e32 v33, v32, v13
	v_mul_f32_e32 v14, v29, v33
	v_fma_f32 v16, v33, v29, -v14
	v_fmac_f32_e32 v16, v33, v31
	v_sub_f32_e32 v15, v15, v13
	v_add_f32_e32 v29, v12, v15
	v_add_f32_e32 v12, v14, v16
	v_sub_f32_e32 v15, v13, v12
	v_pk_add_f32 v[18:19], v[12:13], v[14:15] neg_lo:[0,1] neg_hi:[0,1]
	v_mov_b32_e32 v17, v12
	v_pk_add_f32 v[12:13], v[18:19], v[16:17] neg_lo:[0,1] neg_hi:[0,1]
	s_or_b64 vcc, s[2:3], vcc
	v_add_f32_e32 v13, v29, v13
	v_add_f32_e32 v12, v12, v13
	;; [unrolled: 1-line block ×4, first 2 shown]
	v_sub_f32_e32 v14, v13, v34
	v_mul_f32_e32 v12, v32, v12
	v_sub_f32_e32 v14, v33, v14
	v_add_f32_e32 v14, v14, v12
	v_add_f32_e32 v16, v13, v14
	v_mul_f32_e32 v17, v16, v16
	v_fmamk_f32 v12, v17, 0x3e9b6dac, v58
	v_fmaak_f32 v29, v17, v12, 0x3f2aaada
	v_cvt_f32_i32_e32 v12, v30
	v_sub_f32_e32 v13, v16, v13
	v_sub_f32_e32 v13, v14, v13
	v_ldexp_f32 v18, v13, 1
	v_mul_f32_e32 v13, v16, v17
	v_ldexp_f32 v15, v16, 1
	v_pk_mul_f32 v[16:17], v[12:13], v[28:29]
	s_nop 0
	v_fma_f32 v14, v12, s89, -v16
	v_fmac_f32_e32 v14, 0xb102e308, v12
	v_pk_add_f32 v[12:13], v[16:17], v[14:15]
	s_nop 0
	v_sub_f32_e32 v15, v13, v15
	v_sub_f32_e32 v15, v17, v15
	v_add_f32_e32 v19, v18, v15
	v_mov_b32_e32 v18, v16
	v_pk_add_f32 v[16:17], v[12:13], v[16:17] neg_lo:[0,1] neg_hi:[0,1]
	v_pk_add_f32 v[30:31], v[12:13], v[18:19]
	v_mov_b32_e32 v15, v12
	v_mov_b32_e32 v17, v31
	v_pk_add_f32 v[32:33], v[14:15], v[16:17] neg_lo:[0,1] neg_hi:[0,1]
	v_pk_add_f32 v[14:15], v[14:15], v[16:17]
	v_mov_b32_e32 v18, v19
	v_mov_b32_e32 v16, v15
	v_pk_add_f32 v[34:35], v[16:17], v[12:13] neg_lo:[0,1] neg_hi:[0,1]
	v_mov_b32_e32 v14, v31
	v_mov_b32_e32 v17, v34
	v_pk_add_f32 v[36:37], v[30:31], v[16:17] neg_lo:[0,1] neg_hi:[0,1]
	v_mov_b32_e32 v30, v13
	v_mov_b32_e32 v31, v34
	;; [unrolled: 1-line block ×3, first 2 shown]
	v_pk_add_f32 v[14:15], v[14:15], v[30:31] neg_lo:[0,1] neg_hi:[0,1]
	v_mov_b32_e32 v19, v12
	v_pk_add_f32 v[12:13], v[18:19], v[14:15] neg_lo:[0,1] neg_hi:[0,1]
	v_mov_b32_e32 v36, v32
	v_pk_add_f32 v[14:15], v[36:37], v[12:13]
	s_nop 0
	v_mov_b32_e32 v18, v15
	v_pk_add_f32 v[18:19], v[14:15], v[18:19]
	s_nop 0
	v_pk_add_f32 v[16:17], v[16:17], v[18:19]
	v_mov_b32_e32 v13, v18
	v_mov_b32_e32 v15, v16
	v_pk_add_f32 v[30:31], v[14:15], v[32:33] neg_lo:[0,1] neg_hi:[0,1]
	s_nop 0
	v_sub_f32_e32 v14, v14, v30
	v_pk_add_f32 v[12:13], v[12:13], v[30:31] neg_lo:[0,1] neg_hi:[0,1]
	v_sub_f32_e32 v14, v32, v14
	v_add_f32_e32 v12, v12, v14
	v_add_f32_e32 v12, v12, v13
	;; [unrolled: 1-line block ×3, first 2 shown]
	v_cndmask_b32_e32 v75, v12, v38, vcc
.LBB73_24:                              ;   in Loop: Header=BB73_12 Depth=1
	s_or_b64 exec, exec, s[6:7]
	v_cvt_f32_f16_e32 v12, v67
	v_add_f32_e32 v76, s33, v12
	v_cmp_ge_f32_e32 vcc, s83, v76
	s_and_b64 s[2:3], s[60:61], vcc
	s_and_saveexec_b64 s[6:7], s[2:3]
	s_cbranch_execz .LBB73_26
; %bb.25:                               ;   in Loop: Header=BB73_12 Depth=1
	v_mul_f32_e32 v12, 0x3fb8aa3b, v76
	v_rndne_f32_e32 v13, v12
	v_sub_f32_e32 v14, v12, v13
	v_fma_f32 v12, v76, s84, -v12
	v_fmac_f32_e32 v12, 0x32a5705f, v76
	v_add_f32_e32 v12, v14, v12
	v_cvt_i32_f32_e32 v13, v13
	v_exp_f32_e32 v12, v12
	v_cmp_ngt_f32_e32 vcc, s85, v76
	v_ldexp_f32 v12, v12, v13
	s_nop 0
	v_cndmask_b32_e32 v12, 0, v12, vcc
	v_cmp_nlt_f32_e32 vcc, s86, v76
	s_nop 1
	v_cndmask_b32_e32 v38, v59, v12, vcc
	v_add_f32_e32 v14, 1.0, v38
	v_add_f32_e32 v12, -1.0, v14
	v_sub_f32_e32 v13, v12, v14
	v_add_f32_e32 v13, 1.0, v13
	v_sub_f32_e32 v12, v38, v12
	v_add_f32_e32 v15, v12, v13
	v_frexp_mant_f32_e32 v16, v14
	v_cvt_f64_f32_e32 v[12:13], v14
	v_frexp_exp_i32_f64_e32 v12, v[12:13]
	v_cmp_gt_f32_e32 vcc, s88, v16
	v_cmp_gt_f32_e64 s[2:3], s90, v38
	s_nop 0
	v_subbrev_co_u32_e32 v30, vcc, 0, v12, vcc
	v_sub_u32_e32 v12, 0, v30
	v_ldexp_f32 v13, v14, v12
	v_add_f32_e32 v14, -1.0, v13
	v_add_f32_e32 v16, 1.0, v13
	v_ldexp_f32 v12, v15, v12
	v_add_f32_e32 v15, 1.0, v14
	v_add_f32_e32 v17, -1.0, v16
	v_sub_f32_e32 v15, v13, v15
	v_sub_f32_e32 v13, v13, v17
	v_add_f32_e32 v15, v12, v15
	v_add_f32_e32 v12, v12, v13
	;; [unrolled: 1-line block ×3, first 2 shown]
	v_rcp_f32_e32 v32, v29
	v_sub_f32_e32 v13, v16, v29
	v_add_f32_e32 v31, v12, v13
	v_add_f32_e32 v13, v14, v15
	v_mul_f32_e32 v34, v13, v32
	v_sub_f32_e32 v12, v14, v13
	v_mul_f32_e32 v14, v29, v34
	v_fma_f32 v16, v34, v29, -v14
	v_fmac_f32_e32 v16, v34, v31
	v_add_f32_e32 v33, v15, v12
	v_add_f32_e32 v12, v14, v16
	v_sub_f32_e32 v15, v13, v12
	v_pk_add_f32 v[18:19], v[12:13], v[14:15] neg_lo:[0,1] neg_hi:[0,1]
	v_mov_b32_e32 v17, v12
	v_pk_add_f32 v[12:13], v[18:19], v[16:17] neg_lo:[0,1] neg_hi:[0,1]
	v_cmp_eq_f32_e32 vcc, s87, v38
	v_add_f32_e32 v13, v33, v13
	v_add_f32_e32 v12, v12, v13
	;; [unrolled: 1-line block ×3, first 2 shown]
	v_mul_f32_e32 v33, v32, v13
	v_mul_f32_e32 v14, v29, v33
	v_fma_f32 v16, v33, v29, -v14
	v_fmac_f32_e32 v16, v33, v31
	v_sub_f32_e32 v15, v15, v13
	v_add_f32_e32 v29, v12, v15
	v_add_f32_e32 v12, v14, v16
	v_sub_f32_e32 v15, v13, v12
	v_pk_add_f32 v[18:19], v[12:13], v[14:15] neg_lo:[0,1] neg_hi:[0,1]
	v_mov_b32_e32 v17, v12
	v_pk_add_f32 v[12:13], v[18:19], v[16:17] neg_lo:[0,1] neg_hi:[0,1]
	s_or_b64 vcc, s[2:3], vcc
	v_add_f32_e32 v13, v29, v13
	v_add_f32_e32 v12, v12, v13
	;; [unrolled: 1-line block ×4, first 2 shown]
	v_sub_f32_e32 v14, v13, v34
	v_mul_f32_e32 v12, v32, v12
	v_sub_f32_e32 v14, v33, v14
	v_add_f32_e32 v14, v14, v12
	v_add_f32_e32 v16, v13, v14
	v_mul_f32_e32 v17, v16, v16
	v_fmamk_f32 v12, v17, 0x3e9b6dac, v58
	v_fmaak_f32 v29, v17, v12, 0x3f2aaada
	v_cvt_f32_i32_e32 v12, v30
	v_sub_f32_e32 v13, v16, v13
	v_sub_f32_e32 v13, v14, v13
	v_ldexp_f32 v18, v13, 1
	v_mul_f32_e32 v13, v16, v17
	v_ldexp_f32 v15, v16, 1
	v_pk_mul_f32 v[16:17], v[12:13], v[28:29]
	s_nop 0
	v_fma_f32 v14, v12, s89, -v16
	v_fmac_f32_e32 v14, 0xb102e308, v12
	v_pk_add_f32 v[12:13], v[16:17], v[14:15]
	s_nop 0
	v_sub_f32_e32 v15, v13, v15
	v_sub_f32_e32 v15, v17, v15
	v_add_f32_e32 v19, v18, v15
	v_mov_b32_e32 v18, v16
	v_pk_add_f32 v[16:17], v[12:13], v[16:17] neg_lo:[0,1] neg_hi:[0,1]
	v_pk_add_f32 v[30:31], v[12:13], v[18:19]
	v_mov_b32_e32 v15, v12
	v_mov_b32_e32 v17, v31
	v_pk_add_f32 v[32:33], v[14:15], v[16:17] neg_lo:[0,1] neg_hi:[0,1]
	v_pk_add_f32 v[14:15], v[14:15], v[16:17]
	v_mov_b32_e32 v18, v19
	v_mov_b32_e32 v16, v15
	v_pk_add_f32 v[34:35], v[16:17], v[12:13] neg_lo:[0,1] neg_hi:[0,1]
	v_mov_b32_e32 v14, v31
	v_mov_b32_e32 v17, v34
	v_pk_add_f32 v[36:37], v[30:31], v[16:17] neg_lo:[0,1] neg_hi:[0,1]
	v_mov_b32_e32 v30, v13
	v_mov_b32_e32 v31, v34
	;; [unrolled: 1-line block ×3, first 2 shown]
	v_pk_add_f32 v[14:15], v[14:15], v[30:31] neg_lo:[0,1] neg_hi:[0,1]
	v_mov_b32_e32 v19, v12
	v_pk_add_f32 v[12:13], v[18:19], v[14:15] neg_lo:[0,1] neg_hi:[0,1]
	v_mov_b32_e32 v36, v32
	v_pk_add_f32 v[14:15], v[36:37], v[12:13]
	s_nop 0
	v_mov_b32_e32 v18, v15
	v_pk_add_f32 v[18:19], v[14:15], v[18:19]
	s_nop 0
	v_pk_add_f32 v[16:17], v[16:17], v[18:19]
	v_mov_b32_e32 v13, v18
	v_mov_b32_e32 v15, v16
	v_pk_add_f32 v[30:31], v[14:15], v[32:33] neg_lo:[0,1] neg_hi:[0,1]
	s_nop 0
	v_sub_f32_e32 v14, v14, v30
	v_pk_add_f32 v[12:13], v[12:13], v[30:31] neg_lo:[0,1] neg_hi:[0,1]
	v_sub_f32_e32 v14, v32, v14
	v_add_f32_e32 v12, v12, v14
	v_add_f32_e32 v12, v12, v13
	;; [unrolled: 1-line block ×3, first 2 shown]
	v_cndmask_b32_e32 v76, v12, v38, vcc
.LBB73_26:                              ;   in Loop: Header=BB73_12 Depth=1
	s_or_b64 exec, exec, s[6:7]
	v_cvt_f32_f16_e32 v12, v7
	v_add_f32_e32 v77, s33, v12
	v_cmp_ge_f32_e32 vcc, s83, v77
	s_and_b64 s[2:3], s[60:61], vcc
	s_and_saveexec_b64 s[6:7], s[2:3]
	s_cbranch_execz .LBB73_28
; %bb.27:                               ;   in Loop: Header=BB73_12 Depth=1
	v_mul_f32_e32 v12, 0x3fb8aa3b, v77
	v_rndne_f32_e32 v13, v12
	v_sub_f32_e32 v14, v12, v13
	v_fma_f32 v12, v77, s84, -v12
	v_fmac_f32_e32 v12, 0x32a5705f, v77
	v_add_f32_e32 v12, v14, v12
	v_cvt_i32_f32_e32 v13, v13
	v_exp_f32_e32 v12, v12
	v_cmp_ngt_f32_e32 vcc, s85, v77
	v_ldexp_f32 v12, v12, v13
	s_nop 0
	v_cndmask_b32_e32 v12, 0, v12, vcc
	v_cmp_nlt_f32_e32 vcc, s86, v77
	s_nop 1
	v_cndmask_b32_e32 v38, v59, v12, vcc
	v_add_f32_e32 v14, 1.0, v38
	v_add_f32_e32 v12, -1.0, v14
	v_sub_f32_e32 v13, v12, v14
	v_add_f32_e32 v13, 1.0, v13
	v_sub_f32_e32 v12, v38, v12
	v_add_f32_e32 v15, v12, v13
	v_frexp_mant_f32_e32 v16, v14
	v_cvt_f64_f32_e32 v[12:13], v14
	v_frexp_exp_i32_f64_e32 v12, v[12:13]
	v_cmp_gt_f32_e32 vcc, s88, v16
	v_cmp_gt_f32_e64 s[2:3], s90, v38
	s_nop 0
	v_subbrev_co_u32_e32 v30, vcc, 0, v12, vcc
	v_sub_u32_e32 v12, 0, v30
	v_ldexp_f32 v13, v14, v12
	v_add_f32_e32 v14, -1.0, v13
	v_add_f32_e32 v16, 1.0, v13
	v_ldexp_f32 v12, v15, v12
	v_add_f32_e32 v15, 1.0, v14
	v_add_f32_e32 v17, -1.0, v16
	v_sub_f32_e32 v15, v13, v15
	v_sub_f32_e32 v13, v13, v17
	v_add_f32_e32 v15, v12, v15
	v_add_f32_e32 v12, v12, v13
	;; [unrolled: 1-line block ×3, first 2 shown]
	v_rcp_f32_e32 v32, v29
	v_sub_f32_e32 v13, v16, v29
	v_add_f32_e32 v31, v12, v13
	v_add_f32_e32 v13, v14, v15
	v_mul_f32_e32 v34, v13, v32
	v_sub_f32_e32 v12, v14, v13
	v_mul_f32_e32 v14, v29, v34
	v_fma_f32 v16, v34, v29, -v14
	v_fmac_f32_e32 v16, v34, v31
	v_add_f32_e32 v33, v15, v12
	v_add_f32_e32 v12, v14, v16
	v_sub_f32_e32 v15, v13, v12
	v_pk_add_f32 v[18:19], v[12:13], v[14:15] neg_lo:[0,1] neg_hi:[0,1]
	v_mov_b32_e32 v17, v12
	v_pk_add_f32 v[12:13], v[18:19], v[16:17] neg_lo:[0,1] neg_hi:[0,1]
	v_cmp_eq_f32_e32 vcc, s87, v38
	v_add_f32_e32 v13, v33, v13
	v_add_f32_e32 v12, v12, v13
	;; [unrolled: 1-line block ×3, first 2 shown]
	v_mul_f32_e32 v33, v32, v13
	v_mul_f32_e32 v14, v29, v33
	v_fma_f32 v16, v33, v29, -v14
	v_fmac_f32_e32 v16, v33, v31
	v_sub_f32_e32 v15, v15, v13
	v_add_f32_e32 v29, v12, v15
	v_add_f32_e32 v12, v14, v16
	v_sub_f32_e32 v15, v13, v12
	v_pk_add_f32 v[18:19], v[12:13], v[14:15] neg_lo:[0,1] neg_hi:[0,1]
	v_mov_b32_e32 v17, v12
	v_pk_add_f32 v[12:13], v[18:19], v[16:17] neg_lo:[0,1] neg_hi:[0,1]
	s_or_b64 vcc, s[2:3], vcc
	v_add_f32_e32 v13, v29, v13
	v_add_f32_e32 v12, v12, v13
	;; [unrolled: 1-line block ×4, first 2 shown]
	v_sub_f32_e32 v14, v13, v34
	v_mul_f32_e32 v12, v32, v12
	v_sub_f32_e32 v14, v33, v14
	v_add_f32_e32 v14, v14, v12
	v_add_f32_e32 v16, v13, v14
	v_mul_f32_e32 v17, v16, v16
	v_fmamk_f32 v12, v17, 0x3e9b6dac, v58
	v_fmaak_f32 v29, v17, v12, 0x3f2aaada
	v_cvt_f32_i32_e32 v12, v30
	v_sub_f32_e32 v13, v16, v13
	v_sub_f32_e32 v13, v14, v13
	v_ldexp_f32 v18, v13, 1
	v_mul_f32_e32 v13, v16, v17
	v_ldexp_f32 v15, v16, 1
	v_pk_mul_f32 v[16:17], v[12:13], v[28:29]
	s_nop 0
	v_fma_f32 v14, v12, s89, -v16
	v_fmac_f32_e32 v14, 0xb102e308, v12
	v_pk_add_f32 v[12:13], v[16:17], v[14:15]
	s_nop 0
	v_sub_f32_e32 v15, v13, v15
	v_sub_f32_e32 v15, v17, v15
	v_add_f32_e32 v19, v18, v15
	v_mov_b32_e32 v18, v16
	v_pk_add_f32 v[16:17], v[12:13], v[16:17] neg_lo:[0,1] neg_hi:[0,1]
	v_pk_add_f32 v[30:31], v[12:13], v[18:19]
	v_mov_b32_e32 v15, v12
	v_mov_b32_e32 v17, v31
	v_pk_add_f32 v[32:33], v[14:15], v[16:17] neg_lo:[0,1] neg_hi:[0,1]
	v_pk_add_f32 v[14:15], v[14:15], v[16:17]
	v_mov_b32_e32 v18, v19
	v_mov_b32_e32 v16, v15
	v_pk_add_f32 v[34:35], v[16:17], v[12:13] neg_lo:[0,1] neg_hi:[0,1]
	v_mov_b32_e32 v14, v31
	v_mov_b32_e32 v17, v34
	v_pk_add_f32 v[36:37], v[30:31], v[16:17] neg_lo:[0,1] neg_hi:[0,1]
	v_mov_b32_e32 v30, v13
	v_mov_b32_e32 v31, v34
	;; [unrolled: 1-line block ×3, first 2 shown]
	v_pk_add_f32 v[14:15], v[14:15], v[30:31] neg_lo:[0,1] neg_hi:[0,1]
	v_mov_b32_e32 v19, v12
	v_pk_add_f32 v[12:13], v[18:19], v[14:15] neg_lo:[0,1] neg_hi:[0,1]
	v_mov_b32_e32 v36, v32
	v_pk_add_f32 v[14:15], v[36:37], v[12:13]
	s_nop 0
	v_mov_b32_e32 v18, v15
	v_pk_add_f32 v[18:19], v[14:15], v[18:19]
	s_nop 0
	v_pk_add_f32 v[16:17], v[16:17], v[18:19]
	v_mov_b32_e32 v13, v18
	v_mov_b32_e32 v15, v16
	v_pk_add_f32 v[30:31], v[14:15], v[32:33] neg_lo:[0,1] neg_hi:[0,1]
	s_nop 0
	v_sub_f32_e32 v14, v14, v30
	v_pk_add_f32 v[12:13], v[12:13], v[30:31] neg_lo:[0,1] neg_hi:[0,1]
	v_sub_f32_e32 v14, v32, v14
	v_add_f32_e32 v12, v12, v14
	v_add_f32_e32 v12, v12, v13
	;; [unrolled: 1-line block ×3, first 2 shown]
	v_cndmask_b32_e32 v77, v12, v38, vcc
.LBB73_28:                              ;   in Loop: Header=BB73_12 Depth=1
	s_or_b64 exec, exec, s[6:7]
	v_cvt_f32_f16_e32 v12, v68
	v_add_f32_e32 v29, s33, v12
	v_cmp_ge_f32_e32 vcc, s83, v29
	s_and_b64 s[2:3], s[60:61], vcc
	s_and_saveexec_b64 s[6:7], s[2:3]
	s_cbranch_execz .LBB73_30
; %bb.29:                               ;   in Loop: Header=BB73_12 Depth=1
	v_mul_f32_e32 v12, 0x3fb8aa3b, v29
	v_rndne_f32_e32 v13, v12
	v_sub_f32_e32 v14, v12, v13
	v_fma_f32 v12, v29, s84, -v12
	v_fmac_f32_e32 v12, 0x32a5705f, v29
	v_add_f32_e32 v12, v14, v12
	v_cvt_i32_f32_e32 v13, v13
	v_exp_f32_e32 v12, v12
	v_cmp_ngt_f32_e32 vcc, s85, v29
	v_ldexp_f32 v12, v12, v13
	s_nop 0
	v_cndmask_b32_e32 v12, 0, v12, vcc
	v_cmp_nlt_f32_e32 vcc, s86, v29
	s_nop 1
	v_cndmask_b32_e32 v38, v59, v12, vcc
	v_add_f32_e32 v14, 1.0, v38
	v_add_f32_e32 v12, -1.0, v14
	v_sub_f32_e32 v13, v12, v14
	v_add_f32_e32 v13, 1.0, v13
	v_sub_f32_e32 v12, v38, v12
	v_add_f32_e32 v15, v12, v13
	v_frexp_mant_f32_e32 v16, v14
	v_cvt_f64_f32_e32 v[12:13], v14
	v_frexp_exp_i32_f64_e32 v12, v[12:13]
	v_cmp_gt_f32_e32 vcc, s88, v16
	v_cmp_gt_f32_e64 s[2:3], s90, v38
	s_nop 0
	v_subbrev_co_u32_e32 v30, vcc, 0, v12, vcc
	v_sub_u32_e32 v12, 0, v30
	v_ldexp_f32 v13, v14, v12
	v_add_f32_e32 v14, -1.0, v13
	v_add_f32_e32 v16, 1.0, v13
	v_ldexp_f32 v12, v15, v12
	v_add_f32_e32 v15, 1.0, v14
	v_add_f32_e32 v17, -1.0, v16
	v_sub_f32_e32 v15, v13, v15
	v_sub_f32_e32 v13, v13, v17
	v_add_f32_e32 v15, v12, v15
	v_add_f32_e32 v12, v12, v13
	;; [unrolled: 1-line block ×3, first 2 shown]
	v_rcp_f32_e32 v32, v29
	v_sub_f32_e32 v13, v16, v29
	v_add_f32_e32 v31, v12, v13
	v_add_f32_e32 v13, v14, v15
	v_mul_f32_e32 v34, v13, v32
	v_sub_f32_e32 v12, v14, v13
	v_mul_f32_e32 v14, v29, v34
	v_fma_f32 v16, v34, v29, -v14
	v_fmac_f32_e32 v16, v34, v31
	v_add_f32_e32 v33, v15, v12
	v_add_f32_e32 v12, v14, v16
	v_sub_f32_e32 v15, v13, v12
	v_pk_add_f32 v[18:19], v[12:13], v[14:15] neg_lo:[0,1] neg_hi:[0,1]
	v_mov_b32_e32 v17, v12
	v_pk_add_f32 v[12:13], v[18:19], v[16:17] neg_lo:[0,1] neg_hi:[0,1]
	v_cmp_eq_f32_e32 vcc, s87, v38
	v_add_f32_e32 v13, v33, v13
	v_add_f32_e32 v12, v12, v13
	;; [unrolled: 1-line block ×3, first 2 shown]
	v_mul_f32_e32 v33, v32, v13
	v_mul_f32_e32 v14, v29, v33
	v_fma_f32 v16, v33, v29, -v14
	v_fmac_f32_e32 v16, v33, v31
	v_sub_f32_e32 v15, v15, v13
	v_add_f32_e32 v29, v12, v15
	v_add_f32_e32 v12, v14, v16
	v_sub_f32_e32 v15, v13, v12
	v_pk_add_f32 v[18:19], v[12:13], v[14:15] neg_lo:[0,1] neg_hi:[0,1]
	v_mov_b32_e32 v17, v12
	v_pk_add_f32 v[12:13], v[18:19], v[16:17] neg_lo:[0,1] neg_hi:[0,1]
	s_or_b64 vcc, s[2:3], vcc
	v_add_f32_e32 v13, v29, v13
	v_add_f32_e32 v12, v12, v13
	;; [unrolled: 1-line block ×4, first 2 shown]
	v_sub_f32_e32 v14, v13, v34
	v_mul_f32_e32 v12, v32, v12
	v_sub_f32_e32 v14, v33, v14
	v_add_f32_e32 v14, v14, v12
	v_add_f32_e32 v16, v13, v14
	v_mul_f32_e32 v17, v16, v16
	v_fmamk_f32 v12, v17, 0x3e9b6dac, v58
	v_fmaak_f32 v29, v17, v12, 0x3f2aaada
	v_cvt_f32_i32_e32 v12, v30
	v_sub_f32_e32 v13, v16, v13
	v_sub_f32_e32 v13, v14, v13
	v_ldexp_f32 v18, v13, 1
	v_mul_f32_e32 v13, v16, v17
	v_ldexp_f32 v15, v16, 1
	v_pk_mul_f32 v[16:17], v[12:13], v[28:29]
	s_nop 0
	v_fma_f32 v14, v12, s89, -v16
	v_fmac_f32_e32 v14, 0xb102e308, v12
	v_pk_add_f32 v[12:13], v[16:17], v[14:15]
	s_nop 0
	v_sub_f32_e32 v15, v13, v15
	v_sub_f32_e32 v15, v17, v15
	v_add_f32_e32 v19, v18, v15
	v_mov_b32_e32 v18, v16
	v_pk_add_f32 v[16:17], v[12:13], v[16:17] neg_lo:[0,1] neg_hi:[0,1]
	v_pk_add_f32 v[30:31], v[12:13], v[18:19]
	v_mov_b32_e32 v15, v12
	v_mov_b32_e32 v17, v31
	v_pk_add_f32 v[32:33], v[14:15], v[16:17] neg_lo:[0,1] neg_hi:[0,1]
	v_pk_add_f32 v[14:15], v[14:15], v[16:17]
	v_mov_b32_e32 v18, v19
	v_mov_b32_e32 v16, v15
	v_pk_add_f32 v[34:35], v[16:17], v[12:13] neg_lo:[0,1] neg_hi:[0,1]
	v_mov_b32_e32 v14, v31
	v_mov_b32_e32 v17, v34
	v_pk_add_f32 v[36:37], v[30:31], v[16:17] neg_lo:[0,1] neg_hi:[0,1]
	v_mov_b32_e32 v30, v13
	v_mov_b32_e32 v31, v34
	;; [unrolled: 1-line block ×3, first 2 shown]
	v_pk_add_f32 v[14:15], v[14:15], v[30:31] neg_lo:[0,1] neg_hi:[0,1]
	v_mov_b32_e32 v19, v12
	v_pk_add_f32 v[12:13], v[18:19], v[14:15] neg_lo:[0,1] neg_hi:[0,1]
	v_mov_b32_e32 v36, v32
	v_pk_add_f32 v[14:15], v[36:37], v[12:13]
	s_nop 0
	v_mov_b32_e32 v18, v15
	v_pk_add_f32 v[18:19], v[14:15], v[18:19]
	s_nop 0
	v_pk_add_f32 v[16:17], v[16:17], v[18:19]
	v_mov_b32_e32 v13, v18
	v_mov_b32_e32 v15, v16
	v_pk_add_f32 v[30:31], v[14:15], v[32:33] neg_lo:[0,1] neg_hi:[0,1]
	s_nop 0
	v_sub_f32_e32 v14, v14, v30
	v_pk_add_f32 v[12:13], v[12:13], v[30:31] neg_lo:[0,1] neg_hi:[0,1]
	v_sub_f32_e32 v14, v32, v14
	v_add_f32_e32 v12, v12, v14
	v_add_f32_e32 v12, v12, v13
	;; [unrolled: 1-line block ×3, first 2 shown]
	v_cndmask_b32_e32 v29, v12, v38, vcc
.LBB73_30:                              ;   in Loop: Header=BB73_12 Depth=1
	s_or_b64 exec, exec, s[6:7]
	v_cvt_f32_f16_e32 v12, v3
	v_cvt_f32_f16_e32 v13, v69
	;; [unrolled: 1-line block ×8, first 2 shown]
	v_mul_f32_e32 v32, s78, v12
	v_mul_f32_e32 v31, s78, v13
	;; [unrolled: 1-line block ×7, first 2 shown]
	s_lshl_b32 s2, s97, 9
	v_mul_f32_e32 v33, s78, v15
	s_and_b64 vcc, exec, s[62:63]
	s_waitcnt lgkmcnt(0)
	; wave barrier
	s_cbranch_vccz .LBB73_58
; %bb.31:                               ;   in Loop: Header=BB73_12 Depth=1
	v_mul_f32_e32 v79, v77, v12
	v_and_b32_e32 v12, 15, v60
	v_cmp_ne_u32_e64 s[6:7], 0, v12
	v_cmp_lt_u32_e64 s[8:9], 1, v12
	v_cmp_lt_u32_e64 s[10:11], 3, v12
	;; [unrolled: 1-line block ×3, first 2 shown]
	v_and_b32_e32 v12, 16, v60
	v_mul_f32_e32 v80, v76, v13
	v_cmp_ne_u32_e64 s[14:15], 0, v12
	v_add_u32_e32 v12, -1, v60
	v_and_b32_e32 v13, 64, v60
	s_sub_i32 s3, s56, s2
	v_cmp_lt_i32_e32 vcc, v12, v13
	s_cmp_lg_u32 s97, 0
	s_cselect_b64 s[54:55], -1, 0
	v_cndmask_b32_e32 v12, v12, v60, vcc
	v_lshlrev_b32_e32 v86, 2, v12
	s_cmp_eq_u32 s97, s82
	v_cmp_gt_u32_e32 vcc, s3, v50
	v_or_b32_e32 v12, 1, v50
	s_cselect_b64 s[66:67], -1, 0
	s_or_b64 s[18:19], s[64:65], vcc
	v_cmp_gt_u32_e32 vcc, s3, v12
	v_or_b32_e32 v12, 2, v50
	s_or_b64 s[20:21], s[64:65], vcc
	v_cmp_gt_u32_e32 vcc, s3, v12
	s_or_b64 s[22:23], s[64:65], vcc
	v_cmp_gt_u32_e32 vcc, s3, v53
	;; [unrolled: 2-line block ×5, first 2 shown]
	s_mov_b32 s58, 0
	s_or_b64 s[30:31], s[64:65], vcc
	v_cmp_gt_u32_e32 vcc, s3, v57
	v_mul_f32_e32 v78, v29, v15
	v_mul_f32_e32 v81, v75, v14
	;; [unrolled: 1-line block ×6, first 2 shown]
	v_lshl_add_u64 v[38:39], s[42:43], 0, v[20:21]
	v_lshl_add_u64 v[40:41], s[46:47], 0, v[20:21]
	v_cmp_lt_u32_e64 s[16:17], 31, v60
	s_or_b64 s[34:35], s[64:65], vcc
	s_mov_b32 s68, s58
	s_mov_b32 s70, s58
	;; [unrolled: 1-line block ×5, first 2 shown]
	s_branch .LBB73_33
.LBB73_32:                              ;   in Loop: Header=BB73_33 Depth=2
	s_or_b64 exec, exec, s[74:75]
	v_mul_f32_e32 v42, v87, v95
	v_fma_f32 v43, v87, v51, v16
	v_cndmask_b32_e64 v16, v43, v16, s[4:5]
	v_cndmask_b32_e64 v42, v42, v87, s[4:5]
	s_waitcnt lgkmcnt(0)
	v_fmac_f32_e32 v16, v48, v42
	v_fmac_f32_e32 v17, v16, v88
	;; [unrolled: 1-line block ×5, first 2 shown]
	s_waitcnt vmcnt(0)
	v_cvt_f32_f16_sdwa v43, v12 dst_sel:DWORD dst_unused:UNUSED_PAD src0_sel:WORD_1
	v_cvt_f32_f16_sdwa v49, v13 dst_sel:DWORD dst_unused:UNUSED_PAD src0_sel:WORD_1
	v_cvt_f32_f16_e32 v42, v12
	v_cvt_f32_f16_e32 v48, v13
	v_cvt_f32_f16_sdwa v13, v14 dst_sel:DWORD dst_unused:UNUSED_PAD src0_sel:WORD_1
	v_cvt_f32_f16_sdwa v89, v15 dst_sel:DWORD dst_unused:UNUSED_PAD src0_sel:WORD_1
	v_cvt_f32_f16_e32 v88, v15
	v_cvt_f32_f16_e32 v12, v14
	v_fmac_f32_e32 v19, v18, v92
	v_fmac_f32_e32 v46, v19, v93
	;; [unrolled: 1-line block ×3, first 2 shown]
	s_add_i32 s98, s98, 8
	s_add_i32 s3, s3, -1
	s_add_i32 s72, s72, s79
	s_add_i32 s70, s70, s48
	;; [unrolled: 1-line block ×4, first 2 shown]
	v_pk_fma_f32 v[36:37], v[44:45], v[48:49], v[36:37]
	v_pk_fma_f32 v[34:35], v[16:17], v[42:43], v[34:35]
	;; [unrolled: 1-line block ×3, first 2 shown]
	s_cmp_eq_u32 s3, 0
	v_pk_fma_f32 v[30:31], v[18:19], v[12:13], v[30:31]
	s_cbranch_scc1 .LBB73_58
.LBB73_33:                              ;   Parent Loop BB73_12 Depth=1
                                        ; =>  This Inner Loop Header: Depth=2
	s_lshl_b64 s[74:75], s[58:59], 2
	s_mov_b32 s69, s59
	s_add_u32 s74, s40, s74
	v_lshl_add_u64 v[12:13], s[68:69], 1, v[38:39]
	s_mov_b32 s71, s59
	s_addc_u32 s75, s80, s75
	global_load_dwordx4 v[16:19], v[12:13], off
	v_lshl_add_u64 v[12:13], s[70:71], 1, v[40:41]
	global_load_dword v44, v21, s[74:75]
	s_andn2_b64 vcc, exec, s[54:55]
	global_load_dwordx4 v[12:15], v[12:13], off
	s_cbranch_vccnz .LBB73_35
; %bb.34:                               ;   in Loop: Header=BB73_33 Depth=2
	v_mov_b32_e32 v42, s98
	ds_read_b64 v[42:43], v42
	s_cbranch_execz .LBB73_36
	s_branch .LBB73_39
.LBB73_35:                              ;   in Loop: Header=BB73_33 Depth=2
                                        ; implicit-def: $vgpr43
.LBB73_36:                              ;   in Loop: Header=BB73_33 Depth=2
	s_andn2_b64 vcc, exec, s[38:39]
	s_waitcnt lgkmcnt(0)
	v_mov_b32_e32 v43, 0
	s_cbranch_vccnz .LBB73_38
; %bb.37:                               ;   in Loop: Header=BB73_33 Depth=2
	s_mov_b32 s73, s59
	s_lshl_b64 s[74:75], s[72:73], 1
	s_add_u32 s74, s45, s74
	s_addc_u32 s75, s49, s75
	global_load_ushort v42, v21, s[74:75]
	s_waitcnt vmcnt(0)
	v_cvt_f32_f16_e32 v43, v42
.LBB73_38:                              ;   in Loop: Header=BB73_33 Depth=2
	v_mov_b32_e32 v42, 1.0
.LBB73_39:                              ;   in Loop: Header=BB73_33 Depth=2
	s_waitcnt vmcnt(1)
	v_mul_f32_e32 v46, 0x3fb8aa3b, v44
	v_cvt_f32_f16_e32 v44, v16
	v_cvt_f32_f16_sdwa v45, v16 dst_sel:DWORD dst_unused:UNUSED_PAD src0_sel:WORD_1
	v_mul_f32_e32 v16, v46, v71
	v_cmp_gt_f32_e32 vcc, s92, v16
	v_cvt_f32_f16_e32 v49, v18
	v_cvt_f32_f16_sdwa v51, v18 dst_sel:DWORD dst_unused:UNUSED_PAD src0_sel:WORD_1
	v_cndmask_b32_e32 v16, 0, v61, vcc
	v_mul_f32_e32 v18, v46, v72
	v_cvt_f32_f16_e32 v47, v17
	v_cvt_f32_f16_sdwa v48, v17 dst_sel:DWORD dst_unused:UNUSED_PAD src0_sel:WORD_1
	v_fmac_f32_e32 v16, v46, v71
	v_cndmask_b32_e32 v17, 1.0, v62, vcc
	v_cmp_gt_f32_e32 vcc, s92, v18
	v_exp_f32_e32 v16, v16
	v_cvt_f32_f16_e32 v93, v19
	v_cndmask_b32_e32 v18, 0, v61, vcc
	v_fmac_f32_e32 v18, v46, v72
	v_exp_f32_e32 v18, v18
	v_cvt_f32_f16_sdwa v94, v19 dst_sel:DWORD dst_unused:UNUSED_PAD src0_sel:WORD_1
	v_mul_f32_e32 v17, v16, v17
	v_mul_f32_e32 v19, v46, v73
	v_cndmask_b32_e64 v87, 1.0, v17, s[18:19]
	v_cndmask_b32_e32 v17, 1.0, v62, vcc
	v_cmp_gt_f32_e32 vcc, s92, v19
	v_mul_f32_e32 v16, v85, v44
	v_mul_f32_e32 v18, v18, v17
	v_cndmask_b32_e32 v19, 0, v61, vcc
	v_mul_f32_e32 v44, v46, v74
	v_fmac_f32_e32 v19, v46, v73
	v_cndmask_b32_e64 v88, 1.0, v18, s[20:21]
	v_cndmask_b32_e32 v18, 1.0, v62, vcc
	v_cmp_gt_f32_e32 vcc, s92, v44
	v_exp_f32_e32 v19, v19
	v_mul_f32_e32 v17, v84, v45
	v_cndmask_b32_e32 v44, 0, v61, vcc
	v_fmac_f32_e32 v44, v46, v74
	v_exp_f32_e32 v45, v44
	v_mul_f32_e32 v18, v19, v18
	v_cndmask_b32_e64 v89, 1.0, v18, s[22:23]
	v_cndmask_b32_e32 v18, 1.0, v62, vcc
	v_mul_f32_e32 v18, v45, v18
	v_mul_f32_e32 v45, v46, v75
	v_cmp_gt_f32_e32 vcc, s92, v45
	v_mul_f32_e32 v19, v83, v47
	v_cndmask_b32_e64 v44, 0, v19, s[22:23]
	v_cndmask_b32_e32 v45, 0, v61, vcc
	v_fmac_f32_e32 v45, v46, v75
	v_exp_f32_e32 v47, v45
	v_mul_f32_e32 v19, v82, v48
	v_cndmask_b32_e64 v90, 1.0, v18, s[24:25]
	v_cndmask_b32_e32 v18, 1.0, v62, vcc
	v_cndmask_b32_e64 v45, 0, v19, s[24:25]
	v_mul_f32_e32 v19, v47, v18
	v_mul_f32_e32 v47, v46, v76
	v_cmp_gt_f32_e32 vcc, s92, v47
	v_mul_f32_e32 v48, v46, v77
	v_cndmask_b32_e64 v91, 1.0, v19, s[26:27]
	v_cndmask_b32_e32 v47, 0, v61, vcc
	v_fmac_f32_e32 v47, v46, v76
	v_exp_f32_e32 v47, v47
	v_cndmask_b32_e32 v19, 1.0, v62, vcc
	v_cmp_gt_f32_e32 vcc, s92, v48
	v_mul_f32_e32 v18, v81, v49
	v_mul_f32_e32 v47, v47, v19
	v_cndmask_b32_e32 v48, 0, v61, vcc
	v_mul_f32_e32 v49, v46, v29
	v_fmac_f32_e32 v48, v46, v77
	v_cndmask_b32_e64 v92, 1.0, v47, s[28:29]
	v_cndmask_b32_e32 v47, 1.0, v62, vcc
	v_cmp_gt_f32_e32 vcc, s92, v49
	v_exp_f32_e32 v48, v48
	v_cndmask_b32_e64 v16, 0, v16, s[18:19]
	v_cndmask_b32_e32 v49, 0, v61, vcc
	v_fmac_f32_e32 v49, v46, v29
	v_exp_f32_e32 v49, v49
	v_mul_f32_e32 v47, v48, v47
	v_mul_f32_e32 v48, v79, v93
	v_cndmask_b32_e64 v93, 1.0, v47, s[30:31]
	v_cndmask_b32_e32 v47, 1.0, v62, vcc
	v_cndmask_b32_e64 v17, 0, v17, s[20:21]
	v_cndmask_b32_e64 v46, 0, v48, s[30:31]
	v_mul_f32_e32 v48, v49, v47
	v_mul_f32_e32 v47, v78, v94
	v_cndmask_b32_e64 v94, 1.0, v48, s[34:35]
	v_mul_f32_e32 v48, v88, v87
	v_fma_f32 v49, v88, v16, v17
	v_mul_f32_e32 v48, v48, v89
	v_fma_f32 v49, v49, v89, v44
	v_cndmask_b32_e64 v18, 0, v18, s[26:27]
	v_mul_f32_e32 v19, v80, v51
	v_mul_f32_e32 v48, v48, v90
	v_fma_f32 v49, v49, v90, v45
	v_cndmask_b32_e64 v19, 0, v19, s[28:29]
	v_mul_f32_e32 v48, v48, v91
	v_fma_f32 v49, v49, v91, v18
	v_mul_f32_e32 v48, v48, v92
	v_fma_f32 v49, v49, v92, v19
	v_cndmask_b32_e64 v47, 0, v47, s[34:35]
	v_mul_f32_e32 v48, v48, v93
	v_fma_f32 v49, v49, v93, v46
	v_mul_f32_e32 v48, v48, v94
	v_fma_f32 v52, v49, v94, v47
	s_nop 0
	v_mov_b32_dpp v95, v48 row_shr:1 row_mask:0xf bank_mask:0xf
	v_mov_b32_dpp v51, v52 row_shr:1 row_mask:0xf bank_mask:0xf
	s_and_saveexec_b64 s[74:75], s[6:7]
; %bb.40:                               ;   in Loop: Header=BB73_33 Depth=2
	v_mul_f32_e32 v95, v48, v95
	v_fmac_f32_e32 v52, v48, v51
	v_mov_b32_e32 v48, v95
; %bb.41:                               ;   in Loop: Header=BB73_33 Depth=2
	s_or_b64 exec, exec, s[74:75]
	s_nop 0
	v_mov_b32_dpp v51, v48 row_shr:2 row_mask:0xf bank_mask:0xf
	v_mov_b32_dpp v95, v52 row_shr:2 row_mask:0xf bank_mask:0xf
	s_and_saveexec_b64 s[74:75], s[8:9]
; %bb.42:                               ;   in Loop: Header=BB73_33 Depth=2
	v_fmac_f32_e32 v52, v48, v95
	v_mul_f32_e32 v48, v48, v51
; %bb.43:                               ;   in Loop: Header=BB73_33 Depth=2
	s_or_b64 exec, exec, s[74:75]
	s_nop 0
	v_mov_b32_dpp v51, v48 row_shr:4 row_mask:0xf bank_mask:0xf
	v_mov_b32_dpp v95, v52 row_shr:4 row_mask:0xf bank_mask:0xf
	s_and_saveexec_b64 s[74:75], s[10:11]
; %bb.44:                               ;   in Loop: Header=BB73_33 Depth=2
	v_fmac_f32_e32 v52, v48, v95
	v_mul_f32_e32 v48, v48, v51
	;; [unrolled: 9-line block ×3, first 2 shown]
; %bb.47:                               ;   in Loop: Header=BB73_33 Depth=2
	s_or_b64 exec, exec, s[74:75]
	s_nop 0
	v_mov_b32_dpp v51, v48 row_bcast:15 row_mask:0xf bank_mask:0xf
	v_mov_b32_dpp v95, v52 row_bcast:15 row_mask:0xf bank_mask:0xf
	s_and_saveexec_b64 s[74:75], s[14:15]
; %bb.48:                               ;   in Loop: Header=BB73_33 Depth=2
	v_fmac_f32_e32 v52, v48, v95
	v_mul_f32_e32 v48, v48, v51
; %bb.49:                               ;   in Loop: Header=BB73_33 Depth=2
	s_or_b64 exec, exec, s[74:75]
	s_nop 0
	v_mov_b32_dpp v51, v48 row_bcast:31 row_mask:0xf bank_mask:0xf
	v_mov_b32_dpp v95, v52 row_bcast:31 row_mask:0xf bank_mask:0xf
	v_mov_b32_e32 v49, v52
	v_mul_f32_e32 v51, v48, v51
	v_fmac_f32_e32 v49, v48, v95
	v_cndmask_b32_e64 v48, v48, v51, s[16:17]
	v_cndmask_b32_e64 v49, v52, v49, s[16:17]
	s_and_saveexec_b64 s[74:75], s[36:37]
	s_cbranch_execz .LBB73_51
; %bb.50:                               ;   in Loop: Header=BB73_33 Depth=2
	ds_write_b64 v21, v[48:49] offset:2112
.LBB73_51:                              ;   in Loop: Header=BB73_33 Depth=2
	s_or_b64 exec, exec, s[74:75]
	ds_bpermute_b32 v95, v86, v48
	ds_bpermute_b32 v51, v86, v49
	s_waitcnt lgkmcnt(2)
	v_mov_b32_e32 v49, v43
	s_waitcnt lgkmcnt(0)
	; wave barrier
	s_waitcnt lgkmcnt(0)
	s_and_saveexec_b64 s[74:75], s[0:1]
	s_cbranch_execz .LBB73_55
; %bb.52:                               ;   in Loop: Header=BB73_33 Depth=2
	ds_read_b64 v[48:49], v21 offset:2112
	s_and_saveexec_b64 s[76:77], s[4:5]
	s_cbranch_execz .LBB73_54
; %bb.53:                               ;   in Loop: Header=BB73_33 Depth=2
	ds_write_b64 v21, v[42:43] offset:2112
.LBB73_54:                              ;   in Loop: Header=BB73_33 Depth=2
	s_or_b64 exec, exec, s[76:77]
	s_waitcnt lgkmcnt(0)
	v_fmac_f32_e32 v49, v43, v48
	v_mul_f32_e32 v42, v42, v48
	v_mov_b32_e32 v43, v49
.LBB73_55:                              ;   in Loop: Header=BB73_33 Depth=2
	s_or_b64 exec, exec, s[74:75]
	s_waitcnt lgkmcnt(0)
	; wave barrier
	ds_read_b32 v48, v21 offset:2116
	s_and_saveexec_b64 s[74:75], s[4:5]
	s_cbranch_execz .LBB73_32
; %bb.56:                               ;   in Loop: Header=BB73_33 Depth=2
	v_mov_b32_e32 v52, s98
	s_andn2_b64 vcc, exec, s[66:67]
	ds_write_b64 v52, v[42:43]
	s_cbranch_vccnz .LBB73_32
; %bb.57:                               ;   in Loop: Header=BB73_33 Depth=2
	s_mov_b32 s73, s59
	v_cvt_f16_f32_e32 v42, v49
	s_lshl_b64 s[76:77], s[72:73], 1
	s_add_u32 s76, s45, s76
	s_addc_u32 s77, s49, s77
	global_store_short v21, v42, s[76:77]
	s_branch .LBB73_32
.LBB73_58:                              ;   in Loop: Header=BB73_12 Depth=1
	v_cvt_f16_f32_e32 v12, v34
	v_cvt_f16_f32_e32 v18, v35
	;; [unrolled: 1-line block ×8, first 2 shown]
	s_mov_b32 s3, s59
	v_lshl_add_u64 v[16:17], s[2:3], 1, v[22:23]
	v_pack_b32_f16 v15, v15, v19
	v_pack_b32_f16 v14, v14, v29
	;; [unrolled: 1-line block ×4, first 2 shown]
	s_waitcnt lgkmcnt(0)
	; wave barrier
	global_store_dwordx4 v[16:17], v[12:15], off
	s_waitcnt lgkmcnt(0)
	; wave barrier
	s_and_saveexec_b64 s[6:7], s[0:1]
	s_cbranch_execz .LBB73_11
; %bb.59:                               ;   in Loop: Header=BB73_12 Depth=1
	v_lshl_add_u64 v[8:9], s[2:3], 1, v[24:25]
	global_load_dwordx4 v[8:11], v[8:9], off
	s_branch .LBB73_11
.LBB73_60:
	s_endpgm
	.section	.rodata,"a",@progbits
	.p2align	6, 0x0
	.amdhsa_kernel _Z25selective_scan_fwd_kernelI32Selective_Scan_fwd_kernel_traitsILi64ELi8ELi1ELb1ELb1ELb1ELb1ELb0EN3c104HalfEfS2_EEv13SSMParamsBase
		.amdhsa_group_segment_fixed_size 0
		.amdhsa_private_segment_fixed_size 0
		.amdhsa_kernarg_size 248
		.amdhsa_user_sgpr_count 2
		.amdhsa_user_sgpr_dispatch_ptr 0
		.amdhsa_user_sgpr_queue_ptr 0
		.amdhsa_user_sgpr_kernarg_segment_ptr 1
		.amdhsa_user_sgpr_dispatch_id 0
		.amdhsa_user_sgpr_kernarg_preload_length 0
		.amdhsa_user_sgpr_kernarg_preload_offset 0
		.amdhsa_user_sgpr_private_segment_size 0
		.amdhsa_uses_dynamic_stack 0
		.amdhsa_enable_private_segment 0
		.amdhsa_system_sgpr_workgroup_id_x 1
		.amdhsa_system_sgpr_workgroup_id_y 1
		.amdhsa_system_sgpr_workgroup_id_z 0
		.amdhsa_system_sgpr_workgroup_info 0
		.amdhsa_system_vgpr_workitem_id 0
		.amdhsa_next_free_vgpr 96
		.amdhsa_next_free_sgpr 99
		.amdhsa_accum_offset 96
		.amdhsa_reserve_vcc 1
		.amdhsa_float_round_mode_32 0
		.amdhsa_float_round_mode_16_64 0
		.amdhsa_float_denorm_mode_32 3
		.amdhsa_float_denorm_mode_16_64 3
		.amdhsa_dx10_clamp 1
		.amdhsa_ieee_mode 1
		.amdhsa_fp16_overflow 0
		.amdhsa_tg_split 0
		.amdhsa_exception_fp_ieee_invalid_op 0
		.amdhsa_exception_fp_denorm_src 0
		.amdhsa_exception_fp_ieee_div_zero 0
		.amdhsa_exception_fp_ieee_overflow 0
		.amdhsa_exception_fp_ieee_underflow 0
		.amdhsa_exception_fp_ieee_inexact 0
		.amdhsa_exception_int_div_zero 0
	.end_amdhsa_kernel
	.section	.text._Z25selective_scan_fwd_kernelI32Selective_Scan_fwd_kernel_traitsILi64ELi8ELi1ELb1ELb1ELb1ELb1ELb0EN3c104HalfEfS2_EEv13SSMParamsBase,"axG",@progbits,_Z25selective_scan_fwd_kernelI32Selective_Scan_fwd_kernel_traitsILi64ELi8ELi1ELb1ELb1ELb1ELb1ELb0EN3c104HalfEfS2_EEv13SSMParamsBase,comdat
.Lfunc_end73:
	.size	_Z25selective_scan_fwd_kernelI32Selective_Scan_fwd_kernel_traitsILi64ELi8ELi1ELb1ELb1ELb1ELb1ELb0EN3c104HalfEfS2_EEv13SSMParamsBase, .Lfunc_end73-_Z25selective_scan_fwd_kernelI32Selective_Scan_fwd_kernel_traitsILi64ELi8ELi1ELb1ELb1ELb1ELb1ELb0EN3c104HalfEfS2_EEv13SSMParamsBase
                                        ; -- End function
	.section	.AMDGPU.csdata,"",@progbits
; Kernel info:
; codeLenInByte = 9856
; NumSgprs: 105
; NumVgprs: 96
; NumAgprs: 0
; TotalNumVgprs: 96
; ScratchSize: 0
; MemoryBound: 1
; FloatMode: 240
; IeeeMode: 1
; LDSByteSize: 0 bytes/workgroup (compile time only)
; SGPRBlocks: 13
; VGPRBlocks: 11
; NumSGPRsForWavesPerEU: 105
; NumVGPRsForWavesPerEU: 96
; AccumOffset: 96
; Occupancy: 5
; WaveLimiterHint : 0
; COMPUTE_PGM_RSRC2:SCRATCH_EN: 0
; COMPUTE_PGM_RSRC2:USER_SGPR: 2
; COMPUTE_PGM_RSRC2:TRAP_HANDLER: 0
; COMPUTE_PGM_RSRC2:TGID_X_EN: 1
; COMPUTE_PGM_RSRC2:TGID_Y_EN: 1
; COMPUTE_PGM_RSRC2:TGID_Z_EN: 0
; COMPUTE_PGM_RSRC2:TIDIG_COMP_CNT: 0
; COMPUTE_PGM_RSRC3_GFX90A:ACCUM_OFFSET: 23
; COMPUTE_PGM_RSRC3_GFX90A:TG_SPLIT: 0
	.section	.text._Z25selective_scan_fwd_kernelI32Selective_Scan_fwd_kernel_traitsILi64ELi8ELi1ELb1ELb1ELb1ELb0ELb1EN3c104HalfEfS2_EEv13SSMParamsBase,"axG",@progbits,_Z25selective_scan_fwd_kernelI32Selective_Scan_fwd_kernel_traitsILi64ELi8ELi1ELb1ELb1ELb1ELb0ELb1EN3c104HalfEfS2_EEv13SSMParamsBase,comdat
	.protected	_Z25selective_scan_fwd_kernelI32Selective_Scan_fwd_kernel_traitsILi64ELi8ELi1ELb1ELb1ELb1ELb0ELb1EN3c104HalfEfS2_EEv13SSMParamsBase ; -- Begin function _Z25selective_scan_fwd_kernelI32Selective_Scan_fwd_kernel_traitsILi64ELi8ELi1ELb1ELb1ELb1ELb0ELb1EN3c104HalfEfS2_EEv13SSMParamsBase
	.globl	_Z25selective_scan_fwd_kernelI32Selective_Scan_fwd_kernel_traitsILi64ELi8ELi1ELb1ELb1ELb1ELb0ELb1EN3c104HalfEfS2_EEv13SSMParamsBase
	.p2align	8
	.type	_Z25selective_scan_fwd_kernelI32Selective_Scan_fwd_kernel_traitsILi64ELi8ELi1ELb1ELb1ELb1ELb0ELb1EN3c104HalfEfS2_EEv13SSMParamsBase,@function
_Z25selective_scan_fwd_kernelI32Selective_Scan_fwd_kernel_traitsILi64ELi8ELi1ELb1ELb1ELb1ELb0ELb1EN3c104HalfEfS2_EEv13SSMParamsBase: ; @_Z25selective_scan_fwd_kernelI32Selective_Scan_fwd_kernel_traitsILi64ELi8ELi1ELb1ELb1ELb1ELb0ELb1EN3c104HalfEfS2_EEv13SSMParamsBase
; %bb.0:
	s_load_dword s27, s[0:1], 0x18
	s_load_dwordx4 s[4:7], s[0:1], 0xe0
	s_load_dwordx2 s[10:11], s[0:1], 0xf0
	s_mov_b32 s20, s3
	s_ashr_i32 s3, s2, 31
	s_waitcnt lgkmcnt(0)
	s_abs_i32 s26, s27
	v_cvt_f32_u32_e32 v1, s26
	s_lshl_b64 s[8:9], s[2:3], 2
	s_add_u32 s24, s4, s8
	s_addc_u32 s25, s5, s9
	v_rcp_iflag_f32_e32 v1, v1
	s_cmp_eq_u64 s[10:11], 0
	v_mul_f32_e32 v1, 0x4f7ffffe, v1
	v_cvt_u32_f32_e32 v1, v1
	s_nop 0
	v_readfirstlane_b32 s28, v1
	s_cbranch_scc1 .LBB74_137
; %bb.1:
	s_add_u32 s4, s10, s2
	s_addc_u32 s5, s11, s3
	v_mov_b32_e32 v1, 0
	global_load_ubyte v1, v1, s[4:5]
	s_waitcnt vmcnt(0)
	v_and_b32_e32 v1, 1, v1
	v_cmp_eq_u32_e64 s[68:69], 1, v1
	s_load_dwordx2 s[4:5], s[0:1], 0x20
	s_cmp_eq_u64 s[6:7], 0
	s_cbranch_scc1 .LBB74_3
.LBB74_2:
	s_add_u32 s2, s6, s8
	s_addc_u32 s3, s7, s9
	s_load_dword s2, s[2:3], 0x0
	s_waitcnt lgkmcnt(0)
	s_ashr_i32 s3, s2, 31
.LBB74_3:
	s_waitcnt lgkmcnt(0)
	s_cmp_eq_u64 s[4:5], s[2:3]
	s_cbranch_scc1 .LBB74_136
; %bb.4:
	s_load_dwordx16 s[4:19], s[0:1], 0x88
	s_load_dwordx2 s[22:23], s[24:25], 0x0
	s_mov_b32 s33, 0
	s_mov_b32 s94, 0
	s_waitcnt lgkmcnt(0)
	s_cmp_eq_u64 s[10:11], 0
	s_cbranch_scc1 .LBB74_6
; %bb.5:
	s_ashr_i32 s21, s20, 31
	s_lshl_b64 s[24:25], s[20:21], 2
	s_add_u32 s10, s10, s24
	s_addc_u32 s11, s11, s25
	s_load_dword s94, s[10:11], 0x0
.LBB74_6:
	s_cmp_eq_u64 s[16:17], 0
	s_cbranch_scc1 .LBB74_8
; %bb.7:
	s_ashr_i32 s21, s20, 31
	s_lshl_b64 s[10:11], s[20:21], 2
	s_add_u32 s10, s16, s10
	s_addc_u32 s11, s17, s11
	s_load_dword s33, s[10:11], 0x0
.LBB74_8:
	s_sub_i32 s29, s23, s22
	s_cmp_lt_i32 s29, 1
	s_cbranch_scc1 .LBB74_136
; %bb.9:
	s_sub_i32 s3, 0, s26
	s_mul_i32 s3, s3, s28
	s_mul_hi_u32 s3, s28, s3
	s_abs_i32 s21, s20
	s_add_i32 s28, s28, s3
	s_load_dwordx8 s[52:59], s[0:1], 0x2c
	s_load_dwordx2 s[10:11], s[0:1], 0x5c
	s_load_dwordx4 s[60:63], s[0:1], 0x4c
	s_load_dwordx4 s[64:67], s[0:1], 0x7c
	s_load_dwordx2 s[24:25], s[0:1], 0x6c
	s_load_dwordx2 s[16:17], s[0:1], 0xc8
	s_mul_hi_u32 s3, s21, s28
	s_load_dword s28, s[0:1], 0xc
	s_load_dword s23, s[0:1], 0x28
	s_ashr_i32 s0, s20, 31
	s_ashr_i32 s1, s27, 31
	s_xor_b32 s0, s0, s1
	s_mul_i32 s1, s3, s26
	s_sub_i32 s1, s21, s1
	s_add_i32 s21, s3, 1
	s_sub_i32 s27, s1, s26
	s_cmp_ge_u32 s1, s26
	s_cselect_b32 s3, s21, s3
	s_cselect_b32 s1, s27, s1
	s_add_i32 s21, s3, 1
	s_cmp_ge_u32 s1, s26
	s_cselect_b32 s1, s21, s3
	s_xor_b32 s1, s1, s0
	s_waitcnt lgkmcnt(0)
	s_mul_i32 s70, s22, s62
	s_mov_b32 s71, 0
	s_sub_i32 s3, s1, s0
	s_lshl_b64 s[0:1], s[70:71], 1
	s_add_u32 s12, s12, s0
	s_mul_i32 s70, s63, s20
	s_addc_u32 s13, s13, s1
	s_lshl_b64 s[0:1], s[70:71], 1
	s_add_u32 s62, s12, s0
	s_mul_i32 s70, s22, s10
	s_addc_u32 s63, s13, s1
	;; [unrolled: 4-line block ×10, first 2 shown]
	s_lshl_b64 s[0:1], s[70:71], 1
	s_add_u32 s57, s2, s0
	v_mbcnt_lo_u32_b32 v1, -1, 0
	s_addc_u32 s61, s3, s1
	s_add_i32 s0, s29, 0x7ff
	v_mbcnt_hi_u32_b32 v10, -1, v1
	s_lshr_b32 s12, s0, 11
	v_lshrrev_b32_e32 v1, 5, v10
	v_and_b32_e32 v1, 2, v1
	s_bitcmp1_b32 s23, 0
	v_add_u32_e32 v36, 64, v10
	v_or_b32_e32 v37, 0x80, v10
	v_add_u32_e32 v38, 0xc0, v10
	v_or_b32_e32 v39, 0x100, v10
	v_add_u32_e32 v40, 0x140, v10
	v_or_b32_e32 v41, 0x180, v10
	v_add_u32_e32 v42, 0x1c0, v10
	v_add_u32_e32 v1, v1, v10
	s_cselect_b64 s[64:65], -1, 0
                                        ; implicit-def: $vgpr95 : SGPR spill to VGPR lane
	s_cmp_gt_i32 s28, 0
	v_lshl_add_u32 v43, v1, 1, 0
	v_lshrrev_b32_e32 v1, 5, v36
	v_lshrrev_b32_e32 v2, 5, v37
	;; [unrolled: 1-line block ×7, first 2 shown]
	v_writelane_b32 v95, s28, 0
	s_cselect_b64 s[0:1], -1, 0
	v_and_b32_e32 v1, 6, v1
	v_and_b32_e32 v2, 6, v2
	;; [unrolled: 1-line block ×7, first 2 shown]
	v_writelane_b32 v95, s0, 1
	v_add_lshl_u32 v1, v1, v10, 1
	v_add_lshl_u32 v2, v2, v10, 1
	;; [unrolled: 1-line block ×7, first 2 shown]
	v_writelane_b32 v95, s1, 2
	s_add_i32 s0, 0, 0x420
	v_add_u32_e32 v52, s0, v1
	v_add_u32_e32 v53, s0, v2
	;; [unrolled: 1-line block ×7, first 2 shown]
	s_and_b32 s0, s29, 0x1ff
	v_writelane_b32 v95, s29, 3
	s_cmp_eq_u32 s0, 0
	s_cselect_b64 s[76:77], -1, 0
	v_writelane_b32 v95, s12, 4
	s_add_i32 s12, s12, -1
	s_mul_i32 s70, s22, s24
	v_writelane_b32 v95, s12, 5
	s_lshl_b64 s[12:13], s[70:71], 1
	v_add_u32_e32 v44, 0, v1
	v_lshrrev_b32_e32 v8, 2, v10
	v_and_b32_e32 v1, 15, v10
	s_add_u32 s21, s18, s12
	s_mul_i32 s70, s25, s20
	v_and_b32_e32 v8, 30, v8
	v_cmp_ne_u32_e64 s[0:1], 0, v1
	v_cmp_lt_u32_e64 s[2:3], 1, v1
	v_cmp_lt_u32_e64 s[4:5], 3, v1
	;; [unrolled: 1-line block ×3, first 2 shown]
	v_and_b32_e32 v1, 16, v10
	s_addc_u32 s22, s19, s13
	s_lshl_b64 s[18:19], s[70:71], 1
	v_add_u32_e32 v45, 0, v2
	v_lshl_add_u32 v8, v10, 3, v8
	v_cmp_ne_u32_e64 s[8:9], 0, v1
	v_add_u32_e32 v1, -1, v10
	v_and_b32_e32 v2, 64, v10
	s_add_u32 s18, s21, s18
	v_mov_b32_e32 v9, 0
	v_lshl_add_u32 v51, v8, 1, 0
	v_cmp_lt_i32_e32 vcc, v1, v2
	s_addc_u32 s19, s22, s19
	v_lshlrev_b32_e32 v8, 1, v10
	v_lshlrev_b32_e32 v11, 3, v0
	v_cndmask_b32_e32 v1, v1, v10, vcc
	v_lshl_add_u64 v[12:13], s[18:19], 0, v[8:9]
	s_add_i32 s18, 0, 0x848
	v_add_u32_e32 v46, 0, v3
	v_add_u32_e32 v47, 0, v4
	;; [unrolled: 1-line block ×5, first 2 shown]
	v_cmp_lt_u32_e64 s[10:11], 31, v10
	v_cmp_eq_u32_e64 s[12:13], 63, v0
	v_lshlrev_b32_e32 v59, 2, v1
	v_cmp_gt_u32_e64 s[14:15], 64, v0
	v_cmp_eq_u32_e64 s[16:17], 0, v0
	v_or_b32_e32 v62, 3, v11
	v_or_b32_e32 v63, 4, v11
	;; [unrolled: 1-line block ×5, first 2 shown]
	v_lshlrev_b32_e32 v8, 1, v10
	s_mov_b32 s99, 0x41a00000
	s_mov_b32 s40, 0x3fb8aa3b
	;; [unrolled: 1-line block ×6, first 2 shown]
	v_mov_b32_e32 v67, 0x3ecc95a3
	s_mov_b32 s95, 0x3f317218
	s_mov_b32 s67, 0x33800000
	v_writelane_b32 v95, s18, 6
	s_mov_b32 s98, 0xc2fc0000
	v_mov_b32_e32 v68, 0x7f800000
	v_mov_b32_e32 v14, 0x3f317218
	;; [unrolled: 1-line block ×4, first 2 shown]
	s_mov_b32 s74, 0
                                        ; implicit-def: $vgpr0
	s_branch .LBB74_11
.LBB74_10:                              ;   in Loop: Header=BB74_11 Depth=1
	s_or_b64 exec, exec, s[18:19]
	s_add_u32 s72, s72, 0x400
	s_addc_u32 s73, s73, 0
	s_add_u32 s62, s62, 0x400
	s_addc_u32 s63, s63, 0
	s_add_u32 s54, s54, 0x400
	s_addc_u32 s55, s55, 0
	s_add_u32 s58, s58, 0x400
	s_addc_u32 s59, s59, 0
	s_add_i32 s74, s74, 1
	v_readlane_b32 s18, v95, 4
	s_cmp_eq_u32 s74, s18
	s_cbranch_scc1 .LBB74_136
.LBB74_11:                              ; =>This Loop Header: Depth=1
                                        ;     Child Loop BB74_60 Depth 2
	s_lshl_b32 s78, s74, 9
	v_readlane_b32 s18, v95, 3
	s_sub_i32 s50, s18, s78
	v_lshl_add_u64 v[0:1], s[62:63], 0, v[8:9]
	v_cmp_gt_u32_e64 s[18:19], s50, v10
	s_waitcnt lgkmcnt(0)
	v_mov_b32_e32 v2, 0
	s_waitcnt lgkmcnt(0)
	; wave barrier
	s_and_saveexec_b64 s[20:21], s[18:19]
	s_cbranch_execz .LBB74_13
; %bb.12:                               ;   in Loop: Header=BB74_11 Depth=1
	global_load_ushort v2, v[0:1], off
.LBB74_13:                              ;   in Loop: Header=BB74_11 Depth=1
	s_or_b64 exec, exec, s[20:21]
	v_cmp_gt_u32_e64 s[20:21], s50, v36
	v_mov_b32_e32 v3, 0
	v_mov_b32_e32 v4, 0
	s_and_saveexec_b64 s[22:23], s[20:21]
	s_cbranch_execz .LBB74_15
; %bb.14:                               ;   in Loop: Header=BB74_11 Depth=1
	global_load_ushort v4, v[0:1], off offset:128
.LBB74_15:                              ;   in Loop: Header=BB74_11 Depth=1
	s_or_b64 exec, exec, s[22:23]
	v_cmp_gt_u32_e64 s[22:23], s50, v37
	s_and_saveexec_b64 s[24:25], s[22:23]
	s_cbranch_execz .LBB74_17
; %bb.16:                               ;   in Loop: Header=BB74_11 Depth=1
	global_load_ushort v3, v[0:1], off offset:256
.LBB74_17:                              ;   in Loop: Header=BB74_11 Depth=1
	s_or_b64 exec, exec, s[24:25]
	v_cmp_gt_u32_e64 s[24:25], s50, v38
	v_mov_b32_e32 v5, 0
	v_mov_b32_e32 v7, 0
	s_and_saveexec_b64 s[26:27], s[24:25]
	s_cbranch_execz .LBB74_19
; %bb.18:                               ;   in Loop: Header=BB74_11 Depth=1
	global_load_ushort v7, v[0:1], off offset:384
.LBB74_19:                              ;   in Loop: Header=BB74_11 Depth=1
	s_or_b64 exec, exec, s[26:27]
	v_cmp_gt_u32_e64 s[26:27], s50, v39
	s_and_saveexec_b64 s[28:29], s[26:27]
	s_cbranch_execz .LBB74_21
; %bb.20:                               ;   in Loop: Header=BB74_11 Depth=1
	global_load_ushort v5, v[0:1], off offset:512
.LBB74_21:                              ;   in Loop: Header=BB74_11 Depth=1
	;; [unrolled: 16-line block ×3, first 2 shown]
	s_or_b64 exec, exec, s[34:35]
	v_cmp_gt_u32_e64 s[34:35], s50, v42
	v_mov_b32_e32 v6, 0
	v_mov_b32_e32 v17, 0
	s_and_saveexec_b64 s[36:37], s[34:35]
	s_cbranch_execz .LBB74_27
; %bb.26:                               ;   in Loop: Header=BB74_11 Depth=1
	global_load_ushort v17, v[0:1], off offset:896
.LBB74_27:                              ;   in Loop: Header=BB74_11 Depth=1
	s_or_b64 exec, exec, s[36:37]
	s_waitcnt vmcnt(0)
	ds_write_b16 v43, v2
	ds_write_b16 v44, v4 offset:128
	ds_write_b16 v45, v3 offset:256
	;; [unrolled: 1-line block ×7, first 2 shown]
	; wave barrier
	ds_read_b128 v[0:3], v51
	v_lshl_add_u64 v[4:5], s[72:73], 0, v[8:9]
	s_waitcnt lgkmcnt(0)
	; wave barrier
	s_waitcnt lgkmcnt(0)
	s_and_saveexec_b64 s[36:37], s[18:19]
	s_cbranch_execz .LBB74_29
; %bb.28:                               ;   in Loop: Header=BB74_11 Depth=1
	global_load_ushort v6, v[4:5], off
.LBB74_29:                              ;   in Loop: Header=BB74_11 Depth=1
	s_or_b64 exec, exec, s[36:37]
	v_mov_b32_e32 v7, 0
	v_mov_b32_e32 v15, 0
	s_and_saveexec_b64 s[36:37], s[20:21]
	s_cbranch_execz .LBB74_31
; %bb.30:                               ;   in Loop: Header=BB74_11 Depth=1
	global_load_ushort v15, v[4:5], off offset:128
.LBB74_31:                              ;   in Loop: Header=BB74_11 Depth=1
	s_or_b64 exec, exec, s[36:37]
	s_and_saveexec_b64 s[36:37], s[22:23]
	s_cbranch_execz .LBB74_33
; %bb.32:                               ;   in Loop: Header=BB74_11 Depth=1
	global_load_ushort v7, v[4:5], off offset:256
.LBB74_33:                              ;   in Loop: Header=BB74_11 Depth=1
	s_or_b64 exec, exec, s[36:37]
	v_mov_b32_e32 v16, 0
	v_mov_b32_e32 v17, 0
	s_and_saveexec_b64 s[36:37], s[24:25]
	s_cbranch_execz .LBB74_35
; %bb.34:                               ;   in Loop: Header=BB74_11 Depth=1
	global_load_ushort v17, v[4:5], off offset:384
.LBB74_35:                              ;   in Loop: Header=BB74_11 Depth=1
	s_or_b64 exec, exec, s[36:37]
	s_and_saveexec_b64 s[36:37], s[26:27]
	s_cbranch_execz .LBB74_37
; %bb.36:                               ;   in Loop: Header=BB74_11 Depth=1
	global_load_ushort v16, v[4:5], off offset:512
.LBB74_37:                              ;   in Loop: Header=BB74_11 Depth=1
	s_or_b64 exec, exec, s[36:37]
	v_mov_b32_e32 v18, 0
	v_mov_b32_e32 v19, 0
	s_and_saveexec_b64 s[36:37], s[28:29]
	s_cbranch_execnz .LBB74_126
; %bb.38:                               ;   in Loop: Header=BB74_11 Depth=1
	s_or_b64 exec, exec, s[36:37]
	s_and_saveexec_b64 s[36:37], s[30:31]
	s_cbranch_execnz .LBB74_127
.LBB74_39:                              ;   in Loop: Header=BB74_11 Depth=1
	s_or_b64 exec, exec, s[36:37]
	v_mov_b32_e32 v20, 0
	s_and_saveexec_b64 s[36:37], s[34:35]
	s_cbranch_execz .LBB74_41
.LBB74_40:                              ;   in Loop: Header=BB74_11 Depth=1
	global_load_ushort v20, v[4:5], off offset:896
.LBB74_41:                              ;   in Loop: Header=BB74_11 Depth=1
	s_or_b64 exec, exec, s[36:37]
	s_waitcnt vmcnt(0)
	ds_write_b16 v43, v6
	ds_write_b16 v44, v15 offset:128
	ds_write_b16 v45, v7 offset:256
	;; [unrolled: 1-line block ×7, first 2 shown]
	; wave barrier
	ds_read_b128 v[4:7], v51
	s_waitcnt lgkmcnt(0)
	v_cvt_f32_f16_e32 v15, v4
	v_add_f32_e32 v71, s33, v15
	v_cmp_ge_f32_e32 vcc, s99, v71
	s_and_b64 s[36:37], s[64:65], vcc
	s_and_saveexec_b64 s[38:39], s[36:37]
	s_cbranch_execz .LBB74_43
; %bb.42:                               ;   in Loop: Header=BB74_11 Depth=1
	v_mul_f32_e32 v15, 0x3fb8aa3b, v71
	v_rndne_f32_e32 v16, v15
	v_sub_f32_e32 v17, v15, v16
	v_fma_f32 v15, v71, s40, -v15
	v_fmac_f32_e32 v15, 0x32a5705f, v71
	v_add_f32_e32 v15, v17, v15
	v_cvt_i32_f32_e32 v16, v16
	v_exp_f32_e32 v15, v15
	v_cmp_ngt_f32_e32 vcc, s41, v71
	v_ldexp_f32 v15, v15, v16
	s_nop 0
	v_cndmask_b32_e32 v15, 0, v15, vcc
	v_cmp_nlt_f32_e32 vcc, s42, v71
	s_nop 1
	v_cndmask_b32_e32 v32, v68, v15, vcc
	v_add_f32_e32 v15, 1.0, v32
	v_add_f32_e32 v16, -1.0, v15
	v_sub_f32_e32 v17, v16, v15
	v_add_f32_e32 v17, 1.0, v17
	v_sub_f32_e32 v16, v32, v16
	v_add_f32_e32 v18, v16, v17
	v_frexp_mant_f32_e32 v19, v15
	v_cvt_f64_f32_e32 v[16:17], v15
	v_frexp_exp_i32_f64_e32 v16, v[16:17]
	v_cmp_gt_f32_e32 vcc, s97, v19
	v_cmp_gt_f32_e64 s[36:37], s67, v32
	s_nop 0
	v_subbrev_co_u32_e32 v24, vcc, 0, v16, vcc
	v_sub_u32_e32 v16, 0, v24
	v_ldexp_f32 v15, v15, v16
	v_ldexp_f32 v16, v18, v16
	v_add_f32_e32 v18, -1.0, v15
	v_add_f32_e32 v17, 1.0, v18
	v_sub_f32_e32 v17, v15, v17
	v_add_f32_e32 v19, v16, v17
	v_add_f32_e32 v17, 1.0, v15
	v_add_f32_e32 v20, -1.0, v17
	v_sub_f32_e32 v15, v15, v20
	v_add_f32_e32 v15, v16, v15
	v_add_f32_e32 v25, v17, v15
	v_rcp_f32_e32 v26, v25
	v_sub_f32_e32 v16, v17, v25
	v_add_f32_e32 v17, v18, v19
	v_add_f32_e32 v15, v15, v16
	v_mul_f32_e32 v28, v17, v26
	v_sub_f32_e32 v16, v18, v17
	v_mul_f32_e32 v18, v25, v28
	v_fma_f32 v20, v28, v25, -v18
	v_fmac_f32_e32 v20, v28, v15
	v_add_f32_e32 v27, v19, v16
	v_add_f32_e32 v16, v18, v20
	v_sub_f32_e32 v19, v17, v16
	v_pk_add_f32 v[22:23], v[16:17], v[18:19] neg_lo:[0,1] neg_hi:[0,1]
	v_mov_b32_e32 v21, v16
	v_pk_add_f32 v[16:17], v[22:23], v[20:21] neg_lo:[0,1] neg_hi:[0,1]
	v_cmp_eq_f32_e32 vcc, s43, v32
	v_add_f32_e32 v17, v27, v17
	v_add_f32_e32 v16, v16, v17
	;; [unrolled: 1-line block ×3, first 2 shown]
	v_mul_f32_e32 v27, v26, v17
	v_mul_f32_e32 v18, v25, v27
	v_fma_f32 v20, v27, v25, -v18
	v_fmac_f32_e32 v20, v27, v15
	v_sub_f32_e32 v15, v19, v17
	v_add_f32_e32 v15, v16, v15
	v_add_f32_e32 v16, v18, v20
	v_sub_f32_e32 v19, v17, v16
	v_pk_add_f32 v[22:23], v[16:17], v[18:19] neg_lo:[0,1] neg_hi:[0,1]
	v_mov_b32_e32 v21, v16
	v_pk_add_f32 v[16:17], v[22:23], v[20:21] neg_lo:[0,1] neg_hi:[0,1]
	s_or_b64 vcc, s[36:37], vcc
	v_add_f32_e32 v15, v15, v17
	v_add_f32_e32 v15, v16, v15
	;; [unrolled: 1-line block ×4, first 2 shown]
	v_sub_f32_e32 v16, v17, v28
	v_mul_f32_e32 v15, v26, v15
	v_sub_f32_e32 v16, v27, v16
	v_add_f32_e32 v18, v16, v15
	v_add_f32_e32 v20, v17, v18
	v_cvt_f32_i32_e32 v16, v24
	v_mul_f32_e32 v21, v20, v20
	v_sub_f32_e32 v17, v20, v17
	v_fmamk_f32 v15, v21, 0x3e9b6dac, v67
	v_sub_f32_e32 v17, v18, v17
	v_fmaak_f32 v15, v21, v15, 0x3f2aaada
	v_ldexp_f32 v22, v17, 1
	v_mul_f32_e32 v17, v20, v21
	v_ldexp_f32 v19, v20, 1
	v_pk_mul_f32 v[20:21], v[16:17], v[14:15]
	s_nop 0
	v_fma_f32 v18, v16, s95, -v20
	v_fmac_f32_e32 v18, 0xb102e308, v16
	v_pk_add_f32 v[16:17], v[20:21], v[18:19]
	s_nop 0
	v_sub_f32_e32 v15, v17, v19
	v_sub_f32_e32 v15, v21, v15
	v_add_f32_e32 v23, v22, v15
	v_mov_b32_e32 v22, v20
	v_pk_add_f32 v[20:21], v[16:17], v[20:21] neg_lo:[0,1] neg_hi:[0,1]
	v_pk_add_f32 v[24:25], v[16:17], v[22:23]
	v_mov_b32_e32 v19, v16
	v_mov_b32_e32 v21, v25
	v_pk_add_f32 v[26:27], v[18:19], v[20:21] neg_lo:[0,1] neg_hi:[0,1]
	v_pk_add_f32 v[18:19], v[18:19], v[20:21]
	v_mov_b32_e32 v22, v23
	v_mov_b32_e32 v20, v19
	v_pk_add_f32 v[28:29], v[20:21], v[16:17] neg_lo:[0,1] neg_hi:[0,1]
	v_mov_b32_e32 v18, v25
	v_mov_b32_e32 v15, v28
	v_pk_add_f32 v[30:31], v[24:25], v[14:15] neg_lo:[0,1] neg_hi:[0,1]
	v_mov_b32_e32 v24, v17
	v_mov_b32_e32 v25, v28
	;; [unrolled: 1-line block ×3, first 2 shown]
	v_pk_add_f32 v[18:19], v[18:19], v[24:25] neg_lo:[0,1] neg_hi:[0,1]
	v_mov_b32_e32 v23, v16
	v_pk_add_f32 v[16:17], v[22:23], v[18:19] neg_lo:[0,1] neg_hi:[0,1]
	v_mov_b32_e32 v30, v26
	v_pk_add_f32 v[18:19], v[30:31], v[16:17]
	s_nop 0
	v_mov_b32_e32 v22, v19
	v_pk_add_f32 v[22:23], v[18:19], v[22:23]
	s_nop 0
	v_pk_add_f32 v[20:21], v[20:21], v[22:23]
	v_mov_b32_e32 v17, v22
	v_mov_b32_e32 v19, v20
	v_pk_add_f32 v[24:25], v[18:19], v[26:27] neg_lo:[0,1] neg_hi:[0,1]
	s_nop 0
	v_sub_f32_e32 v15, v18, v24
	v_pk_add_f32 v[16:17], v[16:17], v[24:25] neg_lo:[0,1] neg_hi:[0,1]
	v_sub_f32_e32 v15, v26, v15
	v_add_f32_e32 v15, v16, v15
	v_add_f32_e32 v15, v15, v17
	;; [unrolled: 1-line block ×3, first 2 shown]
	v_cndmask_b32_e32 v71, v15, v32, vcc
.LBB74_43:                              ;   in Loop: Header=BB74_11 Depth=1
	s_or_b64 exec, exec, s[38:39]
	v_cvt_f32_f16_sdwa v4, v4 dst_sel:DWORD dst_unused:UNUSED_PAD src0_sel:WORD_1
	v_add_f32_e32 v72, s33, v4
	v_cmp_ge_f32_e32 vcc, s99, v72
	s_and_b64 s[36:37], s[64:65], vcc
	s_and_saveexec_b64 s[38:39], s[36:37]
	s_cbranch_execz .LBB74_45
; %bb.44:                               ;   in Loop: Header=BB74_11 Depth=1
	v_mul_f32_e32 v4, 0x3fb8aa3b, v72
	v_rndne_f32_e32 v15, v4
	v_sub_f32_e32 v16, v4, v15
	v_fma_f32 v4, v72, s40, -v4
	v_fmac_f32_e32 v4, 0x32a5705f, v72
	v_add_f32_e32 v4, v16, v4
	v_cvt_i32_f32_e32 v15, v15
	v_exp_f32_e32 v4, v4
	v_cmp_ngt_f32_e32 vcc, s41, v72
	v_ldexp_f32 v4, v4, v15
	s_nop 0
	v_cndmask_b32_e32 v4, 0, v4, vcc
	v_cmp_nlt_f32_e32 vcc, s42, v72
	s_nop 1
	v_cndmask_b32_e32 v30, v68, v4, vcc
	v_add_f32_e32 v4, 1.0, v30
	v_add_f32_e32 v15, -1.0, v4
	v_sub_f32_e32 v16, v15, v4
	v_add_f32_e32 v16, 1.0, v16
	v_sub_f32_e32 v15, v30, v15
	v_add_f32_e32 v15, v15, v16
	v_frexp_mant_f32_e32 v18, v4
	v_cvt_f64_f32_e32 v[16:17], v4
	v_frexp_exp_i32_f64_e32 v16, v[16:17]
	v_cmp_gt_f32_e32 vcc, s97, v18
	v_cmp_gt_f32_e64 s[36:37], s67, v30
	s_nop 0
	v_subbrev_co_u32_e32 v24, vcc, 0, v16, vcc
	v_sub_u32_e32 v16, 0, v24
	v_ldexp_f32 v4, v4, v16
	v_ldexp_f32 v15, v15, v16
	v_add_f32_e32 v16, -1.0, v4
	v_add_f32_e32 v17, 1.0, v16
	v_sub_f32_e32 v17, v4, v17
	v_add_f32_e32 v18, v15, v17
	v_add_f32_e32 v17, 1.0, v4
	v_add_f32_e32 v19, -1.0, v17
	v_sub_f32_e32 v4, v4, v19
	v_add_f32_e32 v4, v15, v4
	v_add_f32_e32 v15, v17, v4
	v_rcp_f32_e32 v25, v15
	v_sub_f32_e32 v17, v17, v15
	v_add_f32_e32 v4, v4, v17
	v_add_f32_e32 v17, v16, v18
	v_sub_f32_e32 v16, v16, v17
	v_mul_f32_e32 v27, v17, v25
	v_add_f32_e32 v26, v18, v16
	v_mul_f32_e32 v18, v15, v27
	v_fma_f32 v20, v27, v15, -v18
	v_fmac_f32_e32 v20, v27, v4
	v_add_f32_e32 v16, v18, v20
	v_sub_f32_e32 v19, v17, v16
	v_pk_add_f32 v[22:23], v[16:17], v[18:19] neg_lo:[0,1] neg_hi:[0,1]
	v_mov_b32_e32 v21, v16
	v_pk_add_f32 v[16:17], v[22:23], v[20:21] neg_lo:[0,1] neg_hi:[0,1]
	v_cmp_eq_f32_e32 vcc, s43, v30
	v_add_f32_e32 v17, v26, v17
	v_add_f32_e32 v16, v16, v17
	;; [unrolled: 1-line block ×3, first 2 shown]
	v_mul_f32_e32 v26, v25, v17
	v_mul_f32_e32 v18, v15, v26
	v_fma_f32 v20, v26, v15, -v18
	v_fmac_f32_e32 v20, v26, v4
	v_sub_f32_e32 v4, v19, v17
	v_add_f32_e32 v4, v16, v4
	v_add_f32_e32 v16, v18, v20
	v_sub_f32_e32 v19, v17, v16
	v_pk_add_f32 v[22:23], v[16:17], v[18:19] neg_lo:[0,1] neg_hi:[0,1]
	v_mov_b32_e32 v21, v16
	v_pk_add_f32 v[16:17], v[22:23], v[20:21] neg_lo:[0,1] neg_hi:[0,1]
	s_or_b64 vcc, s[36:37], vcc
	v_add_f32_e32 v4, v4, v17
	v_add_f32_e32 v4, v16, v4
	v_add_f32_e32 v17, v27, v26
	v_add_f32_e32 v4, v19, v4
	v_sub_f32_e32 v15, v17, v27
	v_mul_f32_e32 v4, v25, v4
	v_sub_f32_e32 v15, v26, v15
	v_add_f32_e32 v4, v15, v4
	v_add_f32_e32 v18, v17, v4
	v_cvt_f32_i32_e32 v16, v24
	v_mul_f32_e32 v20, v18, v18
	v_fmamk_f32 v15, v20, 0x3e9b6dac, v67
	v_sub_f32_e32 v17, v18, v17
	v_fmaak_f32 v15, v20, v15, 0x3f2aaada
	v_sub_f32_e32 v4, v4, v17
	v_mul_f32_e32 v17, v18, v20
	v_pk_mul_f32 v[20:21], v[16:17], v[14:15]
	v_ldexp_f32 v19, v18, 1
	v_fma_f32 v18, v16, s95, -v20
	v_fmac_f32_e32 v18, 0xb102e308, v16
	v_pk_add_f32 v[16:17], v[20:21], v[18:19]
	v_ldexp_f32 v4, v4, 1
	v_sub_f32_e32 v15, v17, v19
	v_sub_f32_e32 v15, v21, v15
	v_add_f32_e32 v23, v4, v15
	v_mov_b32_e32 v22, v20
	v_pk_add_f32 v[20:21], v[16:17], v[20:21] neg_lo:[0,1] neg_hi:[0,1]
	v_pk_add_f32 v[24:25], v[16:17], v[22:23]
	v_mov_b32_e32 v19, v16
	v_mov_b32_e32 v21, v25
	v_pk_add_f32 v[26:27], v[18:19], v[20:21] neg_lo:[0,1] neg_hi:[0,1]
	v_pk_add_f32 v[18:19], v[18:19], v[20:21]
	s_nop 0
	v_mov_b32_e32 v4, v19
	v_pk_add_f32 v[20:21], v[4:5], v[16:17] neg_lo:[0,1] neg_hi:[0,1]
	v_mov_b32_e32 v18, v25
	v_mov_b32_e32 v15, v20
	v_pk_add_f32 v[28:29], v[24:25], v[14:15] neg_lo:[0,1] neg_hi:[0,1]
	v_mov_b32_e32 v24, v17
	v_mov_b32_e32 v25, v20
	;; [unrolled: 1-line block ×3, first 2 shown]
	v_pk_add_f32 v[18:19], v[18:19], v[24:25] neg_lo:[0,1] neg_hi:[0,1]
	v_mov_b32_e32 v20, v23
	v_mov_b32_e32 v21, v16
	v_pk_add_f32 v[16:17], v[20:21], v[18:19] neg_lo:[0,1] neg_hi:[0,1]
	v_mov_b32_e32 v28, v26
	v_pk_add_f32 v[18:19], v[28:29], v[16:17]
	s_nop 0
	v_mov_b32_e32 v20, v19
	v_pk_add_f32 v[20:21], v[18:19], v[20:21]
	s_nop 0
	v_pk_add_f32 v[22:23], v[4:5], v[20:21]
	v_mov_b32_e32 v17, v20
	v_mov_b32_e32 v19, v22
	v_pk_add_f32 v[24:25], v[18:19], v[26:27] neg_lo:[0,1] neg_hi:[0,1]
	s_nop 0
	v_sub_f32_e32 v4, v18, v24
	v_pk_add_f32 v[16:17], v[16:17], v[24:25] neg_lo:[0,1] neg_hi:[0,1]
	v_sub_f32_e32 v4, v26, v4
	v_add_f32_e32 v4, v16, v4
	v_add_f32_e32 v4, v4, v17
	;; [unrolled: 1-line block ×3, first 2 shown]
	v_cndmask_b32_e32 v72, v4, v30, vcc
.LBB74_45:                              ;   in Loop: Header=BB74_11 Depth=1
	s_or_b64 exec, exec, s[38:39]
	v_cvt_f32_f16_e32 v4, v5
	v_add_f32_e32 v73, s33, v4
	v_cmp_ge_f32_e32 vcc, s99, v73
	s_and_b64 s[36:37], s[64:65], vcc
	s_and_saveexec_b64 s[38:39], s[36:37]
	s_cbranch_execz .LBB74_47
; %bb.46:                               ;   in Loop: Header=BB74_11 Depth=1
	v_mul_f32_e32 v4, 0x3fb8aa3b, v73
	v_rndne_f32_e32 v15, v4
	v_sub_f32_e32 v16, v4, v15
	v_fma_f32 v4, v73, s40, -v4
	v_fmac_f32_e32 v4, 0x32a5705f, v73
	v_add_f32_e32 v4, v16, v4
	v_cvt_i32_f32_e32 v15, v15
	v_exp_f32_e32 v4, v4
	v_cmp_ngt_f32_e32 vcc, s41, v73
	v_ldexp_f32 v4, v4, v15
	s_nop 0
	v_cndmask_b32_e32 v4, 0, v4, vcc
	v_cmp_nlt_f32_e32 vcc, s42, v73
	s_nop 1
	v_cndmask_b32_e32 v30, v68, v4, vcc
	v_add_f32_e32 v4, 1.0, v30
	v_add_f32_e32 v15, -1.0, v4
	v_sub_f32_e32 v16, v15, v4
	v_add_f32_e32 v16, 1.0, v16
	v_sub_f32_e32 v15, v30, v15
	v_add_f32_e32 v15, v15, v16
	v_frexp_mant_f32_e32 v18, v4
	v_cvt_f64_f32_e32 v[16:17], v4
	v_frexp_exp_i32_f64_e32 v16, v[16:17]
	v_cmp_gt_f32_e32 vcc, s97, v18
	v_cmp_gt_f32_e64 s[36:37], s67, v30
	s_nop 0
	v_subbrev_co_u32_e32 v24, vcc, 0, v16, vcc
	v_sub_u32_e32 v16, 0, v24
	v_ldexp_f32 v4, v4, v16
	v_ldexp_f32 v15, v15, v16
	v_add_f32_e32 v16, -1.0, v4
	v_add_f32_e32 v17, 1.0, v16
	v_sub_f32_e32 v17, v4, v17
	v_add_f32_e32 v18, v15, v17
	v_add_f32_e32 v17, 1.0, v4
	v_add_f32_e32 v19, -1.0, v17
	v_sub_f32_e32 v4, v4, v19
	v_add_f32_e32 v4, v15, v4
	v_add_f32_e32 v15, v17, v4
	v_rcp_f32_e32 v25, v15
	v_sub_f32_e32 v17, v17, v15
	v_add_f32_e32 v4, v4, v17
	v_add_f32_e32 v17, v16, v18
	v_sub_f32_e32 v16, v16, v17
	v_mul_f32_e32 v27, v17, v25
	v_add_f32_e32 v26, v18, v16
	v_mul_f32_e32 v18, v15, v27
	v_fma_f32 v20, v27, v15, -v18
	v_fmac_f32_e32 v20, v27, v4
	v_add_f32_e32 v16, v18, v20
	v_sub_f32_e32 v19, v17, v16
	v_pk_add_f32 v[22:23], v[16:17], v[18:19] neg_lo:[0,1] neg_hi:[0,1]
	v_mov_b32_e32 v21, v16
	v_pk_add_f32 v[16:17], v[22:23], v[20:21] neg_lo:[0,1] neg_hi:[0,1]
	v_cmp_eq_f32_e32 vcc, s43, v30
	v_add_f32_e32 v17, v26, v17
	v_add_f32_e32 v16, v16, v17
	;; [unrolled: 1-line block ×3, first 2 shown]
	v_mul_f32_e32 v26, v25, v17
	v_mul_f32_e32 v18, v15, v26
	v_fma_f32 v20, v26, v15, -v18
	v_fmac_f32_e32 v20, v26, v4
	v_sub_f32_e32 v4, v19, v17
	v_add_f32_e32 v4, v16, v4
	v_add_f32_e32 v16, v18, v20
	v_sub_f32_e32 v19, v17, v16
	v_pk_add_f32 v[22:23], v[16:17], v[18:19] neg_lo:[0,1] neg_hi:[0,1]
	v_mov_b32_e32 v21, v16
	v_pk_add_f32 v[16:17], v[22:23], v[20:21] neg_lo:[0,1] neg_hi:[0,1]
	s_or_b64 vcc, s[36:37], vcc
	v_add_f32_e32 v4, v4, v17
	v_add_f32_e32 v4, v16, v4
	;; [unrolled: 1-line block ×4, first 2 shown]
	v_sub_f32_e32 v15, v17, v27
	v_mul_f32_e32 v4, v25, v4
	v_sub_f32_e32 v15, v26, v15
	v_add_f32_e32 v4, v15, v4
	v_add_f32_e32 v18, v17, v4
	v_cvt_f32_i32_e32 v16, v24
	v_mul_f32_e32 v20, v18, v18
	v_fmamk_f32 v15, v20, 0x3e9b6dac, v67
	v_sub_f32_e32 v17, v18, v17
	v_fmaak_f32 v15, v20, v15, 0x3f2aaada
	v_sub_f32_e32 v4, v4, v17
	v_mul_f32_e32 v17, v18, v20
	v_pk_mul_f32 v[20:21], v[16:17], v[14:15]
	v_ldexp_f32 v19, v18, 1
	v_fma_f32 v18, v16, s95, -v20
	v_fmac_f32_e32 v18, 0xb102e308, v16
	v_pk_add_f32 v[16:17], v[20:21], v[18:19]
	v_ldexp_f32 v4, v4, 1
	v_sub_f32_e32 v15, v17, v19
	v_sub_f32_e32 v15, v21, v15
	v_add_f32_e32 v23, v4, v15
	v_mov_b32_e32 v22, v20
	v_pk_add_f32 v[20:21], v[16:17], v[20:21] neg_lo:[0,1] neg_hi:[0,1]
	v_pk_add_f32 v[24:25], v[16:17], v[22:23]
	v_mov_b32_e32 v19, v16
	v_mov_b32_e32 v21, v25
	v_pk_add_f32 v[26:27], v[18:19], v[20:21] neg_lo:[0,1] neg_hi:[0,1]
	v_pk_add_f32 v[18:19], v[18:19], v[20:21]
	s_nop 0
	v_mov_b32_e32 v4, v19
	v_pk_add_f32 v[20:21], v[4:5], v[16:17] neg_lo:[0,1] neg_hi:[0,1]
	v_mov_b32_e32 v18, v25
	v_mov_b32_e32 v15, v20
	v_pk_add_f32 v[28:29], v[24:25], v[14:15] neg_lo:[0,1] neg_hi:[0,1]
	v_mov_b32_e32 v24, v17
	v_mov_b32_e32 v25, v20
	;; [unrolled: 1-line block ×3, first 2 shown]
	v_pk_add_f32 v[18:19], v[18:19], v[24:25] neg_lo:[0,1] neg_hi:[0,1]
	v_mov_b32_e32 v20, v23
	v_mov_b32_e32 v21, v16
	v_pk_add_f32 v[16:17], v[20:21], v[18:19] neg_lo:[0,1] neg_hi:[0,1]
	v_mov_b32_e32 v28, v26
	v_pk_add_f32 v[18:19], v[28:29], v[16:17]
	s_nop 0
	v_mov_b32_e32 v20, v19
	v_pk_add_f32 v[20:21], v[18:19], v[20:21]
	s_nop 0
	v_pk_add_f32 v[22:23], v[4:5], v[20:21]
	v_mov_b32_e32 v17, v20
	v_mov_b32_e32 v19, v22
	v_pk_add_f32 v[24:25], v[18:19], v[26:27] neg_lo:[0,1] neg_hi:[0,1]
	s_nop 0
	v_sub_f32_e32 v4, v18, v24
	v_pk_add_f32 v[16:17], v[16:17], v[24:25] neg_lo:[0,1] neg_hi:[0,1]
	v_sub_f32_e32 v4, v26, v4
	v_add_f32_e32 v4, v16, v4
	v_add_f32_e32 v4, v4, v17
	v_add_f32_e32 v4, v22, v4
	v_cndmask_b32_e32 v73, v4, v30, vcc
.LBB74_47:                              ;   in Loop: Header=BB74_11 Depth=1
	s_or_b64 exec, exec, s[38:39]
	v_cvt_f32_f16_sdwa v4, v5 dst_sel:DWORD dst_unused:UNUSED_PAD src0_sel:WORD_1
	v_add_f32_e32 v74, s33, v4
	v_cmp_ge_f32_e32 vcc, s99, v74
	s_and_b64 s[36:37], s[64:65], vcc
	s_and_saveexec_b64 s[38:39], s[36:37]
	s_cbranch_execz .LBB74_49
; %bb.48:                               ;   in Loop: Header=BB74_11 Depth=1
	v_mul_f32_e32 v4, 0x3fb8aa3b, v74
	v_rndne_f32_e32 v5, v4
	v_sub_f32_e32 v15, v4, v5
	v_fma_f32 v4, v74, s40, -v4
	v_fmac_f32_e32 v4, 0x32a5705f, v74
	v_add_f32_e32 v4, v15, v4
	v_cvt_i32_f32_e32 v5, v5
	v_exp_f32_e32 v4, v4
	v_cmp_ngt_f32_e32 vcc, s41, v74
	v_ldexp_f32 v4, v4, v5
	s_nop 0
	v_cndmask_b32_e32 v4, 0, v4, vcc
	v_cmp_nlt_f32_e32 vcc, s42, v74
	s_nop 1
	v_cndmask_b32_e32 v30, v68, v4, vcc
	v_add_f32_e32 v15, 1.0, v30
	v_add_f32_e32 v4, -1.0, v15
	v_sub_f32_e32 v5, v4, v15
	v_add_f32_e32 v5, 1.0, v5
	v_sub_f32_e32 v4, v30, v4
	v_add_f32_e32 v16, v4, v5
	v_frexp_mant_f32_e32 v17, v15
	v_cvt_f64_f32_e32 v[4:5], v15
	v_frexp_exp_i32_f64_e32 v4, v[4:5]
	v_cmp_gt_f32_e32 vcc, s97, v17
	v_cmp_gt_f32_e64 s[36:37], s67, v30
	s_nop 0
	v_subbrev_co_u32_e32 v22, vcc, 0, v4, vcc
	v_sub_u32_e32 v4, 0, v22
	v_ldexp_f32 v5, v15, v4
	v_add_f32_e32 v15, -1.0, v5
	v_add_f32_e32 v17, 1.0, v5
	v_ldexp_f32 v4, v16, v4
	v_add_f32_e32 v16, 1.0, v15
	v_add_f32_e32 v18, -1.0, v17
	v_sub_f32_e32 v16, v5, v16
	v_sub_f32_e32 v5, v5, v18
	v_add_f32_e32 v16, v4, v16
	v_add_f32_e32 v4, v4, v5
	;; [unrolled: 1-line block ×3, first 2 shown]
	v_rcp_f32_e32 v25, v23
	v_sub_f32_e32 v5, v17, v23
	v_add_f32_e32 v24, v4, v5
	v_add_f32_e32 v5, v15, v16
	v_sub_f32_e32 v4, v15, v5
	v_mul_f32_e32 v26, v5, v25
	v_add_f32_e32 v15, v16, v4
	v_mul_f32_e32 v16, v23, v26
	v_fma_f32 v18, v26, v23, -v16
	v_fmac_f32_e32 v18, v26, v24
	v_add_f32_e32 v4, v16, v18
	v_sub_f32_e32 v17, v5, v4
	v_pk_add_f32 v[20:21], v[4:5], v[16:17] neg_lo:[0,1] neg_hi:[0,1]
	v_mov_b32_e32 v19, v4
	v_pk_add_f32 v[4:5], v[20:21], v[18:19] neg_lo:[0,1] neg_hi:[0,1]
	v_cmp_eq_f32_e32 vcc, s43, v30
	v_add_f32_e32 v5, v15, v5
	v_add_f32_e32 v4, v4, v5
	v_add_f32_e32 v5, v17, v4
	v_mul_f32_e32 v15, v25, v5
	v_mul_f32_e32 v16, v23, v15
	v_fma_f32 v18, v15, v23, -v16
	v_fmac_f32_e32 v18, v15, v24
	v_sub_f32_e32 v17, v17, v5
	v_add_f32_e32 v23, v4, v17
	v_add_f32_e32 v4, v16, v18
	v_sub_f32_e32 v17, v5, v4
	v_pk_add_f32 v[20:21], v[4:5], v[16:17] neg_lo:[0,1] neg_hi:[0,1]
	v_mov_b32_e32 v19, v4
	v_pk_add_f32 v[4:5], v[20:21], v[18:19] neg_lo:[0,1] neg_hi:[0,1]
	s_or_b64 vcc, s[36:37], vcc
	v_add_f32_e32 v5, v23, v5
	v_add_f32_e32 v4, v4, v5
	;; [unrolled: 1-line block ×4, first 2 shown]
	v_sub_f32_e32 v16, v5, v26
	v_mul_f32_e32 v4, v25, v4
	v_sub_f32_e32 v15, v15, v16
	v_add_f32_e32 v16, v15, v4
	v_add_f32_e32 v18, v5, v16
	v_mul_f32_e32 v19, v18, v18
	v_fmamk_f32 v4, v19, 0x3e9b6dac, v67
	v_fmaak_f32 v15, v19, v4, 0x3f2aaada
	v_cvt_f32_i32_e32 v4, v22
	v_sub_f32_e32 v5, v18, v5
	v_sub_f32_e32 v5, v16, v5
	v_ldexp_f32 v20, v5, 1
	v_mul_f32_e32 v5, v18, v19
	v_ldexp_f32 v17, v18, 1
	v_pk_mul_f32 v[18:19], v[4:5], v[14:15]
	s_nop 0
	v_fma_f32 v16, v4, s95, -v18
	v_fmac_f32_e32 v16, 0xb102e308, v4
	v_pk_add_f32 v[4:5], v[18:19], v[16:17]
	s_nop 0
	v_sub_f32_e32 v15, v5, v17
	v_sub_f32_e32 v15, v19, v15
	v_add_f32_e32 v21, v20, v15
	v_mov_b32_e32 v20, v18
	v_pk_add_f32 v[18:19], v[4:5], v[18:19] neg_lo:[0,1] neg_hi:[0,1]
	v_pk_add_f32 v[22:23], v[4:5], v[20:21]
	v_mov_b32_e32 v17, v4
	v_mov_b32_e32 v19, v23
	v_pk_add_f32 v[24:25], v[16:17], v[18:19] neg_lo:[0,1] neg_hi:[0,1]
	v_pk_add_f32 v[16:17], v[16:17], v[18:19]
	v_mov_b32_e32 v20, v21
	v_mov_b32_e32 v18, v17
	v_pk_add_f32 v[26:27], v[18:19], v[4:5] neg_lo:[0,1] neg_hi:[0,1]
	v_mov_b32_e32 v16, v23
	v_mov_b32_e32 v15, v26
	v_pk_add_f32 v[28:29], v[22:23], v[14:15] neg_lo:[0,1] neg_hi:[0,1]
	v_mov_b32_e32 v22, v5
	v_mov_b32_e32 v23, v26
	;; [unrolled: 1-line block ×3, first 2 shown]
	v_pk_add_f32 v[16:17], v[16:17], v[22:23] neg_lo:[0,1] neg_hi:[0,1]
	v_mov_b32_e32 v21, v4
	v_pk_add_f32 v[4:5], v[20:21], v[16:17] neg_lo:[0,1] neg_hi:[0,1]
	v_mov_b32_e32 v28, v24
	v_pk_add_f32 v[16:17], v[28:29], v[4:5]
	s_nop 0
	v_mov_b32_e32 v20, v17
	v_pk_add_f32 v[20:21], v[16:17], v[20:21]
	s_nop 0
	v_pk_add_f32 v[18:19], v[18:19], v[20:21]
	v_mov_b32_e32 v5, v20
	v_mov_b32_e32 v17, v18
	v_pk_add_f32 v[22:23], v[16:17], v[24:25] neg_lo:[0,1] neg_hi:[0,1]
	s_nop 0
	v_sub_f32_e32 v15, v16, v22
	v_pk_add_f32 v[4:5], v[4:5], v[22:23] neg_lo:[0,1] neg_hi:[0,1]
	v_sub_f32_e32 v15, v24, v15
	v_add_f32_e32 v4, v4, v15
	v_add_f32_e32 v4, v4, v5
	;; [unrolled: 1-line block ×3, first 2 shown]
	v_cndmask_b32_e32 v74, v4, v30, vcc
.LBB74_49:                              ;   in Loop: Header=BB74_11 Depth=1
	s_or_b64 exec, exec, s[38:39]
	v_cvt_f32_f16_e32 v4, v6
	v_add_f32_e32 v75, s33, v4
	v_cmp_ge_f32_e32 vcc, s99, v75
	s_and_b64 s[36:37], s[64:65], vcc
	s_and_saveexec_b64 s[38:39], s[36:37]
	s_cbranch_execz .LBB74_51
; %bb.50:                               ;   in Loop: Header=BB74_11 Depth=1
	v_mul_f32_e32 v4, 0x3fb8aa3b, v75
	v_rndne_f32_e32 v5, v4
	v_sub_f32_e32 v15, v4, v5
	v_fma_f32 v4, v75, s40, -v4
	v_fmac_f32_e32 v4, 0x32a5705f, v75
	v_add_f32_e32 v4, v15, v4
	v_cvt_i32_f32_e32 v5, v5
	v_exp_f32_e32 v4, v4
	v_cmp_ngt_f32_e32 vcc, s41, v75
	v_ldexp_f32 v4, v4, v5
	s_nop 0
	v_cndmask_b32_e32 v4, 0, v4, vcc
	v_cmp_nlt_f32_e32 vcc, s42, v75
	s_nop 1
	v_cndmask_b32_e32 v30, v68, v4, vcc
	v_add_f32_e32 v15, 1.0, v30
	v_add_f32_e32 v4, -1.0, v15
	v_sub_f32_e32 v5, v4, v15
	v_add_f32_e32 v5, 1.0, v5
	v_sub_f32_e32 v4, v30, v4
	v_add_f32_e32 v16, v4, v5
	v_frexp_mant_f32_e32 v17, v15
	v_cvt_f64_f32_e32 v[4:5], v15
	v_frexp_exp_i32_f64_e32 v4, v[4:5]
	v_cmp_gt_f32_e32 vcc, s97, v17
	v_cmp_gt_f32_e64 s[36:37], s67, v30
	s_nop 0
	v_subbrev_co_u32_e32 v22, vcc, 0, v4, vcc
	v_sub_u32_e32 v4, 0, v22
	v_ldexp_f32 v5, v15, v4
	v_add_f32_e32 v15, -1.0, v5
	v_add_f32_e32 v17, 1.0, v5
	v_ldexp_f32 v4, v16, v4
	v_add_f32_e32 v16, 1.0, v15
	v_add_f32_e32 v18, -1.0, v17
	v_sub_f32_e32 v16, v5, v16
	v_sub_f32_e32 v5, v5, v18
	v_add_f32_e32 v16, v4, v16
	v_add_f32_e32 v4, v4, v5
	;; [unrolled: 1-line block ×3, first 2 shown]
	v_rcp_f32_e32 v25, v23
	v_sub_f32_e32 v5, v17, v23
	v_add_f32_e32 v24, v4, v5
	v_add_f32_e32 v5, v15, v16
	v_sub_f32_e32 v4, v15, v5
	v_mul_f32_e32 v26, v5, v25
	v_add_f32_e32 v15, v16, v4
	v_mul_f32_e32 v16, v23, v26
	v_fma_f32 v18, v26, v23, -v16
	v_fmac_f32_e32 v18, v26, v24
	v_add_f32_e32 v4, v16, v18
	v_sub_f32_e32 v17, v5, v4
	v_pk_add_f32 v[20:21], v[4:5], v[16:17] neg_lo:[0,1] neg_hi:[0,1]
	v_mov_b32_e32 v19, v4
	v_pk_add_f32 v[4:5], v[20:21], v[18:19] neg_lo:[0,1] neg_hi:[0,1]
	v_cmp_eq_f32_e32 vcc, s43, v30
	v_add_f32_e32 v5, v15, v5
	v_add_f32_e32 v4, v4, v5
	;; [unrolled: 1-line block ×3, first 2 shown]
	v_mul_f32_e32 v15, v25, v5
	v_mul_f32_e32 v16, v23, v15
	v_fma_f32 v18, v15, v23, -v16
	v_fmac_f32_e32 v18, v15, v24
	v_sub_f32_e32 v17, v17, v5
	v_add_f32_e32 v23, v4, v17
	v_add_f32_e32 v4, v16, v18
	v_sub_f32_e32 v17, v5, v4
	v_pk_add_f32 v[20:21], v[4:5], v[16:17] neg_lo:[0,1] neg_hi:[0,1]
	v_mov_b32_e32 v19, v4
	v_pk_add_f32 v[4:5], v[20:21], v[18:19] neg_lo:[0,1] neg_hi:[0,1]
	s_or_b64 vcc, s[36:37], vcc
	v_add_f32_e32 v5, v23, v5
	v_add_f32_e32 v4, v4, v5
	;; [unrolled: 1-line block ×4, first 2 shown]
	v_sub_f32_e32 v16, v5, v26
	v_mul_f32_e32 v4, v25, v4
	v_sub_f32_e32 v15, v15, v16
	v_add_f32_e32 v16, v15, v4
	v_add_f32_e32 v18, v5, v16
	v_mul_f32_e32 v19, v18, v18
	v_fmamk_f32 v4, v19, 0x3e9b6dac, v67
	v_fmaak_f32 v15, v19, v4, 0x3f2aaada
	v_cvt_f32_i32_e32 v4, v22
	v_sub_f32_e32 v5, v18, v5
	v_sub_f32_e32 v5, v16, v5
	v_ldexp_f32 v20, v5, 1
	v_mul_f32_e32 v5, v18, v19
	v_ldexp_f32 v17, v18, 1
	v_pk_mul_f32 v[18:19], v[4:5], v[14:15]
	s_nop 0
	v_fma_f32 v16, v4, s95, -v18
	v_fmac_f32_e32 v16, 0xb102e308, v4
	v_pk_add_f32 v[4:5], v[18:19], v[16:17]
	s_nop 0
	v_sub_f32_e32 v15, v5, v17
	v_sub_f32_e32 v15, v19, v15
	v_add_f32_e32 v21, v20, v15
	v_mov_b32_e32 v20, v18
	v_pk_add_f32 v[18:19], v[4:5], v[18:19] neg_lo:[0,1] neg_hi:[0,1]
	v_pk_add_f32 v[22:23], v[4:5], v[20:21]
	v_mov_b32_e32 v17, v4
	v_mov_b32_e32 v19, v23
	v_pk_add_f32 v[24:25], v[16:17], v[18:19] neg_lo:[0,1] neg_hi:[0,1]
	v_pk_add_f32 v[16:17], v[16:17], v[18:19]
	v_mov_b32_e32 v20, v21
	v_mov_b32_e32 v18, v17
	v_pk_add_f32 v[26:27], v[18:19], v[4:5] neg_lo:[0,1] neg_hi:[0,1]
	v_mov_b32_e32 v16, v23
	v_mov_b32_e32 v15, v26
	v_pk_add_f32 v[28:29], v[22:23], v[14:15] neg_lo:[0,1] neg_hi:[0,1]
	v_mov_b32_e32 v22, v5
	v_mov_b32_e32 v23, v26
	;; [unrolled: 1-line block ×3, first 2 shown]
	v_pk_add_f32 v[16:17], v[16:17], v[22:23] neg_lo:[0,1] neg_hi:[0,1]
	v_mov_b32_e32 v21, v4
	v_pk_add_f32 v[4:5], v[20:21], v[16:17] neg_lo:[0,1] neg_hi:[0,1]
	v_mov_b32_e32 v28, v24
	v_pk_add_f32 v[16:17], v[28:29], v[4:5]
	s_nop 0
	v_mov_b32_e32 v20, v17
	v_pk_add_f32 v[20:21], v[16:17], v[20:21]
	s_nop 0
	v_pk_add_f32 v[18:19], v[18:19], v[20:21]
	v_mov_b32_e32 v5, v20
	v_mov_b32_e32 v17, v18
	v_pk_add_f32 v[22:23], v[16:17], v[24:25] neg_lo:[0,1] neg_hi:[0,1]
	s_nop 0
	v_sub_f32_e32 v15, v16, v22
	v_pk_add_f32 v[4:5], v[4:5], v[22:23] neg_lo:[0,1] neg_hi:[0,1]
	v_sub_f32_e32 v15, v24, v15
	v_add_f32_e32 v4, v4, v15
	v_add_f32_e32 v4, v4, v5
	;; [unrolled: 1-line block ×3, first 2 shown]
	v_cndmask_b32_e32 v75, v4, v30, vcc
.LBB74_51:                              ;   in Loop: Header=BB74_11 Depth=1
	s_or_b64 exec, exec, s[38:39]
	v_cvt_f32_f16_sdwa v4, v6 dst_sel:DWORD dst_unused:UNUSED_PAD src0_sel:WORD_1
	v_add_f32_e32 v76, s33, v4
	v_cmp_ge_f32_e32 vcc, s99, v76
	s_and_b64 s[36:37], s[64:65], vcc
	s_and_saveexec_b64 s[38:39], s[36:37]
	s_cbranch_execz .LBB74_53
; %bb.52:                               ;   in Loop: Header=BB74_11 Depth=1
	v_mul_f32_e32 v4, 0x3fb8aa3b, v76
	v_rndne_f32_e32 v5, v4
	v_sub_f32_e32 v6, v4, v5
	v_fma_f32 v4, v76, s40, -v4
	v_fmac_f32_e32 v4, 0x32a5705f, v76
	v_add_f32_e32 v4, v6, v4
	v_cvt_i32_f32_e32 v5, v5
	v_exp_f32_e32 v4, v4
	v_cmp_ngt_f32_e32 vcc, s41, v76
	v_ldexp_f32 v4, v4, v5
	s_nop 0
	v_cndmask_b32_e32 v4, 0, v4, vcc
	v_cmp_nlt_f32_e32 vcc, s42, v76
	s_nop 1
	v_cndmask_b32_e32 v28, v68, v4, vcc
	v_add_f32_e32 v6, 1.0, v28
	v_add_f32_e32 v4, -1.0, v6
	v_sub_f32_e32 v5, v4, v6
	v_add_f32_e32 v5, 1.0, v5
	v_sub_f32_e32 v4, v28, v4
	v_add_f32_e32 v15, v4, v5
	v_frexp_mant_f32_e32 v16, v6
	v_cvt_f64_f32_e32 v[4:5], v6
	v_frexp_exp_i32_f64_e32 v4, v[4:5]
	v_cmp_gt_f32_e32 vcc, s97, v16
	v_cmp_gt_f32_e64 s[36:37], s67, v28
	s_nop 0
	v_subbrev_co_u32_e32 v22, vcc, 0, v4, vcc
	v_sub_u32_e32 v4, 0, v22
	v_ldexp_f32 v5, v6, v4
	v_add_f32_e32 v6, -1.0, v5
	v_add_f32_e32 v16, 1.0, v5
	v_ldexp_f32 v4, v15, v4
	v_add_f32_e32 v15, 1.0, v6
	v_add_f32_e32 v17, -1.0, v16
	v_sub_f32_e32 v15, v5, v15
	v_sub_f32_e32 v5, v5, v17
	v_add_f32_e32 v15, v4, v15
	v_add_f32_e32 v4, v4, v5
	;; [unrolled: 1-line block ×3, first 2 shown]
	v_rcp_f32_e32 v25, v23
	v_sub_f32_e32 v5, v16, v23
	v_add_f32_e32 v24, v4, v5
	v_add_f32_e32 v5, v6, v15
	v_sub_f32_e32 v4, v6, v5
	v_add_f32_e32 v6, v15, v4
	v_mul_f32_e32 v15, v5, v25
	v_mul_f32_e32 v16, v23, v15
	v_fma_f32 v18, v15, v23, -v16
	v_fmac_f32_e32 v18, v15, v24
	v_add_f32_e32 v4, v16, v18
	v_sub_f32_e32 v17, v5, v4
	v_pk_add_f32 v[20:21], v[4:5], v[16:17] neg_lo:[0,1] neg_hi:[0,1]
	v_mov_b32_e32 v19, v4
	v_pk_add_f32 v[4:5], v[20:21], v[18:19] neg_lo:[0,1] neg_hi:[0,1]
	v_cmp_eq_f32_e32 vcc, s43, v28
	v_add_f32_e32 v5, v6, v5
	v_add_f32_e32 v4, v4, v5
	v_add_f32_e32 v5, v17, v4
	v_mul_f32_e32 v6, v25, v5
	v_mul_f32_e32 v16, v23, v6
	v_fma_f32 v18, v6, v23, -v16
	v_fmac_f32_e32 v18, v6, v24
	v_sub_f32_e32 v17, v17, v5
	v_add_f32_e32 v23, v4, v17
	v_add_f32_e32 v4, v16, v18
	v_sub_f32_e32 v17, v5, v4
	v_pk_add_f32 v[20:21], v[4:5], v[16:17] neg_lo:[0,1] neg_hi:[0,1]
	v_mov_b32_e32 v19, v4
	v_pk_add_f32 v[4:5], v[20:21], v[18:19] neg_lo:[0,1] neg_hi:[0,1]
	s_or_b64 vcc, s[36:37], vcc
	v_add_f32_e32 v5, v23, v5
	v_add_f32_e32 v4, v4, v5
	;; [unrolled: 1-line block ×4, first 2 shown]
	v_sub_f32_e32 v15, v5, v15
	v_mul_f32_e32 v4, v25, v4
	v_sub_f32_e32 v6, v6, v15
	v_add_f32_e32 v6, v6, v4
	v_add_f32_e32 v16, v5, v6
	v_mul_f32_e32 v18, v16, v16
	v_fmamk_f32 v4, v18, 0x3e9b6dac, v67
	v_fmaak_f32 v15, v18, v4, 0x3f2aaada
	v_cvt_f32_i32_e32 v4, v22
	v_sub_f32_e32 v5, v16, v5
	v_sub_f32_e32 v5, v6, v5
	v_ldexp_f32 v6, v5, 1
	v_mul_f32_e32 v5, v16, v18
	v_pk_mul_f32 v[18:19], v[4:5], v[14:15]
	v_ldexp_f32 v17, v16, 1
	v_fma_f32 v16, v4, s95, -v18
	v_fmac_f32_e32 v16, 0xb102e308, v4
	v_pk_add_f32 v[4:5], v[18:19], v[16:17]
	v_mov_b32_e32 v20, v18
	v_sub_f32_e32 v15, v5, v17
	v_sub_f32_e32 v15, v19, v15
	v_add_f32_e32 v21, v6, v15
	v_pk_add_f32 v[18:19], v[4:5], v[18:19] neg_lo:[0,1] neg_hi:[0,1]
	v_pk_add_f32 v[22:23], v[4:5], v[20:21]
	v_mov_b32_e32 v17, v4
	v_mov_b32_e32 v19, v23
	v_pk_add_f32 v[24:25], v[16:17], v[18:19] neg_lo:[0,1] neg_hi:[0,1]
	v_pk_add_f32 v[16:17], v[16:17], v[18:19]
	s_nop 0
	v_mov_b32_e32 v6, v17
	v_pk_add_f32 v[18:19], v[6:7], v[4:5] neg_lo:[0,1] neg_hi:[0,1]
	v_mov_b32_e32 v16, v23
	v_mov_b32_e32 v15, v18
	v_pk_add_f32 v[26:27], v[22:23], v[14:15] neg_lo:[0,1] neg_hi:[0,1]
	v_mov_b32_e32 v22, v5
	v_mov_b32_e32 v23, v18
	;; [unrolled: 1-line block ×3, first 2 shown]
	v_pk_add_f32 v[16:17], v[16:17], v[22:23] neg_lo:[0,1] neg_hi:[0,1]
	v_mov_b32_e32 v18, v21
	v_mov_b32_e32 v19, v4
	v_pk_add_f32 v[4:5], v[18:19], v[16:17] neg_lo:[0,1] neg_hi:[0,1]
	v_mov_b32_e32 v26, v24
	v_pk_add_f32 v[16:17], v[26:27], v[4:5]
	s_nop 0
	v_mov_b32_e32 v18, v17
	v_pk_add_f32 v[18:19], v[16:17], v[18:19]
	s_nop 0
	v_pk_add_f32 v[20:21], v[6:7], v[18:19]
	v_mov_b32_e32 v5, v18
	v_mov_b32_e32 v17, v20
	v_pk_add_f32 v[22:23], v[16:17], v[24:25] neg_lo:[0,1] neg_hi:[0,1]
	s_nop 0
	v_sub_f32_e32 v6, v16, v22
	v_pk_add_f32 v[4:5], v[4:5], v[22:23] neg_lo:[0,1] neg_hi:[0,1]
	v_sub_f32_e32 v6, v24, v6
	v_add_f32_e32 v4, v4, v6
	v_add_f32_e32 v4, v4, v5
	v_add_f32_e32 v4, v20, v4
	v_cndmask_b32_e32 v76, v4, v28, vcc
.LBB74_53:                              ;   in Loop: Header=BB74_11 Depth=1
	s_or_b64 exec, exec, s[38:39]
	v_cvt_f32_f16_e32 v4, v7
	v_add_f32_e32 v77, s33, v4
	v_cmp_ge_f32_e32 vcc, s99, v77
	s_and_b64 s[36:37], s[64:65], vcc
	s_and_saveexec_b64 s[38:39], s[36:37]
	s_cbranch_execz .LBB74_55
; %bb.54:                               ;   in Loop: Header=BB74_11 Depth=1
	v_mul_f32_e32 v4, 0x3fb8aa3b, v77
	v_rndne_f32_e32 v5, v4
	v_sub_f32_e32 v6, v4, v5
	v_fma_f32 v4, v77, s40, -v4
	v_fmac_f32_e32 v4, 0x32a5705f, v77
	v_add_f32_e32 v4, v6, v4
	v_cvt_i32_f32_e32 v5, v5
	v_exp_f32_e32 v4, v4
	v_cmp_ngt_f32_e32 vcc, s41, v77
	v_ldexp_f32 v4, v4, v5
	s_nop 0
	v_cndmask_b32_e32 v4, 0, v4, vcc
	v_cmp_nlt_f32_e32 vcc, s42, v77
	s_nop 1
	v_cndmask_b32_e32 v28, v68, v4, vcc
	v_add_f32_e32 v6, 1.0, v28
	v_add_f32_e32 v4, -1.0, v6
	v_sub_f32_e32 v5, v4, v6
	v_add_f32_e32 v5, 1.0, v5
	v_sub_f32_e32 v4, v28, v4
	v_add_f32_e32 v15, v4, v5
	v_frexp_mant_f32_e32 v16, v6
	v_cvt_f64_f32_e32 v[4:5], v6
	v_frexp_exp_i32_f64_e32 v4, v[4:5]
	v_cmp_gt_f32_e32 vcc, s97, v16
	v_cmp_gt_f32_e64 s[36:37], s67, v28
	s_nop 0
	v_subbrev_co_u32_e32 v22, vcc, 0, v4, vcc
	v_sub_u32_e32 v4, 0, v22
	v_ldexp_f32 v5, v6, v4
	v_add_f32_e32 v6, -1.0, v5
	v_add_f32_e32 v16, 1.0, v5
	v_ldexp_f32 v4, v15, v4
	v_add_f32_e32 v15, 1.0, v6
	v_add_f32_e32 v17, -1.0, v16
	v_sub_f32_e32 v15, v5, v15
	v_sub_f32_e32 v5, v5, v17
	v_add_f32_e32 v15, v4, v15
	v_add_f32_e32 v4, v4, v5
	;; [unrolled: 1-line block ×3, first 2 shown]
	v_rcp_f32_e32 v25, v23
	v_sub_f32_e32 v5, v16, v23
	v_add_f32_e32 v24, v4, v5
	v_add_f32_e32 v5, v6, v15
	v_sub_f32_e32 v4, v6, v5
	v_add_f32_e32 v6, v15, v4
	v_mul_f32_e32 v15, v5, v25
	v_mul_f32_e32 v16, v23, v15
	v_fma_f32 v18, v15, v23, -v16
	v_fmac_f32_e32 v18, v15, v24
	v_add_f32_e32 v4, v16, v18
	v_sub_f32_e32 v17, v5, v4
	v_pk_add_f32 v[20:21], v[4:5], v[16:17] neg_lo:[0,1] neg_hi:[0,1]
	v_mov_b32_e32 v19, v4
	v_pk_add_f32 v[4:5], v[20:21], v[18:19] neg_lo:[0,1] neg_hi:[0,1]
	v_cmp_eq_f32_e32 vcc, s43, v28
	v_add_f32_e32 v5, v6, v5
	v_add_f32_e32 v4, v4, v5
	;; [unrolled: 1-line block ×3, first 2 shown]
	v_mul_f32_e32 v6, v25, v5
	v_mul_f32_e32 v16, v23, v6
	v_fma_f32 v18, v6, v23, -v16
	v_fmac_f32_e32 v18, v6, v24
	v_sub_f32_e32 v17, v17, v5
	v_add_f32_e32 v23, v4, v17
	v_add_f32_e32 v4, v16, v18
	v_sub_f32_e32 v17, v5, v4
	v_pk_add_f32 v[20:21], v[4:5], v[16:17] neg_lo:[0,1] neg_hi:[0,1]
	v_mov_b32_e32 v19, v4
	v_pk_add_f32 v[4:5], v[20:21], v[18:19] neg_lo:[0,1] neg_hi:[0,1]
	s_or_b64 vcc, s[36:37], vcc
	v_add_f32_e32 v5, v23, v5
	v_add_f32_e32 v4, v4, v5
	;; [unrolled: 1-line block ×4, first 2 shown]
	v_sub_f32_e32 v15, v5, v15
	v_mul_f32_e32 v4, v25, v4
	v_sub_f32_e32 v6, v6, v15
	v_add_f32_e32 v6, v6, v4
	v_add_f32_e32 v16, v5, v6
	v_mul_f32_e32 v18, v16, v16
	v_fmamk_f32 v4, v18, 0x3e9b6dac, v67
	v_fmaak_f32 v15, v18, v4, 0x3f2aaada
	v_cvt_f32_i32_e32 v4, v22
	v_sub_f32_e32 v5, v16, v5
	v_sub_f32_e32 v5, v6, v5
	v_ldexp_f32 v6, v5, 1
	v_mul_f32_e32 v5, v16, v18
	v_pk_mul_f32 v[18:19], v[4:5], v[14:15]
	v_ldexp_f32 v17, v16, 1
	v_fma_f32 v16, v4, s95, -v18
	v_fmac_f32_e32 v16, 0xb102e308, v4
	v_pk_add_f32 v[4:5], v[18:19], v[16:17]
	v_mov_b32_e32 v20, v18
	v_sub_f32_e32 v15, v5, v17
	v_sub_f32_e32 v15, v19, v15
	v_add_f32_e32 v21, v6, v15
	v_pk_add_f32 v[18:19], v[4:5], v[18:19] neg_lo:[0,1] neg_hi:[0,1]
	v_pk_add_f32 v[22:23], v[4:5], v[20:21]
	v_mov_b32_e32 v17, v4
	v_mov_b32_e32 v19, v23
	v_pk_add_f32 v[24:25], v[16:17], v[18:19] neg_lo:[0,1] neg_hi:[0,1]
	v_pk_add_f32 v[16:17], v[16:17], v[18:19]
	s_nop 0
	v_mov_b32_e32 v6, v17
	v_pk_add_f32 v[18:19], v[6:7], v[4:5] neg_lo:[0,1] neg_hi:[0,1]
	v_mov_b32_e32 v16, v23
	v_mov_b32_e32 v15, v18
	v_pk_add_f32 v[26:27], v[22:23], v[14:15] neg_lo:[0,1] neg_hi:[0,1]
	v_mov_b32_e32 v22, v5
	v_mov_b32_e32 v23, v18
	;; [unrolled: 1-line block ×3, first 2 shown]
	v_pk_add_f32 v[16:17], v[16:17], v[22:23] neg_lo:[0,1] neg_hi:[0,1]
	v_mov_b32_e32 v18, v21
	v_mov_b32_e32 v19, v4
	v_pk_add_f32 v[4:5], v[18:19], v[16:17] neg_lo:[0,1] neg_hi:[0,1]
	v_mov_b32_e32 v26, v24
	v_pk_add_f32 v[16:17], v[26:27], v[4:5]
	s_nop 0
	v_mov_b32_e32 v18, v17
	v_pk_add_f32 v[18:19], v[16:17], v[18:19]
	s_nop 0
	v_pk_add_f32 v[20:21], v[6:7], v[18:19]
	v_mov_b32_e32 v5, v18
	v_mov_b32_e32 v17, v20
	v_pk_add_f32 v[22:23], v[16:17], v[24:25] neg_lo:[0,1] neg_hi:[0,1]
	s_nop 0
	v_sub_f32_e32 v6, v16, v22
	v_pk_add_f32 v[4:5], v[4:5], v[22:23] neg_lo:[0,1] neg_hi:[0,1]
	v_sub_f32_e32 v6, v24, v6
	v_add_f32_e32 v4, v4, v6
	v_add_f32_e32 v4, v4, v5
	;; [unrolled: 1-line block ×3, first 2 shown]
	v_cndmask_b32_e32 v77, v4, v28, vcc
.LBB74_55:                              ;   in Loop: Header=BB74_11 Depth=1
	s_or_b64 exec, exec, s[38:39]
	v_cvt_f32_f16_sdwa v4, v7 dst_sel:DWORD dst_unused:UNUSED_PAD src0_sel:WORD_1
	v_add_f32_e32 v15, s33, v4
	v_cmp_ge_f32_e32 vcc, s99, v15
	s_and_b64 s[36:37], s[64:65], vcc
	s_and_saveexec_b64 s[38:39], s[36:37]
	s_cbranch_execz .LBB74_57
; %bb.56:                               ;   in Loop: Header=BB74_11 Depth=1
	v_mul_f32_e32 v4, 0x3fb8aa3b, v15
	v_rndne_f32_e32 v5, v4
	v_sub_f32_e32 v6, v4, v5
	v_fma_f32 v4, v15, s40, -v4
	v_fmac_f32_e32 v4, 0x32a5705f, v15
	v_add_f32_e32 v4, v6, v4
	v_cvt_i32_f32_e32 v5, v5
	v_exp_f32_e32 v4, v4
	v_cmp_ngt_f32_e32 vcc, s41, v15
	v_ldexp_f32 v4, v4, v5
	s_nop 0
	v_cndmask_b32_e32 v4, 0, v4, vcc
	v_cmp_nlt_f32_e32 vcc, s42, v15
	s_nop 1
	v_cndmask_b32_e32 v28, v68, v4, vcc
	v_add_f32_e32 v6, 1.0, v28
	v_add_f32_e32 v4, -1.0, v6
	v_sub_f32_e32 v5, v4, v6
	v_add_f32_e32 v5, 1.0, v5
	v_sub_f32_e32 v4, v28, v4
	v_add_f32_e32 v7, v4, v5
	v_frexp_mant_f32_e32 v15, v6
	v_cvt_f64_f32_e32 v[4:5], v6
	v_frexp_exp_i32_f64_e32 v4, v[4:5]
	v_cmp_gt_f32_e32 vcc, s97, v15
	v_cmp_gt_f32_e64 s[36:37], s67, v28
	s_nop 0
	v_subbrev_co_u32_e32 v20, vcc, 0, v4, vcc
	v_sub_u32_e32 v4, 0, v20
	v_ldexp_f32 v5, v6, v4
	v_add_f32_e32 v6, -1.0, v5
	v_add_f32_e32 v15, 1.0, v5
	v_ldexp_f32 v4, v7, v4
	v_add_f32_e32 v7, 1.0, v6
	v_add_f32_e32 v16, -1.0, v15
	v_sub_f32_e32 v7, v5, v7
	v_sub_f32_e32 v5, v5, v16
	v_add_f32_e32 v7, v4, v7
	v_add_f32_e32 v4, v4, v5
	;; [unrolled: 1-line block ×3, first 2 shown]
	v_rcp_f32_e32 v22, v21
	v_sub_f32_e32 v5, v15, v21
	v_add_f32_e32 v15, v4, v5
	v_add_f32_e32 v5, v6, v7
	v_mul_f32_e32 v24, v5, v22
	v_sub_f32_e32 v4, v6, v5
	v_mul_f32_e32 v6, v21, v24
	v_fma_f32 v16, v24, v21, -v6
	v_fmac_f32_e32 v16, v24, v15
	v_add_f32_e32 v23, v7, v4
	v_add_f32_e32 v4, v6, v16
	v_sub_f32_e32 v7, v5, v4
	v_pk_add_f32 v[18:19], v[4:5], v[6:7] neg_lo:[0,1] neg_hi:[0,1]
	v_mov_b32_e32 v17, v4
	v_pk_add_f32 v[4:5], v[18:19], v[16:17] neg_lo:[0,1] neg_hi:[0,1]
	v_cmp_eq_f32_e32 vcc, s43, v28
	v_add_f32_e32 v5, v23, v5
	v_add_f32_e32 v4, v4, v5
	v_add_f32_e32 v5, v7, v4
	v_mul_f32_e32 v23, v22, v5
	v_mul_f32_e32 v6, v21, v23
	v_fma_f32 v16, v23, v21, -v6
	v_fmac_f32_e32 v16, v23, v15
	v_sub_f32_e32 v7, v7, v5
	v_add_f32_e32 v15, v4, v7
	v_add_f32_e32 v4, v6, v16
	v_sub_f32_e32 v7, v5, v4
	v_pk_add_f32 v[18:19], v[4:5], v[6:7] neg_lo:[0,1] neg_hi:[0,1]
	v_mov_b32_e32 v17, v4
	v_pk_add_f32 v[4:5], v[18:19], v[16:17] neg_lo:[0,1] neg_hi:[0,1]
	s_or_b64 vcc, s[36:37], vcc
	v_add_f32_e32 v5, v15, v5
	v_add_f32_e32 v4, v4, v5
	;; [unrolled: 1-line block ×4, first 2 shown]
	v_sub_f32_e32 v6, v5, v24
	v_mul_f32_e32 v4, v22, v4
	v_sub_f32_e32 v6, v23, v6
	v_add_f32_e32 v6, v6, v4
	v_add_f32_e32 v16, v5, v6
	v_mul_f32_e32 v17, v16, v16
	v_fmamk_f32 v4, v17, 0x3e9b6dac, v67
	v_fmaak_f32 v15, v17, v4, 0x3f2aaada
	v_cvt_f32_i32_e32 v4, v20
	v_sub_f32_e32 v5, v16, v5
	v_sub_f32_e32 v5, v6, v5
	v_ldexp_f32 v18, v5, 1
	v_mul_f32_e32 v5, v16, v17
	v_ldexp_f32 v7, v16, 1
	v_pk_mul_f32 v[16:17], v[4:5], v[14:15]
	s_nop 0
	v_fma_f32 v6, v4, s95, -v16
	v_fmac_f32_e32 v6, 0xb102e308, v4
	v_pk_add_f32 v[4:5], v[16:17], v[6:7]
	s_nop 0
	v_sub_f32_e32 v7, v5, v7
	v_sub_f32_e32 v7, v17, v7
	v_add_f32_e32 v19, v18, v7
	v_mov_b32_e32 v18, v16
	v_pk_add_f32 v[16:17], v[4:5], v[16:17] neg_lo:[0,1] neg_hi:[0,1]
	v_pk_add_f32 v[20:21], v[4:5], v[18:19]
	v_mov_b32_e32 v7, v4
	v_mov_b32_e32 v17, v21
	v_pk_add_f32 v[22:23], v[6:7], v[16:17] neg_lo:[0,1] neg_hi:[0,1]
	v_pk_add_f32 v[6:7], v[6:7], v[16:17]
	v_mov_b32_e32 v18, v19
	v_mov_b32_e32 v16, v7
	v_pk_add_f32 v[24:25], v[16:17], v[4:5] neg_lo:[0,1] neg_hi:[0,1]
	v_mov_b32_e32 v6, v21
	v_mov_b32_e32 v15, v24
	v_pk_add_f32 v[26:27], v[20:21], v[14:15] neg_lo:[0,1] neg_hi:[0,1]
	v_mov_b32_e32 v20, v5
	v_mov_b32_e32 v21, v24
	;; [unrolled: 1-line block ×3, first 2 shown]
	v_pk_add_f32 v[6:7], v[6:7], v[20:21] neg_lo:[0,1] neg_hi:[0,1]
	v_mov_b32_e32 v19, v4
	v_pk_add_f32 v[4:5], v[18:19], v[6:7] neg_lo:[0,1] neg_hi:[0,1]
	v_mov_b32_e32 v26, v22
	v_pk_add_f32 v[6:7], v[26:27], v[4:5]
	s_nop 0
	v_mov_b32_e32 v18, v7
	v_pk_add_f32 v[18:19], v[6:7], v[18:19]
	s_nop 0
	v_pk_add_f32 v[16:17], v[16:17], v[18:19]
	v_mov_b32_e32 v5, v18
	v_mov_b32_e32 v7, v16
	v_pk_add_f32 v[20:21], v[6:7], v[22:23] neg_lo:[0,1] neg_hi:[0,1]
	s_nop 0
	v_sub_f32_e32 v6, v6, v20
	v_pk_add_f32 v[4:5], v[4:5], v[20:21] neg_lo:[0,1] neg_hi:[0,1]
	v_sub_f32_e32 v6, v22, v6
	v_add_f32_e32 v4, v4, v6
	v_add_f32_e32 v4, v4, v5
	;; [unrolled: 1-line block ×3, first 2 shown]
	v_cndmask_b32_e32 v15, v4, v28, vcc
.LBB74_57:                              ;   in Loop: Header=BB74_11 Depth=1
	s_or_b64 exec, exec, s[38:39]
	v_cvt_f32_f16_e32 v4, v3
	v_cvt_f32_f16_sdwa v5, v2 dst_sel:DWORD dst_unused:UNUSED_PAD src0_sel:WORD_1
	v_cvt_f32_f16_e32 v2, v2
	v_cvt_f32_f16_sdwa v7, v3 dst_sel:DWORD dst_unused:UNUSED_PAD src0_sel:WORD_1
	v_cvt_f32_f16_sdwa v3, v1 dst_sel:DWORD dst_unused:UNUSED_PAD src0_sel:WORD_1
	v_cvt_f32_f16_e32 v1, v1
	v_cvt_f32_f16_sdwa v6, v0 dst_sel:DWORD dst_unused:UNUSED_PAD src0_sel:WORD_1
	v_cvt_f32_f16_e32 v0, v0
	v_readlane_b32 s36, v95, 1
	v_readlane_b32 s37, v95, 2
	v_mul_f32_e32 v18, s94, v4
	v_mul_f32_e32 v17, s94, v5
	;; [unrolled: 1-line block ×8, first 2 shown]
	s_and_b64 vcc, exec, s[36:37]
	s_waitcnt lgkmcnt(0)
	; wave barrier
	s_cbranch_vccz .LBB74_118
; %bb.58:                               ;   in Loop: Header=BB74_11 Depth=1
	s_cmp_lg_u32 s74, 0
	v_readlane_b32 s36, v95, 5
	v_mul_f32_e32 v85, v71, v0
	s_cselect_b64 s[80:81], -1, 0
	s_cmp_eq_u32 s74, s36
	v_cmp_gt_u32_e32 vcc, s50, v11
	v_or_b32_e32 v0, 1, v11
	s_cselect_b64 s[82:83], -1, 0
	s_or_b64 s[36:37], s[76:77], vcc
	v_cmp_gt_u32_e32 vcc, s50, v0
	v_or_b32_e32 v0, 2, v11
	s_or_b64 s[38:39], s[76:77], vcc
	v_cmp_gt_u32_e32 vcc, s50, v0
	s_or_b64 s[40:41], s[76:77], vcc
	v_cmp_gt_u32_e32 vcc, s50, v62
	;; [unrolled: 2-line block ×5, first 2 shown]
	s_mov_b32 s70, 0
	s_or_b64 s[48:49], s[76:77], vcc
	v_cmp_gt_u32_e32 vcc, s50, v66
	v_mul_f32_e32 v78, v15, v7
	v_lshl_add_u64 v[24:25], s[54:55], 0, v[8:9]
	v_lshl_add_u64 v[26:27], s[58:59], 0, v[8:9]
	v_mul_f32_e32 v79, v77, v4
	v_mul_f32_e32 v80, v76, v5
	v_mul_f32_e32 v81, v75, v2
	v_mul_f32_e32 v82, v74, v3
	v_mul_f32_e32 v83, v73, v1
	v_mul_f32_e32 v84, v72, v6
	s_or_b64 s[50:51], s[76:77], vcc
	s_mov_b32 s84, s70
	s_mov_b32 s86, s70
	;; [unrolled: 1-line block ×3, first 2 shown]
	v_readlane_b32 s79, v95, 0
	v_readlane_b32 s75, v95, 6
	s_branch .LBB74_60
.LBB74_59:                              ;   in Loop: Header=BB74_60 Depth=2
	s_or_b64 exec, exec, s[90:91]
	v_mul_f32_e32 v28, v86, v94
	v_fma_f32 v29, v86, v60, v4
	v_cndmask_b32_e64 v4, v29, v4, s[16:17]
	v_cndmask_b32_e64 v28, v28, v86, s[16:17]
	s_waitcnt lgkmcnt(0)
	v_fmac_f32_e32 v4, v34, v28
	v_fmac_f32_e32 v5, v4, v87
	;; [unrolled: 1-line block ×5, first 2 shown]
	v_cvt_f32_f16_sdwa v29, v0 dst_sel:DWORD dst_unused:UNUSED_PAD src0_sel:WORD_1
	v_cvt_f32_f16_sdwa v35, v1 dst_sel:DWORD dst_unused:UNUSED_PAD src0_sel:WORD_1
	v_cvt_f32_f16_e32 v28, v0
	v_cvt_f32_f16_e32 v34, v1
	v_cvt_f32_f16_sdwa v1, v2 dst_sel:DWORD dst_unused:UNUSED_PAD src0_sel:WORD_1
	v_cvt_f32_f16_sdwa v87, v3 dst_sel:DWORD dst_unused:UNUSED_PAD src0_sel:WORD_1
	v_cvt_f32_f16_e32 v86, v3
	v_cvt_f32_f16_e32 v0, v2
	v_fmac_f32_e32 v7, v6, v91
	v_fmac_f32_e32 v32, v7, v92
	;; [unrolled: 1-line block ×3, first 2 shown]
	s_add_i32 s75, s75, 8
	s_add_i32 s79, s79, -1
	s_add_i32 s88, s88, s66
	s_add_i32 s86, s86, s60
	s_add_i32 s84, s84, s56
	s_add_i32 s70, s70, s53
	v_pk_fma_f32 v[20:21], v[30:31], v[34:35], v[20:21]
	v_pk_fma_f32 v[22:23], v[4:5], v[28:29], v[22:23]
	;; [unrolled: 1-line block ×3, first 2 shown]
	s_cmp_eq_u32 s79, 0
	v_pk_fma_f32 v[16:17], v[6:7], v[0:1], v[16:17]
	s_cbranch_scc1 .LBB74_117
.LBB74_60:                              ;   Parent Loop BB74_11 Depth=1
                                        ; =>  This Inner Loop Header: Depth=2
	s_lshl_b64 s[90:91], s[70:71], 2
	s_add_u32 s90, s52, s90
	s_addc_u32 s91, s96, s91
	global_load_dword v30, v9, s[90:91]
	s_mov_b32 s85, s71
	v_lshl_add_u64 v[0:1], s[84:85], 1, v[24:25]
	v_mov_b32_e32 v2, 0
	v_mov_b32_e32 v3, 0
	s_and_saveexec_b64 s[90:91], s[18:19]
	s_cbranch_execnz .LBB74_80
; %bb.61:                               ;   in Loop: Header=BB74_60 Depth=2
	s_or_b64 exec, exec, s[90:91]
	s_and_saveexec_b64 s[90:91], s[20:21]
	s_cbranch_execnz .LBB74_81
.LBB74_62:                              ;   in Loop: Header=BB74_60 Depth=2
	s_or_b64 exec, exec, s[90:91]
	v_mov_b32_e32 v4, 0
	s_and_saveexec_b64 s[90:91], s[22:23]
	s_cbranch_execnz .LBB74_82
.LBB74_63:                              ;   in Loop: Header=BB74_60 Depth=2
	s_or_b64 exec, exec, s[90:91]
	s_and_saveexec_b64 s[90:91], s[24:25]
	s_cbranch_execnz .LBB74_83
.LBB74_64:                              ;   in Loop: Header=BB74_60 Depth=2
	s_or_b64 exec, exec, s[90:91]
	v_mov_b32_e32 v5, 0
	s_and_saveexec_b64 s[90:91], s[26:27]
	s_cbranch_execnz .LBB74_84
.LBB74_65:                              ;   in Loop: Header=BB74_60 Depth=2
	s_or_b64 exec, exec, s[90:91]
	s_and_saveexec_b64 s[90:91], s[28:29]
	s_cbranch_execnz .LBB74_85
.LBB74_66:                              ;   in Loop: Header=BB74_60 Depth=2
	s_or_b64 exec, exec, s[90:91]
	v_mov_b32_e32 v6, 0
	s_and_saveexec_b64 s[90:91], s[30:31]
	s_cbranch_execnz .LBB74_86
.LBB74_67:                              ;   in Loop: Header=BB74_60 Depth=2
	s_or_b64 exec, exec, s[90:91]
	s_and_saveexec_b64 s[90:91], s[34:35]
	s_cbranch_execz .LBB74_69
.LBB74_68:                              ;   in Loop: Header=BB74_60 Depth=2
	global_load_ushort v0, v[0:1], off offset:896
	s_waitcnt vmcnt(0)
	v_lshl_or_b32 v6, v0, 16, v6
.LBB74_69:                              ;   in Loop: Header=BB74_60 Depth=2
	s_or_b64 exec, exec, s[90:91]
	s_waitcnt vmcnt(0)
	ds_write_b16 v43, v3
	ds_write_b16 v44, v2 offset:128
	ds_write_b16 v45, v4 offset:256
	ds_write_b16_d16_hi v46, v4 offset:384
	ds_write_b16 v47, v5 offset:512
	ds_write_b16_d16_hi v48, v5 offset:640
	;; [unrolled: 2-line block ×3, first 2 shown]
	; wave barrier
	ds_read_b128 v[4:7], v51
	s_mov_b32 s87, s71
	v_lshl_add_u64 v[0:1], s[86:87], 1, v[26:27]
	v_mov_b32_e32 v2, 0
	v_mov_b32_e32 v3, 0
	s_and_saveexec_b64 s[90:91], s[18:19]
	s_cbranch_execnz .LBB74_87
; %bb.70:                               ;   in Loop: Header=BB74_60 Depth=2
	s_or_b64 exec, exec, s[90:91]
	s_and_saveexec_b64 s[90:91], s[20:21]
	s_cbranch_execnz .LBB74_88
.LBB74_71:                              ;   in Loop: Header=BB74_60 Depth=2
	s_or_b64 exec, exec, s[90:91]
	v_mov_b32_e32 v28, 0
	s_and_saveexec_b64 s[90:91], s[22:23]
	s_cbranch_execnz .LBB74_89
.LBB74_72:                              ;   in Loop: Header=BB74_60 Depth=2
	s_or_b64 exec, exec, s[90:91]
	s_and_saveexec_b64 s[90:91], s[24:25]
	s_cbranch_execnz .LBB74_90
.LBB74_73:                              ;   in Loop: Header=BB74_60 Depth=2
	s_or_b64 exec, exec, s[90:91]
	v_mov_b32_e32 v29, 0
	s_and_saveexec_b64 s[90:91], s[26:27]
	s_cbranch_execnz .LBB74_91
.LBB74_74:                              ;   in Loop: Header=BB74_60 Depth=2
	s_or_b64 exec, exec, s[90:91]
	s_and_saveexec_b64 s[90:91], s[28:29]
	s_cbranch_execnz .LBB74_92
.LBB74_75:                              ;   in Loop: Header=BB74_60 Depth=2
	s_or_b64 exec, exec, s[90:91]
	v_mov_b32_e32 v31, 0
	s_and_saveexec_b64 s[90:91], s[30:31]
	s_cbranch_execnz .LBB74_93
.LBB74_76:                              ;   in Loop: Header=BB74_60 Depth=2
	s_or_b64 exec, exec, s[90:91]
	s_and_saveexec_b64 s[90:91], s[34:35]
	s_cbranch_execz .LBB74_78
.LBB74_77:                              ;   in Loop: Header=BB74_60 Depth=2
	global_load_ushort v0, v[0:1], off offset:896
	s_waitcnt vmcnt(0)
	v_lshl_or_b32 v31, v0, 16, v31
.LBB74_78:                              ;   in Loop: Header=BB74_60 Depth=2
	s_or_b64 exec, exec, s[90:91]
	s_waitcnt vmcnt(0)
	ds_write_b16 v43, v3 offset:1056
	ds_write_b16 v52, v2 offset:128
	;; [unrolled: 1-line block ×3, first 2 shown]
	ds_write_b16_d16_hi v54, v28 offset:384
	ds_write_b16 v55, v29 offset:512
	ds_write_b16_d16_hi v56, v29 offset:640
	ds_write_b16 v57, v31 offset:768
	ds_write_b16_d16_hi v58, v31 offset:896
	; wave barrier
	ds_read_b128 v[0:3], v51 offset:1056
	s_andn2_b64 vcc, exec, s[80:81]
	s_cbranch_vccnz .LBB74_94
; %bb.79:                               ;   in Loop: Header=BB74_60 Depth=2
	v_mov_b32_e32 v28, s75
	ds_read_b64 v[28:29], v28
	s_cbranch_execz .LBB74_95
	s_branch .LBB74_98
.LBB74_80:                              ;   in Loop: Header=BB74_60 Depth=2
	global_load_ushort v3, v[0:1], off
	s_or_b64 exec, exec, s[90:91]
	s_and_saveexec_b64 s[90:91], s[20:21]
	s_cbranch_execz .LBB74_62
.LBB74_81:                              ;   in Loop: Header=BB74_60 Depth=2
	global_load_ushort v2, v[0:1], off offset:128
	s_or_b64 exec, exec, s[90:91]
	v_mov_b32_e32 v4, 0
	s_and_saveexec_b64 s[90:91], s[22:23]
	s_cbranch_execz .LBB74_63
.LBB74_82:                              ;   in Loop: Header=BB74_60 Depth=2
	global_load_ushort v4, v[0:1], off offset:256
	s_or_b64 exec, exec, s[90:91]
	s_and_saveexec_b64 s[90:91], s[24:25]
	s_cbranch_execz .LBB74_64
.LBB74_83:                              ;   in Loop: Header=BB74_60 Depth=2
	global_load_ushort v5, v[0:1], off offset:384
	s_waitcnt vmcnt(0)
	v_lshl_or_b32 v4, v5, 16, v4
	s_or_b64 exec, exec, s[90:91]
	v_mov_b32_e32 v5, 0
	s_and_saveexec_b64 s[90:91], s[26:27]
	s_cbranch_execz .LBB74_65
.LBB74_84:                              ;   in Loop: Header=BB74_60 Depth=2
	global_load_ushort v5, v[0:1], off offset:512
	s_or_b64 exec, exec, s[90:91]
	s_and_saveexec_b64 s[90:91], s[28:29]
	s_cbranch_execz .LBB74_66
.LBB74_85:                              ;   in Loop: Header=BB74_60 Depth=2
	global_load_ushort v6, v[0:1], off offset:640
	s_waitcnt vmcnt(0)
	v_lshl_or_b32 v5, v6, 16, v5
	s_or_b64 exec, exec, s[90:91]
	v_mov_b32_e32 v6, 0
	s_and_saveexec_b64 s[90:91], s[30:31]
	s_cbranch_execz .LBB74_67
.LBB74_86:                              ;   in Loop: Header=BB74_60 Depth=2
	global_load_ushort v6, v[0:1], off offset:768
	s_or_b64 exec, exec, s[90:91]
	s_and_saveexec_b64 s[90:91], s[34:35]
	s_cbranch_execnz .LBB74_68
	s_branch .LBB74_69
.LBB74_87:                              ;   in Loop: Header=BB74_60 Depth=2
	global_load_ushort v3, v[0:1], off
	s_or_b64 exec, exec, s[90:91]
	s_and_saveexec_b64 s[90:91], s[20:21]
	s_cbranch_execz .LBB74_71
.LBB74_88:                              ;   in Loop: Header=BB74_60 Depth=2
	global_load_ushort v2, v[0:1], off offset:128
	s_or_b64 exec, exec, s[90:91]
	v_mov_b32_e32 v28, 0
	s_and_saveexec_b64 s[90:91], s[22:23]
	s_cbranch_execz .LBB74_72
.LBB74_89:                              ;   in Loop: Header=BB74_60 Depth=2
	global_load_ushort v28, v[0:1], off offset:256
	s_or_b64 exec, exec, s[90:91]
	s_and_saveexec_b64 s[90:91], s[24:25]
	s_cbranch_execz .LBB74_73
.LBB74_90:                              ;   in Loop: Header=BB74_60 Depth=2
	global_load_ushort v29, v[0:1], off offset:384
	s_waitcnt vmcnt(0)
	v_lshl_or_b32 v28, v29, 16, v28
	s_or_b64 exec, exec, s[90:91]
	v_mov_b32_e32 v29, 0
	s_and_saveexec_b64 s[90:91], s[26:27]
	s_cbranch_execz .LBB74_74
.LBB74_91:                              ;   in Loop: Header=BB74_60 Depth=2
	global_load_ushort v29, v[0:1], off offset:512
	s_or_b64 exec, exec, s[90:91]
	s_and_saveexec_b64 s[90:91], s[28:29]
	s_cbranch_execz .LBB74_75
.LBB74_92:                              ;   in Loop: Header=BB74_60 Depth=2
	global_load_ushort v31, v[0:1], off offset:640
	s_waitcnt vmcnt(0)
	v_lshl_or_b32 v29, v31, 16, v29
	s_or_b64 exec, exec, s[90:91]
	v_mov_b32_e32 v31, 0
	s_and_saveexec_b64 s[90:91], s[30:31]
	s_cbranch_execz .LBB74_76
.LBB74_93:                              ;   in Loop: Header=BB74_60 Depth=2
	global_load_ushort v31, v[0:1], off offset:768
	s_or_b64 exec, exec, s[90:91]
	s_and_saveexec_b64 s[90:91], s[34:35]
	s_cbranch_execnz .LBB74_77
	s_branch .LBB74_78
.LBB74_94:                              ;   in Loop: Header=BB74_60 Depth=2
                                        ; implicit-def: $vgpr29
.LBB74_95:                              ;   in Loop: Header=BB74_60 Depth=2
	s_andn2_b64 vcc, exec, s[68:69]
	s_waitcnt lgkmcnt(0)
	v_mov_b32_e32 v29, 0
	s_cbranch_vccnz .LBB74_97
; %bb.96:                               ;   in Loop: Header=BB74_60 Depth=2
	s_mov_b32 s89, s71
	s_lshl_b64 s[90:91], s[88:89], 1
	s_add_u32 s90, s57, s90
	s_addc_u32 s91, s61, s91
	global_load_ushort v28, v9, s[90:91]
	s_waitcnt vmcnt(0)
	v_cvt_f32_f16_e32 v29, v28
.LBB74_97:                              ;   in Loop: Header=BB74_60 Depth=2
	v_mov_b32_e32 v28, 1.0
.LBB74_98:                              ;   in Loop: Header=BB74_60 Depth=2
	v_mul_f32_e32 v92, 0x3fb8aa3b, v30
	s_waitcnt lgkmcnt(9)
	v_cvt_f32_f16_e32 v31, v4
	v_cvt_f32_f16_sdwa v32, v4 dst_sel:DWORD dst_unused:UNUSED_PAD src0_sel:WORD_1
	v_mul_f32_e32 v4, v92, v71
	v_cmp_gt_f32_e32 vcc, s98, v4
	v_cvt_f32_f16_e32 v35, v6
	v_cvt_f32_f16_sdwa v60, v6 dst_sel:DWORD dst_unused:UNUSED_PAD src0_sel:WORD_1
	v_cndmask_b32_e32 v4, 0, v69, vcc
	v_mul_f32_e32 v6, v92, v72
	v_cvt_f32_f16_e32 v33, v5
	v_cvt_f32_f16_sdwa v34, v5 dst_sel:DWORD dst_unused:UNUSED_PAD src0_sel:WORD_1
	v_fmac_f32_e32 v4, v92, v71
	v_cndmask_b32_e32 v5, 1.0, v70, vcc
	v_cmp_gt_f32_e32 vcc, s98, v6
	v_exp_f32_e32 v4, v4
	v_cvt_f32_f16_e32 v93, v7
	v_cndmask_b32_e32 v6, 0, v69, vcc
	v_fmac_f32_e32 v6, v92, v72
	v_exp_f32_e32 v6, v6
	v_cvt_f32_f16_sdwa v94, v7 dst_sel:DWORD dst_unused:UNUSED_PAD src0_sel:WORD_1
	v_mul_f32_e32 v5, v4, v5
	v_mul_f32_e32 v7, v92, v73
	v_cndmask_b32_e64 v86, 1.0, v5, s[36:37]
	v_cndmask_b32_e32 v5, 1.0, v70, vcc
	v_cmp_gt_f32_e32 vcc, s98, v7
	v_mul_f32_e32 v6, v6, v5
	v_mul_f32_e32 v30, v92, v74
	v_cndmask_b32_e32 v7, 0, v69, vcc
	v_fmac_f32_e32 v7, v92, v73
	v_cndmask_b32_e64 v87, 1.0, v6, s[38:39]
	v_cndmask_b32_e32 v6, 1.0, v70, vcc
	v_cmp_gt_f32_e32 vcc, s98, v30
	v_exp_f32_e32 v7, v7
	v_mul_f32_e32 v4, v85, v31
	v_cndmask_b32_e32 v30, 0, v69, vcc
	v_fmac_f32_e32 v30, v92, v74
	v_exp_f32_e32 v31, v30
	v_mul_f32_e32 v6, v7, v6
	v_cndmask_b32_e64 v88, 1.0, v6, s[40:41]
	v_cndmask_b32_e32 v6, 1.0, v70, vcc
	v_mul_f32_e32 v6, v31, v6
	v_mul_f32_e32 v31, v92, v75
	v_cmp_gt_f32_e32 vcc, s98, v31
	v_mul_f32_e32 v5, v84, v32
	v_mul_f32_e32 v7, v83, v33
	v_cndmask_b32_e32 v31, 0, v69, vcc
	v_fmac_f32_e32 v31, v92, v75
	v_exp_f32_e32 v32, v31
	v_cndmask_b32_e64 v30, 0, v7, s[40:41]
	v_mul_f32_e32 v7, v82, v34
	v_cndmask_b32_e64 v89, 1.0, v6, s[42:43]
	v_cndmask_b32_e32 v6, 1.0, v70, vcc
	v_cndmask_b32_e64 v31, 0, v7, s[42:43]
	v_mul_f32_e32 v7, v32, v6
	v_mul_f32_e32 v32, v92, v76
	v_cmp_gt_f32_e32 vcc, s98, v32
	v_mul_f32_e32 v33, v92, v77
	v_cndmask_b32_e64 v90, 1.0, v7, s[44:45]
	v_cndmask_b32_e32 v32, 0, v69, vcc
	v_fmac_f32_e32 v32, v92, v76
	v_exp_f32_e32 v32, v32
	v_cndmask_b32_e32 v7, 1.0, v70, vcc
	v_cmp_gt_f32_e32 vcc, s98, v33
	v_mul_f32_e32 v34, v92, v15
	v_mul_f32_e32 v32, v32, v7
	v_cndmask_b32_e32 v33, 0, v69, vcc
	v_fmac_f32_e32 v33, v92, v77
	v_cndmask_b32_e64 v91, 1.0, v32, s[46:47]
	v_cndmask_b32_e32 v32, 1.0, v70, vcc
	v_cmp_gt_f32_e32 vcc, s98, v34
	v_exp_f32_e32 v33, v33
	v_cndmask_b32_e64 v4, 0, v4, s[36:37]
	v_cndmask_b32_e32 v34, 0, v69, vcc
	v_fmac_f32_e32 v34, v92, v15
	v_exp_f32_e32 v34, v34
	v_mul_f32_e32 v33, v33, v32
	v_cndmask_b32_e64 v92, 1.0, v33, s[48:49]
	v_cndmask_b32_e32 v33, 1.0, v70, vcc
	v_cndmask_b32_e64 v5, 0, v5, s[38:39]
	v_mul_f32_e32 v34, v34, v33
	v_mul_f32_e32 v6, v81, v35
	;; [unrolled: 1-line block ×3, first 2 shown]
	v_cndmask_b32_e64 v93, 1.0, v34, s[50:51]
	v_mul_f32_e32 v34, v87, v86
	v_fma_f32 v35, v87, v4, v5
	v_mul_f32_e32 v34, v34, v88
	v_fma_f32 v35, v35, v88, v30
	v_cndmask_b32_e64 v6, 0, v6, s[44:45]
	v_mul_f32_e32 v7, v80, v60
	v_mul_f32_e32 v34, v34, v89
	v_fma_f32 v35, v35, v89, v31
	v_cndmask_b32_e64 v7, 0, v7, s[46:47]
	v_mul_f32_e32 v34, v34, v90
	v_fma_f32 v35, v35, v90, v6
	v_cndmask_b32_e64 v32, 0, v32, s[48:49]
	v_mul_f32_e32 v33, v78, v94
	v_mul_f32_e32 v34, v34, v91
	v_fma_f32 v35, v35, v91, v7
	v_cndmask_b32_e64 v33, 0, v33, s[50:51]
	v_mul_f32_e32 v34, v34, v92
	v_fma_f32 v35, v35, v92, v32
	v_mul_f32_e32 v34, v34, v93
	v_fma_f32 v61, v35, v93, v33
	s_nop 0
	v_mov_b32_dpp v94, v34 row_shr:1 row_mask:0xf bank_mask:0xf
	v_mov_b32_dpp v60, v61 row_shr:1 row_mask:0xf bank_mask:0xf
	s_and_saveexec_b64 s[90:91], s[0:1]
; %bb.99:                               ;   in Loop: Header=BB74_60 Depth=2
	v_mul_f32_e32 v94, v34, v94
	v_fmac_f32_e32 v61, v34, v60
	v_mov_b32_e32 v34, v94
; %bb.100:                              ;   in Loop: Header=BB74_60 Depth=2
	s_or_b64 exec, exec, s[90:91]
	s_nop 0
	v_mov_b32_dpp v60, v34 row_shr:2 row_mask:0xf bank_mask:0xf
	v_mov_b32_dpp v94, v61 row_shr:2 row_mask:0xf bank_mask:0xf
	s_and_saveexec_b64 s[90:91], s[2:3]
; %bb.101:                              ;   in Loop: Header=BB74_60 Depth=2
	v_fmac_f32_e32 v61, v34, v94
	v_mul_f32_e32 v34, v34, v60
; %bb.102:                              ;   in Loop: Header=BB74_60 Depth=2
	s_or_b64 exec, exec, s[90:91]
	s_nop 0
	v_mov_b32_dpp v60, v34 row_shr:4 row_mask:0xf bank_mask:0xf
	v_mov_b32_dpp v94, v61 row_shr:4 row_mask:0xf bank_mask:0xf
	s_and_saveexec_b64 s[90:91], s[4:5]
; %bb.103:                              ;   in Loop: Header=BB74_60 Depth=2
	v_fmac_f32_e32 v61, v34, v94
	v_mul_f32_e32 v34, v34, v60
; %bb.104:                              ;   in Loop: Header=BB74_60 Depth=2
	s_or_b64 exec, exec, s[90:91]
	s_nop 0
	v_mov_b32_dpp v60, v34 row_shr:8 row_mask:0xf bank_mask:0xf
	v_mov_b32_dpp v94, v61 row_shr:8 row_mask:0xf bank_mask:0xf
	s_and_saveexec_b64 s[90:91], s[6:7]
; %bb.105:                              ;   in Loop: Header=BB74_60 Depth=2
	v_fmac_f32_e32 v61, v34, v94
	v_mul_f32_e32 v34, v34, v60
; %bb.106:                              ;   in Loop: Header=BB74_60 Depth=2
	s_or_b64 exec, exec, s[90:91]
	s_nop 0
	v_mov_b32_dpp v60, v34 row_bcast:15 row_mask:0xf bank_mask:0xf
	v_mov_b32_dpp v94, v61 row_bcast:15 row_mask:0xf bank_mask:0xf
	s_and_saveexec_b64 s[90:91], s[8:9]
; %bb.107:                              ;   in Loop: Header=BB74_60 Depth=2
	v_fmac_f32_e32 v61, v34, v94
	v_mul_f32_e32 v34, v34, v60
; %bb.108:                              ;   in Loop: Header=BB74_60 Depth=2
	s_or_b64 exec, exec, s[90:91]
	s_nop 0
	v_mov_b32_dpp v60, v34 row_bcast:31 row_mask:0xf bank_mask:0xf
	v_mov_b32_dpp v94, v61 row_bcast:31 row_mask:0xf bank_mask:0xf
	v_mov_b32_e32 v35, v61
	v_mul_f32_e32 v60, v34, v60
	v_fmac_f32_e32 v35, v34, v94
	v_cndmask_b32_e64 v34, v34, v60, s[10:11]
	v_cndmask_b32_e64 v35, v61, v35, s[10:11]
	s_and_saveexec_b64 s[90:91], s[12:13]
	s_cbranch_execz .LBB74_110
; %bb.109:                              ;   in Loop: Header=BB74_60 Depth=2
	ds_write_b64 v9, v[34:35] offset:2112
.LBB74_110:                             ;   in Loop: Header=BB74_60 Depth=2
	s_or_b64 exec, exec, s[90:91]
	ds_bpermute_b32 v94, v59, v34
	ds_bpermute_b32 v60, v59, v35
	s_waitcnt lgkmcnt(2)
	v_mov_b32_e32 v35, v29
	s_waitcnt lgkmcnt(0)
	; wave barrier
	s_waitcnt lgkmcnt(0)
	s_and_saveexec_b64 s[90:91], s[14:15]
	s_cbranch_execz .LBB74_114
; %bb.111:                              ;   in Loop: Header=BB74_60 Depth=2
	ds_read_b64 v[34:35], v9 offset:2112
	s_and_saveexec_b64 s[92:93], s[16:17]
	s_cbranch_execz .LBB74_113
; %bb.112:                              ;   in Loop: Header=BB74_60 Depth=2
	ds_write_b64 v9, v[28:29] offset:2112
.LBB74_113:                             ;   in Loop: Header=BB74_60 Depth=2
	s_or_b64 exec, exec, s[92:93]
	s_waitcnt lgkmcnt(0)
	v_fmac_f32_e32 v35, v29, v34
	v_mul_f32_e32 v28, v28, v34
	v_mov_b32_e32 v29, v35
.LBB74_114:                             ;   in Loop: Header=BB74_60 Depth=2
	s_or_b64 exec, exec, s[90:91]
	s_waitcnt lgkmcnt(0)
	; wave barrier
	ds_read_b32 v34, v9 offset:2116
	s_and_saveexec_b64 s[90:91], s[16:17]
	s_cbranch_execz .LBB74_59
; %bb.115:                              ;   in Loop: Header=BB74_60 Depth=2
	v_mov_b32_e32 v61, s75
	s_andn2_b64 vcc, exec, s[82:83]
	ds_write_b64 v61, v[28:29]
	s_cbranch_vccnz .LBB74_59
; %bb.116:                              ;   in Loop: Header=BB74_60 Depth=2
	s_mov_b32 s89, s71
	v_cvt_f16_f32_e32 v28, v35
	s_lshl_b64 s[92:93], s[88:89], 1
	s_add_u32 s92, s57, s92
	s_addc_u32 s93, s61, s93
	global_store_short v9, v28, s[92:93]
	s_branch .LBB74_59
.LBB74_117:                             ;   in Loop: Header=BB74_11 Depth=1
	s_mov_b32 s40, 0x3fb8aa3b
	s_mov_b32 s41, 0xc2ce8ed0
	s_mov_b32 s42, 0x42b17218
	s_mov_b32 s43, 0x7f800000
.LBB74_118:                             ;   in Loop: Header=BB74_11 Depth=1
	v_cvt_f16_f32_e32 v0, v23
	v_cvt_f16_f32_e32 v1, v21
	;; [unrolled: 1-line block ×8, first 2 shown]
	v_pack_b32_f16 v3, v4, v3
	v_pack_b32_f16 v2, v5, v2
	;; [unrolled: 1-line block ×4, first 2 shown]
	s_waitcnt lgkmcnt(0)
	; wave barrier
	ds_write_b128 v51, v[0:3]
	; wave barrier
	ds_read_u16 v15, v44 offset:128
	ds_read_u16 v7, v45 offset:256
	;; [unrolled: 1-line block ×7, first 2 shown]
	s_mov_b32 s79, s71
	v_lshl_add_u64 v[0:1], s[78:79], 1, v[12:13]
	s_and_saveexec_b64 s[36:37], s[18:19]
	s_cbranch_execnz .LBB74_128
; %bb.119:                              ;   in Loop: Header=BB74_11 Depth=1
	s_or_b64 exec, exec, s[36:37]
	s_and_saveexec_b64 s[18:19], s[20:21]
	s_cbranch_execnz .LBB74_129
.LBB74_120:                             ;   in Loop: Header=BB74_11 Depth=1
	s_or_b64 exec, exec, s[18:19]
	s_and_saveexec_b64 s[18:19], s[22:23]
	s_cbranch_execnz .LBB74_130
.LBB74_121:                             ;   in Loop: Header=BB74_11 Depth=1
	s_or_b64 exec, exec, s[18:19]
	s_and_saveexec_b64 s[18:19], s[24:25]
	s_cbranch_execnz .LBB74_131
.LBB74_122:                             ;   in Loop: Header=BB74_11 Depth=1
	s_or_b64 exec, exec, s[18:19]
	s_and_saveexec_b64 s[18:19], s[26:27]
	s_cbranch_execnz .LBB74_132
.LBB74_123:                             ;   in Loop: Header=BB74_11 Depth=1
	s_or_b64 exec, exec, s[18:19]
	s_and_saveexec_b64 s[18:19], s[28:29]
	s_cbranch_execnz .LBB74_133
.LBB74_124:                             ;   in Loop: Header=BB74_11 Depth=1
	s_or_b64 exec, exec, s[18:19]
	s_and_saveexec_b64 s[18:19], s[30:31]
	s_cbranch_execnz .LBB74_134
.LBB74_125:                             ;   in Loop: Header=BB74_11 Depth=1
	s_or_b64 exec, exec, s[18:19]
	s_and_saveexec_b64 s[18:19], s[34:35]
	s_cbranch_execz .LBB74_10
	s_branch .LBB74_135
.LBB74_126:                             ;   in Loop: Header=BB74_11 Depth=1
	global_load_ushort v19, v[4:5], off offset:640
	s_or_b64 exec, exec, s[36:37]
	s_and_saveexec_b64 s[36:37], s[30:31]
	s_cbranch_execz .LBB74_39
.LBB74_127:                             ;   in Loop: Header=BB74_11 Depth=1
	global_load_ushort v18, v[4:5], off offset:768
	s_or_b64 exec, exec, s[36:37]
	v_mov_b32_e32 v20, 0
	s_and_saveexec_b64 s[36:37], s[34:35]
	s_cbranch_execnz .LBB74_40
	s_branch .LBB74_41
.LBB74_128:                             ;   in Loop: Header=BB74_11 Depth=1
	ds_read_u16 v16, v43
	s_waitcnt lgkmcnt(0)
	global_store_short v[0:1], v16, off
	s_or_b64 exec, exec, s[36:37]
	s_and_saveexec_b64 s[18:19], s[20:21]
	s_cbranch_execz .LBB74_120
.LBB74_129:                             ;   in Loop: Header=BB74_11 Depth=1
	s_waitcnt lgkmcnt(6)
	global_store_short v[0:1], v15, off offset:128
	s_or_b64 exec, exec, s[18:19]
	s_and_saveexec_b64 s[18:19], s[22:23]
	s_cbranch_execz .LBB74_121
.LBB74_130:                             ;   in Loop: Header=BB74_11 Depth=1
	s_waitcnt lgkmcnt(5)
	global_store_short v[0:1], v7, off offset:256
	s_or_b64 exec, exec, s[18:19]
	s_and_saveexec_b64 s[18:19], s[24:25]
	s_cbranch_execz .LBB74_122
.LBB74_131:                             ;   in Loop: Header=BB74_11 Depth=1
	s_waitcnt lgkmcnt(4)
	global_store_short v[0:1], v6, off offset:384
	s_or_b64 exec, exec, s[18:19]
	s_and_saveexec_b64 s[18:19], s[26:27]
	s_cbranch_execz .LBB74_123
.LBB74_132:                             ;   in Loop: Header=BB74_11 Depth=1
	s_waitcnt lgkmcnt(3)
	global_store_short v[0:1], v5, off offset:512
	s_or_b64 exec, exec, s[18:19]
	s_and_saveexec_b64 s[18:19], s[28:29]
	s_cbranch_execz .LBB74_124
.LBB74_133:                             ;   in Loop: Header=BB74_11 Depth=1
	s_waitcnt lgkmcnt(2)
	global_store_short v[0:1], v4, off offset:640
	s_or_b64 exec, exec, s[18:19]
	s_and_saveexec_b64 s[18:19], s[30:31]
	s_cbranch_execz .LBB74_125
.LBB74_134:                             ;   in Loop: Header=BB74_11 Depth=1
	s_waitcnt lgkmcnt(1)
	global_store_short v[0:1], v3, off offset:768
	s_or_b64 exec, exec, s[18:19]
	s_and_saveexec_b64 s[18:19], s[34:35]
	s_cbranch_execz .LBB74_10
.LBB74_135:                             ;   in Loop: Header=BB74_11 Depth=1
	s_waitcnt lgkmcnt(0)
	global_store_short v[0:1], v2, off offset:896
	s_branch .LBB74_10
.LBB74_136:
	s_endpgm
.LBB74_137:
	s_mov_b64 s[68:69], 0
	s_load_dwordx2 s[4:5], s[0:1], 0x20
	s_cmp_eq_u64 s[6:7], 0
	s_cbranch_scc0 .LBB74_2
	s_branch .LBB74_3
	.section	.rodata,"a",@progbits
	.p2align	6, 0x0
	.amdhsa_kernel _Z25selective_scan_fwd_kernelI32Selective_Scan_fwd_kernel_traitsILi64ELi8ELi1ELb1ELb1ELb1ELb0ELb1EN3c104HalfEfS2_EEv13SSMParamsBase
		.amdhsa_group_segment_fixed_size 0
		.amdhsa_private_segment_fixed_size 0
		.amdhsa_kernarg_size 248
		.amdhsa_user_sgpr_count 2
		.amdhsa_user_sgpr_dispatch_ptr 0
		.amdhsa_user_sgpr_queue_ptr 0
		.amdhsa_user_sgpr_kernarg_segment_ptr 1
		.amdhsa_user_sgpr_dispatch_id 0
		.amdhsa_user_sgpr_kernarg_preload_length 0
		.amdhsa_user_sgpr_kernarg_preload_offset 0
		.amdhsa_user_sgpr_private_segment_size 0
		.amdhsa_uses_dynamic_stack 0
		.amdhsa_enable_private_segment 0
		.amdhsa_system_sgpr_workgroup_id_x 1
		.amdhsa_system_sgpr_workgroup_id_y 1
		.amdhsa_system_sgpr_workgroup_id_z 0
		.amdhsa_system_sgpr_workgroup_info 0
		.amdhsa_system_vgpr_workitem_id 0
		.amdhsa_next_free_vgpr 96
		.amdhsa_next_free_sgpr 100
		.amdhsa_accum_offset 96
		.amdhsa_reserve_vcc 1
		.amdhsa_float_round_mode_32 0
		.amdhsa_float_round_mode_16_64 0
		.amdhsa_float_denorm_mode_32 3
		.amdhsa_float_denorm_mode_16_64 3
		.amdhsa_dx10_clamp 1
		.amdhsa_ieee_mode 1
		.amdhsa_fp16_overflow 0
		.amdhsa_tg_split 0
		.amdhsa_exception_fp_ieee_invalid_op 0
		.amdhsa_exception_fp_denorm_src 0
		.amdhsa_exception_fp_ieee_div_zero 0
		.amdhsa_exception_fp_ieee_overflow 0
		.amdhsa_exception_fp_ieee_underflow 0
		.amdhsa_exception_fp_ieee_inexact 0
		.amdhsa_exception_int_div_zero 0
	.end_amdhsa_kernel
	.section	.text._Z25selective_scan_fwd_kernelI32Selective_Scan_fwd_kernel_traitsILi64ELi8ELi1ELb1ELb1ELb1ELb0ELb1EN3c104HalfEfS2_EEv13SSMParamsBase,"axG",@progbits,_Z25selective_scan_fwd_kernelI32Selective_Scan_fwd_kernel_traitsILi64ELi8ELi1ELb1ELb1ELb1ELb0ELb1EN3c104HalfEfS2_EEv13SSMParamsBase,comdat
.Lfunc_end74:
	.size	_Z25selective_scan_fwd_kernelI32Selective_Scan_fwd_kernel_traitsILi64ELi8ELi1ELb1ELb1ELb1ELb0ELb1EN3c104HalfEfS2_EEv13SSMParamsBase, .Lfunc_end74-_Z25selective_scan_fwd_kernelI32Selective_Scan_fwd_kernel_traitsILi64ELi8ELi1ELb1ELb1ELb1ELb0ELb1EN3c104HalfEfS2_EEv13SSMParamsBase
                                        ; -- End function
	.section	.AMDGPU.csdata,"",@progbits
; Kernel info:
; codeLenInByte = 10504
; NumSgprs: 106
; NumVgprs: 96
; NumAgprs: 0
; TotalNumVgprs: 96
; ScratchSize: 0
; MemoryBound: 0
; FloatMode: 240
; IeeeMode: 1
; LDSByteSize: 0 bytes/workgroup (compile time only)
; SGPRBlocks: 13
; VGPRBlocks: 11
; NumSGPRsForWavesPerEU: 106
; NumVGPRsForWavesPerEU: 96
; AccumOffset: 96
; Occupancy: 5
; WaveLimiterHint : 1
; COMPUTE_PGM_RSRC2:SCRATCH_EN: 0
; COMPUTE_PGM_RSRC2:USER_SGPR: 2
; COMPUTE_PGM_RSRC2:TRAP_HANDLER: 0
; COMPUTE_PGM_RSRC2:TGID_X_EN: 1
; COMPUTE_PGM_RSRC2:TGID_Y_EN: 1
; COMPUTE_PGM_RSRC2:TGID_Z_EN: 0
; COMPUTE_PGM_RSRC2:TIDIG_COMP_CNT: 0
; COMPUTE_PGM_RSRC3_GFX90A:ACCUM_OFFSET: 23
; COMPUTE_PGM_RSRC3_GFX90A:TG_SPLIT: 0
	.section	.text._Z25selective_scan_fwd_kernelI32Selective_Scan_fwd_kernel_traitsILi64ELi8ELi1ELb1ELb1ELb1ELb0ELb0EN3c104HalfEfS2_EEv13SSMParamsBase,"axG",@progbits,_Z25selective_scan_fwd_kernelI32Selective_Scan_fwd_kernel_traitsILi64ELi8ELi1ELb1ELb1ELb1ELb0ELb0EN3c104HalfEfS2_EEv13SSMParamsBase,comdat
	.protected	_Z25selective_scan_fwd_kernelI32Selective_Scan_fwd_kernel_traitsILi64ELi8ELi1ELb1ELb1ELb1ELb0ELb0EN3c104HalfEfS2_EEv13SSMParamsBase ; -- Begin function _Z25selective_scan_fwd_kernelI32Selective_Scan_fwd_kernel_traitsILi64ELi8ELi1ELb1ELb1ELb1ELb0ELb0EN3c104HalfEfS2_EEv13SSMParamsBase
	.globl	_Z25selective_scan_fwd_kernelI32Selective_Scan_fwd_kernel_traitsILi64ELi8ELi1ELb1ELb1ELb1ELb0ELb0EN3c104HalfEfS2_EEv13SSMParamsBase
	.p2align	8
	.type	_Z25selective_scan_fwd_kernelI32Selective_Scan_fwd_kernel_traitsILi64ELi8ELi1ELb1ELb1ELb1ELb0ELb0EN3c104HalfEfS2_EEv13SSMParamsBase,@function
_Z25selective_scan_fwd_kernelI32Selective_Scan_fwd_kernel_traitsILi64ELi8ELi1ELb1ELb1ELb1ELb0ELb0EN3c104HalfEfS2_EEv13SSMParamsBase: ; @_Z25selective_scan_fwd_kernelI32Selective_Scan_fwd_kernel_traitsILi64ELi8ELi1ELb1ELb1ELb1ELb0ELb0EN3c104HalfEfS2_EEv13SSMParamsBase
; %bb.0:
	s_load_dword s25, s[0:1], 0x18
	s_load_dwordx4 s[4:7], s[0:1], 0xe8
	s_mov_b32 s20, s3
	s_waitcnt lgkmcnt(0)
	s_abs_i32 s24, s25
	v_cvt_f32_u32_e32 v1, s24
	s_cmp_eq_u64 s[6:7], 0
	v_rcp_iflag_f32_e32 v1, v1
	s_nop 0
	v_mul_f32_e32 v1, 0x4f7ffffe, v1
	v_cvt_u32_f32_e32 v1, v1
	s_nop 0
	v_readfirstlane_b32 s26, v1
	s_cbranch_scc1 .LBB75_3
; %bb.1:
	s_ashr_i32 s3, s2, 31
	s_add_u32 s6, s6, s2
	s_addc_u32 s7, s7, s3
	v_mov_b32_e32 v1, 0
	global_load_ubyte v1, v1, s[6:7]
	s_waitcnt vmcnt(0)
	v_and_b32_e32 v1, 1, v1
	v_cmp_eq_u32_e64 s[52:53], 1, v1
	s_load_dwordx2 s[6:7], s[0:1], 0x20
	s_cmp_eq_u64 s[4:5], 0
	s_cbranch_scc1 .LBB75_4
.LBB75_2:
	s_ashr_i32 s3, s2, 31
	s_lshl_b64 s[8:9], s[2:3], 2
	s_add_u32 s4, s4, s8
	s_addc_u32 s5, s5, s9
	s_load_dword s22, s[4:5], 0x0
	s_waitcnt lgkmcnt(0)
	s_ashr_i32 s23, s22, 31
	s_cmp_eq_u64 s[6:7], s[22:23]
	s_cbranch_scc0 .LBB75_5
	s_branch .LBB75_58
.LBB75_3:
	s_mov_b64 s[52:53], 0
	s_load_dwordx2 s[6:7], s[0:1], 0x20
	s_cmp_eq_u64 s[4:5], 0
	s_cbranch_scc0 .LBB75_2
.LBB75_4:
	s_mov_b32 s22, s2
	s_ashr_i32 s23, s22, 31
	s_waitcnt lgkmcnt(0)
	s_cmp_eq_u64 s[6:7], s[22:23]
	s_cbranch_scc1 .LBB75_58
.LBB75_5:
	s_load_dwordx16 s[4:19], s[0:1], 0x88
	s_load_dwordx2 s[54:55], s[0:1], 0x8
	s_mov_b32 s33, 0
	s_mov_b32 s80, 0
	s_waitcnt lgkmcnt(0)
	s_cmp_eq_u64 s[10:11], 0
	s_cbranch_scc1 .LBB75_7
; %bb.6:
	s_ashr_i32 s21, s20, 31
	s_lshl_b64 s[28:29], s[20:21], 2
	s_add_u32 s10, s10, s28
	s_addc_u32 s11, s11, s29
	s_load_dword s80, s[10:11], 0x0
.LBB75_7:
	s_cmp_eq_u64 s[16:17], 0
	s_cbranch_scc1 .LBB75_9
; %bb.8:
	s_ashr_i32 s21, s20, 31
	s_lshl_b64 s[10:11], s[20:21], 2
	s_add_u32 s10, s16, s10
	s_addc_u32 s11, s17, s11
	s_load_dword s33, s[10:11], 0x0
.LBB75_9:
	s_cmp_lt_i32 s54, 1
	s_cbranch_scc1 .LBB75_58
; %bb.10:
	s_sub_i32 s3, 0, s24
	s_mul_i32 s3, s3, s26
	s_mul_hi_u32 s3, s26, s3
	s_abs_i32 s21, s20
	s_add_i32 s3, s26, s3
	s_load_dwordx8 s[40:47], s[0:1], 0x2c
	s_load_dwordx2 s[16:17], s[0:1], 0x5c
	s_load_dwordx4 s[48:51], s[0:1], 0x4c
	s_load_dwordx4 s[36:39], s[0:1], 0x7c
	s_load_dwordx2 s[10:11], s[0:1], 0x6c
	s_load_dwordx2 s[26:27], s[0:1], 0xc8
	s_mul_hi_u32 s3, s21, s3
	s_load_dword s23, s[0:1], 0x28
	s_ashr_i32 s0, s20, 31
	s_ashr_i32 s1, s25, 31
	s_xor_b32 s0, s0, s1
	s_mul_i32 s1, s3, s24
	s_sub_i32 s1, s21, s1
	s_add_i32 s21, s3, 1
	s_sub_i32 s25, s1, s24
	s_cmp_ge_u32 s1, s24
	s_cselect_b32 s3, s21, s3
	s_cselect_b32 s1, s25, s1
	s_add_i32 s21, s3, 1
	s_cmp_ge_u32 s1, s24
	s_cselect_b32 s1, s21, s3
	s_xor_b32 s1, s1, s0
	s_waitcnt lgkmcnt(0)
	s_mul_i32 s56, s50, s2
	s_mov_b32 s57, 0
	s_sub_i32 s3, s1, s0
	s_lshl_b64 s[0:1], s[56:57], 1
	s_add_u32 s12, s12, s0
	s_mul_i32 s56, s51, s20
	s_addc_u32 s13, s13, s1
	s_lshl_b64 s[0:1], s[56:57], 1
	s_add_u32 s50, s12, s0
	s_mul_i32 s56, s16, s2
	s_addc_u32 s51, s13, s1
	;; [unrolled: 4-line block ×10, first 2 shown]
	s_lshl_b64 s[0:1], s[56:57], 1
	s_add_u32 s45, s3, s0
	s_addc_u32 s49, s4, s1
	s_add_i32 s0, s54, 0x7ff
	s_lshr_b32 s81, s0, 11
	s_bitcmp1_b32 s23, 0
	s_cselect_b64 s[60:61], -1, 0
	s_cmp_gt_i32 s55, 0
	s_cselect_b64 s[62:63], -1, 0
	s_and_b32 s3, s54, 0x1ff
	s_cmp_eq_u32 s3, 0
	s_mul_i32 s56, s10, s2
	s_cselect_b64 s[64:65], -1, 0
	s_add_i32 s82, s81, -1
	s_lshl_b64 s[2:3], s[56:57], 1
	s_add_u32 s6, s18, s2
	s_mul_i32 s56, s11, s20
	s_addc_u32 s7, s19, s3
	s_lshl_b64 s[2:3], s[56:57], 1
	s_add_u32 s2, s6, s2
	v_mov_b32_e32 v17, 0
	s_addc_u32 s3, s7, s3
	v_lshlrev_b32_e32 v16, 4, v0
	v_cmp_gt_u32_e64 s[0:1], 64, v0
	v_lshlrev_b32_e32 v42, 3, v0
	v_cmp_eq_u32_e64 s[36:37], 63, v0
	v_cmp_eq_u32_e64 s[4:5], 0, v0
	v_lshl_add_u64 v[18:19], s[2:3], 0, v[16:17]
	v_lshlrev_b32_e32 v16, 4, v0
	v_mbcnt_lo_u32_b32 v0, -1, 0
	v_or_b32_e32 v43, 1, v42
	v_or_b32_e32 v44, 2, v42
	;; [unrolled: 1-line block ×7, first 2 shown]
	s_mov_b32 s83, 0x41a00000
	s_mov_b32 s84, 0x3fb8aa3b
	;; [unrolled: 1-line block ×6, first 2 shown]
	v_mov_b32_e32 v50, 0x3ecc95a3
	s_mov_b32 s89, 0x3f317218
	s_mov_b32 s90, 0x33800000
	s_add_i32 s91, 0, 0x848
	s_mov_b32 s92, 0xc2fc0000
	v_mov_b32_e32 v51, 0x7f800000
	v_mov_b32_e32 v20, 0x3f317218
	v_mbcnt_hi_u32_b32 v52, -1, v0
	v_mov_b32_e32 v53, 0x42800000
	v_mov_b32_e32 v54, 0x1f800000
	s_mov_b32 s93, 0
                                        ; implicit-def: $vgpr1
                                        ; implicit-def: $vgpr60
                                        ; implicit-def: $vgpr7
                                        ; implicit-def: $vgpr59
                                        ; implicit-def: $vgpr57
                                        ; implicit-def: $vgpr56
                                        ; implicit-def: $vgpr0
                                        ; implicit-def: $vgpr55
                                        ; implicit-def: $vgpr58
                                        ; implicit-def: $vgpr61
                                        ; implicit-def: $vgpr62
	s_branch .LBB75_12
.LBB75_11:                              ;   in Loop: Header=BB75_12 Depth=1
	s_add_u32 s58, s58, 0x400
	s_addc_u32 s59, s59, 0
	s_add_u32 s50, s50, 0x400
	s_addc_u32 s51, s51, 0
	v_cvt_f16_f32_e32 v8, v29
	v_cvt_f16_f32_e32 v14, v28
	;; [unrolled: 1-line block ×8, first 2 shown]
	s_add_u32 s42, s42, 0x400
	s_addc_u32 s43, s43, 0
	s_add_u32 s46, s46, 0x400
	s_mov_b32 s3, s57
	s_addc_u32 s47, s47, 0
	s_add_i32 s93, s93, 1
	v_lshl_add_u64 v[12:13], s[2:3], 1, v[18:19]
	v_pack_b32_f16 v11, v15, v11
	v_pack_b32_f16 v10, v21, v10
	;; [unrolled: 1-line block ×4, first 2 shown]
	s_cmp_eq_u32 s93, s81
	s_waitcnt lgkmcnt(0)
	; wave barrier
	global_store_dwordx4 v[12:13], v[8:11], off
	s_cbranch_scc1 .LBB75_58
.LBB75_12:                              ; =>This Loop Header: Depth=1
                                        ;     Child Loop BB75_33 Depth 2
	s_waitcnt lgkmcnt(0)
	; wave barrier
	s_and_saveexec_b64 s[2:3], s[0:1]
	s_cbranch_execz .LBB75_14
; %bb.13:                               ;   in Loop: Header=BB75_12 Depth=1
	global_load_dwordx4 v[0:3], v16, s[50:51]
	global_load_dwordx4 v[4:7], v16, s[58:59]
	s_waitcnt vmcnt(1)
	v_lshrrev_b32_e32 v55, 16, v0
	v_lshrrev_b32_e32 v58, 16, v1
	;; [unrolled: 1-line block ×4, first 2 shown]
	s_waitcnt vmcnt(0)
	v_lshrrev_b32_e32 v56, 16, v4
	v_lshrrev_b32_e32 v57, 16, v5
	v_lshrrev_b32_e32 v59, 16, v6
	v_lshrrev_b32_e32 v60, 16, v7
.LBB75_14:                              ;   in Loop: Header=BB75_12 Depth=1
	s_or_b64 exec, exec, s[2:3]
	v_cvt_f32_f16_e32 v8, v4
	v_add_f32_e32 v63, s33, v8
	v_cmp_ge_f32_e32 vcc, s83, v63
	s_and_b64 s[2:3], s[60:61], vcc
	s_and_saveexec_b64 s[6:7], s[2:3]
	s_cbranch_execz .LBB75_16
; %bb.15:                               ;   in Loop: Header=BB75_12 Depth=1
	v_mul_f32_e32 v8, 0x3fb8aa3b, v63
	v_rndne_f32_e32 v9, v8
	v_sub_f32_e32 v10, v8, v9
	v_fma_f32 v8, v63, s84, -v8
	v_fmac_f32_e32 v8, 0x32a5705f, v63
	v_add_f32_e32 v8, v10, v8
	v_cvt_i32_f32_e32 v9, v9
	v_exp_f32_e32 v8, v8
	v_cmp_ngt_f32_e32 vcc, s85, v63
	v_ldexp_f32 v8, v8, v9
	s_nop 0
	v_cndmask_b32_e32 v8, 0, v8, vcc
	v_cmp_nlt_f32_e32 vcc, s86, v63
	s_nop 1
	v_cndmask_b32_e32 v30, v51, v8, vcc
	v_add_f32_e32 v10, 1.0, v30
	v_add_f32_e32 v8, -1.0, v10
	v_sub_f32_e32 v9, v8, v10
	v_add_f32_e32 v9, 1.0, v9
	v_sub_f32_e32 v8, v30, v8
	v_add_f32_e32 v11, v8, v9
	v_frexp_mant_f32_e32 v12, v10
	v_cvt_f64_f32_e32 v[8:9], v10
	v_frexp_exp_i32_f64_e32 v8, v[8:9]
	v_cmp_gt_f32_e32 vcc, s88, v12
	v_cmp_gt_f32_e64 s[2:3], s90, v30
	s_nop 0
	v_subbrev_co_u32_e32 v22, vcc, 0, v8, vcc
	v_sub_u32_e32 v8, 0, v22
	v_ldexp_f32 v9, v10, v8
	v_add_f32_e32 v10, -1.0, v9
	v_add_f32_e32 v12, 1.0, v9
	v_ldexp_f32 v8, v11, v8
	v_add_f32_e32 v11, 1.0, v10
	v_add_f32_e32 v13, -1.0, v12
	v_sub_f32_e32 v11, v9, v11
	v_sub_f32_e32 v9, v9, v13
	v_add_f32_e32 v11, v8, v11
	v_add_f32_e32 v8, v8, v9
	;; [unrolled: 1-line block ×3, first 2 shown]
	v_rcp_f32_e32 v24, v21
	v_sub_f32_e32 v9, v12, v21
	v_add_f32_e32 v23, v8, v9
	v_add_f32_e32 v9, v10, v11
	v_mul_f32_e32 v26, v9, v24
	v_sub_f32_e32 v8, v10, v9
	v_mul_f32_e32 v10, v21, v26
	v_fma_f32 v12, v26, v21, -v10
	v_fmac_f32_e32 v12, v26, v23
	v_add_f32_e32 v25, v11, v8
	v_add_f32_e32 v8, v10, v12
	v_sub_f32_e32 v11, v9, v8
	v_pk_add_f32 v[14:15], v[8:9], v[10:11] neg_lo:[0,1] neg_hi:[0,1]
	v_mov_b32_e32 v13, v8
	v_pk_add_f32 v[8:9], v[14:15], v[12:13] neg_lo:[0,1] neg_hi:[0,1]
	v_cmp_eq_f32_e32 vcc, s87, v30
	v_add_f32_e32 v9, v25, v9
	v_add_f32_e32 v8, v8, v9
	;; [unrolled: 1-line block ×3, first 2 shown]
	v_mul_f32_e32 v25, v24, v9
	v_mul_f32_e32 v10, v21, v25
	v_fma_f32 v12, v25, v21, -v10
	v_fmac_f32_e32 v12, v25, v23
	v_sub_f32_e32 v11, v11, v9
	v_add_f32_e32 v21, v8, v11
	v_add_f32_e32 v8, v10, v12
	v_sub_f32_e32 v11, v9, v8
	v_pk_add_f32 v[14:15], v[8:9], v[10:11] neg_lo:[0,1] neg_hi:[0,1]
	v_mov_b32_e32 v13, v8
	v_pk_add_f32 v[8:9], v[14:15], v[12:13] neg_lo:[0,1] neg_hi:[0,1]
	s_or_b64 vcc, s[2:3], vcc
	v_add_f32_e32 v9, v21, v9
	v_add_f32_e32 v8, v8, v9
	;; [unrolled: 1-line block ×4, first 2 shown]
	v_sub_f32_e32 v10, v9, v26
	v_mul_f32_e32 v8, v24, v8
	v_sub_f32_e32 v10, v25, v10
	v_add_f32_e32 v10, v10, v8
	v_add_f32_e32 v12, v9, v10
	v_mul_f32_e32 v13, v12, v12
	v_fmamk_f32 v8, v13, 0x3e9b6dac, v50
	v_fmaak_f32 v21, v13, v8, 0x3f2aaada
	v_cvt_f32_i32_e32 v8, v22
	v_sub_f32_e32 v9, v12, v9
	v_sub_f32_e32 v9, v10, v9
	v_ldexp_f32 v14, v9, 1
	v_mul_f32_e32 v9, v12, v13
	v_ldexp_f32 v11, v12, 1
	v_pk_mul_f32 v[12:13], v[8:9], v[20:21]
	s_nop 0
	v_fma_f32 v10, v8, s89, -v12
	v_fmac_f32_e32 v10, 0xb102e308, v8
	v_pk_add_f32 v[8:9], v[12:13], v[10:11]
	s_nop 0
	v_sub_f32_e32 v11, v9, v11
	v_sub_f32_e32 v11, v13, v11
	v_add_f32_e32 v15, v14, v11
	v_mov_b32_e32 v14, v12
	v_pk_add_f32 v[12:13], v[8:9], v[12:13] neg_lo:[0,1] neg_hi:[0,1]
	v_pk_add_f32 v[22:23], v[8:9], v[14:15]
	v_mov_b32_e32 v11, v8
	v_mov_b32_e32 v13, v23
	v_pk_add_f32 v[24:25], v[10:11], v[12:13] neg_lo:[0,1] neg_hi:[0,1]
	v_pk_add_f32 v[10:11], v[10:11], v[12:13]
	v_mov_b32_e32 v14, v15
	v_mov_b32_e32 v12, v11
	v_pk_add_f32 v[26:27], v[12:13], v[8:9] neg_lo:[0,1] neg_hi:[0,1]
	v_mov_b32_e32 v10, v23
	v_mov_b32_e32 v13, v26
	v_pk_add_f32 v[28:29], v[22:23], v[12:13] neg_lo:[0,1] neg_hi:[0,1]
	v_mov_b32_e32 v22, v9
	v_mov_b32_e32 v23, v26
	;; [unrolled: 1-line block ×3, first 2 shown]
	v_pk_add_f32 v[10:11], v[10:11], v[22:23] neg_lo:[0,1] neg_hi:[0,1]
	v_mov_b32_e32 v15, v8
	v_pk_add_f32 v[8:9], v[14:15], v[10:11] neg_lo:[0,1] neg_hi:[0,1]
	v_mov_b32_e32 v28, v24
	v_pk_add_f32 v[10:11], v[28:29], v[8:9]
	s_nop 0
	v_mov_b32_e32 v14, v11
	v_pk_add_f32 v[14:15], v[10:11], v[14:15]
	s_nop 0
	v_pk_add_f32 v[12:13], v[12:13], v[14:15]
	v_mov_b32_e32 v9, v14
	v_mov_b32_e32 v11, v12
	v_pk_add_f32 v[22:23], v[10:11], v[24:25] neg_lo:[0,1] neg_hi:[0,1]
	s_nop 0
	v_sub_f32_e32 v10, v10, v22
	v_pk_add_f32 v[8:9], v[8:9], v[22:23] neg_lo:[0,1] neg_hi:[0,1]
	v_sub_f32_e32 v10, v24, v10
	v_add_f32_e32 v8, v8, v10
	v_add_f32_e32 v8, v8, v9
	;; [unrolled: 1-line block ×3, first 2 shown]
	v_cndmask_b32_e32 v63, v8, v30, vcc
.LBB75_16:                              ;   in Loop: Header=BB75_12 Depth=1
	s_or_b64 exec, exec, s[6:7]
	v_cvt_f32_f16_e32 v8, v56
	v_add_f32_e32 v64, s33, v8
	v_cmp_ge_f32_e32 vcc, s83, v64
	s_and_b64 s[2:3], s[60:61], vcc
	s_and_saveexec_b64 s[6:7], s[2:3]
	s_cbranch_execz .LBB75_18
; %bb.17:                               ;   in Loop: Header=BB75_12 Depth=1
	v_mul_f32_e32 v8, 0x3fb8aa3b, v64
	v_rndne_f32_e32 v9, v8
	v_sub_f32_e32 v10, v8, v9
	v_fma_f32 v8, v64, s84, -v8
	v_fmac_f32_e32 v8, 0x32a5705f, v64
	v_add_f32_e32 v8, v10, v8
	v_cvt_i32_f32_e32 v9, v9
	v_exp_f32_e32 v8, v8
	v_cmp_ngt_f32_e32 vcc, s85, v64
	v_ldexp_f32 v8, v8, v9
	s_nop 0
	v_cndmask_b32_e32 v8, 0, v8, vcc
	v_cmp_nlt_f32_e32 vcc, s86, v64
	s_nop 1
	v_cndmask_b32_e32 v30, v51, v8, vcc
	v_add_f32_e32 v10, 1.0, v30
	v_add_f32_e32 v8, -1.0, v10
	v_sub_f32_e32 v9, v8, v10
	v_add_f32_e32 v9, 1.0, v9
	v_sub_f32_e32 v8, v30, v8
	v_add_f32_e32 v11, v8, v9
	v_frexp_mant_f32_e32 v12, v10
	v_cvt_f64_f32_e32 v[8:9], v10
	v_frexp_exp_i32_f64_e32 v8, v[8:9]
	v_cmp_gt_f32_e32 vcc, s88, v12
	v_cmp_gt_f32_e64 s[2:3], s90, v30
	s_nop 0
	v_subbrev_co_u32_e32 v22, vcc, 0, v8, vcc
	v_sub_u32_e32 v8, 0, v22
	v_ldexp_f32 v9, v10, v8
	v_add_f32_e32 v10, -1.0, v9
	v_add_f32_e32 v12, 1.0, v9
	v_ldexp_f32 v8, v11, v8
	v_add_f32_e32 v11, 1.0, v10
	v_add_f32_e32 v13, -1.0, v12
	v_sub_f32_e32 v11, v9, v11
	v_sub_f32_e32 v9, v9, v13
	v_add_f32_e32 v11, v8, v11
	v_add_f32_e32 v8, v8, v9
	v_add_f32_e32 v21, v12, v8
	v_rcp_f32_e32 v24, v21
	v_sub_f32_e32 v9, v12, v21
	v_add_f32_e32 v23, v8, v9
	v_add_f32_e32 v9, v10, v11
	v_mul_f32_e32 v26, v9, v24
	v_sub_f32_e32 v8, v10, v9
	v_mul_f32_e32 v10, v21, v26
	v_fma_f32 v12, v26, v21, -v10
	v_fmac_f32_e32 v12, v26, v23
	v_add_f32_e32 v25, v11, v8
	v_add_f32_e32 v8, v10, v12
	v_sub_f32_e32 v11, v9, v8
	v_pk_add_f32 v[14:15], v[8:9], v[10:11] neg_lo:[0,1] neg_hi:[0,1]
	v_mov_b32_e32 v13, v8
	v_pk_add_f32 v[8:9], v[14:15], v[12:13] neg_lo:[0,1] neg_hi:[0,1]
	v_cmp_eq_f32_e32 vcc, s87, v30
	v_add_f32_e32 v9, v25, v9
	v_add_f32_e32 v8, v8, v9
	;; [unrolled: 1-line block ×3, first 2 shown]
	v_mul_f32_e32 v25, v24, v9
	v_mul_f32_e32 v10, v21, v25
	v_fma_f32 v12, v25, v21, -v10
	v_fmac_f32_e32 v12, v25, v23
	v_sub_f32_e32 v11, v11, v9
	v_add_f32_e32 v21, v8, v11
	v_add_f32_e32 v8, v10, v12
	v_sub_f32_e32 v11, v9, v8
	v_pk_add_f32 v[14:15], v[8:9], v[10:11] neg_lo:[0,1] neg_hi:[0,1]
	v_mov_b32_e32 v13, v8
	v_pk_add_f32 v[8:9], v[14:15], v[12:13] neg_lo:[0,1] neg_hi:[0,1]
	s_or_b64 vcc, s[2:3], vcc
	v_add_f32_e32 v9, v21, v9
	v_add_f32_e32 v8, v8, v9
	;; [unrolled: 1-line block ×4, first 2 shown]
	v_sub_f32_e32 v10, v9, v26
	v_mul_f32_e32 v8, v24, v8
	v_sub_f32_e32 v10, v25, v10
	v_add_f32_e32 v10, v10, v8
	v_add_f32_e32 v12, v9, v10
	v_mul_f32_e32 v13, v12, v12
	v_fmamk_f32 v8, v13, 0x3e9b6dac, v50
	v_fmaak_f32 v21, v13, v8, 0x3f2aaada
	v_cvt_f32_i32_e32 v8, v22
	v_sub_f32_e32 v9, v12, v9
	v_sub_f32_e32 v9, v10, v9
	v_ldexp_f32 v14, v9, 1
	v_mul_f32_e32 v9, v12, v13
	v_ldexp_f32 v11, v12, 1
	v_pk_mul_f32 v[12:13], v[8:9], v[20:21]
	s_nop 0
	v_fma_f32 v10, v8, s89, -v12
	v_fmac_f32_e32 v10, 0xb102e308, v8
	v_pk_add_f32 v[8:9], v[12:13], v[10:11]
	s_nop 0
	v_sub_f32_e32 v11, v9, v11
	v_sub_f32_e32 v11, v13, v11
	v_add_f32_e32 v15, v14, v11
	v_mov_b32_e32 v14, v12
	v_pk_add_f32 v[12:13], v[8:9], v[12:13] neg_lo:[0,1] neg_hi:[0,1]
	v_pk_add_f32 v[22:23], v[8:9], v[14:15]
	v_mov_b32_e32 v11, v8
	v_mov_b32_e32 v13, v23
	v_pk_add_f32 v[24:25], v[10:11], v[12:13] neg_lo:[0,1] neg_hi:[0,1]
	v_pk_add_f32 v[10:11], v[10:11], v[12:13]
	v_mov_b32_e32 v14, v15
	v_mov_b32_e32 v12, v11
	v_pk_add_f32 v[26:27], v[12:13], v[8:9] neg_lo:[0,1] neg_hi:[0,1]
	v_mov_b32_e32 v10, v23
	v_mov_b32_e32 v13, v26
	v_pk_add_f32 v[28:29], v[22:23], v[12:13] neg_lo:[0,1] neg_hi:[0,1]
	v_mov_b32_e32 v22, v9
	v_mov_b32_e32 v23, v26
	;; [unrolled: 1-line block ×3, first 2 shown]
	v_pk_add_f32 v[10:11], v[10:11], v[22:23] neg_lo:[0,1] neg_hi:[0,1]
	v_mov_b32_e32 v15, v8
	v_pk_add_f32 v[8:9], v[14:15], v[10:11] neg_lo:[0,1] neg_hi:[0,1]
	v_mov_b32_e32 v28, v24
	v_pk_add_f32 v[10:11], v[28:29], v[8:9]
	s_nop 0
	v_mov_b32_e32 v14, v11
	v_pk_add_f32 v[14:15], v[10:11], v[14:15]
	s_nop 0
	v_pk_add_f32 v[12:13], v[12:13], v[14:15]
	v_mov_b32_e32 v9, v14
	v_mov_b32_e32 v11, v12
	v_pk_add_f32 v[22:23], v[10:11], v[24:25] neg_lo:[0,1] neg_hi:[0,1]
	s_nop 0
	v_sub_f32_e32 v10, v10, v22
	v_pk_add_f32 v[8:9], v[8:9], v[22:23] neg_lo:[0,1] neg_hi:[0,1]
	v_sub_f32_e32 v10, v24, v10
	v_add_f32_e32 v8, v8, v10
	v_add_f32_e32 v8, v8, v9
	;; [unrolled: 1-line block ×3, first 2 shown]
	v_cndmask_b32_e32 v64, v8, v30, vcc
.LBB75_18:                              ;   in Loop: Header=BB75_12 Depth=1
	s_or_b64 exec, exec, s[6:7]
	v_cvt_f32_f16_e32 v8, v5
	v_add_f32_e32 v65, s33, v8
	v_cmp_ge_f32_e32 vcc, s83, v65
	s_and_b64 s[2:3], s[60:61], vcc
	s_and_saveexec_b64 s[6:7], s[2:3]
	s_cbranch_execz .LBB75_20
; %bb.19:                               ;   in Loop: Header=BB75_12 Depth=1
	v_mul_f32_e32 v8, 0x3fb8aa3b, v65
	v_rndne_f32_e32 v9, v8
	v_sub_f32_e32 v10, v8, v9
	v_fma_f32 v8, v65, s84, -v8
	v_fmac_f32_e32 v8, 0x32a5705f, v65
	v_add_f32_e32 v8, v10, v8
	v_cvt_i32_f32_e32 v9, v9
	v_exp_f32_e32 v8, v8
	v_cmp_ngt_f32_e32 vcc, s85, v65
	v_ldexp_f32 v8, v8, v9
	s_nop 0
	v_cndmask_b32_e32 v8, 0, v8, vcc
	v_cmp_nlt_f32_e32 vcc, s86, v65
	s_nop 1
	v_cndmask_b32_e32 v30, v51, v8, vcc
	v_add_f32_e32 v10, 1.0, v30
	v_add_f32_e32 v8, -1.0, v10
	v_sub_f32_e32 v9, v8, v10
	v_add_f32_e32 v9, 1.0, v9
	v_sub_f32_e32 v8, v30, v8
	v_add_f32_e32 v11, v8, v9
	v_frexp_mant_f32_e32 v12, v10
	v_cvt_f64_f32_e32 v[8:9], v10
	v_frexp_exp_i32_f64_e32 v8, v[8:9]
	v_cmp_gt_f32_e32 vcc, s88, v12
	v_cmp_gt_f32_e64 s[2:3], s90, v30
	s_nop 0
	v_subbrev_co_u32_e32 v22, vcc, 0, v8, vcc
	v_sub_u32_e32 v8, 0, v22
	v_ldexp_f32 v9, v10, v8
	v_add_f32_e32 v10, -1.0, v9
	v_add_f32_e32 v12, 1.0, v9
	v_ldexp_f32 v8, v11, v8
	v_add_f32_e32 v11, 1.0, v10
	v_add_f32_e32 v13, -1.0, v12
	v_sub_f32_e32 v11, v9, v11
	v_sub_f32_e32 v9, v9, v13
	v_add_f32_e32 v11, v8, v11
	v_add_f32_e32 v8, v8, v9
	;; [unrolled: 1-line block ×3, first 2 shown]
	v_rcp_f32_e32 v24, v21
	v_sub_f32_e32 v9, v12, v21
	v_add_f32_e32 v23, v8, v9
	v_add_f32_e32 v9, v10, v11
	v_mul_f32_e32 v26, v9, v24
	v_sub_f32_e32 v8, v10, v9
	v_mul_f32_e32 v10, v21, v26
	v_fma_f32 v12, v26, v21, -v10
	v_fmac_f32_e32 v12, v26, v23
	v_add_f32_e32 v25, v11, v8
	v_add_f32_e32 v8, v10, v12
	v_sub_f32_e32 v11, v9, v8
	v_pk_add_f32 v[14:15], v[8:9], v[10:11] neg_lo:[0,1] neg_hi:[0,1]
	v_mov_b32_e32 v13, v8
	v_pk_add_f32 v[8:9], v[14:15], v[12:13] neg_lo:[0,1] neg_hi:[0,1]
	v_cmp_eq_f32_e32 vcc, s87, v30
	v_add_f32_e32 v9, v25, v9
	v_add_f32_e32 v8, v8, v9
	v_add_f32_e32 v9, v11, v8
	v_mul_f32_e32 v25, v24, v9
	v_mul_f32_e32 v10, v21, v25
	v_fma_f32 v12, v25, v21, -v10
	v_fmac_f32_e32 v12, v25, v23
	v_sub_f32_e32 v11, v11, v9
	v_add_f32_e32 v21, v8, v11
	v_add_f32_e32 v8, v10, v12
	v_sub_f32_e32 v11, v9, v8
	v_pk_add_f32 v[14:15], v[8:9], v[10:11] neg_lo:[0,1] neg_hi:[0,1]
	v_mov_b32_e32 v13, v8
	v_pk_add_f32 v[8:9], v[14:15], v[12:13] neg_lo:[0,1] neg_hi:[0,1]
	s_or_b64 vcc, s[2:3], vcc
	v_add_f32_e32 v9, v21, v9
	v_add_f32_e32 v8, v8, v9
	v_add_f32_e32 v9, v26, v25
	v_add_f32_e32 v8, v11, v8
	v_sub_f32_e32 v10, v9, v26
	v_mul_f32_e32 v8, v24, v8
	v_sub_f32_e32 v10, v25, v10
	v_add_f32_e32 v10, v10, v8
	v_add_f32_e32 v12, v9, v10
	v_mul_f32_e32 v13, v12, v12
	v_fmamk_f32 v8, v13, 0x3e9b6dac, v50
	v_fmaak_f32 v21, v13, v8, 0x3f2aaada
	v_cvt_f32_i32_e32 v8, v22
	v_sub_f32_e32 v9, v12, v9
	v_sub_f32_e32 v9, v10, v9
	v_ldexp_f32 v14, v9, 1
	v_mul_f32_e32 v9, v12, v13
	v_ldexp_f32 v11, v12, 1
	v_pk_mul_f32 v[12:13], v[8:9], v[20:21]
	s_nop 0
	v_fma_f32 v10, v8, s89, -v12
	v_fmac_f32_e32 v10, 0xb102e308, v8
	v_pk_add_f32 v[8:9], v[12:13], v[10:11]
	s_nop 0
	v_sub_f32_e32 v11, v9, v11
	v_sub_f32_e32 v11, v13, v11
	v_add_f32_e32 v15, v14, v11
	v_mov_b32_e32 v14, v12
	v_pk_add_f32 v[12:13], v[8:9], v[12:13] neg_lo:[0,1] neg_hi:[0,1]
	v_pk_add_f32 v[22:23], v[8:9], v[14:15]
	v_mov_b32_e32 v11, v8
	v_mov_b32_e32 v13, v23
	v_pk_add_f32 v[24:25], v[10:11], v[12:13] neg_lo:[0,1] neg_hi:[0,1]
	v_pk_add_f32 v[10:11], v[10:11], v[12:13]
	v_mov_b32_e32 v14, v15
	v_mov_b32_e32 v12, v11
	v_pk_add_f32 v[26:27], v[12:13], v[8:9] neg_lo:[0,1] neg_hi:[0,1]
	v_mov_b32_e32 v10, v23
	v_mov_b32_e32 v13, v26
	v_pk_add_f32 v[28:29], v[22:23], v[12:13] neg_lo:[0,1] neg_hi:[0,1]
	v_mov_b32_e32 v22, v9
	v_mov_b32_e32 v23, v26
	;; [unrolled: 1-line block ×3, first 2 shown]
	v_pk_add_f32 v[10:11], v[10:11], v[22:23] neg_lo:[0,1] neg_hi:[0,1]
	v_mov_b32_e32 v15, v8
	v_pk_add_f32 v[8:9], v[14:15], v[10:11] neg_lo:[0,1] neg_hi:[0,1]
	v_mov_b32_e32 v28, v24
	v_pk_add_f32 v[10:11], v[28:29], v[8:9]
	s_nop 0
	v_mov_b32_e32 v14, v11
	v_pk_add_f32 v[14:15], v[10:11], v[14:15]
	s_nop 0
	v_pk_add_f32 v[12:13], v[12:13], v[14:15]
	v_mov_b32_e32 v9, v14
	v_mov_b32_e32 v11, v12
	v_pk_add_f32 v[22:23], v[10:11], v[24:25] neg_lo:[0,1] neg_hi:[0,1]
	s_nop 0
	v_sub_f32_e32 v10, v10, v22
	v_pk_add_f32 v[8:9], v[8:9], v[22:23] neg_lo:[0,1] neg_hi:[0,1]
	v_sub_f32_e32 v10, v24, v10
	v_add_f32_e32 v8, v8, v10
	v_add_f32_e32 v8, v8, v9
	;; [unrolled: 1-line block ×3, first 2 shown]
	v_cndmask_b32_e32 v65, v8, v30, vcc
.LBB75_20:                              ;   in Loop: Header=BB75_12 Depth=1
	s_or_b64 exec, exec, s[6:7]
	v_cvt_f32_f16_e32 v8, v57
	v_add_f32_e32 v66, s33, v8
	v_cmp_ge_f32_e32 vcc, s83, v66
	s_and_b64 s[2:3], s[60:61], vcc
	s_and_saveexec_b64 s[6:7], s[2:3]
	s_cbranch_execz .LBB75_22
; %bb.21:                               ;   in Loop: Header=BB75_12 Depth=1
	v_mul_f32_e32 v8, 0x3fb8aa3b, v66
	v_rndne_f32_e32 v9, v8
	v_sub_f32_e32 v10, v8, v9
	v_fma_f32 v8, v66, s84, -v8
	v_fmac_f32_e32 v8, 0x32a5705f, v66
	v_add_f32_e32 v8, v10, v8
	v_cvt_i32_f32_e32 v9, v9
	v_exp_f32_e32 v8, v8
	v_cmp_ngt_f32_e32 vcc, s85, v66
	v_ldexp_f32 v8, v8, v9
	s_nop 0
	v_cndmask_b32_e32 v8, 0, v8, vcc
	v_cmp_nlt_f32_e32 vcc, s86, v66
	s_nop 1
	v_cndmask_b32_e32 v30, v51, v8, vcc
	v_add_f32_e32 v10, 1.0, v30
	v_add_f32_e32 v8, -1.0, v10
	v_sub_f32_e32 v9, v8, v10
	v_add_f32_e32 v9, 1.0, v9
	v_sub_f32_e32 v8, v30, v8
	v_add_f32_e32 v11, v8, v9
	v_frexp_mant_f32_e32 v12, v10
	v_cvt_f64_f32_e32 v[8:9], v10
	v_frexp_exp_i32_f64_e32 v8, v[8:9]
	v_cmp_gt_f32_e32 vcc, s88, v12
	v_cmp_gt_f32_e64 s[2:3], s90, v30
	s_nop 0
	v_subbrev_co_u32_e32 v22, vcc, 0, v8, vcc
	v_sub_u32_e32 v8, 0, v22
	v_ldexp_f32 v9, v10, v8
	v_add_f32_e32 v10, -1.0, v9
	v_add_f32_e32 v12, 1.0, v9
	v_ldexp_f32 v8, v11, v8
	v_add_f32_e32 v11, 1.0, v10
	v_add_f32_e32 v13, -1.0, v12
	v_sub_f32_e32 v11, v9, v11
	v_sub_f32_e32 v9, v9, v13
	v_add_f32_e32 v11, v8, v11
	v_add_f32_e32 v8, v8, v9
	;; [unrolled: 1-line block ×3, first 2 shown]
	v_rcp_f32_e32 v24, v21
	v_sub_f32_e32 v9, v12, v21
	v_add_f32_e32 v23, v8, v9
	v_add_f32_e32 v9, v10, v11
	v_mul_f32_e32 v26, v9, v24
	v_sub_f32_e32 v8, v10, v9
	v_mul_f32_e32 v10, v21, v26
	v_fma_f32 v12, v26, v21, -v10
	v_fmac_f32_e32 v12, v26, v23
	v_add_f32_e32 v25, v11, v8
	v_add_f32_e32 v8, v10, v12
	v_sub_f32_e32 v11, v9, v8
	v_pk_add_f32 v[14:15], v[8:9], v[10:11] neg_lo:[0,1] neg_hi:[0,1]
	v_mov_b32_e32 v13, v8
	v_pk_add_f32 v[8:9], v[14:15], v[12:13] neg_lo:[0,1] neg_hi:[0,1]
	v_cmp_eq_f32_e32 vcc, s87, v30
	v_add_f32_e32 v9, v25, v9
	v_add_f32_e32 v8, v8, v9
	;; [unrolled: 1-line block ×3, first 2 shown]
	v_mul_f32_e32 v25, v24, v9
	v_mul_f32_e32 v10, v21, v25
	v_fma_f32 v12, v25, v21, -v10
	v_fmac_f32_e32 v12, v25, v23
	v_sub_f32_e32 v11, v11, v9
	v_add_f32_e32 v21, v8, v11
	v_add_f32_e32 v8, v10, v12
	v_sub_f32_e32 v11, v9, v8
	v_pk_add_f32 v[14:15], v[8:9], v[10:11] neg_lo:[0,1] neg_hi:[0,1]
	v_mov_b32_e32 v13, v8
	v_pk_add_f32 v[8:9], v[14:15], v[12:13] neg_lo:[0,1] neg_hi:[0,1]
	s_or_b64 vcc, s[2:3], vcc
	v_add_f32_e32 v9, v21, v9
	v_add_f32_e32 v8, v8, v9
	;; [unrolled: 1-line block ×4, first 2 shown]
	v_sub_f32_e32 v10, v9, v26
	v_mul_f32_e32 v8, v24, v8
	v_sub_f32_e32 v10, v25, v10
	v_add_f32_e32 v10, v10, v8
	v_add_f32_e32 v12, v9, v10
	v_mul_f32_e32 v13, v12, v12
	v_fmamk_f32 v8, v13, 0x3e9b6dac, v50
	v_fmaak_f32 v21, v13, v8, 0x3f2aaada
	v_cvt_f32_i32_e32 v8, v22
	v_sub_f32_e32 v9, v12, v9
	v_sub_f32_e32 v9, v10, v9
	v_ldexp_f32 v14, v9, 1
	v_mul_f32_e32 v9, v12, v13
	v_ldexp_f32 v11, v12, 1
	v_pk_mul_f32 v[12:13], v[8:9], v[20:21]
	s_nop 0
	v_fma_f32 v10, v8, s89, -v12
	v_fmac_f32_e32 v10, 0xb102e308, v8
	v_pk_add_f32 v[8:9], v[12:13], v[10:11]
	s_nop 0
	v_sub_f32_e32 v11, v9, v11
	v_sub_f32_e32 v11, v13, v11
	v_add_f32_e32 v15, v14, v11
	v_mov_b32_e32 v14, v12
	v_pk_add_f32 v[12:13], v[8:9], v[12:13] neg_lo:[0,1] neg_hi:[0,1]
	v_pk_add_f32 v[22:23], v[8:9], v[14:15]
	v_mov_b32_e32 v11, v8
	v_mov_b32_e32 v13, v23
	v_pk_add_f32 v[24:25], v[10:11], v[12:13] neg_lo:[0,1] neg_hi:[0,1]
	v_pk_add_f32 v[10:11], v[10:11], v[12:13]
	v_mov_b32_e32 v14, v15
	v_mov_b32_e32 v12, v11
	v_pk_add_f32 v[26:27], v[12:13], v[8:9] neg_lo:[0,1] neg_hi:[0,1]
	v_mov_b32_e32 v10, v23
	v_mov_b32_e32 v13, v26
	v_pk_add_f32 v[28:29], v[22:23], v[12:13] neg_lo:[0,1] neg_hi:[0,1]
	v_mov_b32_e32 v22, v9
	v_mov_b32_e32 v23, v26
	;; [unrolled: 1-line block ×3, first 2 shown]
	v_pk_add_f32 v[10:11], v[10:11], v[22:23] neg_lo:[0,1] neg_hi:[0,1]
	v_mov_b32_e32 v15, v8
	v_pk_add_f32 v[8:9], v[14:15], v[10:11] neg_lo:[0,1] neg_hi:[0,1]
	v_mov_b32_e32 v28, v24
	v_pk_add_f32 v[10:11], v[28:29], v[8:9]
	s_nop 0
	v_mov_b32_e32 v14, v11
	v_pk_add_f32 v[14:15], v[10:11], v[14:15]
	s_nop 0
	v_pk_add_f32 v[12:13], v[12:13], v[14:15]
	v_mov_b32_e32 v9, v14
	v_mov_b32_e32 v11, v12
	v_pk_add_f32 v[22:23], v[10:11], v[24:25] neg_lo:[0,1] neg_hi:[0,1]
	s_nop 0
	v_sub_f32_e32 v10, v10, v22
	v_pk_add_f32 v[8:9], v[8:9], v[22:23] neg_lo:[0,1] neg_hi:[0,1]
	v_sub_f32_e32 v10, v24, v10
	v_add_f32_e32 v8, v8, v10
	v_add_f32_e32 v8, v8, v9
	;; [unrolled: 1-line block ×3, first 2 shown]
	v_cndmask_b32_e32 v66, v8, v30, vcc
.LBB75_22:                              ;   in Loop: Header=BB75_12 Depth=1
	s_or_b64 exec, exec, s[6:7]
	v_cvt_f32_f16_e32 v8, v6
	v_add_f32_e32 v67, s33, v8
	v_cmp_ge_f32_e32 vcc, s83, v67
	s_and_b64 s[2:3], s[60:61], vcc
	s_and_saveexec_b64 s[6:7], s[2:3]
	s_cbranch_execz .LBB75_24
; %bb.23:                               ;   in Loop: Header=BB75_12 Depth=1
	v_mul_f32_e32 v8, 0x3fb8aa3b, v67
	v_rndne_f32_e32 v9, v8
	v_sub_f32_e32 v10, v8, v9
	v_fma_f32 v8, v67, s84, -v8
	v_fmac_f32_e32 v8, 0x32a5705f, v67
	v_add_f32_e32 v8, v10, v8
	v_cvt_i32_f32_e32 v9, v9
	v_exp_f32_e32 v8, v8
	v_cmp_ngt_f32_e32 vcc, s85, v67
	v_ldexp_f32 v8, v8, v9
	s_nop 0
	v_cndmask_b32_e32 v8, 0, v8, vcc
	v_cmp_nlt_f32_e32 vcc, s86, v67
	s_nop 1
	v_cndmask_b32_e32 v30, v51, v8, vcc
	v_add_f32_e32 v10, 1.0, v30
	v_add_f32_e32 v8, -1.0, v10
	v_sub_f32_e32 v9, v8, v10
	v_add_f32_e32 v9, 1.0, v9
	v_sub_f32_e32 v8, v30, v8
	v_add_f32_e32 v11, v8, v9
	v_frexp_mant_f32_e32 v12, v10
	v_cvt_f64_f32_e32 v[8:9], v10
	v_frexp_exp_i32_f64_e32 v8, v[8:9]
	v_cmp_gt_f32_e32 vcc, s88, v12
	v_cmp_gt_f32_e64 s[2:3], s90, v30
	s_nop 0
	v_subbrev_co_u32_e32 v22, vcc, 0, v8, vcc
	v_sub_u32_e32 v8, 0, v22
	v_ldexp_f32 v9, v10, v8
	v_add_f32_e32 v10, -1.0, v9
	v_add_f32_e32 v12, 1.0, v9
	v_ldexp_f32 v8, v11, v8
	v_add_f32_e32 v11, 1.0, v10
	v_add_f32_e32 v13, -1.0, v12
	v_sub_f32_e32 v11, v9, v11
	v_sub_f32_e32 v9, v9, v13
	v_add_f32_e32 v11, v8, v11
	v_add_f32_e32 v8, v8, v9
	v_add_f32_e32 v21, v12, v8
	v_rcp_f32_e32 v24, v21
	v_sub_f32_e32 v9, v12, v21
	v_add_f32_e32 v23, v8, v9
	v_add_f32_e32 v9, v10, v11
	v_mul_f32_e32 v26, v9, v24
	v_sub_f32_e32 v8, v10, v9
	v_mul_f32_e32 v10, v21, v26
	v_fma_f32 v12, v26, v21, -v10
	v_fmac_f32_e32 v12, v26, v23
	v_add_f32_e32 v25, v11, v8
	v_add_f32_e32 v8, v10, v12
	v_sub_f32_e32 v11, v9, v8
	v_pk_add_f32 v[14:15], v[8:9], v[10:11] neg_lo:[0,1] neg_hi:[0,1]
	v_mov_b32_e32 v13, v8
	v_pk_add_f32 v[8:9], v[14:15], v[12:13] neg_lo:[0,1] neg_hi:[0,1]
	v_cmp_eq_f32_e32 vcc, s87, v30
	v_add_f32_e32 v9, v25, v9
	v_add_f32_e32 v8, v8, v9
	;; [unrolled: 1-line block ×3, first 2 shown]
	v_mul_f32_e32 v25, v24, v9
	v_mul_f32_e32 v10, v21, v25
	v_fma_f32 v12, v25, v21, -v10
	v_fmac_f32_e32 v12, v25, v23
	v_sub_f32_e32 v11, v11, v9
	v_add_f32_e32 v21, v8, v11
	v_add_f32_e32 v8, v10, v12
	v_sub_f32_e32 v11, v9, v8
	v_pk_add_f32 v[14:15], v[8:9], v[10:11] neg_lo:[0,1] neg_hi:[0,1]
	v_mov_b32_e32 v13, v8
	v_pk_add_f32 v[8:9], v[14:15], v[12:13] neg_lo:[0,1] neg_hi:[0,1]
	s_or_b64 vcc, s[2:3], vcc
	v_add_f32_e32 v9, v21, v9
	v_add_f32_e32 v8, v8, v9
	;; [unrolled: 1-line block ×4, first 2 shown]
	v_sub_f32_e32 v10, v9, v26
	v_mul_f32_e32 v8, v24, v8
	v_sub_f32_e32 v10, v25, v10
	v_add_f32_e32 v10, v10, v8
	v_add_f32_e32 v12, v9, v10
	v_mul_f32_e32 v13, v12, v12
	v_fmamk_f32 v8, v13, 0x3e9b6dac, v50
	v_fmaak_f32 v21, v13, v8, 0x3f2aaada
	v_cvt_f32_i32_e32 v8, v22
	v_sub_f32_e32 v9, v12, v9
	v_sub_f32_e32 v9, v10, v9
	v_ldexp_f32 v14, v9, 1
	v_mul_f32_e32 v9, v12, v13
	v_ldexp_f32 v11, v12, 1
	v_pk_mul_f32 v[12:13], v[8:9], v[20:21]
	s_nop 0
	v_fma_f32 v10, v8, s89, -v12
	v_fmac_f32_e32 v10, 0xb102e308, v8
	v_pk_add_f32 v[8:9], v[12:13], v[10:11]
	s_nop 0
	v_sub_f32_e32 v11, v9, v11
	v_sub_f32_e32 v11, v13, v11
	v_add_f32_e32 v15, v14, v11
	v_mov_b32_e32 v14, v12
	v_pk_add_f32 v[12:13], v[8:9], v[12:13] neg_lo:[0,1] neg_hi:[0,1]
	v_pk_add_f32 v[22:23], v[8:9], v[14:15]
	v_mov_b32_e32 v11, v8
	v_mov_b32_e32 v13, v23
	v_pk_add_f32 v[24:25], v[10:11], v[12:13] neg_lo:[0,1] neg_hi:[0,1]
	v_pk_add_f32 v[10:11], v[10:11], v[12:13]
	v_mov_b32_e32 v14, v15
	v_mov_b32_e32 v12, v11
	v_pk_add_f32 v[26:27], v[12:13], v[8:9] neg_lo:[0,1] neg_hi:[0,1]
	v_mov_b32_e32 v10, v23
	v_mov_b32_e32 v13, v26
	v_pk_add_f32 v[28:29], v[22:23], v[12:13] neg_lo:[0,1] neg_hi:[0,1]
	v_mov_b32_e32 v22, v9
	v_mov_b32_e32 v23, v26
	;; [unrolled: 1-line block ×3, first 2 shown]
	v_pk_add_f32 v[10:11], v[10:11], v[22:23] neg_lo:[0,1] neg_hi:[0,1]
	v_mov_b32_e32 v15, v8
	v_pk_add_f32 v[8:9], v[14:15], v[10:11] neg_lo:[0,1] neg_hi:[0,1]
	v_mov_b32_e32 v28, v24
	v_pk_add_f32 v[10:11], v[28:29], v[8:9]
	s_nop 0
	v_mov_b32_e32 v14, v11
	v_pk_add_f32 v[14:15], v[10:11], v[14:15]
	s_nop 0
	v_pk_add_f32 v[12:13], v[12:13], v[14:15]
	v_mov_b32_e32 v9, v14
	v_mov_b32_e32 v11, v12
	v_pk_add_f32 v[22:23], v[10:11], v[24:25] neg_lo:[0,1] neg_hi:[0,1]
	s_nop 0
	v_sub_f32_e32 v10, v10, v22
	v_pk_add_f32 v[8:9], v[8:9], v[22:23] neg_lo:[0,1] neg_hi:[0,1]
	v_sub_f32_e32 v10, v24, v10
	v_add_f32_e32 v8, v8, v10
	v_add_f32_e32 v8, v8, v9
	;; [unrolled: 1-line block ×3, first 2 shown]
	v_cndmask_b32_e32 v67, v8, v30, vcc
.LBB75_24:                              ;   in Loop: Header=BB75_12 Depth=1
	s_or_b64 exec, exec, s[6:7]
	v_cvt_f32_f16_e32 v8, v59
	v_add_f32_e32 v68, s33, v8
	v_cmp_ge_f32_e32 vcc, s83, v68
	s_and_b64 s[2:3], s[60:61], vcc
	s_and_saveexec_b64 s[6:7], s[2:3]
	s_cbranch_execz .LBB75_26
; %bb.25:                               ;   in Loop: Header=BB75_12 Depth=1
	v_mul_f32_e32 v8, 0x3fb8aa3b, v68
	v_rndne_f32_e32 v9, v8
	v_sub_f32_e32 v10, v8, v9
	v_fma_f32 v8, v68, s84, -v8
	v_fmac_f32_e32 v8, 0x32a5705f, v68
	v_add_f32_e32 v8, v10, v8
	v_cvt_i32_f32_e32 v9, v9
	v_exp_f32_e32 v8, v8
	v_cmp_ngt_f32_e32 vcc, s85, v68
	v_ldexp_f32 v8, v8, v9
	s_nop 0
	v_cndmask_b32_e32 v8, 0, v8, vcc
	v_cmp_nlt_f32_e32 vcc, s86, v68
	s_nop 1
	v_cndmask_b32_e32 v30, v51, v8, vcc
	v_add_f32_e32 v10, 1.0, v30
	v_add_f32_e32 v8, -1.0, v10
	v_sub_f32_e32 v9, v8, v10
	v_add_f32_e32 v9, 1.0, v9
	v_sub_f32_e32 v8, v30, v8
	v_add_f32_e32 v11, v8, v9
	v_frexp_mant_f32_e32 v12, v10
	v_cvt_f64_f32_e32 v[8:9], v10
	v_frexp_exp_i32_f64_e32 v8, v[8:9]
	v_cmp_gt_f32_e32 vcc, s88, v12
	v_cmp_gt_f32_e64 s[2:3], s90, v30
	s_nop 0
	v_subbrev_co_u32_e32 v22, vcc, 0, v8, vcc
	v_sub_u32_e32 v8, 0, v22
	v_ldexp_f32 v9, v10, v8
	v_add_f32_e32 v10, -1.0, v9
	v_add_f32_e32 v12, 1.0, v9
	v_ldexp_f32 v8, v11, v8
	v_add_f32_e32 v11, 1.0, v10
	v_add_f32_e32 v13, -1.0, v12
	v_sub_f32_e32 v11, v9, v11
	v_sub_f32_e32 v9, v9, v13
	v_add_f32_e32 v11, v8, v11
	v_add_f32_e32 v8, v8, v9
	;; [unrolled: 1-line block ×3, first 2 shown]
	v_rcp_f32_e32 v24, v21
	v_sub_f32_e32 v9, v12, v21
	v_add_f32_e32 v23, v8, v9
	v_add_f32_e32 v9, v10, v11
	v_mul_f32_e32 v26, v9, v24
	v_sub_f32_e32 v8, v10, v9
	v_mul_f32_e32 v10, v21, v26
	v_fma_f32 v12, v26, v21, -v10
	v_fmac_f32_e32 v12, v26, v23
	v_add_f32_e32 v25, v11, v8
	v_add_f32_e32 v8, v10, v12
	v_sub_f32_e32 v11, v9, v8
	v_pk_add_f32 v[14:15], v[8:9], v[10:11] neg_lo:[0,1] neg_hi:[0,1]
	v_mov_b32_e32 v13, v8
	v_pk_add_f32 v[8:9], v[14:15], v[12:13] neg_lo:[0,1] neg_hi:[0,1]
	v_cmp_eq_f32_e32 vcc, s87, v30
	v_add_f32_e32 v9, v25, v9
	v_add_f32_e32 v8, v8, v9
	;; [unrolled: 1-line block ×3, first 2 shown]
	v_mul_f32_e32 v25, v24, v9
	v_mul_f32_e32 v10, v21, v25
	v_fma_f32 v12, v25, v21, -v10
	v_fmac_f32_e32 v12, v25, v23
	v_sub_f32_e32 v11, v11, v9
	v_add_f32_e32 v21, v8, v11
	v_add_f32_e32 v8, v10, v12
	v_sub_f32_e32 v11, v9, v8
	v_pk_add_f32 v[14:15], v[8:9], v[10:11] neg_lo:[0,1] neg_hi:[0,1]
	v_mov_b32_e32 v13, v8
	v_pk_add_f32 v[8:9], v[14:15], v[12:13] neg_lo:[0,1] neg_hi:[0,1]
	s_or_b64 vcc, s[2:3], vcc
	v_add_f32_e32 v9, v21, v9
	v_add_f32_e32 v8, v8, v9
	;; [unrolled: 1-line block ×4, first 2 shown]
	v_sub_f32_e32 v10, v9, v26
	v_mul_f32_e32 v8, v24, v8
	v_sub_f32_e32 v10, v25, v10
	v_add_f32_e32 v10, v10, v8
	v_add_f32_e32 v12, v9, v10
	v_mul_f32_e32 v13, v12, v12
	v_fmamk_f32 v8, v13, 0x3e9b6dac, v50
	v_fmaak_f32 v21, v13, v8, 0x3f2aaada
	v_cvt_f32_i32_e32 v8, v22
	v_sub_f32_e32 v9, v12, v9
	v_sub_f32_e32 v9, v10, v9
	v_ldexp_f32 v14, v9, 1
	v_mul_f32_e32 v9, v12, v13
	v_ldexp_f32 v11, v12, 1
	v_pk_mul_f32 v[12:13], v[8:9], v[20:21]
	s_nop 0
	v_fma_f32 v10, v8, s89, -v12
	v_fmac_f32_e32 v10, 0xb102e308, v8
	v_pk_add_f32 v[8:9], v[12:13], v[10:11]
	s_nop 0
	v_sub_f32_e32 v11, v9, v11
	v_sub_f32_e32 v11, v13, v11
	v_add_f32_e32 v15, v14, v11
	v_mov_b32_e32 v14, v12
	v_pk_add_f32 v[12:13], v[8:9], v[12:13] neg_lo:[0,1] neg_hi:[0,1]
	v_pk_add_f32 v[22:23], v[8:9], v[14:15]
	v_mov_b32_e32 v11, v8
	v_mov_b32_e32 v13, v23
	v_pk_add_f32 v[24:25], v[10:11], v[12:13] neg_lo:[0,1] neg_hi:[0,1]
	v_pk_add_f32 v[10:11], v[10:11], v[12:13]
	v_mov_b32_e32 v14, v15
	v_mov_b32_e32 v12, v11
	v_pk_add_f32 v[26:27], v[12:13], v[8:9] neg_lo:[0,1] neg_hi:[0,1]
	v_mov_b32_e32 v10, v23
	v_mov_b32_e32 v13, v26
	v_pk_add_f32 v[28:29], v[22:23], v[12:13] neg_lo:[0,1] neg_hi:[0,1]
	v_mov_b32_e32 v22, v9
	v_mov_b32_e32 v23, v26
	;; [unrolled: 1-line block ×3, first 2 shown]
	v_pk_add_f32 v[10:11], v[10:11], v[22:23] neg_lo:[0,1] neg_hi:[0,1]
	v_mov_b32_e32 v15, v8
	v_pk_add_f32 v[8:9], v[14:15], v[10:11] neg_lo:[0,1] neg_hi:[0,1]
	v_mov_b32_e32 v28, v24
	v_pk_add_f32 v[10:11], v[28:29], v[8:9]
	s_nop 0
	v_mov_b32_e32 v14, v11
	v_pk_add_f32 v[14:15], v[10:11], v[14:15]
	s_nop 0
	v_pk_add_f32 v[12:13], v[12:13], v[14:15]
	v_mov_b32_e32 v9, v14
	v_mov_b32_e32 v11, v12
	v_pk_add_f32 v[22:23], v[10:11], v[24:25] neg_lo:[0,1] neg_hi:[0,1]
	s_nop 0
	v_sub_f32_e32 v10, v10, v22
	v_pk_add_f32 v[8:9], v[8:9], v[22:23] neg_lo:[0,1] neg_hi:[0,1]
	v_sub_f32_e32 v10, v24, v10
	v_add_f32_e32 v8, v8, v10
	v_add_f32_e32 v8, v8, v9
	;; [unrolled: 1-line block ×3, first 2 shown]
	v_cndmask_b32_e32 v68, v8, v30, vcc
.LBB75_26:                              ;   in Loop: Header=BB75_12 Depth=1
	s_or_b64 exec, exec, s[6:7]
	v_cvt_f32_f16_e32 v8, v7
	v_add_f32_e32 v69, s33, v8
	v_cmp_ge_f32_e32 vcc, s83, v69
	s_and_b64 s[2:3], s[60:61], vcc
	s_and_saveexec_b64 s[6:7], s[2:3]
	s_cbranch_execz .LBB75_28
; %bb.27:                               ;   in Loop: Header=BB75_12 Depth=1
	v_mul_f32_e32 v8, 0x3fb8aa3b, v69
	v_rndne_f32_e32 v9, v8
	v_sub_f32_e32 v10, v8, v9
	v_fma_f32 v8, v69, s84, -v8
	v_fmac_f32_e32 v8, 0x32a5705f, v69
	v_add_f32_e32 v8, v10, v8
	v_cvt_i32_f32_e32 v9, v9
	v_exp_f32_e32 v8, v8
	v_cmp_ngt_f32_e32 vcc, s85, v69
	v_ldexp_f32 v8, v8, v9
	s_nop 0
	v_cndmask_b32_e32 v8, 0, v8, vcc
	v_cmp_nlt_f32_e32 vcc, s86, v69
	s_nop 1
	v_cndmask_b32_e32 v30, v51, v8, vcc
	v_add_f32_e32 v10, 1.0, v30
	v_add_f32_e32 v8, -1.0, v10
	v_sub_f32_e32 v9, v8, v10
	v_add_f32_e32 v9, 1.0, v9
	v_sub_f32_e32 v8, v30, v8
	v_add_f32_e32 v11, v8, v9
	v_frexp_mant_f32_e32 v12, v10
	v_cvt_f64_f32_e32 v[8:9], v10
	v_frexp_exp_i32_f64_e32 v8, v[8:9]
	v_cmp_gt_f32_e32 vcc, s88, v12
	v_cmp_gt_f32_e64 s[2:3], s90, v30
	s_nop 0
	v_subbrev_co_u32_e32 v22, vcc, 0, v8, vcc
	v_sub_u32_e32 v8, 0, v22
	v_ldexp_f32 v9, v10, v8
	v_add_f32_e32 v10, -1.0, v9
	v_add_f32_e32 v12, 1.0, v9
	v_ldexp_f32 v8, v11, v8
	v_add_f32_e32 v11, 1.0, v10
	v_add_f32_e32 v13, -1.0, v12
	v_sub_f32_e32 v11, v9, v11
	v_sub_f32_e32 v9, v9, v13
	v_add_f32_e32 v11, v8, v11
	v_add_f32_e32 v8, v8, v9
	;; [unrolled: 1-line block ×3, first 2 shown]
	v_rcp_f32_e32 v24, v21
	v_sub_f32_e32 v9, v12, v21
	v_add_f32_e32 v23, v8, v9
	v_add_f32_e32 v9, v10, v11
	v_mul_f32_e32 v26, v9, v24
	v_sub_f32_e32 v8, v10, v9
	v_mul_f32_e32 v10, v21, v26
	v_fma_f32 v12, v26, v21, -v10
	v_fmac_f32_e32 v12, v26, v23
	v_add_f32_e32 v25, v11, v8
	v_add_f32_e32 v8, v10, v12
	v_sub_f32_e32 v11, v9, v8
	v_pk_add_f32 v[14:15], v[8:9], v[10:11] neg_lo:[0,1] neg_hi:[0,1]
	v_mov_b32_e32 v13, v8
	v_pk_add_f32 v[8:9], v[14:15], v[12:13] neg_lo:[0,1] neg_hi:[0,1]
	v_cmp_eq_f32_e32 vcc, s87, v30
	v_add_f32_e32 v9, v25, v9
	v_add_f32_e32 v8, v8, v9
	;; [unrolled: 1-line block ×3, first 2 shown]
	v_mul_f32_e32 v25, v24, v9
	v_mul_f32_e32 v10, v21, v25
	v_fma_f32 v12, v25, v21, -v10
	v_fmac_f32_e32 v12, v25, v23
	v_sub_f32_e32 v11, v11, v9
	v_add_f32_e32 v21, v8, v11
	v_add_f32_e32 v8, v10, v12
	v_sub_f32_e32 v11, v9, v8
	v_pk_add_f32 v[14:15], v[8:9], v[10:11] neg_lo:[0,1] neg_hi:[0,1]
	v_mov_b32_e32 v13, v8
	v_pk_add_f32 v[8:9], v[14:15], v[12:13] neg_lo:[0,1] neg_hi:[0,1]
	s_or_b64 vcc, s[2:3], vcc
	v_add_f32_e32 v9, v21, v9
	v_add_f32_e32 v8, v8, v9
	;; [unrolled: 1-line block ×4, first 2 shown]
	v_sub_f32_e32 v10, v9, v26
	v_mul_f32_e32 v8, v24, v8
	v_sub_f32_e32 v10, v25, v10
	v_add_f32_e32 v10, v10, v8
	v_add_f32_e32 v12, v9, v10
	v_mul_f32_e32 v13, v12, v12
	v_fmamk_f32 v8, v13, 0x3e9b6dac, v50
	v_fmaak_f32 v21, v13, v8, 0x3f2aaada
	v_cvt_f32_i32_e32 v8, v22
	v_sub_f32_e32 v9, v12, v9
	v_sub_f32_e32 v9, v10, v9
	v_ldexp_f32 v14, v9, 1
	v_mul_f32_e32 v9, v12, v13
	v_ldexp_f32 v11, v12, 1
	v_pk_mul_f32 v[12:13], v[8:9], v[20:21]
	s_nop 0
	v_fma_f32 v10, v8, s89, -v12
	v_fmac_f32_e32 v10, 0xb102e308, v8
	v_pk_add_f32 v[8:9], v[12:13], v[10:11]
	s_nop 0
	v_sub_f32_e32 v11, v9, v11
	v_sub_f32_e32 v11, v13, v11
	v_add_f32_e32 v15, v14, v11
	v_mov_b32_e32 v14, v12
	v_pk_add_f32 v[12:13], v[8:9], v[12:13] neg_lo:[0,1] neg_hi:[0,1]
	v_pk_add_f32 v[22:23], v[8:9], v[14:15]
	v_mov_b32_e32 v11, v8
	v_mov_b32_e32 v13, v23
	v_pk_add_f32 v[24:25], v[10:11], v[12:13] neg_lo:[0,1] neg_hi:[0,1]
	v_pk_add_f32 v[10:11], v[10:11], v[12:13]
	v_mov_b32_e32 v14, v15
	v_mov_b32_e32 v12, v11
	v_pk_add_f32 v[26:27], v[12:13], v[8:9] neg_lo:[0,1] neg_hi:[0,1]
	v_mov_b32_e32 v10, v23
	v_mov_b32_e32 v13, v26
	v_pk_add_f32 v[28:29], v[22:23], v[12:13] neg_lo:[0,1] neg_hi:[0,1]
	v_mov_b32_e32 v22, v9
	v_mov_b32_e32 v23, v26
	;; [unrolled: 1-line block ×3, first 2 shown]
	v_pk_add_f32 v[10:11], v[10:11], v[22:23] neg_lo:[0,1] neg_hi:[0,1]
	v_mov_b32_e32 v15, v8
	v_pk_add_f32 v[8:9], v[14:15], v[10:11] neg_lo:[0,1] neg_hi:[0,1]
	v_mov_b32_e32 v28, v24
	v_pk_add_f32 v[10:11], v[28:29], v[8:9]
	s_nop 0
	v_mov_b32_e32 v14, v11
	v_pk_add_f32 v[14:15], v[10:11], v[14:15]
	s_nop 0
	v_pk_add_f32 v[12:13], v[12:13], v[14:15]
	v_mov_b32_e32 v9, v14
	v_mov_b32_e32 v11, v12
	v_pk_add_f32 v[22:23], v[10:11], v[24:25] neg_lo:[0,1] neg_hi:[0,1]
	s_nop 0
	v_sub_f32_e32 v10, v10, v22
	v_pk_add_f32 v[8:9], v[8:9], v[22:23] neg_lo:[0,1] neg_hi:[0,1]
	v_sub_f32_e32 v10, v24, v10
	v_add_f32_e32 v8, v8, v10
	v_add_f32_e32 v8, v8, v9
	;; [unrolled: 1-line block ×3, first 2 shown]
	v_cndmask_b32_e32 v69, v8, v30, vcc
.LBB75_28:                              ;   in Loop: Header=BB75_12 Depth=1
	s_or_b64 exec, exec, s[6:7]
	v_cvt_f32_f16_e32 v8, v60
	v_add_f32_e32 v21, s33, v8
	v_cmp_ge_f32_e32 vcc, s83, v21
	s_and_b64 s[2:3], s[60:61], vcc
	s_and_saveexec_b64 s[6:7], s[2:3]
	s_cbranch_execz .LBB75_30
; %bb.29:                               ;   in Loop: Header=BB75_12 Depth=1
	v_mul_f32_e32 v8, 0x3fb8aa3b, v21
	v_rndne_f32_e32 v9, v8
	v_sub_f32_e32 v10, v8, v9
	v_fma_f32 v8, v21, s84, -v8
	v_fmac_f32_e32 v8, 0x32a5705f, v21
	v_add_f32_e32 v8, v10, v8
	v_cvt_i32_f32_e32 v9, v9
	v_exp_f32_e32 v8, v8
	v_cmp_ngt_f32_e32 vcc, s85, v21
	v_ldexp_f32 v8, v8, v9
	s_nop 0
	v_cndmask_b32_e32 v8, 0, v8, vcc
	v_cmp_nlt_f32_e32 vcc, s86, v21
	s_nop 1
	v_cndmask_b32_e32 v30, v51, v8, vcc
	v_add_f32_e32 v10, 1.0, v30
	v_add_f32_e32 v8, -1.0, v10
	v_sub_f32_e32 v9, v8, v10
	v_add_f32_e32 v9, 1.0, v9
	v_sub_f32_e32 v8, v30, v8
	v_add_f32_e32 v11, v8, v9
	v_frexp_mant_f32_e32 v12, v10
	v_cvt_f64_f32_e32 v[8:9], v10
	v_frexp_exp_i32_f64_e32 v8, v[8:9]
	v_cmp_gt_f32_e32 vcc, s88, v12
	v_cmp_gt_f32_e64 s[2:3], s90, v30
	s_nop 0
	v_subbrev_co_u32_e32 v22, vcc, 0, v8, vcc
	v_sub_u32_e32 v8, 0, v22
	v_ldexp_f32 v9, v10, v8
	v_add_f32_e32 v10, -1.0, v9
	v_add_f32_e32 v12, 1.0, v9
	v_ldexp_f32 v8, v11, v8
	v_add_f32_e32 v11, 1.0, v10
	v_add_f32_e32 v13, -1.0, v12
	v_sub_f32_e32 v11, v9, v11
	v_sub_f32_e32 v9, v9, v13
	v_add_f32_e32 v11, v8, v11
	v_add_f32_e32 v8, v8, v9
	;; [unrolled: 1-line block ×3, first 2 shown]
	v_rcp_f32_e32 v24, v21
	v_sub_f32_e32 v9, v12, v21
	v_add_f32_e32 v23, v8, v9
	v_add_f32_e32 v9, v10, v11
	v_mul_f32_e32 v26, v9, v24
	v_sub_f32_e32 v8, v10, v9
	v_mul_f32_e32 v10, v21, v26
	v_fma_f32 v12, v26, v21, -v10
	v_fmac_f32_e32 v12, v26, v23
	v_add_f32_e32 v25, v11, v8
	v_add_f32_e32 v8, v10, v12
	v_sub_f32_e32 v11, v9, v8
	v_pk_add_f32 v[14:15], v[8:9], v[10:11] neg_lo:[0,1] neg_hi:[0,1]
	v_mov_b32_e32 v13, v8
	v_pk_add_f32 v[8:9], v[14:15], v[12:13] neg_lo:[0,1] neg_hi:[0,1]
	v_cmp_eq_f32_e32 vcc, s87, v30
	v_add_f32_e32 v9, v25, v9
	v_add_f32_e32 v8, v8, v9
	;; [unrolled: 1-line block ×3, first 2 shown]
	v_mul_f32_e32 v25, v24, v9
	v_mul_f32_e32 v10, v21, v25
	v_fma_f32 v12, v25, v21, -v10
	v_fmac_f32_e32 v12, v25, v23
	v_sub_f32_e32 v11, v11, v9
	v_add_f32_e32 v21, v8, v11
	v_add_f32_e32 v8, v10, v12
	v_sub_f32_e32 v11, v9, v8
	v_pk_add_f32 v[14:15], v[8:9], v[10:11] neg_lo:[0,1] neg_hi:[0,1]
	v_mov_b32_e32 v13, v8
	v_pk_add_f32 v[8:9], v[14:15], v[12:13] neg_lo:[0,1] neg_hi:[0,1]
	s_or_b64 vcc, s[2:3], vcc
	v_add_f32_e32 v9, v21, v9
	v_add_f32_e32 v8, v8, v9
	;; [unrolled: 1-line block ×4, first 2 shown]
	v_sub_f32_e32 v10, v9, v26
	v_mul_f32_e32 v8, v24, v8
	v_sub_f32_e32 v10, v25, v10
	v_add_f32_e32 v10, v10, v8
	v_add_f32_e32 v12, v9, v10
	v_mul_f32_e32 v13, v12, v12
	v_fmamk_f32 v8, v13, 0x3e9b6dac, v50
	v_fmaak_f32 v21, v13, v8, 0x3f2aaada
	v_cvt_f32_i32_e32 v8, v22
	v_sub_f32_e32 v9, v12, v9
	v_sub_f32_e32 v9, v10, v9
	v_ldexp_f32 v14, v9, 1
	v_mul_f32_e32 v9, v12, v13
	v_ldexp_f32 v11, v12, 1
	v_pk_mul_f32 v[12:13], v[8:9], v[20:21]
	s_nop 0
	v_fma_f32 v10, v8, s89, -v12
	v_fmac_f32_e32 v10, 0xb102e308, v8
	v_pk_add_f32 v[8:9], v[12:13], v[10:11]
	s_nop 0
	v_sub_f32_e32 v11, v9, v11
	v_sub_f32_e32 v11, v13, v11
	v_add_f32_e32 v15, v14, v11
	v_mov_b32_e32 v14, v12
	v_pk_add_f32 v[12:13], v[8:9], v[12:13] neg_lo:[0,1] neg_hi:[0,1]
	v_pk_add_f32 v[22:23], v[8:9], v[14:15]
	v_mov_b32_e32 v11, v8
	v_mov_b32_e32 v13, v23
	v_pk_add_f32 v[24:25], v[10:11], v[12:13] neg_lo:[0,1] neg_hi:[0,1]
	v_pk_add_f32 v[10:11], v[10:11], v[12:13]
	v_mov_b32_e32 v14, v15
	v_mov_b32_e32 v12, v11
	v_pk_add_f32 v[26:27], v[12:13], v[8:9] neg_lo:[0,1] neg_hi:[0,1]
	v_mov_b32_e32 v10, v23
	v_mov_b32_e32 v13, v26
	v_pk_add_f32 v[28:29], v[22:23], v[12:13] neg_lo:[0,1] neg_hi:[0,1]
	v_mov_b32_e32 v22, v9
	v_mov_b32_e32 v23, v26
	;; [unrolled: 1-line block ×3, first 2 shown]
	v_pk_add_f32 v[10:11], v[10:11], v[22:23] neg_lo:[0,1] neg_hi:[0,1]
	v_mov_b32_e32 v15, v8
	v_pk_add_f32 v[8:9], v[14:15], v[10:11] neg_lo:[0,1] neg_hi:[0,1]
	v_mov_b32_e32 v28, v24
	v_pk_add_f32 v[10:11], v[28:29], v[8:9]
	s_nop 0
	v_mov_b32_e32 v14, v11
	v_pk_add_f32 v[14:15], v[10:11], v[14:15]
	s_nop 0
	v_pk_add_f32 v[12:13], v[12:13], v[14:15]
	v_mov_b32_e32 v9, v14
	v_mov_b32_e32 v11, v12
	v_pk_add_f32 v[22:23], v[10:11], v[24:25] neg_lo:[0,1] neg_hi:[0,1]
	s_nop 0
	v_sub_f32_e32 v10, v10, v22
	v_pk_add_f32 v[8:9], v[8:9], v[22:23] neg_lo:[0,1] neg_hi:[0,1]
	v_sub_f32_e32 v10, v24, v10
	v_add_f32_e32 v8, v8, v10
	v_add_f32_e32 v8, v8, v9
	;; [unrolled: 1-line block ×3, first 2 shown]
	v_cndmask_b32_e32 v21, v8, v30, vcc
.LBB75_30:                              ;   in Loop: Header=BB75_12 Depth=1
	s_or_b64 exec, exec, s[6:7]
	v_cvt_f32_f16_e32 v8, v3
	v_cvt_f32_f16_e32 v9, v61
	v_cvt_f32_f16_e32 v10, v2
	v_cvt_f32_f16_e32 v11, v62
	v_cvt_f32_f16_e32 v12, v58
	v_cvt_f32_f16_e32 v13, v1
	v_cvt_f32_f16_e32 v14, v55
	v_cvt_f32_f16_e32 v15, v0
	v_mul_f32_e32 v24, s80, v8
	v_mul_f32_e32 v23, s80, v9
	;; [unrolled: 1-line block ×7, first 2 shown]
	s_lshl_b32 s2, s93, 9
	v_mul_f32_e32 v25, s80, v11
	s_and_b64 vcc, exec, s[62:63]
	s_waitcnt lgkmcnt(0)
	; wave barrier
	s_cbranch_vccz .LBB75_11
; %bb.31:                               ;   in Loop: Header=BB75_12 Depth=1
	v_mul_f32_e32 v71, v69, v8
	v_and_b32_e32 v8, 15, v52
	v_cmp_ne_u32_e64 s[6:7], 0, v8
	v_cmp_lt_u32_e64 s[8:9], 1, v8
	v_cmp_lt_u32_e64 s[10:11], 3, v8
	;; [unrolled: 1-line block ×3, first 2 shown]
	v_and_b32_e32 v8, 16, v52
	v_mul_f32_e32 v72, v68, v9
	s_sub_i32 s3, s54, s2
	v_cmp_ne_u32_e64 s[14:15], 0, v8
	v_add_u32_e32 v8, -1, v52
	v_and_b32_e32 v9, 64, v52
	s_cmp_lg_u32 s93, 0
	v_cmp_lt_i32_e32 vcc, v8, v9
	s_cselect_b64 s[66:67], -1, 0
	s_cmp_eq_u32 s93, s82
	v_cndmask_b32_e32 v8, v8, v52, vcc
	v_cmp_gt_u32_e32 vcc, s3, v42
	s_cselect_b64 s[68:69], -1, 0
	s_or_b64 s[18:19], s[64:65], vcc
	v_cmp_gt_u32_e32 vcc, s3, v43
	s_or_b64 s[20:21], s[64:65], vcc
	v_cmp_gt_u32_e32 vcc, s3, v44
	;; [unrolled: 2-line block ×6, first 2 shown]
	s_mov_b32 s56, 0
	s_or_b64 s[30:31], s[64:65], vcc
	v_cmp_gt_u32_e32 vcc, s3, v49
	v_mul_f32_e32 v70, v21, v11
	v_mul_f32_e32 v73, v67, v10
	;; [unrolled: 1-line block ×6, first 2 shown]
	v_lshl_add_u64 v[30:31], s[42:43], 0, v[16:17]
	v_lshl_add_u64 v[32:33], s[46:47], 0, v[16:17]
	v_cmp_lt_u32_e64 s[16:17], 31, v52
	v_lshlrev_b32_e32 v78, 2, v8
	s_or_b64 s[34:35], s[64:65], vcc
	s_mov_b32 s70, s56
	s_mov_b32 s72, s56
	;; [unrolled: 1-line block ×5, first 2 shown]
	s_branch .LBB75_33
.LBB75_32:                              ;   in Loop: Header=BB75_33 Depth=2
	s_or_b64 exec, exec, s[76:77]
	v_mul_f32_e32 v34, v79, v87
	v_fma_f32 v35, v79, v88, v12
	v_cndmask_b32_e64 v12, v35, v12, s[4:5]
	v_cndmask_b32_e64 v34, v34, v79, s[4:5]
	s_waitcnt lgkmcnt(0)
	v_fmac_f32_e32 v12, v40, v34
	v_fmac_f32_e32 v13, v12, v80
	;; [unrolled: 1-line block ×5, first 2 shown]
	s_waitcnt vmcnt(0)
	v_cvt_f32_f16_sdwa v35, v8 dst_sel:DWORD dst_unused:UNUSED_PAD src0_sel:WORD_1
	v_cvt_f32_f16_sdwa v41, v9 dst_sel:DWORD dst_unused:UNUSED_PAD src0_sel:WORD_1
	v_cvt_f32_f16_e32 v34, v8
	v_cvt_f32_f16_e32 v40, v9
	v_cvt_f32_f16_sdwa v9, v10 dst_sel:DWORD dst_unused:UNUSED_PAD src0_sel:WORD_1
	v_cvt_f32_f16_sdwa v81, v11 dst_sel:DWORD dst_unused:UNUSED_PAD src0_sel:WORD_1
	v_cvt_f32_f16_e32 v80, v11
	v_cvt_f32_f16_e32 v8, v10
	v_fmac_f32_e32 v15, v14, v84
	v_fmac_f32_e32 v38, v15, v85
	;; [unrolled: 1-line block ×3, first 2 shown]
	s_add_i32 s94, s94, 8
	s_add_i32 s3, s3, -1
	s_add_i32 s74, s74, s38
	s_add_i32 s72, s72, s48
	s_add_i32 s70, s70, s44
	s_add_i32 s56, s56, s41
	v_pk_fma_f32 v[26:27], v[36:37], v[40:41], v[26:27]
	v_pk_fma_f32 v[28:29], v[12:13], v[34:35], v[28:29]
	;; [unrolled: 1-line block ×3, first 2 shown]
	s_cmp_eq_u32 s3, 0
	v_pk_fma_f32 v[22:23], v[14:15], v[8:9], v[22:23]
	s_cbranch_scc1 .LBB75_11
.LBB75_33:                              ;   Parent Loop BB75_12 Depth=1
                                        ; =>  This Inner Loop Header: Depth=2
	s_lshl_b64 s[76:77], s[56:57], 2
	s_mov_b32 s71, s57
	s_add_u32 s76, s39, s76
	v_lshl_add_u64 v[8:9], s[70:71], 1, v[30:31]
	s_mov_b32 s73, s57
	s_addc_u32 s77, s40, s77
	global_load_dwordx4 v[12:15], v[8:9], off
	v_lshl_add_u64 v[8:9], s[72:73], 1, v[32:33]
	global_load_dword v36, v17, s[76:77]
	s_andn2_b64 vcc, exec, s[66:67]
	global_load_dwordx4 v[8:11], v[8:9], off
	s_cbranch_vccnz .LBB75_35
; %bb.34:                               ;   in Loop: Header=BB75_33 Depth=2
	v_mov_b32_e32 v34, s94
	ds_read_b64 v[34:35], v34
	s_cbranch_execz .LBB75_36
	s_branch .LBB75_39
.LBB75_35:                              ;   in Loop: Header=BB75_33 Depth=2
                                        ; implicit-def: $vgpr35
.LBB75_36:                              ;   in Loop: Header=BB75_33 Depth=2
	s_andn2_b64 vcc, exec, s[52:53]
	s_waitcnt lgkmcnt(0)
	v_mov_b32_e32 v35, 0
	s_cbranch_vccnz .LBB75_38
; %bb.37:                               ;   in Loop: Header=BB75_33 Depth=2
	s_mov_b32 s75, s57
	s_lshl_b64 s[76:77], s[74:75], 1
	s_add_u32 s76, s45, s76
	s_addc_u32 s77, s49, s77
	global_load_ushort v34, v17, s[76:77]
	s_waitcnt vmcnt(0)
	v_cvt_f32_f16_e32 v35, v34
.LBB75_38:                              ;   in Loop: Header=BB75_33 Depth=2
	v_mov_b32_e32 v34, 1.0
.LBB75_39:                              ;   in Loop: Header=BB75_33 Depth=2
	s_waitcnt vmcnt(1)
	v_mul_f32_e32 v38, 0x3fb8aa3b, v36
	v_cvt_f32_f16_e32 v36, v12
	v_cvt_f32_f16_sdwa v37, v12 dst_sel:DWORD dst_unused:UNUSED_PAD src0_sel:WORD_1
	v_mul_f32_e32 v12, v38, v63
	v_cmp_gt_f32_e32 vcc, s92, v12
	v_cvt_f32_f16_e32 v41, v14
	v_cvt_f32_f16_sdwa v84, v14 dst_sel:DWORD dst_unused:UNUSED_PAD src0_sel:WORD_1
	v_cndmask_b32_e32 v12, 0, v53, vcc
	v_mul_f32_e32 v14, v38, v64
	v_cvt_f32_f16_e32 v39, v13
	v_cvt_f32_f16_sdwa v40, v13 dst_sel:DWORD dst_unused:UNUSED_PAD src0_sel:WORD_1
	v_fmac_f32_e32 v12, v38, v63
	v_cndmask_b32_e32 v13, 1.0, v54, vcc
	v_cmp_gt_f32_e32 vcc, s92, v14
	v_exp_f32_e32 v12, v12
	v_cvt_f32_f16_e32 v85, v15
	v_cndmask_b32_e32 v14, 0, v53, vcc
	v_fmac_f32_e32 v14, v38, v64
	v_exp_f32_e32 v14, v14
	v_cvt_f32_f16_sdwa v86, v15 dst_sel:DWORD dst_unused:UNUSED_PAD src0_sel:WORD_1
	v_mul_f32_e32 v13, v12, v13
	v_mul_f32_e32 v15, v38, v65
	v_cndmask_b32_e64 v79, 1.0, v13, s[18:19]
	v_cndmask_b32_e32 v13, 1.0, v54, vcc
	v_cmp_gt_f32_e32 vcc, s92, v15
	v_mul_f32_e32 v12, v77, v36
	v_mul_f32_e32 v14, v14, v13
	v_cndmask_b32_e32 v15, 0, v53, vcc
	v_mul_f32_e32 v36, v38, v66
	v_fmac_f32_e32 v15, v38, v65
	v_cndmask_b32_e64 v80, 1.0, v14, s[20:21]
	v_cndmask_b32_e32 v14, 1.0, v54, vcc
	v_cmp_gt_f32_e32 vcc, s92, v36
	v_exp_f32_e32 v15, v15
	v_mul_f32_e32 v13, v76, v37
	v_cndmask_b32_e32 v36, 0, v53, vcc
	v_fmac_f32_e32 v36, v38, v66
	v_exp_f32_e32 v37, v36
	v_mul_f32_e32 v14, v15, v14
	v_cndmask_b32_e64 v81, 1.0, v14, s[22:23]
	v_cndmask_b32_e32 v14, 1.0, v54, vcc
	v_mul_f32_e32 v14, v37, v14
	v_mul_f32_e32 v37, v38, v67
	v_cmp_gt_f32_e32 vcc, s92, v37
	v_mul_f32_e32 v15, v75, v39
	v_cndmask_b32_e64 v36, 0, v15, s[22:23]
	v_cndmask_b32_e32 v37, 0, v53, vcc
	v_fmac_f32_e32 v37, v38, v67
	v_exp_f32_e32 v39, v37
	v_mul_f32_e32 v15, v74, v40
	v_cndmask_b32_e64 v82, 1.0, v14, s[24:25]
	v_cndmask_b32_e32 v14, 1.0, v54, vcc
	v_cndmask_b32_e64 v37, 0, v15, s[24:25]
	v_mul_f32_e32 v15, v39, v14
	v_mul_f32_e32 v39, v38, v68
	v_cmp_gt_f32_e32 vcc, s92, v39
	v_mul_f32_e32 v40, v38, v69
	v_cndmask_b32_e64 v83, 1.0, v15, s[26:27]
	v_cndmask_b32_e32 v39, 0, v53, vcc
	v_fmac_f32_e32 v39, v38, v68
	v_exp_f32_e32 v39, v39
	v_cndmask_b32_e32 v15, 1.0, v54, vcc
	v_cmp_gt_f32_e32 vcc, s92, v40
	v_mul_f32_e32 v14, v73, v41
	v_mul_f32_e32 v39, v39, v15
	v_cndmask_b32_e32 v40, 0, v53, vcc
	v_mul_f32_e32 v41, v38, v21
	v_mul_f32_e32 v15, v72, v84
	v_fmac_f32_e32 v40, v38, v69
	v_cndmask_b32_e64 v84, 1.0, v39, s[28:29]
	v_cndmask_b32_e32 v39, 1.0, v54, vcc
	v_cmp_gt_f32_e32 vcc, s92, v41
	v_exp_f32_e32 v40, v40
	v_cndmask_b32_e64 v12, 0, v12, s[18:19]
	v_cndmask_b32_e32 v41, 0, v53, vcc
	v_fmac_f32_e32 v41, v38, v21
	v_exp_f32_e32 v41, v41
	v_mul_f32_e32 v39, v40, v39
	v_mul_f32_e32 v40, v71, v85
	v_cndmask_b32_e64 v85, 1.0, v39, s[30:31]
	v_cndmask_b32_e32 v39, 1.0, v54, vcc
	v_cndmask_b32_e64 v13, 0, v13, s[20:21]
	v_cndmask_b32_e64 v38, 0, v40, s[30:31]
	v_mul_f32_e32 v40, v41, v39
	v_mul_f32_e32 v39, v70, v86
	v_cndmask_b32_e64 v86, 1.0, v40, s[34:35]
	v_mul_f32_e32 v40, v80, v79
	v_fma_f32 v41, v80, v12, v13
	v_mul_f32_e32 v40, v40, v81
	v_fma_f32 v41, v41, v81, v36
	v_cndmask_b32_e64 v14, 0, v14, s[26:27]
	v_mul_f32_e32 v40, v40, v82
	v_fma_f32 v41, v41, v82, v37
	v_cndmask_b32_e64 v15, 0, v15, s[28:29]
	v_mul_f32_e32 v40, v40, v83
	v_fma_f32 v41, v41, v83, v14
	v_mul_f32_e32 v40, v40, v84
	v_fma_f32 v41, v41, v84, v15
	v_cndmask_b32_e64 v39, 0, v39, s[34:35]
	v_mul_f32_e32 v40, v40, v85
	v_fma_f32 v41, v41, v85, v38
	v_mul_f32_e32 v40, v40, v86
	v_fma_f32 v41, v41, v86, v39
	s_nop 0
	v_mov_b32_dpp v88, v40 row_shr:1 row_mask:0xf bank_mask:0xf
	v_mov_b32_dpp v87, v41 row_shr:1 row_mask:0xf bank_mask:0xf
	s_and_saveexec_b64 s[76:77], s[6:7]
; %bb.40:                               ;   in Loop: Header=BB75_33 Depth=2
	v_mul_f32_e32 v88, v40, v88
	v_fmac_f32_e32 v41, v40, v87
	v_mov_b32_e32 v40, v88
; %bb.41:                               ;   in Loop: Header=BB75_33 Depth=2
	s_or_b64 exec, exec, s[76:77]
	s_nop 0
	v_mov_b32_dpp v87, v40 row_shr:2 row_mask:0xf bank_mask:0xf
	v_mov_b32_dpp v88, v41 row_shr:2 row_mask:0xf bank_mask:0xf
	s_and_saveexec_b64 s[76:77], s[8:9]
; %bb.42:                               ;   in Loop: Header=BB75_33 Depth=2
	v_fmac_f32_e32 v41, v40, v88
	v_mul_f32_e32 v40, v40, v87
; %bb.43:                               ;   in Loop: Header=BB75_33 Depth=2
	s_or_b64 exec, exec, s[76:77]
	s_nop 0
	v_mov_b32_dpp v87, v40 row_shr:4 row_mask:0xf bank_mask:0xf
	v_mov_b32_dpp v88, v41 row_shr:4 row_mask:0xf bank_mask:0xf
	s_and_saveexec_b64 s[76:77], s[10:11]
; %bb.44:                               ;   in Loop: Header=BB75_33 Depth=2
	v_fmac_f32_e32 v41, v40, v88
	v_mul_f32_e32 v40, v40, v87
	;; [unrolled: 9-line block ×3, first 2 shown]
; %bb.47:                               ;   in Loop: Header=BB75_33 Depth=2
	s_or_b64 exec, exec, s[76:77]
	s_nop 0
	v_mov_b32_dpp v87, v40 row_bcast:15 row_mask:0xf bank_mask:0xf
	v_mov_b32_dpp v88, v41 row_bcast:15 row_mask:0xf bank_mask:0xf
	s_and_saveexec_b64 s[76:77], s[14:15]
; %bb.48:                               ;   in Loop: Header=BB75_33 Depth=2
	v_fmac_f32_e32 v41, v40, v88
	v_mul_f32_e32 v40, v40, v87
; %bb.49:                               ;   in Loop: Header=BB75_33 Depth=2
	s_or_b64 exec, exec, s[76:77]
	s_nop 0
	v_mov_b32_dpp v87, v40 row_bcast:31 row_mask:0xf bank_mask:0xf
	v_mov_b32_dpp v88, v41 row_bcast:31 row_mask:0xf bank_mask:0xf
	v_mov_b32_e32 v89, v41
	v_mul_f32_e32 v87, v40, v87
	v_fmac_f32_e32 v89, v40, v88
	v_cndmask_b32_e64 v40, v40, v87, s[16:17]
	v_cndmask_b32_e64 v41, v41, v89, s[16:17]
	s_and_saveexec_b64 s[76:77], s[36:37]
	s_cbranch_execz .LBB75_51
; %bb.50:                               ;   in Loop: Header=BB75_33 Depth=2
	ds_write_b64 v17, v[40:41] offset:2112
.LBB75_51:                              ;   in Loop: Header=BB75_33 Depth=2
	s_or_b64 exec, exec, s[76:77]
	ds_bpermute_b32 v87, v78, v40
	ds_bpermute_b32 v88, v78, v41
	s_waitcnt lgkmcnt(2)
	v_mov_b32_e32 v41, v35
	s_waitcnt lgkmcnt(0)
	; wave barrier
	s_waitcnt lgkmcnt(0)
	s_and_saveexec_b64 s[76:77], s[0:1]
	s_cbranch_execz .LBB75_55
; %bb.52:                               ;   in Loop: Header=BB75_33 Depth=2
	ds_read_b64 v[40:41], v17 offset:2112
	s_and_saveexec_b64 s[78:79], s[4:5]
	s_cbranch_execz .LBB75_54
; %bb.53:                               ;   in Loop: Header=BB75_33 Depth=2
	ds_write_b64 v17, v[34:35] offset:2112
.LBB75_54:                              ;   in Loop: Header=BB75_33 Depth=2
	s_or_b64 exec, exec, s[78:79]
	s_waitcnt lgkmcnt(0)
	v_fmac_f32_e32 v41, v35, v40
	v_mul_f32_e32 v34, v34, v40
	v_mov_b32_e32 v35, v41
.LBB75_55:                              ;   in Loop: Header=BB75_33 Depth=2
	s_or_b64 exec, exec, s[76:77]
	s_waitcnt lgkmcnt(0)
	; wave barrier
	ds_read_b32 v40, v17 offset:2116
	s_and_saveexec_b64 s[76:77], s[4:5]
	s_cbranch_execz .LBB75_32
; %bb.56:                               ;   in Loop: Header=BB75_33 Depth=2
	v_mov_b32_e32 v89, s94
	s_andn2_b64 vcc, exec, s[68:69]
	ds_write_b64 v89, v[34:35]
	s_cbranch_vccnz .LBB75_32
; %bb.57:                               ;   in Loop: Header=BB75_33 Depth=2
	s_mov_b32 s75, s57
	v_cvt_f16_f32_e32 v34, v41
	s_lshl_b64 s[78:79], s[74:75], 1
	s_add_u32 s78, s45, s78
	s_addc_u32 s79, s49, s79
	global_store_short v17, v34, s[78:79]
	s_branch .LBB75_32
.LBB75_58:
	s_endpgm
	.section	.rodata,"a",@progbits
	.p2align	6, 0x0
	.amdhsa_kernel _Z25selective_scan_fwd_kernelI32Selective_Scan_fwd_kernel_traitsILi64ELi8ELi1ELb1ELb1ELb1ELb0ELb0EN3c104HalfEfS2_EEv13SSMParamsBase
		.amdhsa_group_segment_fixed_size 0
		.amdhsa_private_segment_fixed_size 0
		.amdhsa_kernarg_size 248
		.amdhsa_user_sgpr_count 2
		.amdhsa_user_sgpr_dispatch_ptr 0
		.amdhsa_user_sgpr_queue_ptr 0
		.amdhsa_user_sgpr_kernarg_segment_ptr 1
		.amdhsa_user_sgpr_dispatch_id 0
		.amdhsa_user_sgpr_kernarg_preload_length 0
		.amdhsa_user_sgpr_kernarg_preload_offset 0
		.amdhsa_user_sgpr_private_segment_size 0
		.amdhsa_uses_dynamic_stack 0
		.amdhsa_enable_private_segment 0
		.amdhsa_system_sgpr_workgroup_id_x 1
		.amdhsa_system_sgpr_workgroup_id_y 1
		.amdhsa_system_sgpr_workgroup_id_z 0
		.amdhsa_system_sgpr_workgroup_info 0
		.amdhsa_system_vgpr_workitem_id 0
		.amdhsa_next_free_vgpr 90
		.amdhsa_next_free_sgpr 95
		.amdhsa_accum_offset 92
		.amdhsa_reserve_vcc 1
		.amdhsa_float_round_mode_32 0
		.amdhsa_float_round_mode_16_64 0
		.amdhsa_float_denorm_mode_32 3
		.amdhsa_float_denorm_mode_16_64 3
		.amdhsa_dx10_clamp 1
		.amdhsa_ieee_mode 1
		.amdhsa_fp16_overflow 0
		.amdhsa_tg_split 0
		.amdhsa_exception_fp_ieee_invalid_op 0
		.amdhsa_exception_fp_denorm_src 0
		.amdhsa_exception_fp_ieee_div_zero 0
		.amdhsa_exception_fp_ieee_overflow 0
		.amdhsa_exception_fp_ieee_underflow 0
		.amdhsa_exception_fp_ieee_inexact 0
		.amdhsa_exception_int_div_zero 0
	.end_amdhsa_kernel
	.section	.text._Z25selective_scan_fwd_kernelI32Selective_Scan_fwd_kernel_traitsILi64ELi8ELi1ELb1ELb1ELb1ELb0ELb0EN3c104HalfEfS2_EEv13SSMParamsBase,"axG",@progbits,_Z25selective_scan_fwd_kernelI32Selective_Scan_fwd_kernel_traitsILi64ELi8ELi1ELb1ELb1ELb1ELb0ELb0EN3c104HalfEfS2_EEv13SSMParamsBase,comdat
.Lfunc_end75:
	.size	_Z25selective_scan_fwd_kernelI32Selective_Scan_fwd_kernel_traitsILi64ELi8ELi1ELb1ELb1ELb1ELb0ELb0EN3c104HalfEfS2_EEv13SSMParamsBase, .Lfunc_end75-_Z25selective_scan_fwd_kernelI32Selective_Scan_fwd_kernel_traitsILi64ELi8ELi1ELb1ELb1ELb1ELb0ELb0EN3c104HalfEfS2_EEv13SSMParamsBase
                                        ; -- End function
	.section	.AMDGPU.csdata,"",@progbits
; Kernel info:
; codeLenInByte = 8368
; NumSgprs: 101
; NumVgprs: 90
; NumAgprs: 0
; TotalNumVgprs: 90
; ScratchSize: 0
; MemoryBound: 0
; FloatMode: 240
; IeeeMode: 1
; LDSByteSize: 0 bytes/workgroup (compile time only)
; SGPRBlocks: 12
; VGPRBlocks: 11
; NumSGPRsForWavesPerEU: 101
; NumVGPRsForWavesPerEU: 90
; AccumOffset: 92
; Occupancy: 5
; WaveLimiterHint : 0
; COMPUTE_PGM_RSRC2:SCRATCH_EN: 0
; COMPUTE_PGM_RSRC2:USER_SGPR: 2
; COMPUTE_PGM_RSRC2:TRAP_HANDLER: 0
; COMPUTE_PGM_RSRC2:TGID_X_EN: 1
; COMPUTE_PGM_RSRC2:TGID_Y_EN: 1
; COMPUTE_PGM_RSRC2:TGID_Z_EN: 0
; COMPUTE_PGM_RSRC2:TIDIG_COMP_CNT: 0
; COMPUTE_PGM_RSRC3_GFX90A:ACCUM_OFFSET: 22
; COMPUTE_PGM_RSRC3_GFX90A:TG_SPLIT: 0
	.section	.text._Z25selective_scan_fwd_kernelI32Selective_Scan_fwd_kernel_traitsILi64ELi8ELi1ELb0ELb1ELb1ELb1ELb1EN3c104HalfEfS2_EEv13SSMParamsBase,"axG",@progbits,_Z25selective_scan_fwd_kernelI32Selective_Scan_fwd_kernel_traitsILi64ELi8ELi1ELb0ELb1ELb1ELb1ELb1EN3c104HalfEfS2_EEv13SSMParamsBase,comdat
	.protected	_Z25selective_scan_fwd_kernelI32Selective_Scan_fwd_kernel_traitsILi64ELi8ELi1ELb0ELb1ELb1ELb1ELb1EN3c104HalfEfS2_EEv13SSMParamsBase ; -- Begin function _Z25selective_scan_fwd_kernelI32Selective_Scan_fwd_kernel_traitsILi64ELi8ELi1ELb0ELb1ELb1ELb1ELb1EN3c104HalfEfS2_EEv13SSMParamsBase
	.globl	_Z25selective_scan_fwd_kernelI32Selective_Scan_fwd_kernel_traitsILi64ELi8ELi1ELb0ELb1ELb1ELb1ELb1EN3c104HalfEfS2_EEv13SSMParamsBase
	.p2align	8
	.type	_Z25selective_scan_fwd_kernelI32Selective_Scan_fwd_kernel_traitsILi64ELi8ELi1ELb0ELb1ELb1ELb1ELb1EN3c104HalfEfS2_EEv13SSMParamsBase,@function
_Z25selective_scan_fwd_kernelI32Selective_Scan_fwd_kernel_traitsILi64ELi8ELi1ELb0ELb1ELb1ELb1ELb1EN3c104HalfEfS2_EEv13SSMParamsBase: ; @_Z25selective_scan_fwd_kernelI32Selective_Scan_fwd_kernel_traitsILi64ELi8ELi1ELb0ELb1ELb1ELb1ELb1EN3c104HalfEfS2_EEv13SSMParamsBase
; %bb.0:
	s_load_dword s37, s[0:1], 0x18
	s_load_dwordx4 s[4:7], s[0:1], 0xe8
	s_load_dwordx8 s[20:27], s[0:1], 0xc8
	s_mov_b32 s34, s3
	s_ashr_i32 s3, s2, 31
	s_lshl_b64 s[8:9], s[2:3], 2
	s_waitcnt lgkmcnt(0)
	s_abs_i32 s36, s37
	v_cvt_f32_u32_e32 v1, s36
	s_add_u32 s28, s26, s8
	s_addc_u32 s29, s27, s9
	s_cmp_eq_u64 s[6:7], 0
	v_rcp_iflag_f32_e32 v1, v1
	s_nop 0
	v_mul_f32_e32 v1, 0x4f7ffffe, v1
	v_cvt_u32_f32_e32 v1, v1
	s_nop 0
	v_readfirstlane_b32 s38, v1
	s_cbranch_scc1 .LBB76_169
; %bb.1:
	s_add_u32 s6, s6, s2
	s_addc_u32 s7, s7, s3
	v_mov_b32_e32 v1, 0
	global_load_ubyte v1, v1, s[6:7]
	s_waitcnt vmcnt(0)
	v_and_b32_e32 v1, 1, v1
	v_cmp_eq_u32_e64 s[68:69], 1, v1
	s_load_dwordx2 s[6:7], s[0:1], 0x20
	s_cmp_eq_u64 s[4:5], 0
	s_cbranch_scc1 .LBB76_3
.LBB76_2:
	s_add_u32 s2, s4, s8
	s_addc_u32 s3, s5, s9
	s_load_dword s2, s[2:3], 0x0
	s_waitcnt lgkmcnt(0)
	s_ashr_i32 s3, s2, 31
.LBB76_3:
	s_waitcnt lgkmcnt(0)
	s_cmp_eq_u64 s[6:7], s[2:3]
	s_cbranch_scc1 .LBB76_168
; %bb.4:
	s_load_dwordx16 s[4:19], s[0:1], 0x88
	s_load_dwordx2 s[26:27], s[28:29], 0x0
	s_mov_b32 s33, 0
	s_mov_b32 s92, 0
	s_waitcnt lgkmcnt(0)
	s_cmp_eq_u64 s[10:11], 0
	s_cbranch_scc1 .LBB76_6
; %bb.5:
	s_ashr_i32 s35, s34, 31
	s_lshl_b64 s[28:29], s[34:35], 2
	s_add_u32 s10, s10, s28
	s_addc_u32 s11, s11, s29
	s_load_dword s92, s[10:11], 0x0
.LBB76_6:
	s_cmp_eq_u64 s[16:17], 0
	s_cbranch_scc1 .LBB76_8
; %bb.7:
	s_ashr_i32 s35, s34, 31
	s_lshl_b64 s[10:11], s[34:35], 2
	s_add_u32 s10, s16, s10
	s_addc_u32 s11, s17, s11
	s_load_dword s33, s[10:11], 0x0
.LBB76_8:
	s_sub_i32 s35, s27, s26
	s_cmp_lt_i32 s35, 1
	s_cbranch_scc1 .LBB76_168
; %bb.9:
	s_sub_i32 s3, 0, s36
	s_mul_i32 s3, s3, s38
	s_mul_hi_u32 s3, s38, s3
	s_abs_i32 s16, s34
	s_add_i32 s38, s38, s3
	s_load_dwordx8 s[52:59], s[0:1], 0x2c
	s_load_dwordx2 s[10:11], s[0:1], 0x7c
	s_load_dwordx4 s[28:31], s[0:1], 0x6c
	s_load_dwordx8 s[60:67], s[0:1], 0x4c
	s_load_dword s94, s[0:1], 0x84
	s_mul_hi_u32 s3, s16, s38
	s_load_dword s38, s[0:1], 0xc
	s_load_dword s17, s[0:1], 0x28
	s_ashr_i32 s0, s34, 31
	s_ashr_i32 s1, s37, 31
	s_xor_b32 s0, s0, s1
	s_mul_i32 s1, s3, s36
	s_sub_i32 s1, s16, s1
	s_add_i32 s16, s3, 1
	s_sub_i32 s27, s1, s36
	s_cmp_ge_u32 s1, s36
	s_cselect_b32 s3, s16, s3
	s_cselect_b32 s1, s27, s1
	s_add_i32 s16, s3, 1
	s_cmp_ge_u32 s1, s36
	s_cselect_b32 s1, s16, s3
	s_xor_b32 s1, s1, s0
	s_waitcnt lgkmcnt(0)
	s_mul_i32 s70, s26, s62
	s_mov_b32 s71, 0
	s_sub_i32 s3, s1, s0
	s_lshl_b64 s[0:1], s[70:71], 1
	s_add_u32 s12, s12, s0
	s_mul_i32 s70, s63, s34
	s_addc_u32 s13, s13, s1
	s_lshl_b64 s[0:1], s[70:71], 1
	s_add_u32 s62, s12, s0
	s_mul_i32 s70, s26, s64
	s_addc_u32 s63, s13, s1
	;; [unrolled: 4-line block ×10, first 2 shown]
	s_lshl_b64 s[0:1], s[70:71], 1
	v_mbcnt_lo_u32_b32 v1, -1, 0
	s_add_u32 s57, s2, s0
	v_mbcnt_hi_u32_b32 v10, -1, v1
	s_addc_u32 s61, s3, s1
	s_add_i32 s0, s35, 0x7ff
	v_lshrrev_b32_e32 v1, 5, v10
	s_lshr_b32 s1, s0, 11
	v_and_b32_e32 v1, 2, v1
	v_add_u32_e32 v40, 64, v10
	v_or_b32_e32 v41, 0x80, v10
	v_add_u32_e32 v42, 0xc0, v10
	v_or_b32_e32 v43, 0x100, v10
	;; [unrolled: 2-line block ×3, first 2 shown]
	v_add_u32_e32 v46, 0x1c0, v10
	v_add_u32_e32 v1, v1, v10
	s_bitcmp1_b32 s17, 0
	v_lshl_add_u32 v47, v1, 1, 0
	v_lshrrev_b32_e32 v1, 5, v40
	v_lshrrev_b32_e32 v2, 5, v41
	;; [unrolled: 1-line block ×7, first 2 shown]
	s_cselect_b64 s[72:73], -1, 0
                                        ; implicit-def: $vgpr95 : SGPR spill to VGPR lane
	s_cmp_gt_i32 s38, 0
	v_and_b32_e32 v1, 6, v1
	v_and_b32_e32 v2, 6, v2
	;; [unrolled: 1-line block ×7, first 2 shown]
	v_writelane_b32 v95, s38, 0
	s_cselect_b64 s[2:3], -1, 0
	v_add_lshl_u32 v1, v1, v10, 1
	v_add_lshl_u32 v2, v2, v10, 1
	;; [unrolled: 1-line block ×7, first 2 shown]
	v_writelane_b32 v95, s2, 1
	s_add_i32 s0, 0, 0x420
	v_add_u32_e32 v56, s0, v1
	v_writelane_b32 v95, s3, 2
	v_add_u32_e32 v57, s0, v2
	v_add_u32_e32 v58, s0, v3
	;; [unrolled: 1-line block ×6, first 2 shown]
	s_and_b32 s0, s35, 0x1ff
	v_writelane_b32 v95, s35, 3
	s_cmp_eq_u32 s0, 0
	s_cselect_b64 s[76:77], -1, 0
	v_writelane_b32 v95, s1, 4
	s_add_i32 s0, s1, -1
	s_mul_i32 s70, s26, s28
	v_writelane_b32 v95, s0, 5
	s_lshl_b64 s[0:1], s[70:71], 1
	s_add_u32 s14, s18, s0
	s_mul_i32 s70, s29, s34
	s_addc_u32 s15, s19, s1
	s_lshl_b64 s[12:13], s[70:71], 1
	s_add_u32 s18, s14, s12
	s_mul_i32 s70, s26, s66
	s_addc_u32 s19, s15, s13
	s_lshl_b64 s[12:13], s[70:71], 1
	s_add_u32 s14, s22, s12
	s_mul_i32 s70, s67, s34
	v_lshrrev_b32_e32 v8, 2, v10
	s_addc_u32 s15, s23, s13
	s_lshl_b64 s[12:13], s[70:71], 1
	v_and_b32_e32 v8, 30, v8
	s_add_u32 s20, s14, s12
	s_mul_i32 s70, s26, s30
	v_lshl_add_u32 v8, v10, 3, v8
	s_addc_u32 s21, s15, s13
	s_lshl_b64 s[14:15], s[70:71], 1
	v_mov_b32_e32 v9, 0
	v_add_u32_e32 v48, 0, v1
	v_lshl_add_u32 v55, v8, 1, 0
	v_and_b32_e32 v1, 15, v10
	s_add_u32 s22, s24, s14
	v_lshlrev_b32_e32 v8, 1, v10
	s_mul_i32 s70, s31, s34
	v_cmp_ne_u32_e64 s[0:1], 0, v1
	v_cmp_lt_u32_e64 s[2:3], 1, v1
	v_cmp_lt_u32_e64 s[4:5], 3, v1
	;; [unrolled: 1-line block ×3, first 2 shown]
	v_and_b32_e32 v1, 16, v10
	s_addc_u32 s23, s25, s15
	v_lshl_add_u64 v[12:13], s[18:19], 0, v[8:9]
	s_lshl_b64 s[18:19], s[70:71], 1
	v_add_u32_e32 v49, 0, v2
	v_cmp_ne_u32_e64 s[8:9], 0, v1
	v_add_u32_e32 v1, -1, v10
	v_and_b32_e32 v2, 64, v10
	s_add_u32 s18, s22, s18
	v_cmp_lt_i32_e32 vcc, v1, v2
	s_addc_u32 s19, s23, s19
	v_lshlrev_b32_e32 v11, 3, v0
	v_cndmask_b32_e32 v1, v1, v10, vcc
	v_lshl_add_u64 v[16:17], s[18:19], 0, v[8:9]
	s_add_i32 s18, 0, 0x848
	v_add_u32_e32 v50, 0, v3
	v_add_u32_e32 v51, 0, v4
	;; [unrolled: 1-line block ×5, first 2 shown]
	v_cmp_lt_u32_e64 s[10:11], 31, v10
	v_cmp_eq_u32_e64 s[12:13], 63, v0
	v_lshlrev_b32_e32 v63, 2, v1
	v_cmp_gt_u32_e64 s[14:15], 64, v0
	v_cmp_eq_u32_e64 s[16:17], 0, v0
	v_lshl_add_u64 v[14:15], s[20:21], 0, v[8:9]
	v_or_b32_e32 v70, 7, v11
	v_lshlrev_b32_e32 v8, 1, v10
	s_mov_b32 s40, 0x41a00000
	s_mov_b32 s41, 0x3fb8aa3b
	;; [unrolled: 1-line block ×6, first 2 shown]
	v_mov_b32_e32 v71, 0x3ecc95a3
	s_mov_b32 s46, 0x3f317218
	s_mov_b32 s47, 0x33800000
	v_writelane_b32 v95, s18, 6
	s_mov_b32 s98, 0xc2fc0000
	s_mov_b32 s74, 0xbfb8aa3b
	;; [unrolled: 1-line block ×5, first 2 shown]
	v_mov_b32_e32 v72, 0x7f800000
	v_mov_b32_e32 v18, 0x3f317218
	;; [unrolled: 1-line block ×4, first 2 shown]
	s_mov_b32 s95, 0
                                        ; implicit-def: $vgpr0
	s_branch .LBB76_11
.LBB76_10:                              ;   in Loop: Header=BB76_11 Depth=1
	s_or_b64 exec, exec, s[18:19]
	s_add_u32 s64, s64, 0x400
	s_addc_u32 s65, s65, 0
	s_add_u32 s62, s62, 0x400
	s_addc_u32 s63, s63, 0
	;; [unrolled: 2-line block ×4, first 2 shown]
	s_add_i32 s95, s95, 1
	v_readlane_b32 s18, v95, 4
	s_cmp_lg_u32 s95, s18
	s_cbranch_scc0 .LBB76_168
.LBB76_11:                              ; =>This Loop Header: Depth=1
                                        ;     Child Loop BB76_60 Depth 2
	s_lshl_b32 s66, s95, 9
	v_readlane_b32 s18, v95, 3
	s_sub_i32 s50, s18, s66
	v_lshl_add_u64 v[0:1], s[62:63], 0, v[8:9]
	v_cmp_gt_u32_e64 s[18:19], s50, v10
	s_waitcnt lgkmcnt(0)
	v_mov_b32_e32 v2, 0
	s_waitcnt lgkmcnt(0)
	; wave barrier
	s_and_saveexec_b64 s[20:21], s[18:19]
	s_cbranch_execz .LBB76_13
; %bb.12:                               ;   in Loop: Header=BB76_11 Depth=1
	global_load_ushort v2, v[0:1], off
.LBB76_13:                              ;   in Loop: Header=BB76_11 Depth=1
	s_or_b64 exec, exec, s[20:21]
	v_cmp_gt_u32_e64 s[20:21], s50, v40
	v_mov_b32_e32 v3, 0
	v_mov_b32_e32 v4, 0
	s_and_saveexec_b64 s[22:23], s[20:21]
	s_cbranch_execz .LBB76_15
; %bb.14:                               ;   in Loop: Header=BB76_11 Depth=1
	global_load_ushort v4, v[0:1], off offset:128
.LBB76_15:                              ;   in Loop: Header=BB76_11 Depth=1
	s_or_b64 exec, exec, s[22:23]
	v_cmp_gt_u32_e64 s[22:23], s50, v41
	s_and_saveexec_b64 s[24:25], s[22:23]
	s_cbranch_execz .LBB76_17
; %bb.16:                               ;   in Loop: Header=BB76_11 Depth=1
	global_load_ushort v3, v[0:1], off offset:256
.LBB76_17:                              ;   in Loop: Header=BB76_11 Depth=1
	s_or_b64 exec, exec, s[24:25]
	v_cmp_gt_u32_e64 s[24:25], s50, v42
	v_mov_b32_e32 v5, 0
	v_mov_b32_e32 v7, 0
	s_and_saveexec_b64 s[26:27], s[24:25]
	s_cbranch_execz .LBB76_19
; %bb.18:                               ;   in Loop: Header=BB76_11 Depth=1
	global_load_ushort v7, v[0:1], off offset:384
.LBB76_19:                              ;   in Loop: Header=BB76_11 Depth=1
	s_or_b64 exec, exec, s[26:27]
	v_cmp_gt_u32_e64 s[26:27], s50, v43
	s_and_saveexec_b64 s[28:29], s[26:27]
	s_cbranch_execz .LBB76_21
; %bb.20:                               ;   in Loop: Header=BB76_11 Depth=1
	global_load_ushort v5, v[0:1], off offset:512
.LBB76_21:                              ;   in Loop: Header=BB76_11 Depth=1
	;; [unrolled: 16-line block ×3, first 2 shown]
	s_or_b64 exec, exec, s[34:35]
	v_cmp_gt_u32_e64 s[34:35], s50, v46
	v_mov_b32_e32 v6, 0
	v_mov_b32_e32 v21, 0
	s_and_saveexec_b64 s[36:37], s[34:35]
	s_cbranch_execz .LBB76_27
; %bb.26:                               ;   in Loop: Header=BB76_11 Depth=1
	global_load_ushort v21, v[0:1], off offset:896
.LBB76_27:                              ;   in Loop: Header=BB76_11 Depth=1
	s_or_b64 exec, exec, s[36:37]
	s_waitcnt vmcnt(0)
	ds_write_b16 v47, v2
	ds_write_b16 v48, v4 offset:128
	ds_write_b16 v49, v3 offset:256
	;; [unrolled: 1-line block ×7, first 2 shown]
	; wave barrier
	ds_read_b128 v[0:3], v55
	v_lshl_add_u64 v[4:5], s[64:65], 0, v[8:9]
	s_waitcnt lgkmcnt(0)
	; wave barrier
	s_waitcnt lgkmcnt(0)
	s_and_saveexec_b64 s[36:37], s[18:19]
	s_cbranch_execz .LBB76_29
; %bb.28:                               ;   in Loop: Header=BB76_11 Depth=1
	global_load_ushort v6, v[4:5], off
.LBB76_29:                              ;   in Loop: Header=BB76_11 Depth=1
	s_or_b64 exec, exec, s[36:37]
	v_mov_b32_e32 v7, 0
	v_mov_b32_e32 v19, 0
	s_and_saveexec_b64 s[36:37], s[20:21]
	s_cbranch_execz .LBB76_31
; %bb.30:                               ;   in Loop: Header=BB76_11 Depth=1
	global_load_ushort v19, v[4:5], off offset:128
.LBB76_31:                              ;   in Loop: Header=BB76_11 Depth=1
	s_or_b64 exec, exec, s[36:37]
	s_and_saveexec_b64 s[36:37], s[22:23]
	s_cbranch_execz .LBB76_33
; %bb.32:                               ;   in Loop: Header=BB76_11 Depth=1
	global_load_ushort v7, v[4:5], off offset:256
.LBB76_33:                              ;   in Loop: Header=BB76_11 Depth=1
	s_or_b64 exec, exec, s[36:37]
	v_mov_b32_e32 v20, 0
	v_mov_b32_e32 v21, 0
	s_and_saveexec_b64 s[36:37], s[24:25]
	s_cbranch_execz .LBB76_35
; %bb.34:                               ;   in Loop: Header=BB76_11 Depth=1
	global_load_ushort v21, v[4:5], off offset:384
.LBB76_35:                              ;   in Loop: Header=BB76_11 Depth=1
	s_or_b64 exec, exec, s[36:37]
	s_and_saveexec_b64 s[36:37], s[26:27]
	s_cbranch_execz .LBB76_37
; %bb.36:                               ;   in Loop: Header=BB76_11 Depth=1
	global_load_ushort v20, v[4:5], off offset:512
.LBB76_37:                              ;   in Loop: Header=BB76_11 Depth=1
	s_or_b64 exec, exec, s[36:37]
	v_mov_b32_e32 v22, 0
	v_mov_b32_e32 v23, 0
	s_and_saveexec_b64 s[36:37], s[28:29]
	s_cbranch_execnz .LBB76_151
; %bb.38:                               ;   in Loop: Header=BB76_11 Depth=1
	s_or_b64 exec, exec, s[36:37]
	s_and_saveexec_b64 s[36:37], s[30:31]
	s_cbranch_execnz .LBB76_152
.LBB76_39:                              ;   in Loop: Header=BB76_11 Depth=1
	s_or_b64 exec, exec, s[36:37]
	v_mov_b32_e32 v24, 0
	s_and_saveexec_b64 s[36:37], s[34:35]
	s_cbranch_execz .LBB76_41
.LBB76_40:                              ;   in Loop: Header=BB76_11 Depth=1
	global_load_ushort v24, v[4:5], off offset:896
.LBB76_41:                              ;   in Loop: Header=BB76_11 Depth=1
	s_or_b64 exec, exec, s[36:37]
	s_waitcnt vmcnt(0)
	ds_write_b16 v47, v6
	ds_write_b16 v48, v19 offset:128
	ds_write_b16 v49, v7 offset:256
	;; [unrolled: 1-line block ×7, first 2 shown]
	; wave barrier
	ds_read_b128 v[4:7], v55
	s_waitcnt lgkmcnt(0)
	v_cvt_f32_f16_e32 v19, v4
	v_add_f32_e32 v75, s33, v19
	v_cmp_ge_f32_e32 vcc, s40, v75
	s_and_b64 s[36:37], s[72:73], vcc
	s_and_saveexec_b64 s[38:39], s[36:37]
	s_cbranch_execz .LBB76_43
; %bb.42:                               ;   in Loop: Header=BB76_11 Depth=1
	v_mul_f32_e32 v19, 0x3fb8aa3b, v75
	v_rndne_f32_e32 v20, v19
	v_sub_f32_e32 v21, v19, v20
	v_fma_f32 v19, v75, s41, -v19
	v_fmac_f32_e32 v19, 0x32a5705f, v75
	v_add_f32_e32 v19, v21, v19
	v_cvt_i32_f32_e32 v20, v20
	v_exp_f32_e32 v19, v19
	v_cmp_ngt_f32_e32 vcc, s42, v75
	v_ldexp_f32 v19, v19, v20
	s_nop 0
	v_cndmask_b32_e32 v19, 0, v19, vcc
	v_cmp_nlt_f32_e32 vcc, s43, v75
	s_nop 1
	v_cndmask_b32_e32 v36, v72, v19, vcc
	v_add_f32_e32 v19, 1.0, v36
	v_add_f32_e32 v20, -1.0, v19
	v_sub_f32_e32 v21, v20, v19
	v_add_f32_e32 v21, 1.0, v21
	v_sub_f32_e32 v20, v36, v20
	v_add_f32_e32 v22, v20, v21
	v_frexp_mant_f32_e32 v23, v19
	v_cvt_f64_f32_e32 v[20:21], v19
	v_frexp_exp_i32_f64_e32 v20, v[20:21]
	v_cmp_gt_f32_e32 vcc, s45, v23
	v_cmp_gt_f32_e64 s[36:37], s47, v36
	s_nop 0
	v_subbrev_co_u32_e32 v28, vcc, 0, v20, vcc
	v_sub_u32_e32 v20, 0, v28
	v_ldexp_f32 v19, v19, v20
	v_ldexp_f32 v20, v22, v20
	v_add_f32_e32 v22, -1.0, v19
	v_add_f32_e32 v21, 1.0, v22
	v_sub_f32_e32 v21, v19, v21
	v_add_f32_e32 v23, v20, v21
	v_add_f32_e32 v21, 1.0, v19
	v_add_f32_e32 v24, -1.0, v21
	v_sub_f32_e32 v19, v19, v24
	v_add_f32_e32 v19, v20, v19
	v_add_f32_e32 v29, v21, v19
	v_rcp_f32_e32 v30, v29
	v_sub_f32_e32 v20, v21, v29
	v_add_f32_e32 v21, v22, v23
	v_add_f32_e32 v19, v19, v20
	v_mul_f32_e32 v32, v21, v30
	v_sub_f32_e32 v20, v22, v21
	v_mul_f32_e32 v22, v29, v32
	v_fma_f32 v24, v32, v29, -v22
	v_fmac_f32_e32 v24, v32, v19
	v_add_f32_e32 v31, v23, v20
	v_add_f32_e32 v20, v22, v24
	v_sub_f32_e32 v23, v21, v20
	v_pk_add_f32 v[26:27], v[20:21], v[22:23] neg_lo:[0,1] neg_hi:[0,1]
	v_mov_b32_e32 v25, v20
	v_pk_add_f32 v[20:21], v[26:27], v[24:25] neg_lo:[0,1] neg_hi:[0,1]
	v_cmp_eq_f32_e32 vcc, s44, v36
	v_add_f32_e32 v21, v31, v21
	v_add_f32_e32 v20, v20, v21
	;; [unrolled: 1-line block ×3, first 2 shown]
	v_mul_f32_e32 v31, v30, v21
	v_mul_f32_e32 v22, v29, v31
	v_fma_f32 v24, v31, v29, -v22
	v_fmac_f32_e32 v24, v31, v19
	v_sub_f32_e32 v19, v23, v21
	v_add_f32_e32 v19, v20, v19
	v_add_f32_e32 v20, v22, v24
	v_sub_f32_e32 v23, v21, v20
	v_pk_add_f32 v[26:27], v[20:21], v[22:23] neg_lo:[0,1] neg_hi:[0,1]
	v_mov_b32_e32 v25, v20
	v_pk_add_f32 v[20:21], v[26:27], v[24:25] neg_lo:[0,1] neg_hi:[0,1]
	s_or_b64 vcc, s[36:37], vcc
	v_add_f32_e32 v19, v19, v21
	v_add_f32_e32 v19, v20, v19
	;; [unrolled: 1-line block ×4, first 2 shown]
	v_sub_f32_e32 v20, v21, v32
	v_mul_f32_e32 v19, v30, v19
	v_sub_f32_e32 v20, v31, v20
	v_add_f32_e32 v22, v20, v19
	v_add_f32_e32 v24, v21, v22
	v_cvt_f32_i32_e32 v20, v28
	v_mul_f32_e32 v25, v24, v24
	v_sub_f32_e32 v21, v24, v21
	v_fmamk_f32 v19, v25, 0x3e9b6dac, v71
	v_sub_f32_e32 v21, v22, v21
	v_fmaak_f32 v19, v25, v19, 0x3f2aaada
	v_ldexp_f32 v26, v21, 1
	v_mul_f32_e32 v21, v24, v25
	v_ldexp_f32 v23, v24, 1
	v_pk_mul_f32 v[24:25], v[20:21], v[18:19]
	s_nop 0
	v_fma_f32 v22, v20, s46, -v24
	v_fmac_f32_e32 v22, 0xb102e308, v20
	v_pk_add_f32 v[20:21], v[24:25], v[22:23]
	s_nop 0
	v_sub_f32_e32 v19, v21, v23
	v_sub_f32_e32 v19, v25, v19
	v_add_f32_e32 v27, v26, v19
	v_mov_b32_e32 v26, v24
	v_pk_add_f32 v[24:25], v[20:21], v[24:25] neg_lo:[0,1] neg_hi:[0,1]
	v_pk_add_f32 v[28:29], v[20:21], v[26:27]
	v_mov_b32_e32 v23, v20
	v_mov_b32_e32 v25, v29
	v_pk_add_f32 v[30:31], v[22:23], v[24:25] neg_lo:[0,1] neg_hi:[0,1]
	v_pk_add_f32 v[22:23], v[22:23], v[24:25]
	v_mov_b32_e32 v26, v27
	v_mov_b32_e32 v24, v23
	v_pk_add_f32 v[32:33], v[24:25], v[20:21] neg_lo:[0,1] neg_hi:[0,1]
	v_mov_b32_e32 v22, v29
	v_mov_b32_e32 v19, v32
	v_pk_add_f32 v[34:35], v[28:29], v[18:19] neg_lo:[0,1] neg_hi:[0,1]
	v_mov_b32_e32 v28, v21
	v_mov_b32_e32 v29, v32
	;; [unrolled: 1-line block ×3, first 2 shown]
	v_pk_add_f32 v[22:23], v[22:23], v[28:29] neg_lo:[0,1] neg_hi:[0,1]
	v_mov_b32_e32 v27, v20
	v_pk_add_f32 v[20:21], v[26:27], v[22:23] neg_lo:[0,1] neg_hi:[0,1]
	v_mov_b32_e32 v34, v30
	v_pk_add_f32 v[22:23], v[34:35], v[20:21]
	s_nop 0
	v_mov_b32_e32 v26, v23
	v_pk_add_f32 v[26:27], v[22:23], v[26:27]
	s_nop 0
	v_pk_add_f32 v[24:25], v[24:25], v[26:27]
	v_mov_b32_e32 v21, v26
	v_mov_b32_e32 v23, v24
	v_pk_add_f32 v[28:29], v[22:23], v[30:31] neg_lo:[0,1] neg_hi:[0,1]
	s_nop 0
	v_sub_f32_e32 v19, v22, v28
	v_pk_add_f32 v[20:21], v[20:21], v[28:29] neg_lo:[0,1] neg_hi:[0,1]
	v_sub_f32_e32 v19, v30, v19
	v_add_f32_e32 v19, v20, v19
	v_add_f32_e32 v19, v19, v21
	;; [unrolled: 1-line block ×3, first 2 shown]
	v_cndmask_b32_e32 v75, v19, v36, vcc
.LBB76_43:                              ;   in Loop: Header=BB76_11 Depth=1
	s_or_b64 exec, exec, s[38:39]
	v_cvt_f32_f16_sdwa v4, v4 dst_sel:DWORD dst_unused:UNUSED_PAD src0_sel:WORD_1
	v_add_f32_e32 v76, s33, v4
	v_cmp_ge_f32_e32 vcc, s40, v76
	s_and_b64 s[36:37], s[72:73], vcc
	s_and_saveexec_b64 s[38:39], s[36:37]
	s_cbranch_execz .LBB76_45
; %bb.44:                               ;   in Loop: Header=BB76_11 Depth=1
	v_mul_f32_e32 v4, 0x3fb8aa3b, v76
	v_rndne_f32_e32 v19, v4
	v_sub_f32_e32 v20, v4, v19
	v_fma_f32 v4, v76, s41, -v4
	v_fmac_f32_e32 v4, 0x32a5705f, v76
	v_add_f32_e32 v4, v20, v4
	v_cvt_i32_f32_e32 v19, v19
	v_exp_f32_e32 v4, v4
	v_cmp_ngt_f32_e32 vcc, s42, v76
	v_ldexp_f32 v4, v4, v19
	s_nop 0
	v_cndmask_b32_e32 v4, 0, v4, vcc
	v_cmp_nlt_f32_e32 vcc, s43, v76
	s_nop 1
	v_cndmask_b32_e32 v34, v72, v4, vcc
	v_add_f32_e32 v4, 1.0, v34
	v_add_f32_e32 v19, -1.0, v4
	v_sub_f32_e32 v20, v19, v4
	v_add_f32_e32 v20, 1.0, v20
	v_sub_f32_e32 v19, v34, v19
	v_add_f32_e32 v19, v19, v20
	v_frexp_mant_f32_e32 v22, v4
	v_cvt_f64_f32_e32 v[20:21], v4
	v_frexp_exp_i32_f64_e32 v20, v[20:21]
	v_cmp_gt_f32_e32 vcc, s45, v22
	v_cmp_gt_f32_e64 s[36:37], s47, v34
	s_nop 0
	v_subbrev_co_u32_e32 v28, vcc, 0, v20, vcc
	v_sub_u32_e32 v20, 0, v28
	v_ldexp_f32 v4, v4, v20
	v_ldexp_f32 v19, v19, v20
	v_add_f32_e32 v20, -1.0, v4
	v_add_f32_e32 v21, 1.0, v20
	v_sub_f32_e32 v21, v4, v21
	v_add_f32_e32 v22, v19, v21
	v_add_f32_e32 v21, 1.0, v4
	v_add_f32_e32 v23, -1.0, v21
	v_sub_f32_e32 v4, v4, v23
	v_add_f32_e32 v4, v19, v4
	v_add_f32_e32 v19, v21, v4
	v_rcp_f32_e32 v29, v19
	v_sub_f32_e32 v21, v21, v19
	v_add_f32_e32 v4, v4, v21
	v_add_f32_e32 v21, v20, v22
	v_sub_f32_e32 v20, v20, v21
	v_mul_f32_e32 v31, v21, v29
	v_add_f32_e32 v30, v22, v20
	v_mul_f32_e32 v22, v19, v31
	v_fma_f32 v24, v31, v19, -v22
	v_fmac_f32_e32 v24, v31, v4
	v_add_f32_e32 v20, v22, v24
	v_sub_f32_e32 v23, v21, v20
	v_pk_add_f32 v[26:27], v[20:21], v[22:23] neg_lo:[0,1] neg_hi:[0,1]
	v_mov_b32_e32 v25, v20
	v_pk_add_f32 v[20:21], v[26:27], v[24:25] neg_lo:[0,1] neg_hi:[0,1]
	v_cmp_eq_f32_e32 vcc, s44, v34
	v_add_f32_e32 v21, v30, v21
	v_add_f32_e32 v20, v20, v21
	v_add_f32_e32 v21, v23, v20
	v_mul_f32_e32 v30, v29, v21
	v_mul_f32_e32 v22, v19, v30
	v_fma_f32 v24, v30, v19, -v22
	v_fmac_f32_e32 v24, v30, v4
	v_sub_f32_e32 v4, v23, v21
	v_add_f32_e32 v4, v20, v4
	v_add_f32_e32 v20, v22, v24
	v_sub_f32_e32 v23, v21, v20
	v_pk_add_f32 v[26:27], v[20:21], v[22:23] neg_lo:[0,1] neg_hi:[0,1]
	v_mov_b32_e32 v25, v20
	v_pk_add_f32 v[20:21], v[26:27], v[24:25] neg_lo:[0,1] neg_hi:[0,1]
	s_or_b64 vcc, s[36:37], vcc
	v_add_f32_e32 v4, v4, v21
	v_add_f32_e32 v4, v20, v4
	;; [unrolled: 1-line block ×4, first 2 shown]
	v_sub_f32_e32 v19, v21, v31
	v_mul_f32_e32 v4, v29, v4
	v_sub_f32_e32 v19, v30, v19
	v_add_f32_e32 v4, v19, v4
	v_add_f32_e32 v22, v21, v4
	v_cvt_f32_i32_e32 v20, v28
	v_mul_f32_e32 v24, v22, v22
	v_fmamk_f32 v19, v24, 0x3e9b6dac, v71
	v_sub_f32_e32 v21, v22, v21
	v_fmaak_f32 v19, v24, v19, 0x3f2aaada
	v_sub_f32_e32 v4, v4, v21
	v_mul_f32_e32 v21, v22, v24
	v_pk_mul_f32 v[24:25], v[20:21], v[18:19]
	v_ldexp_f32 v23, v22, 1
	v_fma_f32 v22, v20, s46, -v24
	v_fmac_f32_e32 v22, 0xb102e308, v20
	v_pk_add_f32 v[20:21], v[24:25], v[22:23]
	v_ldexp_f32 v4, v4, 1
	v_sub_f32_e32 v19, v21, v23
	v_sub_f32_e32 v19, v25, v19
	v_add_f32_e32 v27, v4, v19
	v_mov_b32_e32 v26, v24
	v_pk_add_f32 v[24:25], v[20:21], v[24:25] neg_lo:[0,1] neg_hi:[0,1]
	v_pk_add_f32 v[28:29], v[20:21], v[26:27]
	v_mov_b32_e32 v23, v20
	v_mov_b32_e32 v25, v29
	v_pk_add_f32 v[30:31], v[22:23], v[24:25] neg_lo:[0,1] neg_hi:[0,1]
	v_pk_add_f32 v[22:23], v[22:23], v[24:25]
	s_nop 0
	v_mov_b32_e32 v4, v23
	v_pk_add_f32 v[24:25], v[4:5], v[20:21] neg_lo:[0,1] neg_hi:[0,1]
	v_mov_b32_e32 v22, v29
	v_mov_b32_e32 v19, v24
	v_pk_add_f32 v[32:33], v[28:29], v[18:19] neg_lo:[0,1] neg_hi:[0,1]
	v_mov_b32_e32 v28, v21
	v_mov_b32_e32 v29, v24
	;; [unrolled: 1-line block ×3, first 2 shown]
	v_pk_add_f32 v[22:23], v[22:23], v[28:29] neg_lo:[0,1] neg_hi:[0,1]
	v_mov_b32_e32 v24, v27
	v_mov_b32_e32 v25, v20
	v_pk_add_f32 v[20:21], v[24:25], v[22:23] neg_lo:[0,1] neg_hi:[0,1]
	v_mov_b32_e32 v32, v30
	v_pk_add_f32 v[22:23], v[32:33], v[20:21]
	s_nop 0
	v_mov_b32_e32 v24, v23
	v_pk_add_f32 v[24:25], v[22:23], v[24:25]
	s_nop 0
	v_pk_add_f32 v[26:27], v[4:5], v[24:25]
	v_mov_b32_e32 v21, v24
	v_mov_b32_e32 v23, v26
	v_pk_add_f32 v[28:29], v[22:23], v[30:31] neg_lo:[0,1] neg_hi:[0,1]
	s_nop 0
	v_sub_f32_e32 v4, v22, v28
	v_pk_add_f32 v[20:21], v[20:21], v[28:29] neg_lo:[0,1] neg_hi:[0,1]
	v_sub_f32_e32 v4, v30, v4
	v_add_f32_e32 v4, v20, v4
	v_add_f32_e32 v4, v4, v21
	;; [unrolled: 1-line block ×3, first 2 shown]
	v_cndmask_b32_e32 v76, v4, v34, vcc
.LBB76_45:                              ;   in Loop: Header=BB76_11 Depth=1
	s_or_b64 exec, exec, s[38:39]
	v_cvt_f32_f16_e32 v4, v5
	v_add_f32_e32 v77, s33, v4
	v_cmp_ge_f32_e32 vcc, s40, v77
	s_and_b64 s[36:37], s[72:73], vcc
	s_and_saveexec_b64 s[38:39], s[36:37]
	s_cbranch_execz .LBB76_47
; %bb.46:                               ;   in Loop: Header=BB76_11 Depth=1
	v_mul_f32_e32 v4, 0x3fb8aa3b, v77
	v_rndne_f32_e32 v19, v4
	v_sub_f32_e32 v20, v4, v19
	v_fma_f32 v4, v77, s41, -v4
	v_fmac_f32_e32 v4, 0x32a5705f, v77
	v_add_f32_e32 v4, v20, v4
	v_cvt_i32_f32_e32 v19, v19
	v_exp_f32_e32 v4, v4
	v_cmp_ngt_f32_e32 vcc, s42, v77
	v_ldexp_f32 v4, v4, v19
	s_nop 0
	v_cndmask_b32_e32 v4, 0, v4, vcc
	v_cmp_nlt_f32_e32 vcc, s43, v77
	s_nop 1
	v_cndmask_b32_e32 v34, v72, v4, vcc
	v_add_f32_e32 v4, 1.0, v34
	v_add_f32_e32 v19, -1.0, v4
	v_sub_f32_e32 v20, v19, v4
	v_add_f32_e32 v20, 1.0, v20
	v_sub_f32_e32 v19, v34, v19
	v_add_f32_e32 v19, v19, v20
	v_frexp_mant_f32_e32 v22, v4
	v_cvt_f64_f32_e32 v[20:21], v4
	v_frexp_exp_i32_f64_e32 v20, v[20:21]
	v_cmp_gt_f32_e32 vcc, s45, v22
	v_cmp_gt_f32_e64 s[36:37], s47, v34
	s_nop 0
	v_subbrev_co_u32_e32 v28, vcc, 0, v20, vcc
	v_sub_u32_e32 v20, 0, v28
	v_ldexp_f32 v4, v4, v20
	v_ldexp_f32 v19, v19, v20
	v_add_f32_e32 v20, -1.0, v4
	v_add_f32_e32 v21, 1.0, v20
	v_sub_f32_e32 v21, v4, v21
	v_add_f32_e32 v22, v19, v21
	v_add_f32_e32 v21, 1.0, v4
	v_add_f32_e32 v23, -1.0, v21
	v_sub_f32_e32 v4, v4, v23
	v_add_f32_e32 v4, v19, v4
	v_add_f32_e32 v19, v21, v4
	v_rcp_f32_e32 v29, v19
	v_sub_f32_e32 v21, v21, v19
	v_add_f32_e32 v4, v4, v21
	v_add_f32_e32 v21, v20, v22
	v_sub_f32_e32 v20, v20, v21
	v_mul_f32_e32 v31, v21, v29
	v_add_f32_e32 v30, v22, v20
	v_mul_f32_e32 v22, v19, v31
	v_fma_f32 v24, v31, v19, -v22
	v_fmac_f32_e32 v24, v31, v4
	v_add_f32_e32 v20, v22, v24
	v_sub_f32_e32 v23, v21, v20
	v_pk_add_f32 v[26:27], v[20:21], v[22:23] neg_lo:[0,1] neg_hi:[0,1]
	v_mov_b32_e32 v25, v20
	v_pk_add_f32 v[20:21], v[26:27], v[24:25] neg_lo:[0,1] neg_hi:[0,1]
	v_cmp_eq_f32_e32 vcc, s44, v34
	v_add_f32_e32 v21, v30, v21
	v_add_f32_e32 v20, v20, v21
	;; [unrolled: 1-line block ×3, first 2 shown]
	v_mul_f32_e32 v30, v29, v21
	v_mul_f32_e32 v22, v19, v30
	v_fma_f32 v24, v30, v19, -v22
	v_fmac_f32_e32 v24, v30, v4
	v_sub_f32_e32 v4, v23, v21
	v_add_f32_e32 v4, v20, v4
	v_add_f32_e32 v20, v22, v24
	v_sub_f32_e32 v23, v21, v20
	v_pk_add_f32 v[26:27], v[20:21], v[22:23] neg_lo:[0,1] neg_hi:[0,1]
	v_mov_b32_e32 v25, v20
	v_pk_add_f32 v[20:21], v[26:27], v[24:25] neg_lo:[0,1] neg_hi:[0,1]
	s_or_b64 vcc, s[36:37], vcc
	v_add_f32_e32 v4, v4, v21
	v_add_f32_e32 v4, v20, v4
	;; [unrolled: 1-line block ×4, first 2 shown]
	v_sub_f32_e32 v19, v21, v31
	v_mul_f32_e32 v4, v29, v4
	v_sub_f32_e32 v19, v30, v19
	v_add_f32_e32 v4, v19, v4
	v_add_f32_e32 v22, v21, v4
	v_cvt_f32_i32_e32 v20, v28
	v_mul_f32_e32 v24, v22, v22
	v_fmamk_f32 v19, v24, 0x3e9b6dac, v71
	v_sub_f32_e32 v21, v22, v21
	v_fmaak_f32 v19, v24, v19, 0x3f2aaada
	v_sub_f32_e32 v4, v4, v21
	v_mul_f32_e32 v21, v22, v24
	v_pk_mul_f32 v[24:25], v[20:21], v[18:19]
	v_ldexp_f32 v23, v22, 1
	v_fma_f32 v22, v20, s46, -v24
	v_fmac_f32_e32 v22, 0xb102e308, v20
	v_pk_add_f32 v[20:21], v[24:25], v[22:23]
	v_ldexp_f32 v4, v4, 1
	v_sub_f32_e32 v19, v21, v23
	v_sub_f32_e32 v19, v25, v19
	v_add_f32_e32 v27, v4, v19
	v_mov_b32_e32 v26, v24
	v_pk_add_f32 v[24:25], v[20:21], v[24:25] neg_lo:[0,1] neg_hi:[0,1]
	v_pk_add_f32 v[28:29], v[20:21], v[26:27]
	v_mov_b32_e32 v23, v20
	v_mov_b32_e32 v25, v29
	v_pk_add_f32 v[30:31], v[22:23], v[24:25] neg_lo:[0,1] neg_hi:[0,1]
	v_pk_add_f32 v[22:23], v[22:23], v[24:25]
	s_nop 0
	v_mov_b32_e32 v4, v23
	v_pk_add_f32 v[24:25], v[4:5], v[20:21] neg_lo:[0,1] neg_hi:[0,1]
	v_mov_b32_e32 v22, v29
	v_mov_b32_e32 v19, v24
	v_pk_add_f32 v[32:33], v[28:29], v[18:19] neg_lo:[0,1] neg_hi:[0,1]
	v_mov_b32_e32 v28, v21
	v_mov_b32_e32 v29, v24
	;; [unrolled: 1-line block ×3, first 2 shown]
	v_pk_add_f32 v[22:23], v[22:23], v[28:29] neg_lo:[0,1] neg_hi:[0,1]
	v_mov_b32_e32 v24, v27
	v_mov_b32_e32 v25, v20
	v_pk_add_f32 v[20:21], v[24:25], v[22:23] neg_lo:[0,1] neg_hi:[0,1]
	v_mov_b32_e32 v32, v30
	v_pk_add_f32 v[22:23], v[32:33], v[20:21]
	s_nop 0
	v_mov_b32_e32 v24, v23
	v_pk_add_f32 v[24:25], v[22:23], v[24:25]
	s_nop 0
	v_pk_add_f32 v[26:27], v[4:5], v[24:25]
	v_mov_b32_e32 v21, v24
	v_mov_b32_e32 v23, v26
	v_pk_add_f32 v[28:29], v[22:23], v[30:31] neg_lo:[0,1] neg_hi:[0,1]
	s_nop 0
	v_sub_f32_e32 v4, v22, v28
	v_pk_add_f32 v[20:21], v[20:21], v[28:29] neg_lo:[0,1] neg_hi:[0,1]
	v_sub_f32_e32 v4, v30, v4
	v_add_f32_e32 v4, v20, v4
	v_add_f32_e32 v4, v4, v21
	;; [unrolled: 1-line block ×3, first 2 shown]
	v_cndmask_b32_e32 v77, v4, v34, vcc
.LBB76_47:                              ;   in Loop: Header=BB76_11 Depth=1
	s_or_b64 exec, exec, s[38:39]
	v_cvt_f32_f16_sdwa v4, v5 dst_sel:DWORD dst_unused:UNUSED_PAD src0_sel:WORD_1
	v_add_f32_e32 v78, s33, v4
	v_cmp_ge_f32_e32 vcc, s40, v78
	s_and_b64 s[36:37], s[72:73], vcc
	s_and_saveexec_b64 s[38:39], s[36:37]
	s_cbranch_execz .LBB76_49
; %bb.48:                               ;   in Loop: Header=BB76_11 Depth=1
	v_mul_f32_e32 v4, 0x3fb8aa3b, v78
	v_rndne_f32_e32 v5, v4
	v_sub_f32_e32 v19, v4, v5
	v_fma_f32 v4, v78, s41, -v4
	v_fmac_f32_e32 v4, 0x32a5705f, v78
	v_add_f32_e32 v4, v19, v4
	v_cvt_i32_f32_e32 v5, v5
	v_exp_f32_e32 v4, v4
	v_cmp_ngt_f32_e32 vcc, s42, v78
	v_ldexp_f32 v4, v4, v5
	s_nop 0
	v_cndmask_b32_e32 v4, 0, v4, vcc
	v_cmp_nlt_f32_e32 vcc, s43, v78
	s_nop 1
	v_cndmask_b32_e32 v34, v72, v4, vcc
	v_add_f32_e32 v19, 1.0, v34
	v_add_f32_e32 v4, -1.0, v19
	v_sub_f32_e32 v5, v4, v19
	v_add_f32_e32 v5, 1.0, v5
	v_sub_f32_e32 v4, v34, v4
	v_add_f32_e32 v20, v4, v5
	v_frexp_mant_f32_e32 v21, v19
	v_cvt_f64_f32_e32 v[4:5], v19
	v_frexp_exp_i32_f64_e32 v4, v[4:5]
	v_cmp_gt_f32_e32 vcc, s45, v21
	v_cmp_gt_f32_e64 s[36:37], s47, v34
	s_nop 0
	v_subbrev_co_u32_e32 v26, vcc, 0, v4, vcc
	v_sub_u32_e32 v4, 0, v26
	v_ldexp_f32 v5, v19, v4
	v_add_f32_e32 v19, -1.0, v5
	v_add_f32_e32 v21, 1.0, v5
	v_ldexp_f32 v4, v20, v4
	v_add_f32_e32 v20, 1.0, v19
	v_add_f32_e32 v22, -1.0, v21
	v_sub_f32_e32 v20, v5, v20
	v_sub_f32_e32 v5, v5, v22
	v_add_f32_e32 v20, v4, v20
	v_add_f32_e32 v4, v4, v5
	;; [unrolled: 1-line block ×3, first 2 shown]
	v_rcp_f32_e32 v29, v27
	v_sub_f32_e32 v5, v21, v27
	v_add_f32_e32 v28, v4, v5
	v_add_f32_e32 v5, v19, v20
	v_sub_f32_e32 v4, v19, v5
	v_mul_f32_e32 v30, v5, v29
	v_add_f32_e32 v19, v20, v4
	v_mul_f32_e32 v20, v27, v30
	v_fma_f32 v22, v30, v27, -v20
	v_fmac_f32_e32 v22, v30, v28
	v_add_f32_e32 v4, v20, v22
	v_sub_f32_e32 v21, v5, v4
	v_pk_add_f32 v[24:25], v[4:5], v[20:21] neg_lo:[0,1] neg_hi:[0,1]
	v_mov_b32_e32 v23, v4
	v_pk_add_f32 v[4:5], v[24:25], v[22:23] neg_lo:[0,1] neg_hi:[0,1]
	v_cmp_eq_f32_e32 vcc, s44, v34
	v_add_f32_e32 v5, v19, v5
	v_add_f32_e32 v4, v4, v5
	v_add_f32_e32 v5, v21, v4
	v_mul_f32_e32 v19, v29, v5
	v_mul_f32_e32 v20, v27, v19
	v_fma_f32 v22, v19, v27, -v20
	v_fmac_f32_e32 v22, v19, v28
	v_sub_f32_e32 v21, v21, v5
	v_add_f32_e32 v27, v4, v21
	v_add_f32_e32 v4, v20, v22
	v_sub_f32_e32 v21, v5, v4
	v_pk_add_f32 v[24:25], v[4:5], v[20:21] neg_lo:[0,1] neg_hi:[0,1]
	v_mov_b32_e32 v23, v4
	v_pk_add_f32 v[4:5], v[24:25], v[22:23] neg_lo:[0,1] neg_hi:[0,1]
	s_or_b64 vcc, s[36:37], vcc
	v_add_f32_e32 v5, v27, v5
	v_add_f32_e32 v4, v4, v5
	v_add_f32_e32 v5, v30, v19
	v_add_f32_e32 v4, v21, v4
	v_sub_f32_e32 v20, v5, v30
	v_mul_f32_e32 v4, v29, v4
	v_sub_f32_e32 v19, v19, v20
	v_add_f32_e32 v20, v19, v4
	v_add_f32_e32 v22, v5, v20
	v_mul_f32_e32 v23, v22, v22
	v_fmamk_f32 v4, v23, 0x3e9b6dac, v71
	v_fmaak_f32 v19, v23, v4, 0x3f2aaada
	v_cvt_f32_i32_e32 v4, v26
	v_sub_f32_e32 v5, v22, v5
	v_sub_f32_e32 v5, v20, v5
	v_ldexp_f32 v24, v5, 1
	v_mul_f32_e32 v5, v22, v23
	v_ldexp_f32 v21, v22, 1
	v_pk_mul_f32 v[22:23], v[4:5], v[18:19]
	s_nop 0
	v_fma_f32 v20, v4, s46, -v22
	v_fmac_f32_e32 v20, 0xb102e308, v4
	v_pk_add_f32 v[4:5], v[22:23], v[20:21]
	s_nop 0
	v_sub_f32_e32 v19, v5, v21
	v_sub_f32_e32 v19, v23, v19
	v_add_f32_e32 v25, v24, v19
	v_mov_b32_e32 v24, v22
	v_pk_add_f32 v[22:23], v[4:5], v[22:23] neg_lo:[0,1] neg_hi:[0,1]
	v_pk_add_f32 v[26:27], v[4:5], v[24:25]
	v_mov_b32_e32 v21, v4
	v_mov_b32_e32 v23, v27
	v_pk_add_f32 v[28:29], v[20:21], v[22:23] neg_lo:[0,1] neg_hi:[0,1]
	v_pk_add_f32 v[20:21], v[20:21], v[22:23]
	v_mov_b32_e32 v24, v25
	v_mov_b32_e32 v22, v21
	v_pk_add_f32 v[30:31], v[22:23], v[4:5] neg_lo:[0,1] neg_hi:[0,1]
	v_mov_b32_e32 v20, v27
	v_mov_b32_e32 v19, v30
	v_pk_add_f32 v[32:33], v[26:27], v[18:19] neg_lo:[0,1] neg_hi:[0,1]
	v_mov_b32_e32 v26, v5
	v_mov_b32_e32 v27, v30
	;; [unrolled: 1-line block ×3, first 2 shown]
	v_pk_add_f32 v[20:21], v[20:21], v[26:27] neg_lo:[0,1] neg_hi:[0,1]
	v_mov_b32_e32 v25, v4
	v_pk_add_f32 v[4:5], v[24:25], v[20:21] neg_lo:[0,1] neg_hi:[0,1]
	v_mov_b32_e32 v32, v28
	v_pk_add_f32 v[20:21], v[32:33], v[4:5]
	s_nop 0
	v_mov_b32_e32 v24, v21
	v_pk_add_f32 v[24:25], v[20:21], v[24:25]
	s_nop 0
	v_pk_add_f32 v[22:23], v[22:23], v[24:25]
	v_mov_b32_e32 v5, v24
	v_mov_b32_e32 v21, v22
	v_pk_add_f32 v[26:27], v[20:21], v[28:29] neg_lo:[0,1] neg_hi:[0,1]
	s_nop 0
	v_sub_f32_e32 v19, v20, v26
	v_pk_add_f32 v[4:5], v[4:5], v[26:27] neg_lo:[0,1] neg_hi:[0,1]
	v_sub_f32_e32 v19, v28, v19
	v_add_f32_e32 v4, v4, v19
	v_add_f32_e32 v4, v4, v5
	;; [unrolled: 1-line block ×3, first 2 shown]
	v_cndmask_b32_e32 v78, v4, v34, vcc
.LBB76_49:                              ;   in Loop: Header=BB76_11 Depth=1
	s_or_b64 exec, exec, s[38:39]
	v_cvt_f32_f16_e32 v4, v6
	v_add_f32_e32 v79, s33, v4
	v_cmp_ge_f32_e32 vcc, s40, v79
	s_and_b64 s[36:37], s[72:73], vcc
	s_and_saveexec_b64 s[38:39], s[36:37]
	s_cbranch_execz .LBB76_51
; %bb.50:                               ;   in Loop: Header=BB76_11 Depth=1
	v_mul_f32_e32 v4, 0x3fb8aa3b, v79
	v_rndne_f32_e32 v5, v4
	v_sub_f32_e32 v19, v4, v5
	v_fma_f32 v4, v79, s41, -v4
	v_fmac_f32_e32 v4, 0x32a5705f, v79
	v_add_f32_e32 v4, v19, v4
	v_cvt_i32_f32_e32 v5, v5
	v_exp_f32_e32 v4, v4
	v_cmp_ngt_f32_e32 vcc, s42, v79
	v_ldexp_f32 v4, v4, v5
	s_nop 0
	v_cndmask_b32_e32 v4, 0, v4, vcc
	v_cmp_nlt_f32_e32 vcc, s43, v79
	s_nop 1
	v_cndmask_b32_e32 v34, v72, v4, vcc
	v_add_f32_e32 v19, 1.0, v34
	v_add_f32_e32 v4, -1.0, v19
	v_sub_f32_e32 v5, v4, v19
	v_add_f32_e32 v5, 1.0, v5
	v_sub_f32_e32 v4, v34, v4
	v_add_f32_e32 v20, v4, v5
	v_frexp_mant_f32_e32 v21, v19
	v_cvt_f64_f32_e32 v[4:5], v19
	v_frexp_exp_i32_f64_e32 v4, v[4:5]
	v_cmp_gt_f32_e32 vcc, s45, v21
	v_cmp_gt_f32_e64 s[36:37], s47, v34
	s_nop 0
	v_subbrev_co_u32_e32 v26, vcc, 0, v4, vcc
	v_sub_u32_e32 v4, 0, v26
	v_ldexp_f32 v5, v19, v4
	v_add_f32_e32 v19, -1.0, v5
	v_add_f32_e32 v21, 1.0, v5
	v_ldexp_f32 v4, v20, v4
	v_add_f32_e32 v20, 1.0, v19
	v_add_f32_e32 v22, -1.0, v21
	v_sub_f32_e32 v20, v5, v20
	v_sub_f32_e32 v5, v5, v22
	v_add_f32_e32 v20, v4, v20
	v_add_f32_e32 v4, v4, v5
	;; [unrolled: 1-line block ×3, first 2 shown]
	v_rcp_f32_e32 v29, v27
	v_sub_f32_e32 v5, v21, v27
	v_add_f32_e32 v28, v4, v5
	v_add_f32_e32 v5, v19, v20
	v_sub_f32_e32 v4, v19, v5
	v_mul_f32_e32 v30, v5, v29
	v_add_f32_e32 v19, v20, v4
	v_mul_f32_e32 v20, v27, v30
	v_fma_f32 v22, v30, v27, -v20
	v_fmac_f32_e32 v22, v30, v28
	v_add_f32_e32 v4, v20, v22
	v_sub_f32_e32 v21, v5, v4
	v_pk_add_f32 v[24:25], v[4:5], v[20:21] neg_lo:[0,1] neg_hi:[0,1]
	v_mov_b32_e32 v23, v4
	v_pk_add_f32 v[4:5], v[24:25], v[22:23] neg_lo:[0,1] neg_hi:[0,1]
	v_cmp_eq_f32_e32 vcc, s44, v34
	v_add_f32_e32 v5, v19, v5
	v_add_f32_e32 v4, v4, v5
	;; [unrolled: 1-line block ×3, first 2 shown]
	v_mul_f32_e32 v19, v29, v5
	v_mul_f32_e32 v20, v27, v19
	v_fma_f32 v22, v19, v27, -v20
	v_fmac_f32_e32 v22, v19, v28
	v_sub_f32_e32 v21, v21, v5
	v_add_f32_e32 v27, v4, v21
	v_add_f32_e32 v4, v20, v22
	v_sub_f32_e32 v21, v5, v4
	v_pk_add_f32 v[24:25], v[4:5], v[20:21] neg_lo:[0,1] neg_hi:[0,1]
	v_mov_b32_e32 v23, v4
	v_pk_add_f32 v[4:5], v[24:25], v[22:23] neg_lo:[0,1] neg_hi:[0,1]
	s_or_b64 vcc, s[36:37], vcc
	v_add_f32_e32 v5, v27, v5
	v_add_f32_e32 v4, v4, v5
	;; [unrolled: 1-line block ×4, first 2 shown]
	v_sub_f32_e32 v20, v5, v30
	v_mul_f32_e32 v4, v29, v4
	v_sub_f32_e32 v19, v19, v20
	v_add_f32_e32 v20, v19, v4
	v_add_f32_e32 v22, v5, v20
	v_mul_f32_e32 v23, v22, v22
	v_fmamk_f32 v4, v23, 0x3e9b6dac, v71
	v_fmaak_f32 v19, v23, v4, 0x3f2aaada
	v_cvt_f32_i32_e32 v4, v26
	v_sub_f32_e32 v5, v22, v5
	v_sub_f32_e32 v5, v20, v5
	v_ldexp_f32 v24, v5, 1
	v_mul_f32_e32 v5, v22, v23
	v_ldexp_f32 v21, v22, 1
	v_pk_mul_f32 v[22:23], v[4:5], v[18:19]
	s_nop 0
	v_fma_f32 v20, v4, s46, -v22
	v_fmac_f32_e32 v20, 0xb102e308, v4
	v_pk_add_f32 v[4:5], v[22:23], v[20:21]
	s_nop 0
	v_sub_f32_e32 v19, v5, v21
	v_sub_f32_e32 v19, v23, v19
	v_add_f32_e32 v25, v24, v19
	v_mov_b32_e32 v24, v22
	v_pk_add_f32 v[22:23], v[4:5], v[22:23] neg_lo:[0,1] neg_hi:[0,1]
	v_pk_add_f32 v[26:27], v[4:5], v[24:25]
	v_mov_b32_e32 v21, v4
	v_mov_b32_e32 v23, v27
	v_pk_add_f32 v[28:29], v[20:21], v[22:23] neg_lo:[0,1] neg_hi:[0,1]
	v_pk_add_f32 v[20:21], v[20:21], v[22:23]
	v_mov_b32_e32 v24, v25
	v_mov_b32_e32 v22, v21
	v_pk_add_f32 v[30:31], v[22:23], v[4:5] neg_lo:[0,1] neg_hi:[0,1]
	v_mov_b32_e32 v20, v27
	v_mov_b32_e32 v19, v30
	v_pk_add_f32 v[32:33], v[26:27], v[18:19] neg_lo:[0,1] neg_hi:[0,1]
	v_mov_b32_e32 v26, v5
	v_mov_b32_e32 v27, v30
	;; [unrolled: 1-line block ×3, first 2 shown]
	v_pk_add_f32 v[20:21], v[20:21], v[26:27] neg_lo:[0,1] neg_hi:[0,1]
	v_mov_b32_e32 v25, v4
	v_pk_add_f32 v[4:5], v[24:25], v[20:21] neg_lo:[0,1] neg_hi:[0,1]
	v_mov_b32_e32 v32, v28
	v_pk_add_f32 v[20:21], v[32:33], v[4:5]
	s_nop 0
	v_mov_b32_e32 v24, v21
	v_pk_add_f32 v[24:25], v[20:21], v[24:25]
	s_nop 0
	v_pk_add_f32 v[22:23], v[22:23], v[24:25]
	v_mov_b32_e32 v5, v24
	v_mov_b32_e32 v21, v22
	v_pk_add_f32 v[26:27], v[20:21], v[28:29] neg_lo:[0,1] neg_hi:[0,1]
	s_nop 0
	v_sub_f32_e32 v19, v20, v26
	v_pk_add_f32 v[4:5], v[4:5], v[26:27] neg_lo:[0,1] neg_hi:[0,1]
	v_sub_f32_e32 v19, v28, v19
	v_add_f32_e32 v4, v4, v19
	v_add_f32_e32 v4, v4, v5
	;; [unrolled: 1-line block ×3, first 2 shown]
	v_cndmask_b32_e32 v79, v4, v34, vcc
.LBB76_51:                              ;   in Loop: Header=BB76_11 Depth=1
	s_or_b64 exec, exec, s[38:39]
	v_cvt_f32_f16_sdwa v4, v6 dst_sel:DWORD dst_unused:UNUSED_PAD src0_sel:WORD_1
	v_add_f32_e32 v80, s33, v4
	v_cmp_ge_f32_e32 vcc, s40, v80
	s_and_b64 s[36:37], s[72:73], vcc
	s_and_saveexec_b64 s[38:39], s[36:37]
	s_cbranch_execz .LBB76_53
; %bb.52:                               ;   in Loop: Header=BB76_11 Depth=1
	v_mul_f32_e32 v4, 0x3fb8aa3b, v80
	v_rndne_f32_e32 v5, v4
	v_sub_f32_e32 v6, v4, v5
	v_fma_f32 v4, v80, s41, -v4
	v_fmac_f32_e32 v4, 0x32a5705f, v80
	v_add_f32_e32 v4, v6, v4
	v_cvt_i32_f32_e32 v5, v5
	v_exp_f32_e32 v4, v4
	v_cmp_ngt_f32_e32 vcc, s42, v80
	v_ldexp_f32 v4, v4, v5
	s_nop 0
	v_cndmask_b32_e32 v4, 0, v4, vcc
	v_cmp_nlt_f32_e32 vcc, s43, v80
	s_nop 1
	v_cndmask_b32_e32 v32, v72, v4, vcc
	v_add_f32_e32 v6, 1.0, v32
	v_add_f32_e32 v4, -1.0, v6
	v_sub_f32_e32 v5, v4, v6
	v_add_f32_e32 v5, 1.0, v5
	v_sub_f32_e32 v4, v32, v4
	v_add_f32_e32 v19, v4, v5
	v_frexp_mant_f32_e32 v20, v6
	v_cvt_f64_f32_e32 v[4:5], v6
	v_frexp_exp_i32_f64_e32 v4, v[4:5]
	v_cmp_gt_f32_e32 vcc, s45, v20
	v_cmp_gt_f32_e64 s[36:37], s47, v32
	s_nop 0
	v_subbrev_co_u32_e32 v26, vcc, 0, v4, vcc
	v_sub_u32_e32 v4, 0, v26
	v_ldexp_f32 v5, v6, v4
	v_add_f32_e32 v6, -1.0, v5
	v_add_f32_e32 v20, 1.0, v5
	v_ldexp_f32 v4, v19, v4
	v_add_f32_e32 v19, 1.0, v6
	v_add_f32_e32 v21, -1.0, v20
	v_sub_f32_e32 v19, v5, v19
	v_sub_f32_e32 v5, v5, v21
	v_add_f32_e32 v19, v4, v19
	v_add_f32_e32 v4, v4, v5
	;; [unrolled: 1-line block ×3, first 2 shown]
	v_rcp_f32_e32 v29, v27
	v_sub_f32_e32 v5, v20, v27
	v_add_f32_e32 v28, v4, v5
	v_add_f32_e32 v5, v6, v19
	v_sub_f32_e32 v4, v6, v5
	v_add_f32_e32 v6, v19, v4
	v_mul_f32_e32 v19, v5, v29
	v_mul_f32_e32 v20, v27, v19
	v_fma_f32 v22, v19, v27, -v20
	v_fmac_f32_e32 v22, v19, v28
	v_add_f32_e32 v4, v20, v22
	v_sub_f32_e32 v21, v5, v4
	v_pk_add_f32 v[24:25], v[4:5], v[20:21] neg_lo:[0,1] neg_hi:[0,1]
	v_mov_b32_e32 v23, v4
	v_pk_add_f32 v[4:5], v[24:25], v[22:23] neg_lo:[0,1] neg_hi:[0,1]
	v_cmp_eq_f32_e32 vcc, s44, v32
	v_add_f32_e32 v5, v6, v5
	v_add_f32_e32 v4, v4, v5
	;; [unrolled: 1-line block ×3, first 2 shown]
	v_mul_f32_e32 v6, v29, v5
	v_mul_f32_e32 v20, v27, v6
	v_fma_f32 v22, v6, v27, -v20
	v_fmac_f32_e32 v22, v6, v28
	v_sub_f32_e32 v21, v21, v5
	v_add_f32_e32 v27, v4, v21
	v_add_f32_e32 v4, v20, v22
	v_sub_f32_e32 v21, v5, v4
	v_pk_add_f32 v[24:25], v[4:5], v[20:21] neg_lo:[0,1] neg_hi:[0,1]
	v_mov_b32_e32 v23, v4
	v_pk_add_f32 v[4:5], v[24:25], v[22:23] neg_lo:[0,1] neg_hi:[0,1]
	s_or_b64 vcc, s[36:37], vcc
	v_add_f32_e32 v5, v27, v5
	v_add_f32_e32 v4, v4, v5
	;; [unrolled: 1-line block ×4, first 2 shown]
	v_sub_f32_e32 v19, v5, v19
	v_mul_f32_e32 v4, v29, v4
	v_sub_f32_e32 v6, v6, v19
	v_add_f32_e32 v6, v6, v4
	v_add_f32_e32 v20, v5, v6
	v_mul_f32_e32 v22, v20, v20
	v_fmamk_f32 v4, v22, 0x3e9b6dac, v71
	v_fmaak_f32 v19, v22, v4, 0x3f2aaada
	v_cvt_f32_i32_e32 v4, v26
	v_sub_f32_e32 v5, v20, v5
	v_sub_f32_e32 v5, v6, v5
	v_ldexp_f32 v6, v5, 1
	v_mul_f32_e32 v5, v20, v22
	v_pk_mul_f32 v[22:23], v[4:5], v[18:19]
	v_ldexp_f32 v21, v20, 1
	v_fma_f32 v20, v4, s46, -v22
	v_fmac_f32_e32 v20, 0xb102e308, v4
	v_pk_add_f32 v[4:5], v[22:23], v[20:21]
	v_mov_b32_e32 v24, v22
	v_sub_f32_e32 v19, v5, v21
	v_sub_f32_e32 v19, v23, v19
	v_add_f32_e32 v25, v6, v19
	v_pk_add_f32 v[22:23], v[4:5], v[22:23] neg_lo:[0,1] neg_hi:[0,1]
	v_pk_add_f32 v[26:27], v[4:5], v[24:25]
	v_mov_b32_e32 v21, v4
	v_mov_b32_e32 v23, v27
	v_pk_add_f32 v[28:29], v[20:21], v[22:23] neg_lo:[0,1] neg_hi:[0,1]
	v_pk_add_f32 v[20:21], v[20:21], v[22:23]
	s_nop 0
	v_mov_b32_e32 v6, v21
	v_pk_add_f32 v[22:23], v[6:7], v[4:5] neg_lo:[0,1] neg_hi:[0,1]
	v_mov_b32_e32 v20, v27
	v_mov_b32_e32 v19, v22
	v_pk_add_f32 v[30:31], v[26:27], v[18:19] neg_lo:[0,1] neg_hi:[0,1]
	v_mov_b32_e32 v26, v5
	v_mov_b32_e32 v27, v22
	;; [unrolled: 1-line block ×3, first 2 shown]
	v_pk_add_f32 v[20:21], v[20:21], v[26:27] neg_lo:[0,1] neg_hi:[0,1]
	v_mov_b32_e32 v22, v25
	v_mov_b32_e32 v23, v4
	v_pk_add_f32 v[4:5], v[22:23], v[20:21] neg_lo:[0,1] neg_hi:[0,1]
	v_mov_b32_e32 v30, v28
	v_pk_add_f32 v[20:21], v[30:31], v[4:5]
	s_nop 0
	v_mov_b32_e32 v22, v21
	v_pk_add_f32 v[22:23], v[20:21], v[22:23]
	s_nop 0
	v_pk_add_f32 v[24:25], v[6:7], v[22:23]
	v_mov_b32_e32 v5, v22
	v_mov_b32_e32 v21, v24
	v_pk_add_f32 v[26:27], v[20:21], v[28:29] neg_lo:[0,1] neg_hi:[0,1]
	s_nop 0
	v_sub_f32_e32 v6, v20, v26
	v_pk_add_f32 v[4:5], v[4:5], v[26:27] neg_lo:[0,1] neg_hi:[0,1]
	v_sub_f32_e32 v6, v28, v6
	v_add_f32_e32 v4, v4, v6
	v_add_f32_e32 v4, v4, v5
	;; [unrolled: 1-line block ×3, first 2 shown]
	v_cndmask_b32_e32 v80, v4, v32, vcc
.LBB76_53:                              ;   in Loop: Header=BB76_11 Depth=1
	s_or_b64 exec, exec, s[38:39]
	v_cvt_f32_f16_e32 v4, v7
	v_add_f32_e32 v81, s33, v4
	v_cmp_ge_f32_e32 vcc, s40, v81
	s_and_b64 s[36:37], s[72:73], vcc
	s_and_saveexec_b64 s[38:39], s[36:37]
	s_cbranch_execz .LBB76_55
; %bb.54:                               ;   in Loop: Header=BB76_11 Depth=1
	v_mul_f32_e32 v4, 0x3fb8aa3b, v81
	v_rndne_f32_e32 v5, v4
	v_sub_f32_e32 v6, v4, v5
	v_fma_f32 v4, v81, s41, -v4
	v_fmac_f32_e32 v4, 0x32a5705f, v81
	v_add_f32_e32 v4, v6, v4
	v_cvt_i32_f32_e32 v5, v5
	v_exp_f32_e32 v4, v4
	v_cmp_ngt_f32_e32 vcc, s42, v81
	v_ldexp_f32 v4, v4, v5
	s_nop 0
	v_cndmask_b32_e32 v4, 0, v4, vcc
	v_cmp_nlt_f32_e32 vcc, s43, v81
	s_nop 1
	v_cndmask_b32_e32 v32, v72, v4, vcc
	v_add_f32_e32 v6, 1.0, v32
	v_add_f32_e32 v4, -1.0, v6
	v_sub_f32_e32 v5, v4, v6
	v_add_f32_e32 v5, 1.0, v5
	v_sub_f32_e32 v4, v32, v4
	v_add_f32_e32 v19, v4, v5
	v_frexp_mant_f32_e32 v20, v6
	v_cvt_f64_f32_e32 v[4:5], v6
	v_frexp_exp_i32_f64_e32 v4, v[4:5]
	v_cmp_gt_f32_e32 vcc, s45, v20
	v_cmp_gt_f32_e64 s[36:37], s47, v32
	s_nop 0
	v_subbrev_co_u32_e32 v26, vcc, 0, v4, vcc
	v_sub_u32_e32 v4, 0, v26
	v_ldexp_f32 v5, v6, v4
	v_add_f32_e32 v6, -1.0, v5
	v_add_f32_e32 v20, 1.0, v5
	v_ldexp_f32 v4, v19, v4
	v_add_f32_e32 v19, 1.0, v6
	v_add_f32_e32 v21, -1.0, v20
	v_sub_f32_e32 v19, v5, v19
	v_sub_f32_e32 v5, v5, v21
	v_add_f32_e32 v19, v4, v19
	v_add_f32_e32 v4, v4, v5
	;; [unrolled: 1-line block ×3, first 2 shown]
	v_rcp_f32_e32 v29, v27
	v_sub_f32_e32 v5, v20, v27
	v_add_f32_e32 v28, v4, v5
	v_add_f32_e32 v5, v6, v19
	v_sub_f32_e32 v4, v6, v5
	v_add_f32_e32 v6, v19, v4
	v_mul_f32_e32 v19, v5, v29
	v_mul_f32_e32 v20, v27, v19
	v_fma_f32 v22, v19, v27, -v20
	v_fmac_f32_e32 v22, v19, v28
	v_add_f32_e32 v4, v20, v22
	v_sub_f32_e32 v21, v5, v4
	v_pk_add_f32 v[24:25], v[4:5], v[20:21] neg_lo:[0,1] neg_hi:[0,1]
	v_mov_b32_e32 v23, v4
	v_pk_add_f32 v[4:5], v[24:25], v[22:23] neg_lo:[0,1] neg_hi:[0,1]
	v_cmp_eq_f32_e32 vcc, s44, v32
	v_add_f32_e32 v5, v6, v5
	v_add_f32_e32 v4, v4, v5
	;; [unrolled: 1-line block ×3, first 2 shown]
	v_mul_f32_e32 v6, v29, v5
	v_mul_f32_e32 v20, v27, v6
	v_fma_f32 v22, v6, v27, -v20
	v_fmac_f32_e32 v22, v6, v28
	v_sub_f32_e32 v21, v21, v5
	v_add_f32_e32 v27, v4, v21
	v_add_f32_e32 v4, v20, v22
	v_sub_f32_e32 v21, v5, v4
	v_pk_add_f32 v[24:25], v[4:5], v[20:21] neg_lo:[0,1] neg_hi:[0,1]
	v_mov_b32_e32 v23, v4
	v_pk_add_f32 v[4:5], v[24:25], v[22:23] neg_lo:[0,1] neg_hi:[0,1]
	s_or_b64 vcc, s[36:37], vcc
	v_add_f32_e32 v5, v27, v5
	v_add_f32_e32 v4, v4, v5
	;; [unrolled: 1-line block ×4, first 2 shown]
	v_sub_f32_e32 v19, v5, v19
	v_mul_f32_e32 v4, v29, v4
	v_sub_f32_e32 v6, v6, v19
	v_add_f32_e32 v6, v6, v4
	v_add_f32_e32 v20, v5, v6
	v_mul_f32_e32 v22, v20, v20
	v_fmamk_f32 v4, v22, 0x3e9b6dac, v71
	v_fmaak_f32 v19, v22, v4, 0x3f2aaada
	v_cvt_f32_i32_e32 v4, v26
	v_sub_f32_e32 v5, v20, v5
	v_sub_f32_e32 v5, v6, v5
	v_ldexp_f32 v6, v5, 1
	v_mul_f32_e32 v5, v20, v22
	v_pk_mul_f32 v[22:23], v[4:5], v[18:19]
	v_ldexp_f32 v21, v20, 1
	v_fma_f32 v20, v4, s46, -v22
	v_fmac_f32_e32 v20, 0xb102e308, v4
	v_pk_add_f32 v[4:5], v[22:23], v[20:21]
	v_mov_b32_e32 v24, v22
	v_sub_f32_e32 v19, v5, v21
	v_sub_f32_e32 v19, v23, v19
	v_add_f32_e32 v25, v6, v19
	v_pk_add_f32 v[22:23], v[4:5], v[22:23] neg_lo:[0,1] neg_hi:[0,1]
	v_pk_add_f32 v[26:27], v[4:5], v[24:25]
	v_mov_b32_e32 v21, v4
	v_mov_b32_e32 v23, v27
	v_pk_add_f32 v[28:29], v[20:21], v[22:23] neg_lo:[0,1] neg_hi:[0,1]
	v_pk_add_f32 v[20:21], v[20:21], v[22:23]
	s_nop 0
	v_mov_b32_e32 v6, v21
	v_pk_add_f32 v[22:23], v[6:7], v[4:5] neg_lo:[0,1] neg_hi:[0,1]
	v_mov_b32_e32 v20, v27
	v_mov_b32_e32 v19, v22
	v_pk_add_f32 v[30:31], v[26:27], v[18:19] neg_lo:[0,1] neg_hi:[0,1]
	v_mov_b32_e32 v26, v5
	v_mov_b32_e32 v27, v22
	;; [unrolled: 1-line block ×3, first 2 shown]
	v_pk_add_f32 v[20:21], v[20:21], v[26:27] neg_lo:[0,1] neg_hi:[0,1]
	v_mov_b32_e32 v22, v25
	v_mov_b32_e32 v23, v4
	v_pk_add_f32 v[4:5], v[22:23], v[20:21] neg_lo:[0,1] neg_hi:[0,1]
	v_mov_b32_e32 v30, v28
	v_pk_add_f32 v[20:21], v[30:31], v[4:5]
	s_nop 0
	v_mov_b32_e32 v22, v21
	v_pk_add_f32 v[22:23], v[20:21], v[22:23]
	s_nop 0
	v_pk_add_f32 v[24:25], v[6:7], v[22:23]
	v_mov_b32_e32 v5, v22
	v_mov_b32_e32 v21, v24
	v_pk_add_f32 v[26:27], v[20:21], v[28:29] neg_lo:[0,1] neg_hi:[0,1]
	s_nop 0
	v_sub_f32_e32 v6, v20, v26
	v_pk_add_f32 v[4:5], v[4:5], v[26:27] neg_lo:[0,1] neg_hi:[0,1]
	v_sub_f32_e32 v6, v28, v6
	v_add_f32_e32 v4, v4, v6
	v_add_f32_e32 v4, v4, v5
	;; [unrolled: 1-line block ×3, first 2 shown]
	v_cndmask_b32_e32 v81, v4, v32, vcc
.LBB76_55:                              ;   in Loop: Header=BB76_11 Depth=1
	s_or_b64 exec, exec, s[38:39]
	v_cvt_f32_f16_sdwa v4, v7 dst_sel:DWORD dst_unused:UNUSED_PAD src0_sel:WORD_1
	v_add_f32_e32 v19, s33, v4
	v_cmp_ge_f32_e32 vcc, s40, v19
	s_and_b64 s[36:37], s[72:73], vcc
	s_and_saveexec_b64 s[38:39], s[36:37]
	s_cbranch_execz .LBB76_57
; %bb.56:                               ;   in Loop: Header=BB76_11 Depth=1
	v_mul_f32_e32 v4, 0x3fb8aa3b, v19
	v_rndne_f32_e32 v5, v4
	v_sub_f32_e32 v6, v4, v5
	v_fma_f32 v4, v19, s41, -v4
	v_fmac_f32_e32 v4, 0x32a5705f, v19
	v_add_f32_e32 v4, v6, v4
	v_cvt_i32_f32_e32 v5, v5
	v_exp_f32_e32 v4, v4
	v_cmp_ngt_f32_e32 vcc, s42, v19
	v_ldexp_f32 v4, v4, v5
	s_nop 0
	v_cndmask_b32_e32 v4, 0, v4, vcc
	v_cmp_nlt_f32_e32 vcc, s43, v19
	s_nop 1
	v_cndmask_b32_e32 v32, v72, v4, vcc
	v_add_f32_e32 v6, 1.0, v32
	v_add_f32_e32 v4, -1.0, v6
	v_sub_f32_e32 v5, v4, v6
	v_add_f32_e32 v5, 1.0, v5
	v_sub_f32_e32 v4, v32, v4
	v_add_f32_e32 v7, v4, v5
	v_frexp_mant_f32_e32 v19, v6
	v_cvt_f64_f32_e32 v[4:5], v6
	v_frexp_exp_i32_f64_e32 v4, v[4:5]
	v_cmp_gt_f32_e32 vcc, s45, v19
	v_cmp_gt_f32_e64 s[36:37], s47, v32
	s_nop 0
	v_subbrev_co_u32_e32 v24, vcc, 0, v4, vcc
	v_sub_u32_e32 v4, 0, v24
	v_ldexp_f32 v5, v6, v4
	v_add_f32_e32 v6, -1.0, v5
	v_add_f32_e32 v19, 1.0, v5
	v_ldexp_f32 v4, v7, v4
	v_add_f32_e32 v7, 1.0, v6
	v_add_f32_e32 v20, -1.0, v19
	v_sub_f32_e32 v7, v5, v7
	v_sub_f32_e32 v5, v5, v20
	v_add_f32_e32 v7, v4, v7
	v_add_f32_e32 v4, v4, v5
	;; [unrolled: 1-line block ×3, first 2 shown]
	v_rcp_f32_e32 v26, v25
	v_sub_f32_e32 v5, v19, v25
	v_add_f32_e32 v19, v4, v5
	v_add_f32_e32 v5, v6, v7
	v_mul_f32_e32 v28, v5, v26
	v_sub_f32_e32 v4, v6, v5
	v_mul_f32_e32 v6, v25, v28
	v_fma_f32 v20, v28, v25, -v6
	v_fmac_f32_e32 v20, v28, v19
	v_add_f32_e32 v27, v7, v4
	v_add_f32_e32 v4, v6, v20
	v_sub_f32_e32 v7, v5, v4
	v_pk_add_f32 v[22:23], v[4:5], v[6:7] neg_lo:[0,1] neg_hi:[0,1]
	v_mov_b32_e32 v21, v4
	v_pk_add_f32 v[4:5], v[22:23], v[20:21] neg_lo:[0,1] neg_hi:[0,1]
	v_cmp_eq_f32_e32 vcc, s44, v32
	v_add_f32_e32 v5, v27, v5
	v_add_f32_e32 v4, v4, v5
	;; [unrolled: 1-line block ×3, first 2 shown]
	v_mul_f32_e32 v27, v26, v5
	v_mul_f32_e32 v6, v25, v27
	v_fma_f32 v20, v27, v25, -v6
	v_fmac_f32_e32 v20, v27, v19
	v_sub_f32_e32 v7, v7, v5
	v_add_f32_e32 v19, v4, v7
	v_add_f32_e32 v4, v6, v20
	v_sub_f32_e32 v7, v5, v4
	v_pk_add_f32 v[22:23], v[4:5], v[6:7] neg_lo:[0,1] neg_hi:[0,1]
	v_mov_b32_e32 v21, v4
	v_pk_add_f32 v[4:5], v[22:23], v[20:21] neg_lo:[0,1] neg_hi:[0,1]
	s_or_b64 vcc, s[36:37], vcc
	v_add_f32_e32 v5, v19, v5
	v_add_f32_e32 v4, v4, v5
	;; [unrolled: 1-line block ×4, first 2 shown]
	v_sub_f32_e32 v6, v5, v28
	v_mul_f32_e32 v4, v26, v4
	v_sub_f32_e32 v6, v27, v6
	v_add_f32_e32 v6, v6, v4
	v_add_f32_e32 v20, v5, v6
	v_mul_f32_e32 v21, v20, v20
	v_fmamk_f32 v4, v21, 0x3e9b6dac, v71
	v_fmaak_f32 v19, v21, v4, 0x3f2aaada
	v_cvt_f32_i32_e32 v4, v24
	v_sub_f32_e32 v5, v20, v5
	v_sub_f32_e32 v5, v6, v5
	v_ldexp_f32 v22, v5, 1
	v_mul_f32_e32 v5, v20, v21
	v_ldexp_f32 v7, v20, 1
	v_pk_mul_f32 v[20:21], v[4:5], v[18:19]
	s_nop 0
	v_fma_f32 v6, v4, s46, -v20
	v_fmac_f32_e32 v6, 0xb102e308, v4
	v_pk_add_f32 v[4:5], v[20:21], v[6:7]
	s_nop 0
	v_sub_f32_e32 v7, v5, v7
	v_sub_f32_e32 v7, v21, v7
	v_add_f32_e32 v23, v22, v7
	v_mov_b32_e32 v22, v20
	v_pk_add_f32 v[20:21], v[4:5], v[20:21] neg_lo:[0,1] neg_hi:[0,1]
	v_pk_add_f32 v[24:25], v[4:5], v[22:23]
	v_mov_b32_e32 v7, v4
	v_mov_b32_e32 v21, v25
	v_pk_add_f32 v[26:27], v[6:7], v[20:21] neg_lo:[0,1] neg_hi:[0,1]
	v_pk_add_f32 v[6:7], v[6:7], v[20:21]
	v_mov_b32_e32 v22, v23
	v_mov_b32_e32 v20, v7
	v_pk_add_f32 v[28:29], v[20:21], v[4:5] neg_lo:[0,1] neg_hi:[0,1]
	v_mov_b32_e32 v6, v25
	v_mov_b32_e32 v19, v28
	v_pk_add_f32 v[30:31], v[24:25], v[18:19] neg_lo:[0,1] neg_hi:[0,1]
	v_mov_b32_e32 v24, v5
	v_mov_b32_e32 v25, v28
	;; [unrolled: 1-line block ×3, first 2 shown]
	v_pk_add_f32 v[6:7], v[6:7], v[24:25] neg_lo:[0,1] neg_hi:[0,1]
	v_mov_b32_e32 v23, v4
	v_pk_add_f32 v[4:5], v[22:23], v[6:7] neg_lo:[0,1] neg_hi:[0,1]
	v_mov_b32_e32 v30, v26
	v_pk_add_f32 v[6:7], v[30:31], v[4:5]
	s_nop 0
	v_mov_b32_e32 v22, v7
	v_pk_add_f32 v[22:23], v[6:7], v[22:23]
	s_nop 0
	v_pk_add_f32 v[20:21], v[20:21], v[22:23]
	v_mov_b32_e32 v5, v22
	v_mov_b32_e32 v7, v20
	v_pk_add_f32 v[24:25], v[6:7], v[26:27] neg_lo:[0,1] neg_hi:[0,1]
	s_nop 0
	v_sub_f32_e32 v6, v6, v24
	v_pk_add_f32 v[4:5], v[4:5], v[24:25] neg_lo:[0,1] neg_hi:[0,1]
	v_sub_f32_e32 v6, v26, v6
	v_add_f32_e32 v4, v4, v6
	v_add_f32_e32 v4, v4, v5
	;; [unrolled: 1-line block ×3, first 2 shown]
	v_cndmask_b32_e32 v19, v4, v32, vcc
.LBB76_57:                              ;   in Loop: Header=BB76_11 Depth=1
	s_or_b64 exec, exec, s[38:39]
	v_cvt_f32_f16_e32 v4, v3
	v_cvt_f32_f16_sdwa v5, v2 dst_sel:DWORD dst_unused:UNUSED_PAD src0_sel:WORD_1
	v_cvt_f32_f16_e32 v2, v2
	v_cvt_f32_f16_sdwa v7, v3 dst_sel:DWORD dst_unused:UNUSED_PAD src0_sel:WORD_1
	v_cvt_f32_f16_sdwa v3, v1 dst_sel:DWORD dst_unused:UNUSED_PAD src0_sel:WORD_1
	v_cvt_f32_f16_e32 v1, v1
	v_cvt_f32_f16_sdwa v6, v0 dst_sel:DWORD dst_unused:UNUSED_PAD src0_sel:WORD_1
	v_cvt_f32_f16_e32 v0, v0
	v_readlane_b32 s36, v95, 1
	v_readlane_b32 s37, v95, 2
	v_mul_f32_e32 v22, s92, v4
	v_mul_f32_e32 v21, s92, v5
	;; [unrolled: 1-line block ×8, first 2 shown]
	s_and_b64 vcc, exec, s[36:37]
	s_waitcnt lgkmcnt(0)
	; wave barrier
	s_cbranch_vccz .LBB76_118
; %bb.58:                               ;   in Loop: Header=BB76_11 Depth=1
	s_cmp_lg_u32 s95, 0
	v_readlane_b32 s36, v95, 5
	v_mul_f32_e32 v89, v75, v0
	s_cselect_b64 s[78:79], -1, 0
	s_cmp_eq_u32 s95, s36
	v_cmp_gt_u32_e32 vcc, s50, v11
	v_or_b32_e32 v0, 1, v11
	s_cselect_b64 s[80:81], -1, 0
	s_or_b64 s[36:37], s[76:77], vcc
	v_cmp_gt_u32_e32 vcc, s50, v0
	v_or_b32_e32 v0, 2, v11
	s_or_b64 s[38:39], s[76:77], vcc
	v_cmp_gt_u32_e32 vcc, s50, v0
	v_or_b32_e32 v0, 3, v11
	s_or_b64 s[40:41], s[76:77], vcc
	v_cmp_gt_u32_e32 vcc, s50, v0
	v_or_b32_e32 v0, 4, v11
	s_or_b64 s[42:43], s[76:77], vcc
	v_cmp_gt_u32_e32 vcc, s50, v0
	v_or_b32_e32 v0, 5, v11
	s_or_b64 s[44:45], s[76:77], vcc
	v_cmp_gt_u32_e32 vcc, s50, v0
	v_or_b32_e32 v0, 6, v11
	s_or_b64 s[46:47], s[76:77], vcc
	v_cmp_gt_u32_e32 vcc, s50, v0
	s_mov_b32 s70, 0
	s_or_b64 s[48:49], s[76:77], vcc
	v_cmp_gt_u32_e32 vcc, s50, v70
	v_mul_f32_e32 v82, v19, v7
	v_lshl_add_u64 v[28:29], s[54:55], 0, v[8:9]
	v_lshl_add_u64 v[30:31], s[58:59], 0, v[8:9]
	v_mul_f32_e32 v83, v81, v4
	v_mul_f32_e32 v84, v80, v5
	;; [unrolled: 1-line block ×6, first 2 shown]
	s_or_b64 s[50:51], s[76:77], vcc
	s_mov_b32 s82, s70
	s_mov_b32 s84, s70
	s_mov_b32 s86, s70
	v_readlane_b32 s67, v95, 0
	v_readlane_b32 s99, v95, 6
	s_branch .LBB76_60
.LBB76_59:                              ;   in Loop: Header=BB76_60 Depth=2
	s_or_b64 exec, exec, s[88:89]
	v_mul_f32_e32 v32, v90, v67
	v_fma_f32 v33, v90, v68, v4
	v_cndmask_b32_e64 v4, v33, v4, s[16:17]
	v_cndmask_b32_e64 v32, v32, v90, s[16:17]
	s_waitcnt lgkmcnt(0)
	v_fmac_f32_e32 v4, v38, v32
	v_fmac_f32_e32 v5, v4, v91
	;; [unrolled: 1-line block ×7, first 2 shown]
	v_cvt_f32_f16_sdwa v33, v0 dst_sel:DWORD dst_unused:UNUSED_PAD src0_sel:WORD_1
	v_cvt_f32_f16_sdwa v39, v1 dst_sel:DWORD dst_unused:UNUSED_PAD src0_sel:WORD_1
	v_cvt_f32_f16_e32 v32, v0
	v_cvt_f32_f16_e32 v38, v1
	v_cvt_f32_f16_sdwa v1, v2 dst_sel:DWORD dst_unused:UNUSED_PAD src0_sel:WORD_1
	v_cvt_f32_f16_sdwa v65, v3 dst_sel:DWORD dst_unused:UNUSED_PAD src0_sel:WORD_1
	v_cvt_f32_f16_e32 v64, v3
	v_cvt_f32_f16_e32 v0, v2
	v_fmac_f32_e32 v37, v36, v66
	s_add_i32 s99, s99, 8
	s_add_i32 s67, s67, -1
	s_add_i32 s86, s86, s94
	s_add_i32 s84, s84, s60
	s_add_i32 s82, s82, s56
	s_add_i32 s70, s70, s53
	v_pk_fma_f32 v[26:27], v[34:35], v[38:39], v[26:27]
	v_pk_fma_f32 v[24:25], v[4:5], v[32:33], v[24:25]
	;; [unrolled: 1-line block ×3, first 2 shown]
	s_cmp_eq_u32 s67, 0
	v_pk_fma_f32 v[20:21], v[6:7], v[0:1], v[20:21]
	s_cbranch_scc1 .LBB76_117
.LBB76_60:                              ;   Parent Loop BB76_11 Depth=1
                                        ; =>  This Inner Loop Header: Depth=2
	s_lshl_b64 s[88:89], s[70:71], 2
	s_add_u32 s88, s52, s88
	s_addc_u32 s89, s96, s89
	global_load_dword v34, v9, s[88:89]
	s_mov_b32 s83, s71
	v_lshl_add_u64 v[0:1], s[82:83], 1, v[28:29]
	v_mov_b32_e32 v2, 0
	v_mov_b32_e32 v3, 0
	s_and_saveexec_b64 s[88:89], s[18:19]
	s_cbranch_execnz .LBB76_80
; %bb.61:                               ;   in Loop: Header=BB76_60 Depth=2
	s_or_b64 exec, exec, s[88:89]
	s_and_saveexec_b64 s[88:89], s[20:21]
	s_cbranch_execnz .LBB76_81
.LBB76_62:                              ;   in Loop: Header=BB76_60 Depth=2
	s_or_b64 exec, exec, s[88:89]
	v_mov_b32_e32 v4, 0
	s_and_saveexec_b64 s[88:89], s[22:23]
	s_cbranch_execnz .LBB76_82
.LBB76_63:                              ;   in Loop: Header=BB76_60 Depth=2
	s_or_b64 exec, exec, s[88:89]
	s_and_saveexec_b64 s[88:89], s[24:25]
	s_cbranch_execnz .LBB76_83
.LBB76_64:                              ;   in Loop: Header=BB76_60 Depth=2
	s_or_b64 exec, exec, s[88:89]
	v_mov_b32_e32 v5, 0
	s_and_saveexec_b64 s[88:89], s[26:27]
	s_cbranch_execnz .LBB76_84
.LBB76_65:                              ;   in Loop: Header=BB76_60 Depth=2
	s_or_b64 exec, exec, s[88:89]
	s_and_saveexec_b64 s[88:89], s[28:29]
	s_cbranch_execnz .LBB76_85
.LBB76_66:                              ;   in Loop: Header=BB76_60 Depth=2
	s_or_b64 exec, exec, s[88:89]
	v_mov_b32_e32 v6, 0
	s_and_saveexec_b64 s[88:89], s[30:31]
	s_cbranch_execnz .LBB76_86
.LBB76_67:                              ;   in Loop: Header=BB76_60 Depth=2
	s_or_b64 exec, exec, s[88:89]
	s_and_saveexec_b64 s[88:89], s[34:35]
	s_cbranch_execz .LBB76_69
.LBB76_68:                              ;   in Loop: Header=BB76_60 Depth=2
	global_load_ushort v0, v[0:1], off offset:896
	s_waitcnt vmcnt(0)
	v_lshl_or_b32 v6, v0, 16, v6
.LBB76_69:                              ;   in Loop: Header=BB76_60 Depth=2
	s_or_b64 exec, exec, s[88:89]
	s_waitcnt vmcnt(0)
	ds_write_b16 v47, v3
	ds_write_b16 v48, v2 offset:128
	ds_write_b16 v49, v4 offset:256
	ds_write_b16_d16_hi v50, v4 offset:384
	ds_write_b16 v51, v5 offset:512
	ds_write_b16_d16_hi v52, v5 offset:640
	ds_write_b16 v53, v6 offset:768
	ds_write_b16_d16_hi v54, v6 offset:896
	; wave barrier
	ds_read_b128 v[4:7], v55
	s_mov_b32 s85, s71
	v_lshl_add_u64 v[0:1], s[84:85], 1, v[30:31]
	v_mov_b32_e32 v2, 0
	v_mov_b32_e32 v3, 0
	s_and_saveexec_b64 s[88:89], s[18:19]
	s_cbranch_execnz .LBB76_87
; %bb.70:                               ;   in Loop: Header=BB76_60 Depth=2
	s_or_b64 exec, exec, s[88:89]
	s_and_saveexec_b64 s[88:89], s[20:21]
	s_cbranch_execnz .LBB76_88
.LBB76_71:                              ;   in Loop: Header=BB76_60 Depth=2
	s_or_b64 exec, exec, s[88:89]
	v_mov_b32_e32 v32, 0
	s_and_saveexec_b64 s[88:89], s[22:23]
	s_cbranch_execnz .LBB76_89
.LBB76_72:                              ;   in Loop: Header=BB76_60 Depth=2
	s_or_b64 exec, exec, s[88:89]
	s_and_saveexec_b64 s[88:89], s[24:25]
	s_cbranch_execnz .LBB76_90
.LBB76_73:                              ;   in Loop: Header=BB76_60 Depth=2
	s_or_b64 exec, exec, s[88:89]
	v_mov_b32_e32 v33, 0
	s_and_saveexec_b64 s[88:89], s[26:27]
	s_cbranch_execnz .LBB76_91
.LBB76_74:                              ;   in Loop: Header=BB76_60 Depth=2
	s_or_b64 exec, exec, s[88:89]
	s_and_saveexec_b64 s[88:89], s[28:29]
	s_cbranch_execnz .LBB76_92
.LBB76_75:                              ;   in Loop: Header=BB76_60 Depth=2
	s_or_b64 exec, exec, s[88:89]
	v_mov_b32_e32 v35, 0
	s_and_saveexec_b64 s[88:89], s[30:31]
	s_cbranch_execnz .LBB76_93
.LBB76_76:                              ;   in Loop: Header=BB76_60 Depth=2
	s_or_b64 exec, exec, s[88:89]
	s_and_saveexec_b64 s[88:89], s[34:35]
	s_cbranch_execz .LBB76_78
.LBB76_77:                              ;   in Loop: Header=BB76_60 Depth=2
	global_load_ushort v0, v[0:1], off offset:896
	s_waitcnt vmcnt(0)
	v_lshl_or_b32 v35, v0, 16, v35
.LBB76_78:                              ;   in Loop: Header=BB76_60 Depth=2
	s_or_b64 exec, exec, s[88:89]
	s_waitcnt vmcnt(0)
	ds_write_b16 v47, v3 offset:1056
	ds_write_b16 v56, v2 offset:128
	;; [unrolled: 1-line block ×3, first 2 shown]
	ds_write_b16_d16_hi v58, v32 offset:384
	ds_write_b16 v59, v33 offset:512
	ds_write_b16_d16_hi v60, v33 offset:640
	ds_write_b16 v61, v35 offset:768
	ds_write_b16_d16_hi v62, v35 offset:896
	; wave barrier
	ds_read_b128 v[0:3], v55 offset:1056
	s_andn2_b64 vcc, exec, s[78:79]
	s_cbranch_vccnz .LBB76_94
; %bb.79:                               ;   in Loop: Header=BB76_60 Depth=2
	v_mov_b32_e32 v32, s99
	ds_read_b64 v[32:33], v32
	s_cbranch_execz .LBB76_95
	s_branch .LBB76_98
.LBB76_80:                              ;   in Loop: Header=BB76_60 Depth=2
	global_load_ushort v3, v[0:1], off
	s_or_b64 exec, exec, s[88:89]
	s_and_saveexec_b64 s[88:89], s[20:21]
	s_cbranch_execz .LBB76_62
.LBB76_81:                              ;   in Loop: Header=BB76_60 Depth=2
	global_load_ushort v2, v[0:1], off offset:128
	s_or_b64 exec, exec, s[88:89]
	v_mov_b32_e32 v4, 0
	s_and_saveexec_b64 s[88:89], s[22:23]
	s_cbranch_execz .LBB76_63
.LBB76_82:                              ;   in Loop: Header=BB76_60 Depth=2
	global_load_ushort v4, v[0:1], off offset:256
	s_or_b64 exec, exec, s[88:89]
	s_and_saveexec_b64 s[88:89], s[24:25]
	s_cbranch_execz .LBB76_64
.LBB76_83:                              ;   in Loop: Header=BB76_60 Depth=2
	global_load_ushort v5, v[0:1], off offset:384
	s_waitcnt vmcnt(0)
	v_lshl_or_b32 v4, v5, 16, v4
	s_or_b64 exec, exec, s[88:89]
	v_mov_b32_e32 v5, 0
	s_and_saveexec_b64 s[88:89], s[26:27]
	s_cbranch_execz .LBB76_65
.LBB76_84:                              ;   in Loop: Header=BB76_60 Depth=2
	global_load_ushort v5, v[0:1], off offset:512
	s_or_b64 exec, exec, s[88:89]
	s_and_saveexec_b64 s[88:89], s[28:29]
	s_cbranch_execz .LBB76_66
.LBB76_85:                              ;   in Loop: Header=BB76_60 Depth=2
	global_load_ushort v6, v[0:1], off offset:640
	s_waitcnt vmcnt(0)
	v_lshl_or_b32 v5, v6, 16, v5
	s_or_b64 exec, exec, s[88:89]
	v_mov_b32_e32 v6, 0
	s_and_saveexec_b64 s[88:89], s[30:31]
	s_cbranch_execz .LBB76_67
.LBB76_86:                              ;   in Loop: Header=BB76_60 Depth=2
	global_load_ushort v6, v[0:1], off offset:768
	s_or_b64 exec, exec, s[88:89]
	s_and_saveexec_b64 s[88:89], s[34:35]
	s_cbranch_execnz .LBB76_68
	s_branch .LBB76_69
.LBB76_87:                              ;   in Loop: Header=BB76_60 Depth=2
	global_load_ushort v3, v[0:1], off
	s_or_b64 exec, exec, s[88:89]
	s_and_saveexec_b64 s[88:89], s[20:21]
	s_cbranch_execz .LBB76_71
.LBB76_88:                              ;   in Loop: Header=BB76_60 Depth=2
	global_load_ushort v2, v[0:1], off offset:128
	s_or_b64 exec, exec, s[88:89]
	v_mov_b32_e32 v32, 0
	s_and_saveexec_b64 s[88:89], s[22:23]
	s_cbranch_execz .LBB76_72
.LBB76_89:                              ;   in Loop: Header=BB76_60 Depth=2
	global_load_ushort v32, v[0:1], off offset:256
	s_or_b64 exec, exec, s[88:89]
	s_and_saveexec_b64 s[88:89], s[24:25]
	s_cbranch_execz .LBB76_73
.LBB76_90:                              ;   in Loop: Header=BB76_60 Depth=2
	global_load_ushort v33, v[0:1], off offset:384
	s_waitcnt vmcnt(0)
	v_lshl_or_b32 v32, v33, 16, v32
	s_or_b64 exec, exec, s[88:89]
	v_mov_b32_e32 v33, 0
	s_and_saveexec_b64 s[88:89], s[26:27]
	s_cbranch_execz .LBB76_74
.LBB76_91:                              ;   in Loop: Header=BB76_60 Depth=2
	global_load_ushort v33, v[0:1], off offset:512
	s_or_b64 exec, exec, s[88:89]
	s_and_saveexec_b64 s[88:89], s[28:29]
	s_cbranch_execz .LBB76_75
.LBB76_92:                              ;   in Loop: Header=BB76_60 Depth=2
	global_load_ushort v35, v[0:1], off offset:640
	s_waitcnt vmcnt(0)
	v_lshl_or_b32 v33, v35, 16, v33
	s_or_b64 exec, exec, s[88:89]
	v_mov_b32_e32 v35, 0
	s_and_saveexec_b64 s[88:89], s[30:31]
	s_cbranch_execz .LBB76_76
.LBB76_93:                              ;   in Loop: Header=BB76_60 Depth=2
	global_load_ushort v35, v[0:1], off offset:768
	s_or_b64 exec, exec, s[88:89]
	s_and_saveexec_b64 s[88:89], s[34:35]
	s_cbranch_execnz .LBB76_77
	s_branch .LBB76_78
.LBB76_94:                              ;   in Loop: Header=BB76_60 Depth=2
                                        ; implicit-def: $vgpr33
.LBB76_95:                              ;   in Loop: Header=BB76_60 Depth=2
	s_andn2_b64 vcc, exec, s[68:69]
	s_waitcnt lgkmcnt(0)
	v_mov_b32_e32 v33, 0
	s_cbranch_vccnz .LBB76_97
; %bb.96:                               ;   in Loop: Header=BB76_60 Depth=2
	s_mov_b32 s87, s71
	s_lshl_b64 s[88:89], s[86:87], 1
	s_add_u32 s88, s57, s88
	s_addc_u32 s89, s61, s89
	global_load_ushort v32, v9, s[88:89]
	s_waitcnt vmcnt(0)
	v_cvt_f32_f16_e32 v33, v32
.LBB76_97:                              ;   in Loop: Header=BB76_60 Depth=2
	v_mov_b32_e32 v32, 1.0
.LBB76_98:                              ;   in Loop: Header=BB76_60 Depth=2
	v_mul_f32_e32 v65, 0x3fb8aa3b, v34
	s_waitcnt lgkmcnt(9)
	v_cvt_f32_f16_e32 v35, v4
	v_cvt_f32_f16_sdwa v36, v4 dst_sel:DWORD dst_unused:UNUSED_PAD src0_sel:WORD_1
	v_mul_f32_e32 v4, v65, v75
	v_cmp_gt_f32_e32 vcc, s98, v4
	v_cvt_f32_f16_e32 v39, v6
	v_cvt_f32_f16_sdwa v64, v6 dst_sel:DWORD dst_unused:UNUSED_PAD src0_sel:WORD_1
	v_cndmask_b32_e32 v4, 0, v73, vcc
	v_mul_f32_e32 v6, v65, v76
	v_cvt_f32_f16_e32 v37, v5
	v_cvt_f32_f16_sdwa v38, v5 dst_sel:DWORD dst_unused:UNUSED_PAD src0_sel:WORD_1
	v_fmac_f32_e32 v4, v65, v75
	v_cndmask_b32_e32 v5, 1.0, v74, vcc
	v_cmp_gt_f32_e32 vcc, s98, v6
	v_exp_f32_e32 v4, v4
	v_cvt_f32_f16_e32 v66, v7
	v_cndmask_b32_e32 v6, 0, v73, vcc
	v_fmac_f32_e32 v6, v65, v76
	v_exp_f32_e32 v6, v6
	v_cvt_f32_f16_sdwa v67, v7 dst_sel:DWORD dst_unused:UNUSED_PAD src0_sel:WORD_1
	v_mul_f32_e32 v5, v4, v5
	v_mul_f32_e32 v7, v65, v77
	v_cndmask_b32_e64 v90, 1.0, v5, s[36:37]
	v_cndmask_b32_e32 v5, 1.0, v74, vcc
	v_cmp_gt_f32_e32 vcc, s98, v7
	v_mul_f32_e32 v6, v6, v5
	v_mul_f32_e32 v34, v65, v78
	v_cndmask_b32_e32 v7, 0, v73, vcc
	v_fmac_f32_e32 v7, v65, v77
	v_cndmask_b32_e64 v91, 1.0, v6, s[38:39]
	v_cndmask_b32_e32 v6, 1.0, v74, vcc
	v_cmp_gt_f32_e32 vcc, s98, v34
	v_exp_f32_e32 v7, v7
	v_mul_f32_e32 v4, v89, v35
	v_cndmask_b32_e32 v34, 0, v73, vcc
	v_fmac_f32_e32 v34, v65, v78
	v_exp_f32_e32 v35, v34
	v_mul_f32_e32 v6, v7, v6
	v_cndmask_b32_e64 v92, 1.0, v6, s[40:41]
	v_cndmask_b32_e32 v6, 1.0, v74, vcc
	v_mul_f32_e32 v6, v35, v6
	v_mul_f32_e32 v35, v65, v79
	v_cmp_gt_f32_e32 vcc, s98, v35
	v_mul_f32_e32 v5, v88, v36
	v_mul_f32_e32 v7, v87, v37
	v_cndmask_b32_e32 v35, 0, v73, vcc
	v_fmac_f32_e32 v35, v65, v79
	v_exp_f32_e32 v36, v35
	v_cndmask_b32_e64 v34, 0, v7, s[40:41]
	v_mul_f32_e32 v7, v86, v38
	v_cndmask_b32_e64 v93, 1.0, v6, s[42:43]
	v_cndmask_b32_e32 v6, 1.0, v74, vcc
	v_cndmask_b32_e64 v35, 0, v7, s[42:43]
	v_mul_f32_e32 v7, v36, v6
	v_mul_f32_e32 v36, v65, v80
	v_cmp_gt_f32_e32 vcc, s98, v36
	v_mul_f32_e32 v37, v65, v81
	v_cndmask_b32_e64 v94, 1.0, v7, s[44:45]
	v_cndmask_b32_e32 v36, 0, v73, vcc
	v_fmac_f32_e32 v36, v65, v80
	v_exp_f32_e32 v36, v36
	v_cndmask_b32_e32 v7, 1.0, v74, vcc
	v_cmp_gt_f32_e32 vcc, s98, v37
	v_mul_f32_e32 v38, v65, v19
	v_mul_f32_e32 v36, v36, v7
	v_cndmask_b32_e32 v37, 0, v73, vcc
	v_mul_f32_e32 v7, v84, v64
	v_fmac_f32_e32 v37, v65, v81
	v_cndmask_b32_e64 v64, 1.0, v36, s[46:47]
	v_cndmask_b32_e32 v36, 1.0, v74, vcc
	v_cmp_gt_f32_e32 vcc, s98, v38
	v_exp_f32_e32 v37, v37
	v_cndmask_b32_e64 v4, 0, v4, s[36:37]
	v_cndmask_b32_e32 v38, 0, v73, vcc
	v_fmac_f32_e32 v38, v65, v19
	v_exp_f32_e32 v38, v38
	v_mul_f32_e32 v37, v37, v36
	v_cndmask_b32_e64 v65, 1.0, v37, s[48:49]
	v_cndmask_b32_e32 v37, 1.0, v74, vcc
	v_cndmask_b32_e64 v5, 0, v5, s[38:39]
	v_mul_f32_e32 v38, v38, v37
	v_mul_f32_e32 v6, v85, v39
	;; [unrolled: 1-line block ×3, first 2 shown]
	v_cndmask_b32_e64 v66, 1.0, v38, s[50:51]
	v_mul_f32_e32 v38, v91, v90
	v_fma_f32 v39, v91, v4, v5
	v_mul_f32_e32 v38, v38, v92
	v_fma_f32 v39, v39, v92, v34
	v_cndmask_b32_e64 v6, 0, v6, s[44:45]
	v_mul_f32_e32 v38, v38, v93
	v_fma_f32 v39, v39, v93, v35
	v_cndmask_b32_e64 v7, 0, v7, s[46:47]
	;; [unrolled: 3-line block ×3, first 2 shown]
	v_mul_f32_e32 v37, v82, v67
	v_mul_f32_e32 v38, v38, v64
	v_fma_f32 v39, v39, v64, v7
	v_cndmask_b32_e64 v37, 0, v37, s[50:51]
	v_mul_f32_e32 v38, v38, v65
	v_fma_f32 v39, v39, v65, v36
	v_mul_f32_e32 v38, v38, v66
	v_fma_f32 v69, v39, v66, v37
	s_nop 0
	v_mov_b32_dpp v68, v38 row_shr:1 row_mask:0xf bank_mask:0xf
	v_mov_b32_dpp v67, v69 row_shr:1 row_mask:0xf bank_mask:0xf
	s_and_saveexec_b64 s[88:89], s[0:1]
; %bb.99:                               ;   in Loop: Header=BB76_60 Depth=2
	v_mul_f32_e32 v68, v38, v68
	v_fmac_f32_e32 v69, v38, v67
	v_mov_b32_e32 v38, v68
; %bb.100:                              ;   in Loop: Header=BB76_60 Depth=2
	s_or_b64 exec, exec, s[88:89]
	s_nop 0
	v_mov_b32_dpp v67, v38 row_shr:2 row_mask:0xf bank_mask:0xf
	v_mov_b32_dpp v68, v69 row_shr:2 row_mask:0xf bank_mask:0xf
	s_and_saveexec_b64 s[88:89], s[2:3]
; %bb.101:                              ;   in Loop: Header=BB76_60 Depth=2
	v_fmac_f32_e32 v69, v38, v68
	v_mul_f32_e32 v38, v38, v67
; %bb.102:                              ;   in Loop: Header=BB76_60 Depth=2
	s_or_b64 exec, exec, s[88:89]
	s_nop 0
	v_mov_b32_dpp v67, v38 row_shr:4 row_mask:0xf bank_mask:0xf
	v_mov_b32_dpp v68, v69 row_shr:4 row_mask:0xf bank_mask:0xf
	s_and_saveexec_b64 s[88:89], s[4:5]
; %bb.103:                              ;   in Loop: Header=BB76_60 Depth=2
	v_fmac_f32_e32 v69, v38, v68
	v_mul_f32_e32 v38, v38, v67
	;; [unrolled: 9-line block ×3, first 2 shown]
; %bb.106:                              ;   in Loop: Header=BB76_60 Depth=2
	s_or_b64 exec, exec, s[88:89]
	s_nop 0
	v_mov_b32_dpp v67, v38 row_bcast:15 row_mask:0xf bank_mask:0xf
	v_mov_b32_dpp v68, v69 row_bcast:15 row_mask:0xf bank_mask:0xf
	s_and_saveexec_b64 s[88:89], s[8:9]
; %bb.107:                              ;   in Loop: Header=BB76_60 Depth=2
	v_fmac_f32_e32 v69, v38, v68
	v_mul_f32_e32 v38, v38, v67
; %bb.108:                              ;   in Loop: Header=BB76_60 Depth=2
	s_or_b64 exec, exec, s[88:89]
	s_nop 0
	v_mov_b32_dpp v67, v38 row_bcast:31 row_mask:0xf bank_mask:0xf
	v_mov_b32_dpp v68, v69 row_bcast:31 row_mask:0xf bank_mask:0xf
	v_mov_b32_e32 v39, v69
	v_mul_f32_e32 v67, v38, v67
	v_fmac_f32_e32 v39, v38, v68
	v_cndmask_b32_e64 v38, v38, v67, s[10:11]
	v_cndmask_b32_e64 v39, v69, v39, s[10:11]
	s_and_saveexec_b64 s[88:89], s[12:13]
	s_cbranch_execz .LBB76_110
; %bb.109:                              ;   in Loop: Header=BB76_60 Depth=2
	ds_write_b64 v9, v[38:39] offset:2112
.LBB76_110:                             ;   in Loop: Header=BB76_60 Depth=2
	s_or_b64 exec, exec, s[88:89]
	ds_bpermute_b32 v67, v63, v38
	ds_bpermute_b32 v68, v63, v39
	s_waitcnt lgkmcnt(2)
	v_mov_b32_e32 v39, v33
	s_waitcnt lgkmcnt(0)
	; wave barrier
	s_waitcnt lgkmcnt(0)
	s_and_saveexec_b64 s[88:89], s[14:15]
	s_cbranch_execz .LBB76_114
; %bb.111:                              ;   in Loop: Header=BB76_60 Depth=2
	ds_read_b64 v[38:39], v9 offset:2112
	s_and_saveexec_b64 s[90:91], s[16:17]
	s_cbranch_execz .LBB76_113
; %bb.112:                              ;   in Loop: Header=BB76_60 Depth=2
	ds_write_b64 v9, v[32:33] offset:2112
.LBB76_113:                             ;   in Loop: Header=BB76_60 Depth=2
	s_or_b64 exec, exec, s[90:91]
	s_waitcnt lgkmcnt(0)
	v_fmac_f32_e32 v39, v33, v38
	v_mul_f32_e32 v32, v32, v38
	v_mov_b32_e32 v33, v39
.LBB76_114:                             ;   in Loop: Header=BB76_60 Depth=2
	s_or_b64 exec, exec, s[88:89]
	s_waitcnt lgkmcnt(0)
	; wave barrier
	ds_read_b32 v38, v9 offset:2116
	s_and_saveexec_b64 s[88:89], s[16:17]
	s_cbranch_execz .LBB76_59
; %bb.115:                              ;   in Loop: Header=BB76_60 Depth=2
	v_mov_b32_e32 v69, s99
	s_andn2_b64 vcc, exec, s[80:81]
	ds_write_b64 v69, v[32:33]
	s_cbranch_vccnz .LBB76_59
; %bb.116:                              ;   in Loop: Header=BB76_60 Depth=2
	s_mov_b32 s87, s71
	v_cvt_f16_f32_e32 v32, v39
	s_lshl_b64 s[90:91], s[86:87], 1
	s_add_u32 s90, s57, s90
	s_addc_u32 s91, s61, s91
	global_store_short v9, v32, s[90:91]
	s_branch .LBB76_59
.LBB76_117:                             ;   in Loop: Header=BB76_11 Depth=1
	s_mov_b32 s40, 0x41a00000
	s_mov_b32 s41, 0x3fb8aa3b
	s_mov_b32 s42, 0xc2ce8ed0
	s_mov_b32 s43, 0x42b17218
	s_mov_b32 s44, 0x7f800000
	s_mov_b32 s45, 0x3f2aaaab
	s_mov_b32 s46, 0x3f317218
	s_mov_b32 s47, 0x33800000
.LBB76_118:                             ;   in Loop: Header=BB76_11 Depth=1
	v_cvt_f16_f32_e32 v0, v24
	v_cvt_f16_f32_e32 v1, v26
	;; [unrolled: 1-line block ×8, first 2 shown]
	v_pack_b32_f16 v3, v3, v4
	v_pack_b32_f16 v2, v2, v5
	;; [unrolled: 1-line block ×4, first 2 shown]
	s_waitcnt lgkmcnt(0)
	; wave barrier
	ds_write_b128 v55, v[0:3]
	; wave barrier
	ds_read_u16 v19, v48 offset:128
	ds_read_u16 v7, v49 offset:256
	;; [unrolled: 1-line block ×7, first 2 shown]
	s_mov_b32 s67, s71
	v_lshl_add_u64 v[0:1], s[66:67], 1, v[12:13]
	s_and_saveexec_b64 s[36:37], s[18:19]
	s_cbranch_execnz .LBB76_153
; %bb.119:                              ;   in Loop: Header=BB76_11 Depth=1
	s_or_b64 exec, exec, s[36:37]
	s_and_saveexec_b64 s[36:37], s[20:21]
	s_cbranch_execnz .LBB76_154
.LBB76_120:                             ;   in Loop: Header=BB76_11 Depth=1
	s_or_b64 exec, exec, s[36:37]
	s_and_saveexec_b64 s[36:37], s[22:23]
	s_cbranch_execnz .LBB76_155
.LBB76_121:                             ;   in Loop: Header=BB76_11 Depth=1
	s_or_b64 exec, exec, s[36:37]
	s_and_saveexec_b64 s[36:37], s[24:25]
	s_cbranch_execnz .LBB76_156
.LBB76_122:                             ;   in Loop: Header=BB76_11 Depth=1
	s_or_b64 exec, exec, s[36:37]
	s_and_saveexec_b64 s[36:37], s[26:27]
	s_cbranch_execnz .LBB76_157
.LBB76_123:                             ;   in Loop: Header=BB76_11 Depth=1
	s_or_b64 exec, exec, s[36:37]
	s_and_saveexec_b64 s[36:37], s[28:29]
	s_cbranch_execnz .LBB76_158
.LBB76_124:                             ;   in Loop: Header=BB76_11 Depth=1
	s_or_b64 exec, exec, s[36:37]
	s_and_saveexec_b64 s[36:37], s[30:31]
	s_cbranch_execnz .LBB76_159
.LBB76_125:                             ;   in Loop: Header=BB76_11 Depth=1
	s_or_b64 exec, exec, s[36:37]
	s_and_saveexec_b64 s[36:37], s[34:35]
	s_cbranch_execz .LBB76_127
.LBB76_126:                             ;   in Loop: Header=BB76_11 Depth=1
	s_waitcnt lgkmcnt(0)
	global_store_short v[0:1], v2, off offset:896
.LBB76_127:                             ;   in Loop: Header=BB76_11 Depth=1
	s_or_b64 exec, exec, s[36:37]
	v_lshl_add_u64 v[0:1], s[66:67], 1, v[14:15]
	s_waitcnt lgkmcnt(0)
	v_mov_b32_e32 v2, 0
	v_mov_b32_e32 v3, 0
	s_waitcnt lgkmcnt(0)
	; wave barrier
	s_and_saveexec_b64 s[36:37], s[18:19]
	s_cbranch_execz .LBB76_129
; %bb.128:                              ;   in Loop: Header=BB76_11 Depth=1
	global_load_ushort v3, v[0:1], off
.LBB76_129:                             ;   in Loop: Header=BB76_11 Depth=1
	s_or_b64 exec, exec, s[36:37]
	s_and_saveexec_b64 s[36:37], s[20:21]
	s_cbranch_execz .LBB76_131
; %bb.130:                              ;   in Loop: Header=BB76_11 Depth=1
	global_load_ushort v2, v[0:1], off offset:128
.LBB76_131:                             ;   in Loop: Header=BB76_11 Depth=1
	s_or_b64 exec, exec, s[36:37]
	v_mov_b32_e32 v4, 0
	v_mov_b32_e32 v5, 0
	s_and_saveexec_b64 s[36:37], s[22:23]
	s_cbranch_execz .LBB76_133
; %bb.132:                              ;   in Loop: Header=BB76_11 Depth=1
	global_load_ushort v5, v[0:1], off offset:256
.LBB76_133:                             ;   in Loop: Header=BB76_11 Depth=1
	s_or_b64 exec, exec, s[36:37]
	s_and_saveexec_b64 s[36:37], s[24:25]
	s_cbranch_execz .LBB76_135
; %bb.134:                              ;   in Loop: Header=BB76_11 Depth=1
	global_load_ushort v4, v[0:1], off offset:384
.LBB76_135:                             ;   in Loop: Header=BB76_11 Depth=1
	s_or_b64 exec, exec, s[36:37]
	v_mov_b32_e32 v6, 0
	v_mov_b32_e32 v7, 0
	s_and_saveexec_b64 s[36:37], s[26:27]
	s_cbranch_execz .LBB76_137
; %bb.136:                              ;   in Loop: Header=BB76_11 Depth=1
	global_load_ushort v7, v[0:1], off offset:512
.LBB76_137:                             ;   in Loop: Header=BB76_11 Depth=1
	;; [unrolled: 14-line block ×3, first 2 shown]
	s_or_b64 exec, exec, s[36:37]
	s_and_saveexec_b64 s[36:37], s[34:35]
	s_cbranch_execz .LBB76_143
; %bb.142:                              ;   in Loop: Header=BB76_11 Depth=1
	global_load_ushort v19, v[0:1], off offset:896
.LBB76_143:                             ;   in Loop: Header=BB76_11 Depth=1
	s_or_b64 exec, exec, s[36:37]
	s_waitcnt vmcnt(0)
	ds_write_b16 v47, v3
	ds_write_b16 v48, v2 offset:128
	ds_write_b16 v49, v5 offset:256
	;; [unrolled: 1-line block ×7, first 2 shown]
	; wave barrier
	ds_read_b128 v[0:3], v55
	s_waitcnt lgkmcnt(0)
	; wave barrier
	s_waitcnt lgkmcnt(0)
	v_cvt_f32_f16_e32 v6, v0
	v_cvt_f32_f16_e32 v28, v1
	v_cvt_f32_f16_sdwa v19, v1 dst_sel:DWORD dst_unused:UNUSED_PAD src0_sel:WORD_1
	v_mul_f32_e32 v4, 0xbfb8aa3b, v6
	v_rndne_f32_e32 v5, v4
	v_sub_f32_e32 v7, v4, v5
	v_fma_mix_f32 v4, v0, s74, -v4 op_sel_hi:[1,0,0]
	v_cvt_i32_f32_e32 v5, v5
	v_fma_mix_f32 v4, v0, s75, v4 op_sel_hi:[1,0,0]
	v_cmp_nlt_f32_e32 vcc, s97, v6
	v_add_f32_e32 v4, v7, v4
	v_exp_f32_e32 v4, v4
	v_cvt_f32_f16_sdwa v7, v0 dst_sel:DWORD dst_unused:UNUSED_PAD src0_sel:WORD_1
	v_ldexp_f32 v4, v4, v5
	v_mul_f32_e32 v5, 0xbfb8aa3b, v7
	v_rndne_f32_e32 v29, v5
	v_sub_f32_e32 v30, v5, v29
	v_fma_mix_f32 v5, v0, s74, -v5 op_sel:[1,0,0] op_sel_hi:[1,0,0]
	v_cndmask_b32_e32 v4, 0, v4, vcc
	v_fma_mix_f32 v0, v0, s75, v5 op_sel:[1,0,0] op_sel_hi:[1,0,0]
	v_cvt_i32_f32_e32 v5, v29
	v_add_f32_e32 v0, v30, v0
	v_exp_f32_e32 v0, v0
	v_cmp_ngt_f32_e32 vcc, s93, v6
	v_ldexp_f32 v0, v0, v5
	v_mul_f32_e32 v5, 0xbfb8aa3b, v28
	v_rndne_f32_e32 v29, v5
	v_sub_f32_e32 v30, v5, v29
	v_fma_mix_f32 v5, v1, s74, -v5 op_sel_hi:[1,0,0]
	v_cvt_i32_f32_e32 v29, v29
	v_fma_mix_f32 v5, v1, s75, v5 op_sel_hi:[1,0,0]
	v_cndmask_b32_e32 v4, v72, v4, vcc
	v_add_f32_e32 v5, v30, v5
	v_exp_f32_e32 v30, v5
	v_cmp_nlt_f32_e32 vcc, s97, v7
	s_nop 1
	v_cndmask_b32_e32 v0, 0, v0, vcc
	v_cmp_ngt_f32_e32 vcc, s93, v7
	s_nop 1
	v_cndmask_b32_e32 v5, v72, v0, vcc
	v_ldexp_f32 v0, v30, v29
	v_mul_f32_e32 v29, 0xbfb8aa3b, v19
	v_rndne_f32_e32 v30, v29
	v_sub_f32_e32 v31, v29, v30
	v_fma_mix_f32 v29, v1, s74, -v29 op_sel:[1,0,0] op_sel_hi:[1,0,0]
	v_pk_add_f32 v[4:5], v[4:5], 1.0 op_sel_hi:[1,0]
	v_fma_mix_f32 v1, v1, s75, v29 op_sel:[1,0,0] op_sel_hi:[1,0,0]
	v_cvt_i32_f32_e32 v29, v30
	v_add_f32_e32 v1, v31, v1
	v_exp_f32_e32 v1, v1
	v_cmp_nlt_f32_e32 vcc, s97, v28
	v_ldexp_f32 v1, v1, v29
	v_div_scale_f32 v29, s[36:37], v5, v5, v7
	v_rcp_f32_e32 v30, v29
	v_cndmask_b32_e32 v0, 0, v0, vcc
	v_cmp_ngt_f32_e32 vcc, s93, v28
	v_fma_f32 v31, -v29, v30, 1.0
	s_nop 0
	v_cndmask_b32_e32 v0, v72, v0, vcc
	v_cmp_nlt_f32_e32 vcc, s97, v19
	v_fmac_f32_e32 v30, v31, v30
	s_nop 0
	v_cndmask_b32_e32 v1, 0, v1, vcc
	v_cmp_ngt_f32_e32 vcc, s93, v19
	s_nop 1
	v_cndmask_b32_e32 v1, v72, v1, vcc
	v_div_scale_f32 v31, vcc, v7, v5, v7
	v_mul_f32_e32 v32, v31, v30
	v_fma_f32 v33, -v29, v32, v31
	v_fmac_f32_e32 v32, v33, v30
	v_fma_f32 v29, -v29, v32, v31
	v_div_scale_f32 v31, s[36:37], v4, v4, v6
	v_rcp_f32_e32 v33, v31
	v_div_fmas_f32 v29, v29, v30, v32
	v_div_fixup_f32 v5, v29, v5, v7
	v_pk_add_f32 v[0:1], v[0:1], 1.0 op_sel_hi:[1,0]
	v_fma_f32 v7, -v31, v33, 1.0
	v_fmac_f32_e32 v33, v7, v33
	v_div_scale_f32 v7, vcc, v6, v4, v6
	v_mul_f32_e32 v29, v7, v33
	v_fma_f32 v30, -v31, v29, v7
	v_fmac_f32_e32 v29, v30, v33
	v_div_scale_f32 v30, s[36:37], v1, v1, v19
	v_fma_f32 v7, -v31, v29, v7
	v_rcp_f32_e32 v31, v30
	v_div_fmas_f32 v7, v7, v33, v29
	v_div_fixup_f32 v4, v7, v4, v6
	v_pk_mul_f32 v[4:5], v[24:25], v[4:5]
	v_fma_f32 v6, -v30, v31, 1.0
	v_fmac_f32_e32 v31, v6, v31
	v_div_scale_f32 v6, vcc, v19, v1, v19
	v_mul_f32_e32 v7, v6, v31
	v_fma_f32 v29, -v30, v7, v6
	v_fmac_f32_e32 v7, v29, v31
	v_div_scale_f32 v29, s[36:37], v0, v0, v28
	v_fma_f32 v6, -v30, v7, v6
	v_rcp_f32_e32 v30, v29
	v_div_fmas_f32 v6, v6, v31, v7
	v_div_fixup_f32 v1, v6, v1, v19
	v_cvt_f32_f16_sdwa v25, v3 dst_sel:DWORD dst_unused:UNUSED_PAD src0_sel:WORD_1
	v_fma_f32 v6, -v29, v30, 1.0
	v_fmac_f32_e32 v30, v6, v30
	v_div_scale_f32 v6, vcc, v28, v0, v28
	v_mul_f32_e32 v7, v6, v30
	v_fma_f32 v19, -v29, v7, v6
	v_fmac_f32_e32 v7, v19, v30
	v_fma_f32 v6, -v29, v7, v6
	v_div_fmas_f32 v6, v6, v30, v7
	v_div_fixup_f32 v0, v6, v0, v28
	v_cvt_f32_f16_e32 v6, v2
	v_pk_mul_f32 v[0:1], v[26:27], v[0:1]
	v_cvt_f32_f16_e32 v26, v3
	v_cvt_f16_f32_e32 v19, v0
	v_mul_f32_e32 v0, 0xbfb8aa3b, v6
	v_cvt_f16_f32_e32 v7, v1
	v_rndne_f32_e32 v1, v0
	v_sub_f32_e32 v24, v0, v1
	v_fma_mix_f32 v0, v2, s74, -v0 op_sel_hi:[1,0,0]
	v_cvt_i32_f32_e32 v1, v1
	v_fma_mix_f32 v0, v2, s75, v0 op_sel_hi:[1,0,0]
	v_cmp_nlt_f32_e32 vcc, s97, v6
	v_add_f32_e32 v0, v24, v0
	v_exp_f32_e32 v0, v0
	v_cvt_f32_f16_sdwa v24, v2 dst_sel:DWORD dst_unused:UNUSED_PAD src0_sel:WORD_1
	v_cvt_f16_f32_e32 v5, v5
	v_cvt_f16_f32_e32 v4, v4
	v_ldexp_f32 v0, v0, v1
	v_mul_f32_e32 v1, 0xbfb8aa3b, v24
	v_rndne_f32_e32 v27, v1
	v_sub_f32_e32 v28, v1, v27
	v_fma_mix_f32 v1, v2, s74, -v1 op_sel:[1,0,0] op_sel_hi:[1,0,0]
	v_cndmask_b32_e32 v0, 0, v0, vcc
	v_fma_mix_f32 v1, v2, s75, v1 op_sel:[1,0,0] op_sel_hi:[1,0,0]
	v_cvt_i32_f32_e32 v2, v27
	v_add_f32_e32 v1, v28, v1
	v_exp_f32_e32 v1, v1
	v_cmp_ngt_f32_e32 vcc, s93, v6
	v_ldexp_f32 v1, v1, v2
	v_mul_f32_e32 v2, 0xbfb8aa3b, v26
	v_rndne_f32_e32 v27, v2
	v_sub_f32_e32 v28, v2, v27
	v_fma_mix_f32 v2, v3, s74, -v2 op_sel_hi:[1,0,0]
	v_cvt_i32_f32_e32 v27, v27
	v_fma_mix_f32 v2, v3, s75, v2 op_sel_hi:[1,0,0]
	v_cndmask_b32_e32 v0, v72, v0, vcc
	v_add_f32_e32 v2, v28, v2
	v_exp_f32_e32 v2, v2
	v_cmp_nlt_f32_e32 vcc, s97, v24
	v_ldexp_f32 v2, v2, v27
	v_mul_f32_e32 v27, 0xbfb8aa3b, v25
	v_rndne_f32_e32 v28, v27
	v_sub_f32_e32 v29, v27, v28
	v_fma_mix_f32 v27, v3, s74, -v27 op_sel:[1,0,0] op_sel_hi:[1,0,0]
	v_cndmask_b32_e32 v1, 0, v1, vcc
	v_fma_mix_f32 v3, v3, s75, v27 op_sel:[1,0,0] op_sel_hi:[1,0,0]
	v_cvt_i32_f32_e32 v27, v28
	v_add_f32_e32 v3, v29, v3
	v_exp_f32_e32 v3, v3
	v_cmp_ngt_f32_e32 vcc, s93, v24
	v_ldexp_f32 v3, v3, v27
	s_nop 0
	v_cndmask_b32_e32 v1, v72, v1, vcc
	v_pk_add_f32 v[0:1], v[0:1], 1.0 op_sel_hi:[1,0]
	v_cmp_nlt_f32_e32 vcc, s97, v26
	v_div_scale_f32 v27, s[36:37], v1, v1, v24
	v_rcp_f32_e32 v28, v27
	v_cndmask_b32_e32 v2, 0, v2, vcc
	v_cmp_ngt_f32_e32 vcc, s93, v26
	v_fma_f32 v29, -v27, v28, 1.0
	s_nop 0
	v_cndmask_b32_e32 v2, v72, v2, vcc
	v_cmp_nlt_f32_e32 vcc, s97, v25
	v_fmac_f32_e32 v28, v29, v28
	s_nop 0
	v_cndmask_b32_e32 v3, 0, v3, vcc
	v_cmp_ngt_f32_e32 vcc, s93, v25
	s_nop 1
	v_cndmask_b32_e32 v3, v72, v3, vcc
	v_div_scale_f32 v29, vcc, v24, v1, v24
	v_mul_f32_e32 v30, v29, v28
	v_fma_f32 v31, -v27, v30, v29
	v_fmac_f32_e32 v30, v31, v28
	v_fma_f32 v27, -v27, v30, v29
	v_div_scale_f32 v29, s[36:37], v0, v0, v6
	v_rcp_f32_e32 v31, v29
	v_div_fmas_f32 v27, v27, v28, v30
	v_div_fixup_f32 v1, v27, v1, v24
	v_pk_add_f32 v[2:3], v[2:3], 1.0 op_sel_hi:[1,0]
	v_fma_f32 v24, -v29, v31, 1.0
	v_fmac_f32_e32 v31, v24, v31
	v_div_scale_f32 v24, vcc, v6, v0, v6
	v_mul_f32_e32 v27, v24, v31
	v_fma_f32 v28, -v29, v27, v24
	v_fmac_f32_e32 v27, v28, v31
	v_div_scale_f32 v28, s[36:37], v3, v3, v25
	v_fma_f32 v24, -v29, v27, v24
	v_rcp_f32_e32 v29, v28
	v_div_fmas_f32 v24, v24, v31, v27
	v_div_fixup_f32 v0, v24, v0, v6
	v_pk_mul_f32 v[0:1], v[20:21], v[0:1]
	v_fma_f32 v6, -v28, v29, 1.0
	v_fmac_f32_e32 v29, v6, v29
	v_div_scale_f32 v6, vcc, v25, v3, v25
	v_mul_f32_e32 v24, v6, v29
	v_fma_f32 v27, -v28, v24, v6
	v_fmac_f32_e32 v24, v27, v29
	v_div_scale_f32 v27, s[36:37], v2, v2, v26
	v_fma_f32 v6, -v28, v24, v6
	v_rcp_f32_e32 v28, v27
	v_div_fmas_f32 v6, v6, v29, v24
	v_div_fixup_f32 v3, v6, v3, v25
	v_cvt_f16_f32_e32 v1, v1
	v_fma_f32 v6, -v27, v28, 1.0
	v_fmac_f32_e32 v28, v6, v28
	v_div_scale_f32 v6, vcc, v26, v2, v26
	v_mul_f32_e32 v24, v6, v28
	v_fma_f32 v25, -v27, v24, v6
	v_fmac_f32_e32 v24, v25, v28
	v_fma_f32 v6, -v27, v24, v6
	v_div_fmas_f32 v6, v6, v28, v24
	v_div_fixup_f32 v2, v6, v2, v26
	v_pk_mul_f32 v[2:3], v[22:23], v[2:3]
	v_cvt_f16_f32_e32 v0, v0
	v_cvt_f16_f32_e32 v3, v3
	;; [unrolled: 1-line block ×3, first 2 shown]
	v_pack_b32_f16 v3, v2, v3
	v_pack_b32_f16 v2, v0, v1
	;; [unrolled: 1-line block ×4, first 2 shown]
	ds_write_b128 v55, v[0:3]
	; wave barrier
	ds_read_u16 v19, v48 offset:128
	ds_read_u16 v7, v49 offset:256
	;; [unrolled: 1-line block ×7, first 2 shown]
	v_lshl_add_u64 v[0:1], s[66:67], 1, v[16:17]
	s_and_saveexec_b64 s[36:37], s[18:19]
	s_cbranch_execnz .LBB76_160
; %bb.144:                              ;   in Loop: Header=BB76_11 Depth=1
	s_or_b64 exec, exec, s[36:37]
	s_and_saveexec_b64 s[18:19], s[20:21]
	s_cbranch_execnz .LBB76_161
.LBB76_145:                             ;   in Loop: Header=BB76_11 Depth=1
	s_or_b64 exec, exec, s[18:19]
	s_and_saveexec_b64 s[18:19], s[22:23]
	s_cbranch_execnz .LBB76_162
.LBB76_146:                             ;   in Loop: Header=BB76_11 Depth=1
	s_or_b64 exec, exec, s[18:19]
	s_and_saveexec_b64 s[18:19], s[24:25]
	s_cbranch_execnz .LBB76_163
.LBB76_147:                             ;   in Loop: Header=BB76_11 Depth=1
	s_or_b64 exec, exec, s[18:19]
	s_and_saveexec_b64 s[18:19], s[26:27]
	s_cbranch_execnz .LBB76_164
.LBB76_148:                             ;   in Loop: Header=BB76_11 Depth=1
	s_or_b64 exec, exec, s[18:19]
	s_and_saveexec_b64 s[18:19], s[28:29]
	s_cbranch_execnz .LBB76_165
.LBB76_149:                             ;   in Loop: Header=BB76_11 Depth=1
	s_or_b64 exec, exec, s[18:19]
	s_and_saveexec_b64 s[18:19], s[30:31]
	s_cbranch_execnz .LBB76_166
.LBB76_150:                             ;   in Loop: Header=BB76_11 Depth=1
	s_or_b64 exec, exec, s[18:19]
	s_and_saveexec_b64 s[18:19], s[34:35]
	s_cbranch_execz .LBB76_10
	s_branch .LBB76_167
.LBB76_151:                             ;   in Loop: Header=BB76_11 Depth=1
	global_load_ushort v23, v[4:5], off offset:640
	s_or_b64 exec, exec, s[36:37]
	s_and_saveexec_b64 s[36:37], s[30:31]
	s_cbranch_execz .LBB76_39
.LBB76_152:                             ;   in Loop: Header=BB76_11 Depth=1
	global_load_ushort v22, v[4:5], off offset:768
	s_or_b64 exec, exec, s[36:37]
	v_mov_b32_e32 v24, 0
	s_and_saveexec_b64 s[36:37], s[34:35]
	s_cbranch_execnz .LBB76_40
	s_branch .LBB76_41
.LBB76_153:                             ;   in Loop: Header=BB76_11 Depth=1
	ds_read_u16 v28, v47
	s_waitcnt lgkmcnt(0)
	global_store_short v[0:1], v28, off
	s_or_b64 exec, exec, s[36:37]
	s_and_saveexec_b64 s[36:37], s[20:21]
	s_cbranch_execz .LBB76_120
.LBB76_154:                             ;   in Loop: Header=BB76_11 Depth=1
	s_waitcnt lgkmcnt(6)
	global_store_short v[0:1], v19, off offset:128
	s_or_b64 exec, exec, s[36:37]
	s_and_saveexec_b64 s[36:37], s[22:23]
	s_cbranch_execz .LBB76_121
.LBB76_155:                             ;   in Loop: Header=BB76_11 Depth=1
	s_waitcnt lgkmcnt(5)
	global_store_short v[0:1], v7, off offset:256
	s_or_b64 exec, exec, s[36:37]
	s_and_saveexec_b64 s[36:37], s[24:25]
	s_cbranch_execz .LBB76_122
.LBB76_156:                             ;   in Loop: Header=BB76_11 Depth=1
	s_waitcnt lgkmcnt(4)
	global_store_short v[0:1], v6, off offset:384
	s_or_b64 exec, exec, s[36:37]
	s_and_saveexec_b64 s[36:37], s[26:27]
	s_cbranch_execz .LBB76_123
.LBB76_157:                             ;   in Loop: Header=BB76_11 Depth=1
	s_waitcnt lgkmcnt(3)
	global_store_short v[0:1], v5, off offset:512
	s_or_b64 exec, exec, s[36:37]
	s_and_saveexec_b64 s[36:37], s[28:29]
	s_cbranch_execz .LBB76_124
.LBB76_158:                             ;   in Loop: Header=BB76_11 Depth=1
	s_waitcnt lgkmcnt(2)
	global_store_short v[0:1], v4, off offset:640
	s_or_b64 exec, exec, s[36:37]
	s_and_saveexec_b64 s[36:37], s[30:31]
	s_cbranch_execz .LBB76_125
.LBB76_159:                             ;   in Loop: Header=BB76_11 Depth=1
	s_waitcnt lgkmcnt(1)
	global_store_short v[0:1], v3, off offset:768
	s_or_b64 exec, exec, s[36:37]
	s_and_saveexec_b64 s[36:37], s[34:35]
	s_cbranch_execnz .LBB76_126
	s_branch .LBB76_127
.LBB76_160:                             ;   in Loop: Header=BB76_11 Depth=1
	ds_read_u16 v20, v47
	s_waitcnt lgkmcnt(0)
	global_store_short v[0:1], v20, off
	s_or_b64 exec, exec, s[36:37]
	s_and_saveexec_b64 s[18:19], s[20:21]
	s_cbranch_execz .LBB76_145
.LBB76_161:                             ;   in Loop: Header=BB76_11 Depth=1
	s_waitcnt lgkmcnt(6)
	global_store_short v[0:1], v19, off offset:128
	s_or_b64 exec, exec, s[18:19]
	s_and_saveexec_b64 s[18:19], s[22:23]
	s_cbranch_execz .LBB76_146
.LBB76_162:                             ;   in Loop: Header=BB76_11 Depth=1
	s_waitcnt lgkmcnt(5)
	global_store_short v[0:1], v7, off offset:256
	s_or_b64 exec, exec, s[18:19]
	s_and_saveexec_b64 s[18:19], s[24:25]
	s_cbranch_execz .LBB76_147
.LBB76_163:                             ;   in Loop: Header=BB76_11 Depth=1
	s_waitcnt lgkmcnt(4)
	global_store_short v[0:1], v6, off offset:384
	s_or_b64 exec, exec, s[18:19]
	s_and_saveexec_b64 s[18:19], s[26:27]
	s_cbranch_execz .LBB76_148
.LBB76_164:                             ;   in Loop: Header=BB76_11 Depth=1
	s_waitcnt lgkmcnt(3)
	global_store_short v[0:1], v5, off offset:512
	s_or_b64 exec, exec, s[18:19]
	s_and_saveexec_b64 s[18:19], s[28:29]
	s_cbranch_execz .LBB76_149
.LBB76_165:                             ;   in Loop: Header=BB76_11 Depth=1
	s_waitcnt lgkmcnt(2)
	global_store_short v[0:1], v4, off offset:640
	s_or_b64 exec, exec, s[18:19]
	s_and_saveexec_b64 s[18:19], s[30:31]
	s_cbranch_execz .LBB76_150
.LBB76_166:                             ;   in Loop: Header=BB76_11 Depth=1
	s_waitcnt lgkmcnt(1)
	global_store_short v[0:1], v3, off offset:768
	s_or_b64 exec, exec, s[18:19]
	s_and_saveexec_b64 s[18:19], s[34:35]
	s_cbranch_execz .LBB76_10
.LBB76_167:                             ;   in Loop: Header=BB76_11 Depth=1
	s_waitcnt lgkmcnt(0)
	global_store_short v[0:1], v2, off offset:896
	s_branch .LBB76_10
.LBB76_168:
	s_endpgm
.LBB76_169:
	s_mov_b64 s[68:69], 0
	s_load_dwordx2 s[6:7], s[0:1], 0x20
	s_cmp_eq_u64 s[4:5], 0
	s_cbranch_scc0 .LBB76_2
	s_branch .LBB76_3
	.section	.rodata,"a",@progbits
	.p2align	6, 0x0
	.amdhsa_kernel _Z25selective_scan_fwd_kernelI32Selective_Scan_fwd_kernel_traitsILi64ELi8ELi1ELb0ELb1ELb1ELb1ELb1EN3c104HalfEfS2_EEv13SSMParamsBase
		.amdhsa_group_segment_fixed_size 0
		.amdhsa_private_segment_fixed_size 0
		.amdhsa_kernarg_size 248
		.amdhsa_user_sgpr_count 2
		.amdhsa_user_sgpr_dispatch_ptr 0
		.amdhsa_user_sgpr_queue_ptr 0
		.amdhsa_user_sgpr_kernarg_segment_ptr 1
		.amdhsa_user_sgpr_dispatch_id 0
		.amdhsa_user_sgpr_kernarg_preload_length 0
		.amdhsa_user_sgpr_kernarg_preload_offset 0
		.amdhsa_user_sgpr_private_segment_size 0
		.amdhsa_uses_dynamic_stack 0
		.amdhsa_enable_private_segment 0
		.amdhsa_system_sgpr_workgroup_id_x 1
		.amdhsa_system_sgpr_workgroup_id_y 1
		.amdhsa_system_sgpr_workgroup_id_z 0
		.amdhsa_system_sgpr_workgroup_info 0
		.amdhsa_system_vgpr_workitem_id 0
		.amdhsa_next_free_vgpr 96
		.amdhsa_next_free_sgpr 100
		.amdhsa_accum_offset 96
		.amdhsa_reserve_vcc 1
		.amdhsa_float_round_mode_32 0
		.amdhsa_float_round_mode_16_64 0
		.amdhsa_float_denorm_mode_32 3
		.amdhsa_float_denorm_mode_16_64 3
		.amdhsa_dx10_clamp 1
		.amdhsa_ieee_mode 1
		.amdhsa_fp16_overflow 0
		.amdhsa_tg_split 0
		.amdhsa_exception_fp_ieee_invalid_op 0
		.amdhsa_exception_fp_denorm_src 0
		.amdhsa_exception_fp_ieee_div_zero 0
		.amdhsa_exception_fp_ieee_overflow 0
		.amdhsa_exception_fp_ieee_underflow 0
		.amdhsa_exception_fp_ieee_inexact 0
		.amdhsa_exception_int_div_zero 0
	.end_amdhsa_kernel
	.section	.text._Z25selective_scan_fwd_kernelI32Selective_Scan_fwd_kernel_traitsILi64ELi8ELi1ELb0ELb1ELb1ELb1ELb1EN3c104HalfEfS2_EEv13SSMParamsBase,"axG",@progbits,_Z25selective_scan_fwd_kernelI32Selective_Scan_fwd_kernel_traitsILi64ELi8ELi1ELb0ELb1ELb1ELb1ELb1EN3c104HalfEfS2_EEv13SSMParamsBase,comdat
.Lfunc_end76:
	.size	_Z25selective_scan_fwd_kernelI32Selective_Scan_fwd_kernel_traitsILi64ELi8ELi1ELb0ELb1ELb1ELb1ELb1EN3c104HalfEfS2_EEv13SSMParamsBase, .Lfunc_end76-_Z25selective_scan_fwd_kernelI32Selective_Scan_fwd_kernel_traitsILi64ELi8ELi1ELb0ELb1ELb1ELb1ELb1EN3c104HalfEfS2_EEv13SSMParamsBase
                                        ; -- End function
	.section	.AMDGPU.csdata,"",@progbits
; Kernel info:
; codeLenInByte = 12628
; NumSgprs: 106
; NumVgprs: 96
; NumAgprs: 0
; TotalNumVgprs: 96
; ScratchSize: 0
; MemoryBound: 0
; FloatMode: 240
; IeeeMode: 1
; LDSByteSize: 0 bytes/workgroup (compile time only)
; SGPRBlocks: 13
; VGPRBlocks: 11
; NumSGPRsForWavesPerEU: 106
; NumVGPRsForWavesPerEU: 96
; AccumOffset: 96
; Occupancy: 5
; WaveLimiterHint : 1
; COMPUTE_PGM_RSRC2:SCRATCH_EN: 0
; COMPUTE_PGM_RSRC2:USER_SGPR: 2
; COMPUTE_PGM_RSRC2:TRAP_HANDLER: 0
; COMPUTE_PGM_RSRC2:TGID_X_EN: 1
; COMPUTE_PGM_RSRC2:TGID_Y_EN: 1
; COMPUTE_PGM_RSRC2:TGID_Z_EN: 0
; COMPUTE_PGM_RSRC2:TIDIG_COMP_CNT: 0
; COMPUTE_PGM_RSRC3_GFX90A:ACCUM_OFFSET: 23
; COMPUTE_PGM_RSRC3_GFX90A:TG_SPLIT: 0
	.section	.text._Z25selective_scan_fwd_kernelI32Selective_Scan_fwd_kernel_traitsILi64ELi8ELi1ELb0ELb1ELb1ELb1ELb0EN3c104HalfEfS2_EEv13SSMParamsBase,"axG",@progbits,_Z25selective_scan_fwd_kernelI32Selective_Scan_fwd_kernel_traitsILi64ELi8ELi1ELb0ELb1ELb1ELb1ELb0EN3c104HalfEfS2_EEv13SSMParamsBase,comdat
	.protected	_Z25selective_scan_fwd_kernelI32Selective_Scan_fwd_kernel_traitsILi64ELi8ELi1ELb0ELb1ELb1ELb1ELb0EN3c104HalfEfS2_EEv13SSMParamsBase ; -- Begin function _Z25selective_scan_fwd_kernelI32Selective_Scan_fwd_kernel_traitsILi64ELi8ELi1ELb0ELb1ELb1ELb1ELb0EN3c104HalfEfS2_EEv13SSMParamsBase
	.globl	_Z25selective_scan_fwd_kernelI32Selective_Scan_fwd_kernel_traitsILi64ELi8ELi1ELb0ELb1ELb1ELb1ELb0EN3c104HalfEfS2_EEv13SSMParamsBase
	.p2align	8
	.type	_Z25selective_scan_fwd_kernelI32Selective_Scan_fwd_kernel_traitsILi64ELi8ELi1ELb0ELb1ELb1ELb1ELb0EN3c104HalfEfS2_EEv13SSMParamsBase,@function
_Z25selective_scan_fwd_kernelI32Selective_Scan_fwd_kernel_traitsILi64ELi8ELi1ELb0ELb1ELb1ELb1ELb0EN3c104HalfEfS2_EEv13SSMParamsBase: ; @_Z25selective_scan_fwd_kernelI32Selective_Scan_fwd_kernel_traitsILi64ELi8ELi1ELb0ELb1ELb1ELb1ELb0EN3c104HalfEfS2_EEv13SSMParamsBase
; %bb.0:
	s_load_dword s37, s[0:1], 0x18
	s_load_dwordx4 s[4:7], s[0:1], 0xe8
	s_mov_b32 s28, s3
	s_waitcnt lgkmcnt(0)
	s_abs_i32 s36, s37
	v_cvt_f32_u32_e32 v1, s36
	s_cmp_eq_u64 s[6:7], 0
	v_rcp_iflag_f32_e32 v1, v1
	s_nop 0
	v_mul_f32_e32 v1, 0x4f7ffffe, v1
	v_cvt_u32_f32_e32 v1, v1
	s_nop 0
	v_readfirstlane_b32 s24, v1
	s_cbranch_scc1 .LBB77_3
; %bb.1:
	s_ashr_i32 s3, s2, 31
	s_add_u32 s6, s6, s2
	s_addc_u32 s7, s7, s3
	v_mov_b32_e32 v1, 0
	global_load_ubyte v1, v1, s[6:7]
	s_waitcnt vmcnt(0)
	v_and_b32_e32 v1, 1, v1
	v_cmp_eq_u32_e64 s[54:55], 1, v1
	s_load_dwordx2 s[6:7], s[0:1], 0x20
	s_cmp_eq_u64 s[4:5], 0
	s_cbranch_scc1 .LBB77_4
.LBB77_2:
	s_ashr_i32 s3, s2, 31
	s_lshl_b64 s[8:9], s[2:3], 2
	s_add_u32 s4, s4, s8
	s_addc_u32 s5, s5, s9
	s_load_dword s34, s[4:5], 0x0
	s_waitcnt lgkmcnt(0)
	s_ashr_i32 s35, s34, 31
	s_cmp_eq_u64 s[6:7], s[34:35]
	s_cbranch_scc0 .LBB77_5
	s_branch .LBB77_169
.LBB77_3:
	s_mov_b64 s[54:55], 0
	s_load_dwordx2 s[6:7], s[0:1], 0x20
	s_cmp_eq_u64 s[4:5], 0
	s_cbranch_scc0 .LBB77_2
.LBB77_4:
	s_mov_b32 s34, s2
	s_ashr_i32 s35, s34, 31
	s_waitcnt lgkmcnt(0)
	s_cmp_eq_u64 s[6:7], s[34:35]
	s_cbranch_scc1 .LBB77_169
.LBB77_5:
	s_load_dwordx16 s[4:19], s[0:1], 0x88
	s_load_dwordx2 s[38:39], s[0:1], 0x8
	s_mov_b32 s33, 0
	s_mov_b32 s94, 0
	s_waitcnt lgkmcnt(0)
	s_cmp_eq_u64 s[10:11], 0
	s_cbranch_scc1 .LBB77_7
; %bb.6:
	s_ashr_i32 s29, s28, 31
	s_lshl_b64 s[20:21], s[28:29], 2
	s_add_u32 s10, s10, s20
	s_addc_u32 s11, s11, s21
	s_load_dword s94, s[10:11], 0x0
.LBB77_7:
	s_cmp_eq_u64 s[16:17], 0
	s_cbranch_scc1 .LBB77_9
; %bb.8:
	s_ashr_i32 s29, s28, 31
	s_lshl_b64 s[10:11], s[28:29], 2
	s_add_u32 s10, s16, s10
	s_addc_u32 s11, s17, s11
	s_load_dword s33, s[10:11], 0x0
.LBB77_9:
	s_cmp_lt_i32 s38, 1
	s_cbranch_scc1 .LBB77_169
; %bb.10:
	s_sub_i32 s3, 0, s36
	s_mul_i32 s3, s3, s24
	s_mul_hi_u32 s3, s24, s3
	s_abs_i32 s16, s28
	s_add_i32 s3, s24, s3
	s_load_dwordx8 s[56:63], s[0:1], 0x2c
	s_load_dwordx2 s[10:11], s[0:1], 0x7c
	s_load_dwordx4 s[20:23], s[0:1], 0x6c
	s_load_dwordx8 s[64:71], s[0:1], 0x4c
	s_load_dwordx2 s[30:31], s[0:1], 0xd8
	s_load_dwordx4 s[24:27], s[0:1], 0xc8
	s_load_dword s95, s[0:1], 0x84
	s_mul_hi_u32 s3, s16, s3
	s_load_dword s17, s[0:1], 0x28
	s_ashr_i32 s0, s28, 31
	s_ashr_i32 s1, s37, 31
	s_xor_b32 s0, s0, s1
	s_mul_i32 s1, s3, s36
	s_sub_i32 s1, s16, s1
	s_add_i32 s16, s3, 1
	s_sub_i32 s29, s1, s36
	s_cmp_ge_u32 s1, s36
	s_cselect_b32 s3, s16, s3
	s_cselect_b32 s1, s29, s1
	s_add_i32 s16, s3, 1
	s_cmp_ge_u32 s1, s36
	s_cselect_b32 s1, s16, s3
	s_xor_b32 s1, s1, s0
	s_waitcnt lgkmcnt(0)
	s_mul_i32 s74, s66, s2
	s_mov_b32 s75, 0
	s_sub_i32 s3, s1, s0
	s_lshl_b64 s[0:1], s[74:75], 1
	s_add_u32 s12, s12, s0
	s_mul_i32 s74, s67, s28
	s_addc_u32 s13, s13, s1
	s_lshl_b64 s[0:1], s[74:75], 1
	s_add_u32 s66, s12, s0
	s_mul_i32 s74, s68, s2
	s_addc_u32 s67, s13, s1
	;; [unrolled: 4-line block ×10, first 2 shown]
	s_lshl_b64 s[0:1], s[74:75], 1
	s_add_u32 s61, s3, s0
	v_mbcnt_lo_u32_b32 v1, -1, 0
	s_addc_u32 s65, s4, s1
	s_add_i32 s0, s38, 0x7ff
	v_mbcnt_hi_u32_b32 v10, -1, v1
	s_lshr_b32 s3, s0, 11
	v_lshrrev_b32_e32 v1, 5, v10
	v_and_b32_e32 v1, 2, v1
	s_bitcmp1_b32 s17, 0
	v_add_u32_e32 v40, 64, v10
	v_or_b32_e32 v41, 0x80, v10
	v_add_u32_e32 v42, 0xc0, v10
	v_or_b32_e32 v43, 0x100, v10
	;; [unrolled: 2-line block ×3, first 2 shown]
	v_add_u32_e32 v46, 0x1c0, v10
	v_add_u32_e32 v1, v1, v10
	s_cselect_b64 s[76:77], -1, 0
	s_cmp_gt_i32 s39, 0
	v_lshl_add_u32 v47, v1, 1, 0
	v_lshrrev_b32_e32 v1, 5, v40
	v_lshrrev_b32_e32 v2, 5, v41
	;; [unrolled: 1-line block ×7, first 2 shown]
	s_cselect_b64 s[0:1], -1, 0
                                        ; implicit-def: $vgpr95 : SGPR spill to VGPR lane
	v_and_b32_e32 v1, 6, v1
	v_and_b32_e32 v2, 6, v2
	;; [unrolled: 1-line block ×7, first 2 shown]
	v_writelane_b32 v95, s0, 0
	v_add_lshl_u32 v1, v1, v10, 1
	v_add_lshl_u32 v2, v2, v10, 1
	;; [unrolled: 1-line block ×7, first 2 shown]
	v_writelane_b32 v95, s1, 1
	s_add_i32 s0, 0, 0x420
	v_add_u32_e32 v56, s0, v1
	v_add_u32_e32 v57, s0, v2
	;; [unrolled: 1-line block ×7, first 2 shown]
	v_writelane_b32 v95, s38, 2
	s_and_b32 s0, s38, 0x1ff
	s_cmp_eq_u32 s0, 0
	v_writelane_b32 v95, s39, 3
	s_mul_i32 s74, s20, s2
	s_cselect_b64 s[80:81], -1, 0
	v_writelane_b32 v95, s3, 4
	s_add_i32 s3, s3, -1
	s_lshl_b64 s[4:5], s[74:75], 1
	v_lshrrev_b32_e32 v8, 2, v10
	v_writelane_b32 v95, s3, 5
	s_add_u32 s3, s18, s4
	s_mul_i32 s74, s21, s28
	v_and_b32_e32 v8, 30, v8
	s_addc_u32 s19, s19, s5
	s_lshl_b64 s[16:17], s[74:75], 1
	v_lshl_add_u32 v8, v10, 3, v8
	s_add_u32 s18, s3, s16
	v_mov_b32_e32 v9, 0
	v_lshl_add_u32 v55, v8, 1, 0
	s_addc_u32 s19, s19, s17
	v_lshlrev_b32_e32 v8, 1, v10
	s_mul_i32 s74, s70, s2
	v_lshl_add_u64 v[12:13], s[18:19], 0, v[8:9]
	s_lshl_b64 s[18:19], s[74:75], 1
	s_add_u32 s3, s26, s18
	s_mul_i32 s74, s71, s28
	s_addc_u32 s20, s27, s19
	s_lshl_b64 s[18:19], s[74:75], 1
	s_add_u32 s18, s3, s18
	s_mul_i32 s74, s22, s2
	s_addc_u32 s19, s20, s19
	s_lshl_b64 s[2:3], s[74:75], 1
	v_add_u32_e32 v48, 0, v1
	v_and_b32_e32 v1, 15, v10
	s_add_u32 s20, s30, s2
	s_mul_i32 s74, s23, s28
	v_cmp_ne_u32_e64 s[0:1], 0, v1
	v_cmp_lt_u32_e64 s[52:53], 1, v1
	v_cmp_lt_u32_e64 s[4:5], 3, v1
	;; [unrolled: 1-line block ×3, first 2 shown]
	v_and_b32_e32 v1, 16, v10
	s_addc_u32 s21, s31, s3
	s_lshl_b64 s[2:3], s[74:75], 1
	v_add_u32_e32 v49, 0, v2
	v_cmp_ne_u32_e64 s[8:9], 0, v1
	v_add_u32_e32 v1, -1, v10
	v_and_b32_e32 v2, 64, v10
	s_add_u32 s2, s20, s2
	v_cmp_lt_i32_e32 vcc, v1, v2
	s_addc_u32 s3, s21, s3
	v_lshlrev_b32_e32 v11, 3, v0
	v_cndmask_b32_e32 v1, v1, v10, vcc
	v_lshl_add_u64 v[16:17], s[2:3], 0, v[8:9]
	s_add_i32 s2, 0, 0x848
	v_add_u32_e32 v50, 0, v3
	v_add_u32_e32 v51, 0, v4
	;; [unrolled: 1-line block ×5, first 2 shown]
	v_cmp_lt_u32_e64 s[10:11], 31, v10
	v_cmp_eq_u32_e64 s[12:13], 63, v0
	v_lshlrev_b32_e32 v63, 2, v1
	v_cmp_gt_u32_e64 s[14:15], 64, v0
	v_cmp_eq_u32_e64 s[16:17], 0, v0
	v_lshl_add_u64 v[14:15], s[18:19], 0, v[8:9]
	v_or_b32_e32 v70, 7, v11
	v_lshlrev_b32_e32 v8, 1, v10
	s_mov_b32 s38, 0x41a00000
	s_mov_b32 s39, 0x3fb8aa3b
	;; [unrolled: 1-line block ×6, first 2 shown]
	v_mov_b32_e32 v71, 0x3ecc95a3
	s_mov_b32 s44, 0x3f317218
	s_mov_b32 s45, 0x33800000
	v_writelane_b32 v95, s2, 6
	s_mov_b32 s72, 0xc2fc0000
	s_mov_b32 s73, 0xbfb8aa3b
	;; [unrolled: 1-line block ×5, first 2 shown]
	v_mov_b32_e32 v72, 0x7f800000
	v_mov_b32_e32 v18, 0x3f317218
	;; [unrolled: 1-line block ×4, first 2 shown]
	s_mov_b32 s98, 0
                                        ; implicit-def: $vgpr0
	s_branch .LBB77_12
.LBB77_11:                              ;   in Loop: Header=BB77_12 Depth=1
	s_or_b64 exec, exec, s[2:3]
	s_add_u32 s68, s68, 0x400
	s_addc_u32 s69, s69, 0
	s_add_u32 s66, s66, 0x400
	s_addc_u32 s67, s67, 0
	s_add_u32 s58, s58, 0x400
	s_addc_u32 s59, s59, 0
	s_add_u32 s62, s62, 0x400
	s_addc_u32 s63, s63, 0
	s_add_i32 s98, s98, 1
	v_readlane_b32 s2, v95, 4
	s_cmp_lg_u32 s98, s2
	s_cbranch_scc0 .LBB77_169
.LBB77_12:                              ; =>This Loop Header: Depth=1
                                        ;     Child Loop BB77_61 Depth 2
	s_lshl_b32 s70, s98, 9
	v_readlane_b32 s2, v95, 2
	s_sub_i32 s50, s2, s70
	v_readlane_b32 s3, v95, 3
	v_lshl_add_u64 v[0:1], s[66:67], 0, v[8:9]
	v_cmp_gt_u32_e64 s[18:19], s50, v10
	s_waitcnt lgkmcnt(0)
	v_mov_b32_e32 v2, 0
	s_waitcnt lgkmcnt(0)
	; wave barrier
	s_and_saveexec_b64 s[2:3], s[18:19]
	s_cbranch_execz .LBB77_14
; %bb.13:                               ;   in Loop: Header=BB77_12 Depth=1
	global_load_ushort v2, v[0:1], off
.LBB77_14:                              ;   in Loop: Header=BB77_12 Depth=1
	s_or_b64 exec, exec, s[2:3]
	v_cmp_gt_u32_e64 s[20:21], s50, v40
	v_mov_b32_e32 v3, 0
	v_mov_b32_e32 v4, 0
	s_and_saveexec_b64 s[2:3], s[20:21]
	s_cbranch_execz .LBB77_16
; %bb.15:                               ;   in Loop: Header=BB77_12 Depth=1
	global_load_ushort v4, v[0:1], off offset:128
.LBB77_16:                              ;   in Loop: Header=BB77_12 Depth=1
	s_or_b64 exec, exec, s[2:3]
	v_cmp_gt_u32_e64 s[22:23], s50, v41
	s_and_saveexec_b64 s[2:3], s[22:23]
	s_cbranch_execz .LBB77_18
; %bb.17:                               ;   in Loop: Header=BB77_12 Depth=1
	global_load_ushort v3, v[0:1], off offset:256
.LBB77_18:                              ;   in Loop: Header=BB77_12 Depth=1
	s_or_b64 exec, exec, s[2:3]
	v_cmp_gt_u32_e64 s[24:25], s50, v42
	v_mov_b32_e32 v5, 0
	v_mov_b32_e32 v7, 0
	s_and_saveexec_b64 s[2:3], s[24:25]
	s_cbranch_execz .LBB77_20
; %bb.19:                               ;   in Loop: Header=BB77_12 Depth=1
	global_load_ushort v7, v[0:1], off offset:384
.LBB77_20:                              ;   in Loop: Header=BB77_12 Depth=1
	s_or_b64 exec, exec, s[2:3]
	v_cmp_gt_u32_e64 s[26:27], s50, v43
	s_and_saveexec_b64 s[2:3], s[26:27]
	s_cbranch_execz .LBB77_22
; %bb.21:                               ;   in Loop: Header=BB77_12 Depth=1
	global_load_ushort v5, v[0:1], off offset:512
.LBB77_22:                              ;   in Loop: Header=BB77_12 Depth=1
	;; [unrolled: 16-line block ×3, first 2 shown]
	s_or_b64 exec, exec, s[2:3]
	v_cmp_gt_u32_e64 s[34:35], s50, v46
	v_mov_b32_e32 v6, 0
	v_mov_b32_e32 v21, 0
	s_and_saveexec_b64 s[2:3], s[34:35]
	s_cbranch_execz .LBB77_28
; %bb.27:                               ;   in Loop: Header=BB77_12 Depth=1
	global_load_ushort v21, v[0:1], off offset:896
.LBB77_28:                              ;   in Loop: Header=BB77_12 Depth=1
	s_or_b64 exec, exec, s[2:3]
	s_waitcnt vmcnt(0)
	ds_write_b16 v47, v2
	ds_write_b16 v48, v4 offset:128
	ds_write_b16 v49, v3 offset:256
	ds_write_b16 v50, v7 offset:384
	ds_write_b16 v51, v5 offset:512
	ds_write_b16 v52, v20 offset:640
	ds_write_b16 v53, v19 offset:768
	ds_write_b16 v54, v21 offset:896
	; wave barrier
	ds_read_b128 v[0:3], v55
	v_lshl_add_u64 v[4:5], s[68:69], 0, v[8:9]
	s_waitcnt lgkmcnt(0)
	; wave barrier
	s_waitcnt lgkmcnt(0)
	s_and_saveexec_b64 s[2:3], s[18:19]
	s_cbranch_execz .LBB77_30
; %bb.29:                               ;   in Loop: Header=BB77_12 Depth=1
	global_load_ushort v6, v[4:5], off
.LBB77_30:                              ;   in Loop: Header=BB77_12 Depth=1
	s_or_b64 exec, exec, s[2:3]
	v_mov_b32_e32 v7, 0
	v_mov_b32_e32 v19, 0
	s_and_saveexec_b64 s[2:3], s[20:21]
	s_cbranch_execz .LBB77_32
; %bb.31:                               ;   in Loop: Header=BB77_12 Depth=1
	global_load_ushort v19, v[4:5], off offset:128
.LBB77_32:                              ;   in Loop: Header=BB77_12 Depth=1
	s_or_b64 exec, exec, s[2:3]
	s_and_saveexec_b64 s[2:3], s[22:23]
	s_cbranch_execz .LBB77_34
; %bb.33:                               ;   in Loop: Header=BB77_12 Depth=1
	global_load_ushort v7, v[4:5], off offset:256
.LBB77_34:                              ;   in Loop: Header=BB77_12 Depth=1
	s_or_b64 exec, exec, s[2:3]
	v_mov_b32_e32 v20, 0
	v_mov_b32_e32 v21, 0
	s_and_saveexec_b64 s[2:3], s[24:25]
	s_cbranch_execz .LBB77_36
; %bb.35:                               ;   in Loop: Header=BB77_12 Depth=1
	global_load_ushort v21, v[4:5], off offset:384
.LBB77_36:                              ;   in Loop: Header=BB77_12 Depth=1
	s_or_b64 exec, exec, s[2:3]
	s_and_saveexec_b64 s[2:3], s[26:27]
	s_cbranch_execz .LBB77_38
; %bb.37:                               ;   in Loop: Header=BB77_12 Depth=1
	global_load_ushort v20, v[4:5], off offset:512
.LBB77_38:                              ;   in Loop: Header=BB77_12 Depth=1
	s_or_b64 exec, exec, s[2:3]
	v_mov_b32_e32 v22, 0
	v_mov_b32_e32 v23, 0
	s_and_saveexec_b64 s[2:3], s[28:29]
	s_cbranch_execnz .LBB77_152
; %bb.39:                               ;   in Loop: Header=BB77_12 Depth=1
	s_or_b64 exec, exec, s[2:3]
	s_and_saveexec_b64 s[2:3], s[30:31]
	s_cbranch_execnz .LBB77_153
.LBB77_40:                              ;   in Loop: Header=BB77_12 Depth=1
	s_or_b64 exec, exec, s[2:3]
	v_mov_b32_e32 v24, 0
	s_and_saveexec_b64 s[2:3], s[34:35]
	s_cbranch_execz .LBB77_42
.LBB77_41:                              ;   in Loop: Header=BB77_12 Depth=1
	global_load_ushort v24, v[4:5], off offset:896
.LBB77_42:                              ;   in Loop: Header=BB77_12 Depth=1
	s_or_b64 exec, exec, s[2:3]
	s_waitcnt vmcnt(0)
	ds_write_b16 v47, v6
	ds_write_b16 v48, v19 offset:128
	ds_write_b16 v49, v7 offset:256
	;; [unrolled: 1-line block ×7, first 2 shown]
	; wave barrier
	ds_read_b128 v[4:7], v55
	s_waitcnt lgkmcnt(0)
	v_cvt_f32_f16_e32 v19, v4
	v_add_f32_e32 v75, s33, v19
	v_cmp_ge_f32_e32 vcc, s38, v75
	s_and_b64 s[2:3], s[76:77], vcc
	s_and_saveexec_b64 s[36:37], s[2:3]
	s_cbranch_execz .LBB77_44
; %bb.43:                               ;   in Loop: Header=BB77_12 Depth=1
	v_mul_f32_e32 v19, 0x3fb8aa3b, v75
	v_rndne_f32_e32 v20, v19
	v_sub_f32_e32 v21, v19, v20
	v_fma_f32 v19, v75, s39, -v19
	v_fmac_f32_e32 v19, 0x32a5705f, v75
	v_add_f32_e32 v19, v21, v19
	v_cvt_i32_f32_e32 v20, v20
	v_exp_f32_e32 v19, v19
	v_cmp_ngt_f32_e32 vcc, s40, v75
	v_ldexp_f32 v19, v19, v20
	s_nop 0
	v_cndmask_b32_e32 v19, 0, v19, vcc
	v_cmp_nlt_f32_e32 vcc, s41, v75
	s_nop 1
	v_cndmask_b32_e32 v36, v72, v19, vcc
	v_add_f32_e32 v19, 1.0, v36
	v_add_f32_e32 v20, -1.0, v19
	v_sub_f32_e32 v21, v20, v19
	v_add_f32_e32 v21, 1.0, v21
	v_sub_f32_e32 v20, v36, v20
	v_add_f32_e32 v22, v20, v21
	v_frexp_mant_f32_e32 v23, v19
	v_cvt_f64_f32_e32 v[20:21], v19
	v_frexp_exp_i32_f64_e32 v20, v[20:21]
	v_cmp_gt_f32_e32 vcc, s43, v23
	v_cmp_gt_f32_e64 s[2:3], s45, v36
	s_nop 0
	v_subbrev_co_u32_e32 v28, vcc, 0, v20, vcc
	v_sub_u32_e32 v20, 0, v28
	v_ldexp_f32 v19, v19, v20
	v_ldexp_f32 v20, v22, v20
	v_add_f32_e32 v22, -1.0, v19
	v_add_f32_e32 v21, 1.0, v22
	v_sub_f32_e32 v21, v19, v21
	v_add_f32_e32 v23, v20, v21
	v_add_f32_e32 v21, 1.0, v19
	v_add_f32_e32 v24, -1.0, v21
	v_sub_f32_e32 v19, v19, v24
	v_add_f32_e32 v19, v20, v19
	v_add_f32_e32 v29, v21, v19
	v_rcp_f32_e32 v30, v29
	v_sub_f32_e32 v20, v21, v29
	v_add_f32_e32 v21, v22, v23
	v_add_f32_e32 v19, v19, v20
	v_mul_f32_e32 v32, v21, v30
	v_sub_f32_e32 v20, v22, v21
	v_mul_f32_e32 v22, v29, v32
	v_fma_f32 v24, v32, v29, -v22
	v_fmac_f32_e32 v24, v32, v19
	v_add_f32_e32 v31, v23, v20
	v_add_f32_e32 v20, v22, v24
	v_sub_f32_e32 v23, v21, v20
	v_pk_add_f32 v[26:27], v[20:21], v[22:23] neg_lo:[0,1] neg_hi:[0,1]
	v_mov_b32_e32 v25, v20
	v_pk_add_f32 v[20:21], v[26:27], v[24:25] neg_lo:[0,1] neg_hi:[0,1]
	v_cmp_eq_f32_e32 vcc, s42, v36
	v_add_f32_e32 v21, v31, v21
	v_add_f32_e32 v20, v20, v21
	;; [unrolled: 1-line block ×3, first 2 shown]
	v_mul_f32_e32 v31, v30, v21
	v_mul_f32_e32 v22, v29, v31
	v_fma_f32 v24, v31, v29, -v22
	v_fmac_f32_e32 v24, v31, v19
	v_sub_f32_e32 v19, v23, v21
	v_add_f32_e32 v19, v20, v19
	v_add_f32_e32 v20, v22, v24
	v_sub_f32_e32 v23, v21, v20
	v_pk_add_f32 v[26:27], v[20:21], v[22:23] neg_lo:[0,1] neg_hi:[0,1]
	v_mov_b32_e32 v25, v20
	v_pk_add_f32 v[20:21], v[26:27], v[24:25] neg_lo:[0,1] neg_hi:[0,1]
	s_or_b64 vcc, s[2:3], vcc
	v_add_f32_e32 v19, v19, v21
	v_add_f32_e32 v19, v20, v19
	;; [unrolled: 1-line block ×4, first 2 shown]
	v_sub_f32_e32 v20, v21, v32
	v_mul_f32_e32 v19, v30, v19
	v_sub_f32_e32 v20, v31, v20
	v_add_f32_e32 v22, v20, v19
	v_add_f32_e32 v24, v21, v22
	v_cvt_f32_i32_e32 v20, v28
	v_mul_f32_e32 v25, v24, v24
	v_sub_f32_e32 v21, v24, v21
	v_fmamk_f32 v19, v25, 0x3e9b6dac, v71
	v_sub_f32_e32 v21, v22, v21
	v_fmaak_f32 v19, v25, v19, 0x3f2aaada
	v_ldexp_f32 v26, v21, 1
	v_mul_f32_e32 v21, v24, v25
	v_ldexp_f32 v23, v24, 1
	v_pk_mul_f32 v[24:25], v[20:21], v[18:19]
	s_nop 0
	v_fma_f32 v22, v20, s44, -v24
	v_fmac_f32_e32 v22, 0xb102e308, v20
	v_pk_add_f32 v[20:21], v[24:25], v[22:23]
	s_nop 0
	v_sub_f32_e32 v19, v21, v23
	v_sub_f32_e32 v19, v25, v19
	v_add_f32_e32 v27, v26, v19
	v_mov_b32_e32 v26, v24
	v_pk_add_f32 v[24:25], v[20:21], v[24:25] neg_lo:[0,1] neg_hi:[0,1]
	v_pk_add_f32 v[28:29], v[20:21], v[26:27]
	v_mov_b32_e32 v23, v20
	v_mov_b32_e32 v25, v29
	v_pk_add_f32 v[30:31], v[22:23], v[24:25] neg_lo:[0,1] neg_hi:[0,1]
	v_pk_add_f32 v[22:23], v[22:23], v[24:25]
	v_mov_b32_e32 v26, v27
	v_mov_b32_e32 v24, v23
	v_pk_add_f32 v[32:33], v[24:25], v[20:21] neg_lo:[0,1] neg_hi:[0,1]
	v_mov_b32_e32 v22, v29
	v_mov_b32_e32 v19, v32
	v_pk_add_f32 v[34:35], v[28:29], v[18:19] neg_lo:[0,1] neg_hi:[0,1]
	v_mov_b32_e32 v28, v21
	v_mov_b32_e32 v29, v32
	;; [unrolled: 1-line block ×3, first 2 shown]
	v_pk_add_f32 v[22:23], v[22:23], v[28:29] neg_lo:[0,1] neg_hi:[0,1]
	v_mov_b32_e32 v27, v20
	v_pk_add_f32 v[20:21], v[26:27], v[22:23] neg_lo:[0,1] neg_hi:[0,1]
	v_mov_b32_e32 v34, v30
	v_pk_add_f32 v[22:23], v[34:35], v[20:21]
	s_nop 0
	v_mov_b32_e32 v26, v23
	v_pk_add_f32 v[26:27], v[22:23], v[26:27]
	s_nop 0
	v_pk_add_f32 v[24:25], v[24:25], v[26:27]
	v_mov_b32_e32 v21, v26
	v_mov_b32_e32 v23, v24
	v_pk_add_f32 v[28:29], v[22:23], v[30:31] neg_lo:[0,1] neg_hi:[0,1]
	s_nop 0
	v_sub_f32_e32 v19, v22, v28
	v_pk_add_f32 v[20:21], v[20:21], v[28:29] neg_lo:[0,1] neg_hi:[0,1]
	v_sub_f32_e32 v19, v30, v19
	v_add_f32_e32 v19, v20, v19
	v_add_f32_e32 v19, v19, v21
	v_add_f32_e32 v19, v24, v19
	v_cndmask_b32_e32 v75, v19, v36, vcc
.LBB77_44:                              ;   in Loop: Header=BB77_12 Depth=1
	s_or_b64 exec, exec, s[36:37]
	v_cvt_f32_f16_sdwa v4, v4 dst_sel:DWORD dst_unused:UNUSED_PAD src0_sel:WORD_1
	v_add_f32_e32 v76, s33, v4
	v_cmp_ge_f32_e32 vcc, s38, v76
	s_and_b64 s[2:3], s[76:77], vcc
	s_and_saveexec_b64 s[36:37], s[2:3]
	s_cbranch_execz .LBB77_46
; %bb.45:                               ;   in Loop: Header=BB77_12 Depth=1
	v_mul_f32_e32 v4, 0x3fb8aa3b, v76
	v_rndne_f32_e32 v19, v4
	v_sub_f32_e32 v20, v4, v19
	v_fma_f32 v4, v76, s39, -v4
	v_fmac_f32_e32 v4, 0x32a5705f, v76
	v_add_f32_e32 v4, v20, v4
	v_cvt_i32_f32_e32 v19, v19
	v_exp_f32_e32 v4, v4
	v_cmp_ngt_f32_e32 vcc, s40, v76
	v_ldexp_f32 v4, v4, v19
	s_nop 0
	v_cndmask_b32_e32 v4, 0, v4, vcc
	v_cmp_nlt_f32_e32 vcc, s41, v76
	s_nop 1
	v_cndmask_b32_e32 v34, v72, v4, vcc
	v_add_f32_e32 v4, 1.0, v34
	v_add_f32_e32 v19, -1.0, v4
	v_sub_f32_e32 v20, v19, v4
	v_add_f32_e32 v20, 1.0, v20
	v_sub_f32_e32 v19, v34, v19
	v_add_f32_e32 v19, v19, v20
	v_frexp_mant_f32_e32 v22, v4
	v_cvt_f64_f32_e32 v[20:21], v4
	v_frexp_exp_i32_f64_e32 v20, v[20:21]
	v_cmp_gt_f32_e32 vcc, s43, v22
	v_cmp_gt_f32_e64 s[2:3], s45, v34
	s_nop 0
	v_subbrev_co_u32_e32 v28, vcc, 0, v20, vcc
	v_sub_u32_e32 v20, 0, v28
	v_ldexp_f32 v4, v4, v20
	v_ldexp_f32 v19, v19, v20
	v_add_f32_e32 v20, -1.0, v4
	v_add_f32_e32 v21, 1.0, v20
	v_sub_f32_e32 v21, v4, v21
	v_add_f32_e32 v22, v19, v21
	v_add_f32_e32 v21, 1.0, v4
	v_add_f32_e32 v23, -1.0, v21
	v_sub_f32_e32 v4, v4, v23
	v_add_f32_e32 v4, v19, v4
	v_add_f32_e32 v19, v21, v4
	v_rcp_f32_e32 v29, v19
	v_sub_f32_e32 v21, v21, v19
	v_add_f32_e32 v4, v4, v21
	v_add_f32_e32 v21, v20, v22
	v_sub_f32_e32 v20, v20, v21
	v_mul_f32_e32 v31, v21, v29
	v_add_f32_e32 v30, v22, v20
	v_mul_f32_e32 v22, v19, v31
	v_fma_f32 v24, v31, v19, -v22
	v_fmac_f32_e32 v24, v31, v4
	v_add_f32_e32 v20, v22, v24
	v_sub_f32_e32 v23, v21, v20
	v_pk_add_f32 v[26:27], v[20:21], v[22:23] neg_lo:[0,1] neg_hi:[0,1]
	v_mov_b32_e32 v25, v20
	v_pk_add_f32 v[20:21], v[26:27], v[24:25] neg_lo:[0,1] neg_hi:[0,1]
	v_cmp_eq_f32_e32 vcc, s42, v34
	v_add_f32_e32 v21, v30, v21
	v_add_f32_e32 v20, v20, v21
	;; [unrolled: 1-line block ×3, first 2 shown]
	v_mul_f32_e32 v30, v29, v21
	v_mul_f32_e32 v22, v19, v30
	v_fma_f32 v24, v30, v19, -v22
	v_fmac_f32_e32 v24, v30, v4
	v_sub_f32_e32 v4, v23, v21
	v_add_f32_e32 v4, v20, v4
	v_add_f32_e32 v20, v22, v24
	v_sub_f32_e32 v23, v21, v20
	v_pk_add_f32 v[26:27], v[20:21], v[22:23] neg_lo:[0,1] neg_hi:[0,1]
	v_mov_b32_e32 v25, v20
	v_pk_add_f32 v[20:21], v[26:27], v[24:25] neg_lo:[0,1] neg_hi:[0,1]
	s_or_b64 vcc, s[2:3], vcc
	v_add_f32_e32 v4, v4, v21
	v_add_f32_e32 v4, v20, v4
	;; [unrolled: 1-line block ×4, first 2 shown]
	v_sub_f32_e32 v19, v21, v31
	v_mul_f32_e32 v4, v29, v4
	v_sub_f32_e32 v19, v30, v19
	v_add_f32_e32 v4, v19, v4
	v_add_f32_e32 v22, v21, v4
	v_cvt_f32_i32_e32 v20, v28
	v_mul_f32_e32 v24, v22, v22
	v_fmamk_f32 v19, v24, 0x3e9b6dac, v71
	v_sub_f32_e32 v21, v22, v21
	v_fmaak_f32 v19, v24, v19, 0x3f2aaada
	v_sub_f32_e32 v4, v4, v21
	v_mul_f32_e32 v21, v22, v24
	v_pk_mul_f32 v[24:25], v[20:21], v[18:19]
	v_ldexp_f32 v23, v22, 1
	v_fma_f32 v22, v20, s44, -v24
	v_fmac_f32_e32 v22, 0xb102e308, v20
	v_pk_add_f32 v[20:21], v[24:25], v[22:23]
	v_ldexp_f32 v4, v4, 1
	v_sub_f32_e32 v19, v21, v23
	v_sub_f32_e32 v19, v25, v19
	v_add_f32_e32 v27, v4, v19
	v_mov_b32_e32 v26, v24
	v_pk_add_f32 v[24:25], v[20:21], v[24:25] neg_lo:[0,1] neg_hi:[0,1]
	v_pk_add_f32 v[28:29], v[20:21], v[26:27]
	v_mov_b32_e32 v23, v20
	v_mov_b32_e32 v25, v29
	v_pk_add_f32 v[30:31], v[22:23], v[24:25] neg_lo:[0,1] neg_hi:[0,1]
	v_pk_add_f32 v[22:23], v[22:23], v[24:25]
	s_nop 0
	v_mov_b32_e32 v4, v23
	v_pk_add_f32 v[24:25], v[4:5], v[20:21] neg_lo:[0,1] neg_hi:[0,1]
	v_mov_b32_e32 v22, v29
	v_mov_b32_e32 v19, v24
	v_pk_add_f32 v[32:33], v[28:29], v[18:19] neg_lo:[0,1] neg_hi:[0,1]
	v_mov_b32_e32 v28, v21
	v_mov_b32_e32 v29, v24
	v_mov_b32_e32 v31, v23
	v_pk_add_f32 v[22:23], v[22:23], v[28:29] neg_lo:[0,1] neg_hi:[0,1]
	v_mov_b32_e32 v24, v27
	v_mov_b32_e32 v25, v20
	v_pk_add_f32 v[20:21], v[24:25], v[22:23] neg_lo:[0,1] neg_hi:[0,1]
	v_mov_b32_e32 v32, v30
	v_pk_add_f32 v[22:23], v[32:33], v[20:21]
	s_nop 0
	v_mov_b32_e32 v24, v23
	v_pk_add_f32 v[24:25], v[22:23], v[24:25]
	s_nop 0
	v_pk_add_f32 v[26:27], v[4:5], v[24:25]
	v_mov_b32_e32 v21, v24
	v_mov_b32_e32 v23, v26
	v_pk_add_f32 v[28:29], v[22:23], v[30:31] neg_lo:[0,1] neg_hi:[0,1]
	s_nop 0
	v_sub_f32_e32 v4, v22, v28
	v_pk_add_f32 v[20:21], v[20:21], v[28:29] neg_lo:[0,1] neg_hi:[0,1]
	v_sub_f32_e32 v4, v30, v4
	v_add_f32_e32 v4, v20, v4
	v_add_f32_e32 v4, v4, v21
	;; [unrolled: 1-line block ×3, first 2 shown]
	v_cndmask_b32_e32 v76, v4, v34, vcc
.LBB77_46:                              ;   in Loop: Header=BB77_12 Depth=1
	s_or_b64 exec, exec, s[36:37]
	v_cvt_f32_f16_e32 v4, v5
	v_add_f32_e32 v77, s33, v4
	v_cmp_ge_f32_e32 vcc, s38, v77
	s_and_b64 s[2:3], s[76:77], vcc
	s_and_saveexec_b64 s[36:37], s[2:3]
	s_cbranch_execz .LBB77_48
; %bb.47:                               ;   in Loop: Header=BB77_12 Depth=1
	v_mul_f32_e32 v4, 0x3fb8aa3b, v77
	v_rndne_f32_e32 v19, v4
	v_sub_f32_e32 v20, v4, v19
	v_fma_f32 v4, v77, s39, -v4
	v_fmac_f32_e32 v4, 0x32a5705f, v77
	v_add_f32_e32 v4, v20, v4
	v_cvt_i32_f32_e32 v19, v19
	v_exp_f32_e32 v4, v4
	v_cmp_ngt_f32_e32 vcc, s40, v77
	v_ldexp_f32 v4, v4, v19
	s_nop 0
	v_cndmask_b32_e32 v4, 0, v4, vcc
	v_cmp_nlt_f32_e32 vcc, s41, v77
	s_nop 1
	v_cndmask_b32_e32 v34, v72, v4, vcc
	v_add_f32_e32 v4, 1.0, v34
	v_add_f32_e32 v19, -1.0, v4
	v_sub_f32_e32 v20, v19, v4
	v_add_f32_e32 v20, 1.0, v20
	v_sub_f32_e32 v19, v34, v19
	v_add_f32_e32 v19, v19, v20
	v_frexp_mant_f32_e32 v22, v4
	v_cvt_f64_f32_e32 v[20:21], v4
	v_frexp_exp_i32_f64_e32 v20, v[20:21]
	v_cmp_gt_f32_e32 vcc, s43, v22
	v_cmp_gt_f32_e64 s[2:3], s45, v34
	s_nop 0
	v_subbrev_co_u32_e32 v28, vcc, 0, v20, vcc
	v_sub_u32_e32 v20, 0, v28
	v_ldexp_f32 v4, v4, v20
	v_ldexp_f32 v19, v19, v20
	v_add_f32_e32 v20, -1.0, v4
	v_add_f32_e32 v21, 1.0, v20
	v_sub_f32_e32 v21, v4, v21
	v_add_f32_e32 v22, v19, v21
	v_add_f32_e32 v21, 1.0, v4
	v_add_f32_e32 v23, -1.0, v21
	v_sub_f32_e32 v4, v4, v23
	v_add_f32_e32 v4, v19, v4
	v_add_f32_e32 v19, v21, v4
	v_rcp_f32_e32 v29, v19
	v_sub_f32_e32 v21, v21, v19
	v_add_f32_e32 v4, v4, v21
	v_add_f32_e32 v21, v20, v22
	v_sub_f32_e32 v20, v20, v21
	v_mul_f32_e32 v31, v21, v29
	v_add_f32_e32 v30, v22, v20
	v_mul_f32_e32 v22, v19, v31
	v_fma_f32 v24, v31, v19, -v22
	v_fmac_f32_e32 v24, v31, v4
	v_add_f32_e32 v20, v22, v24
	v_sub_f32_e32 v23, v21, v20
	v_pk_add_f32 v[26:27], v[20:21], v[22:23] neg_lo:[0,1] neg_hi:[0,1]
	v_mov_b32_e32 v25, v20
	v_pk_add_f32 v[20:21], v[26:27], v[24:25] neg_lo:[0,1] neg_hi:[0,1]
	v_cmp_eq_f32_e32 vcc, s42, v34
	v_add_f32_e32 v21, v30, v21
	v_add_f32_e32 v20, v20, v21
	v_add_f32_e32 v21, v23, v20
	v_mul_f32_e32 v30, v29, v21
	v_mul_f32_e32 v22, v19, v30
	v_fma_f32 v24, v30, v19, -v22
	v_fmac_f32_e32 v24, v30, v4
	v_sub_f32_e32 v4, v23, v21
	v_add_f32_e32 v4, v20, v4
	v_add_f32_e32 v20, v22, v24
	v_sub_f32_e32 v23, v21, v20
	v_pk_add_f32 v[26:27], v[20:21], v[22:23] neg_lo:[0,1] neg_hi:[0,1]
	v_mov_b32_e32 v25, v20
	v_pk_add_f32 v[20:21], v[26:27], v[24:25] neg_lo:[0,1] neg_hi:[0,1]
	s_or_b64 vcc, s[2:3], vcc
	v_add_f32_e32 v4, v4, v21
	v_add_f32_e32 v4, v20, v4
	;; [unrolled: 1-line block ×4, first 2 shown]
	v_sub_f32_e32 v19, v21, v31
	v_mul_f32_e32 v4, v29, v4
	v_sub_f32_e32 v19, v30, v19
	v_add_f32_e32 v4, v19, v4
	v_add_f32_e32 v22, v21, v4
	v_cvt_f32_i32_e32 v20, v28
	v_mul_f32_e32 v24, v22, v22
	v_fmamk_f32 v19, v24, 0x3e9b6dac, v71
	v_sub_f32_e32 v21, v22, v21
	v_fmaak_f32 v19, v24, v19, 0x3f2aaada
	v_sub_f32_e32 v4, v4, v21
	v_mul_f32_e32 v21, v22, v24
	v_pk_mul_f32 v[24:25], v[20:21], v[18:19]
	v_ldexp_f32 v23, v22, 1
	v_fma_f32 v22, v20, s44, -v24
	v_fmac_f32_e32 v22, 0xb102e308, v20
	v_pk_add_f32 v[20:21], v[24:25], v[22:23]
	v_ldexp_f32 v4, v4, 1
	v_sub_f32_e32 v19, v21, v23
	v_sub_f32_e32 v19, v25, v19
	v_add_f32_e32 v27, v4, v19
	v_mov_b32_e32 v26, v24
	v_pk_add_f32 v[24:25], v[20:21], v[24:25] neg_lo:[0,1] neg_hi:[0,1]
	v_pk_add_f32 v[28:29], v[20:21], v[26:27]
	v_mov_b32_e32 v23, v20
	v_mov_b32_e32 v25, v29
	v_pk_add_f32 v[30:31], v[22:23], v[24:25] neg_lo:[0,1] neg_hi:[0,1]
	v_pk_add_f32 v[22:23], v[22:23], v[24:25]
	s_nop 0
	v_mov_b32_e32 v4, v23
	v_pk_add_f32 v[24:25], v[4:5], v[20:21] neg_lo:[0,1] neg_hi:[0,1]
	v_mov_b32_e32 v22, v29
	v_mov_b32_e32 v19, v24
	v_pk_add_f32 v[32:33], v[28:29], v[18:19] neg_lo:[0,1] neg_hi:[0,1]
	v_mov_b32_e32 v28, v21
	v_mov_b32_e32 v29, v24
	;; [unrolled: 1-line block ×3, first 2 shown]
	v_pk_add_f32 v[22:23], v[22:23], v[28:29] neg_lo:[0,1] neg_hi:[0,1]
	v_mov_b32_e32 v24, v27
	v_mov_b32_e32 v25, v20
	v_pk_add_f32 v[20:21], v[24:25], v[22:23] neg_lo:[0,1] neg_hi:[0,1]
	v_mov_b32_e32 v32, v30
	v_pk_add_f32 v[22:23], v[32:33], v[20:21]
	s_nop 0
	v_mov_b32_e32 v24, v23
	v_pk_add_f32 v[24:25], v[22:23], v[24:25]
	s_nop 0
	v_pk_add_f32 v[26:27], v[4:5], v[24:25]
	v_mov_b32_e32 v21, v24
	v_mov_b32_e32 v23, v26
	v_pk_add_f32 v[28:29], v[22:23], v[30:31] neg_lo:[0,1] neg_hi:[0,1]
	s_nop 0
	v_sub_f32_e32 v4, v22, v28
	v_pk_add_f32 v[20:21], v[20:21], v[28:29] neg_lo:[0,1] neg_hi:[0,1]
	v_sub_f32_e32 v4, v30, v4
	v_add_f32_e32 v4, v20, v4
	v_add_f32_e32 v4, v4, v21
	;; [unrolled: 1-line block ×3, first 2 shown]
	v_cndmask_b32_e32 v77, v4, v34, vcc
.LBB77_48:                              ;   in Loop: Header=BB77_12 Depth=1
	s_or_b64 exec, exec, s[36:37]
	v_cvt_f32_f16_sdwa v4, v5 dst_sel:DWORD dst_unused:UNUSED_PAD src0_sel:WORD_1
	v_add_f32_e32 v78, s33, v4
	v_cmp_ge_f32_e32 vcc, s38, v78
	s_and_b64 s[2:3], s[76:77], vcc
	s_and_saveexec_b64 s[36:37], s[2:3]
	s_cbranch_execz .LBB77_50
; %bb.49:                               ;   in Loop: Header=BB77_12 Depth=1
	v_mul_f32_e32 v4, 0x3fb8aa3b, v78
	v_rndne_f32_e32 v5, v4
	v_sub_f32_e32 v19, v4, v5
	v_fma_f32 v4, v78, s39, -v4
	v_fmac_f32_e32 v4, 0x32a5705f, v78
	v_add_f32_e32 v4, v19, v4
	v_cvt_i32_f32_e32 v5, v5
	v_exp_f32_e32 v4, v4
	v_cmp_ngt_f32_e32 vcc, s40, v78
	v_ldexp_f32 v4, v4, v5
	s_nop 0
	v_cndmask_b32_e32 v4, 0, v4, vcc
	v_cmp_nlt_f32_e32 vcc, s41, v78
	s_nop 1
	v_cndmask_b32_e32 v34, v72, v4, vcc
	v_add_f32_e32 v19, 1.0, v34
	v_add_f32_e32 v4, -1.0, v19
	v_sub_f32_e32 v5, v4, v19
	v_add_f32_e32 v5, 1.0, v5
	v_sub_f32_e32 v4, v34, v4
	v_add_f32_e32 v20, v4, v5
	v_frexp_mant_f32_e32 v21, v19
	v_cvt_f64_f32_e32 v[4:5], v19
	v_frexp_exp_i32_f64_e32 v4, v[4:5]
	v_cmp_gt_f32_e32 vcc, s43, v21
	v_cmp_gt_f32_e64 s[2:3], s45, v34
	s_nop 0
	v_subbrev_co_u32_e32 v26, vcc, 0, v4, vcc
	v_sub_u32_e32 v4, 0, v26
	v_ldexp_f32 v5, v19, v4
	v_add_f32_e32 v19, -1.0, v5
	v_add_f32_e32 v21, 1.0, v5
	v_ldexp_f32 v4, v20, v4
	v_add_f32_e32 v20, 1.0, v19
	v_add_f32_e32 v22, -1.0, v21
	v_sub_f32_e32 v20, v5, v20
	v_sub_f32_e32 v5, v5, v22
	v_add_f32_e32 v20, v4, v20
	v_add_f32_e32 v4, v4, v5
	;; [unrolled: 1-line block ×3, first 2 shown]
	v_rcp_f32_e32 v29, v27
	v_sub_f32_e32 v5, v21, v27
	v_add_f32_e32 v28, v4, v5
	v_add_f32_e32 v5, v19, v20
	v_sub_f32_e32 v4, v19, v5
	v_mul_f32_e32 v30, v5, v29
	v_add_f32_e32 v19, v20, v4
	v_mul_f32_e32 v20, v27, v30
	v_fma_f32 v22, v30, v27, -v20
	v_fmac_f32_e32 v22, v30, v28
	v_add_f32_e32 v4, v20, v22
	v_sub_f32_e32 v21, v5, v4
	v_pk_add_f32 v[24:25], v[4:5], v[20:21] neg_lo:[0,1] neg_hi:[0,1]
	v_mov_b32_e32 v23, v4
	v_pk_add_f32 v[4:5], v[24:25], v[22:23] neg_lo:[0,1] neg_hi:[0,1]
	v_cmp_eq_f32_e32 vcc, s42, v34
	v_add_f32_e32 v5, v19, v5
	v_add_f32_e32 v4, v4, v5
	;; [unrolled: 1-line block ×3, first 2 shown]
	v_mul_f32_e32 v19, v29, v5
	v_mul_f32_e32 v20, v27, v19
	v_fma_f32 v22, v19, v27, -v20
	v_fmac_f32_e32 v22, v19, v28
	v_sub_f32_e32 v21, v21, v5
	v_add_f32_e32 v27, v4, v21
	v_add_f32_e32 v4, v20, v22
	v_sub_f32_e32 v21, v5, v4
	v_pk_add_f32 v[24:25], v[4:5], v[20:21] neg_lo:[0,1] neg_hi:[0,1]
	v_mov_b32_e32 v23, v4
	v_pk_add_f32 v[4:5], v[24:25], v[22:23] neg_lo:[0,1] neg_hi:[0,1]
	s_or_b64 vcc, s[2:3], vcc
	v_add_f32_e32 v5, v27, v5
	v_add_f32_e32 v4, v4, v5
	;; [unrolled: 1-line block ×4, first 2 shown]
	v_sub_f32_e32 v20, v5, v30
	v_mul_f32_e32 v4, v29, v4
	v_sub_f32_e32 v19, v19, v20
	v_add_f32_e32 v20, v19, v4
	v_add_f32_e32 v22, v5, v20
	v_mul_f32_e32 v23, v22, v22
	v_fmamk_f32 v4, v23, 0x3e9b6dac, v71
	v_fmaak_f32 v19, v23, v4, 0x3f2aaada
	v_cvt_f32_i32_e32 v4, v26
	v_sub_f32_e32 v5, v22, v5
	v_sub_f32_e32 v5, v20, v5
	v_ldexp_f32 v24, v5, 1
	v_mul_f32_e32 v5, v22, v23
	v_ldexp_f32 v21, v22, 1
	v_pk_mul_f32 v[22:23], v[4:5], v[18:19]
	s_nop 0
	v_fma_f32 v20, v4, s44, -v22
	v_fmac_f32_e32 v20, 0xb102e308, v4
	v_pk_add_f32 v[4:5], v[22:23], v[20:21]
	s_nop 0
	v_sub_f32_e32 v19, v5, v21
	v_sub_f32_e32 v19, v23, v19
	v_add_f32_e32 v25, v24, v19
	v_mov_b32_e32 v24, v22
	v_pk_add_f32 v[22:23], v[4:5], v[22:23] neg_lo:[0,1] neg_hi:[0,1]
	v_pk_add_f32 v[26:27], v[4:5], v[24:25]
	v_mov_b32_e32 v21, v4
	v_mov_b32_e32 v23, v27
	v_pk_add_f32 v[28:29], v[20:21], v[22:23] neg_lo:[0,1] neg_hi:[0,1]
	v_pk_add_f32 v[20:21], v[20:21], v[22:23]
	v_mov_b32_e32 v24, v25
	v_mov_b32_e32 v22, v21
	v_pk_add_f32 v[30:31], v[22:23], v[4:5] neg_lo:[0,1] neg_hi:[0,1]
	v_mov_b32_e32 v20, v27
	v_mov_b32_e32 v19, v30
	v_pk_add_f32 v[32:33], v[26:27], v[18:19] neg_lo:[0,1] neg_hi:[0,1]
	v_mov_b32_e32 v26, v5
	v_mov_b32_e32 v27, v30
	;; [unrolled: 1-line block ×3, first 2 shown]
	v_pk_add_f32 v[20:21], v[20:21], v[26:27] neg_lo:[0,1] neg_hi:[0,1]
	v_mov_b32_e32 v25, v4
	v_pk_add_f32 v[4:5], v[24:25], v[20:21] neg_lo:[0,1] neg_hi:[0,1]
	v_mov_b32_e32 v32, v28
	v_pk_add_f32 v[20:21], v[32:33], v[4:5]
	s_nop 0
	v_mov_b32_e32 v24, v21
	v_pk_add_f32 v[24:25], v[20:21], v[24:25]
	s_nop 0
	v_pk_add_f32 v[22:23], v[22:23], v[24:25]
	v_mov_b32_e32 v5, v24
	v_mov_b32_e32 v21, v22
	v_pk_add_f32 v[26:27], v[20:21], v[28:29] neg_lo:[0,1] neg_hi:[0,1]
	s_nop 0
	v_sub_f32_e32 v19, v20, v26
	v_pk_add_f32 v[4:5], v[4:5], v[26:27] neg_lo:[0,1] neg_hi:[0,1]
	v_sub_f32_e32 v19, v28, v19
	v_add_f32_e32 v4, v4, v19
	v_add_f32_e32 v4, v4, v5
	;; [unrolled: 1-line block ×3, first 2 shown]
	v_cndmask_b32_e32 v78, v4, v34, vcc
.LBB77_50:                              ;   in Loop: Header=BB77_12 Depth=1
	s_or_b64 exec, exec, s[36:37]
	v_cvt_f32_f16_e32 v4, v6
	v_add_f32_e32 v79, s33, v4
	v_cmp_ge_f32_e32 vcc, s38, v79
	s_and_b64 s[2:3], s[76:77], vcc
	s_and_saveexec_b64 s[36:37], s[2:3]
	s_cbranch_execz .LBB77_52
; %bb.51:                               ;   in Loop: Header=BB77_12 Depth=1
	v_mul_f32_e32 v4, 0x3fb8aa3b, v79
	v_rndne_f32_e32 v5, v4
	v_sub_f32_e32 v19, v4, v5
	v_fma_f32 v4, v79, s39, -v4
	v_fmac_f32_e32 v4, 0x32a5705f, v79
	v_add_f32_e32 v4, v19, v4
	v_cvt_i32_f32_e32 v5, v5
	v_exp_f32_e32 v4, v4
	v_cmp_ngt_f32_e32 vcc, s40, v79
	v_ldexp_f32 v4, v4, v5
	s_nop 0
	v_cndmask_b32_e32 v4, 0, v4, vcc
	v_cmp_nlt_f32_e32 vcc, s41, v79
	s_nop 1
	v_cndmask_b32_e32 v34, v72, v4, vcc
	v_add_f32_e32 v19, 1.0, v34
	v_add_f32_e32 v4, -1.0, v19
	v_sub_f32_e32 v5, v4, v19
	v_add_f32_e32 v5, 1.0, v5
	v_sub_f32_e32 v4, v34, v4
	v_add_f32_e32 v20, v4, v5
	v_frexp_mant_f32_e32 v21, v19
	v_cvt_f64_f32_e32 v[4:5], v19
	v_frexp_exp_i32_f64_e32 v4, v[4:5]
	v_cmp_gt_f32_e32 vcc, s43, v21
	v_cmp_gt_f32_e64 s[2:3], s45, v34
	s_nop 0
	v_subbrev_co_u32_e32 v26, vcc, 0, v4, vcc
	v_sub_u32_e32 v4, 0, v26
	v_ldexp_f32 v5, v19, v4
	v_add_f32_e32 v19, -1.0, v5
	v_add_f32_e32 v21, 1.0, v5
	v_ldexp_f32 v4, v20, v4
	v_add_f32_e32 v20, 1.0, v19
	v_add_f32_e32 v22, -1.0, v21
	v_sub_f32_e32 v20, v5, v20
	v_sub_f32_e32 v5, v5, v22
	v_add_f32_e32 v20, v4, v20
	v_add_f32_e32 v4, v4, v5
	;; [unrolled: 1-line block ×3, first 2 shown]
	v_rcp_f32_e32 v29, v27
	v_sub_f32_e32 v5, v21, v27
	v_add_f32_e32 v28, v4, v5
	v_add_f32_e32 v5, v19, v20
	v_sub_f32_e32 v4, v19, v5
	v_mul_f32_e32 v30, v5, v29
	v_add_f32_e32 v19, v20, v4
	v_mul_f32_e32 v20, v27, v30
	v_fma_f32 v22, v30, v27, -v20
	v_fmac_f32_e32 v22, v30, v28
	v_add_f32_e32 v4, v20, v22
	v_sub_f32_e32 v21, v5, v4
	v_pk_add_f32 v[24:25], v[4:5], v[20:21] neg_lo:[0,1] neg_hi:[0,1]
	v_mov_b32_e32 v23, v4
	v_pk_add_f32 v[4:5], v[24:25], v[22:23] neg_lo:[0,1] neg_hi:[0,1]
	v_cmp_eq_f32_e32 vcc, s42, v34
	v_add_f32_e32 v5, v19, v5
	v_add_f32_e32 v4, v4, v5
	;; [unrolled: 1-line block ×3, first 2 shown]
	v_mul_f32_e32 v19, v29, v5
	v_mul_f32_e32 v20, v27, v19
	v_fma_f32 v22, v19, v27, -v20
	v_fmac_f32_e32 v22, v19, v28
	v_sub_f32_e32 v21, v21, v5
	v_add_f32_e32 v27, v4, v21
	v_add_f32_e32 v4, v20, v22
	v_sub_f32_e32 v21, v5, v4
	v_pk_add_f32 v[24:25], v[4:5], v[20:21] neg_lo:[0,1] neg_hi:[0,1]
	v_mov_b32_e32 v23, v4
	v_pk_add_f32 v[4:5], v[24:25], v[22:23] neg_lo:[0,1] neg_hi:[0,1]
	s_or_b64 vcc, s[2:3], vcc
	v_add_f32_e32 v5, v27, v5
	v_add_f32_e32 v4, v4, v5
	;; [unrolled: 1-line block ×4, first 2 shown]
	v_sub_f32_e32 v20, v5, v30
	v_mul_f32_e32 v4, v29, v4
	v_sub_f32_e32 v19, v19, v20
	v_add_f32_e32 v20, v19, v4
	v_add_f32_e32 v22, v5, v20
	v_mul_f32_e32 v23, v22, v22
	v_fmamk_f32 v4, v23, 0x3e9b6dac, v71
	v_fmaak_f32 v19, v23, v4, 0x3f2aaada
	v_cvt_f32_i32_e32 v4, v26
	v_sub_f32_e32 v5, v22, v5
	v_sub_f32_e32 v5, v20, v5
	v_ldexp_f32 v24, v5, 1
	v_mul_f32_e32 v5, v22, v23
	v_ldexp_f32 v21, v22, 1
	v_pk_mul_f32 v[22:23], v[4:5], v[18:19]
	s_nop 0
	v_fma_f32 v20, v4, s44, -v22
	v_fmac_f32_e32 v20, 0xb102e308, v4
	v_pk_add_f32 v[4:5], v[22:23], v[20:21]
	s_nop 0
	v_sub_f32_e32 v19, v5, v21
	v_sub_f32_e32 v19, v23, v19
	v_add_f32_e32 v25, v24, v19
	v_mov_b32_e32 v24, v22
	v_pk_add_f32 v[22:23], v[4:5], v[22:23] neg_lo:[0,1] neg_hi:[0,1]
	v_pk_add_f32 v[26:27], v[4:5], v[24:25]
	v_mov_b32_e32 v21, v4
	v_mov_b32_e32 v23, v27
	v_pk_add_f32 v[28:29], v[20:21], v[22:23] neg_lo:[0,1] neg_hi:[0,1]
	v_pk_add_f32 v[20:21], v[20:21], v[22:23]
	v_mov_b32_e32 v24, v25
	v_mov_b32_e32 v22, v21
	v_pk_add_f32 v[30:31], v[22:23], v[4:5] neg_lo:[0,1] neg_hi:[0,1]
	v_mov_b32_e32 v20, v27
	v_mov_b32_e32 v19, v30
	v_pk_add_f32 v[32:33], v[26:27], v[18:19] neg_lo:[0,1] neg_hi:[0,1]
	v_mov_b32_e32 v26, v5
	v_mov_b32_e32 v27, v30
	;; [unrolled: 1-line block ×3, first 2 shown]
	v_pk_add_f32 v[20:21], v[20:21], v[26:27] neg_lo:[0,1] neg_hi:[0,1]
	v_mov_b32_e32 v25, v4
	v_pk_add_f32 v[4:5], v[24:25], v[20:21] neg_lo:[0,1] neg_hi:[0,1]
	v_mov_b32_e32 v32, v28
	v_pk_add_f32 v[20:21], v[32:33], v[4:5]
	s_nop 0
	v_mov_b32_e32 v24, v21
	v_pk_add_f32 v[24:25], v[20:21], v[24:25]
	s_nop 0
	v_pk_add_f32 v[22:23], v[22:23], v[24:25]
	v_mov_b32_e32 v5, v24
	v_mov_b32_e32 v21, v22
	v_pk_add_f32 v[26:27], v[20:21], v[28:29] neg_lo:[0,1] neg_hi:[0,1]
	s_nop 0
	v_sub_f32_e32 v19, v20, v26
	v_pk_add_f32 v[4:5], v[4:5], v[26:27] neg_lo:[0,1] neg_hi:[0,1]
	v_sub_f32_e32 v19, v28, v19
	v_add_f32_e32 v4, v4, v19
	v_add_f32_e32 v4, v4, v5
	;; [unrolled: 1-line block ×3, first 2 shown]
	v_cndmask_b32_e32 v79, v4, v34, vcc
.LBB77_52:                              ;   in Loop: Header=BB77_12 Depth=1
	s_or_b64 exec, exec, s[36:37]
	v_cvt_f32_f16_sdwa v4, v6 dst_sel:DWORD dst_unused:UNUSED_PAD src0_sel:WORD_1
	v_add_f32_e32 v80, s33, v4
	v_cmp_ge_f32_e32 vcc, s38, v80
	s_and_b64 s[2:3], s[76:77], vcc
	s_and_saveexec_b64 s[36:37], s[2:3]
	s_cbranch_execz .LBB77_54
; %bb.53:                               ;   in Loop: Header=BB77_12 Depth=1
	v_mul_f32_e32 v4, 0x3fb8aa3b, v80
	v_rndne_f32_e32 v5, v4
	v_sub_f32_e32 v6, v4, v5
	v_fma_f32 v4, v80, s39, -v4
	v_fmac_f32_e32 v4, 0x32a5705f, v80
	v_add_f32_e32 v4, v6, v4
	v_cvt_i32_f32_e32 v5, v5
	v_exp_f32_e32 v4, v4
	v_cmp_ngt_f32_e32 vcc, s40, v80
	v_ldexp_f32 v4, v4, v5
	s_nop 0
	v_cndmask_b32_e32 v4, 0, v4, vcc
	v_cmp_nlt_f32_e32 vcc, s41, v80
	s_nop 1
	v_cndmask_b32_e32 v32, v72, v4, vcc
	v_add_f32_e32 v6, 1.0, v32
	v_add_f32_e32 v4, -1.0, v6
	v_sub_f32_e32 v5, v4, v6
	v_add_f32_e32 v5, 1.0, v5
	v_sub_f32_e32 v4, v32, v4
	v_add_f32_e32 v19, v4, v5
	v_frexp_mant_f32_e32 v20, v6
	v_cvt_f64_f32_e32 v[4:5], v6
	v_frexp_exp_i32_f64_e32 v4, v[4:5]
	v_cmp_gt_f32_e32 vcc, s43, v20
	v_cmp_gt_f32_e64 s[2:3], s45, v32
	s_nop 0
	v_subbrev_co_u32_e32 v26, vcc, 0, v4, vcc
	v_sub_u32_e32 v4, 0, v26
	v_ldexp_f32 v5, v6, v4
	v_add_f32_e32 v6, -1.0, v5
	v_add_f32_e32 v20, 1.0, v5
	v_ldexp_f32 v4, v19, v4
	v_add_f32_e32 v19, 1.0, v6
	v_add_f32_e32 v21, -1.0, v20
	v_sub_f32_e32 v19, v5, v19
	v_sub_f32_e32 v5, v5, v21
	v_add_f32_e32 v19, v4, v19
	v_add_f32_e32 v4, v4, v5
	;; [unrolled: 1-line block ×3, first 2 shown]
	v_rcp_f32_e32 v29, v27
	v_sub_f32_e32 v5, v20, v27
	v_add_f32_e32 v28, v4, v5
	v_add_f32_e32 v5, v6, v19
	v_sub_f32_e32 v4, v6, v5
	v_add_f32_e32 v6, v19, v4
	v_mul_f32_e32 v19, v5, v29
	v_mul_f32_e32 v20, v27, v19
	v_fma_f32 v22, v19, v27, -v20
	v_fmac_f32_e32 v22, v19, v28
	v_add_f32_e32 v4, v20, v22
	v_sub_f32_e32 v21, v5, v4
	v_pk_add_f32 v[24:25], v[4:5], v[20:21] neg_lo:[0,1] neg_hi:[0,1]
	v_mov_b32_e32 v23, v4
	v_pk_add_f32 v[4:5], v[24:25], v[22:23] neg_lo:[0,1] neg_hi:[0,1]
	v_cmp_eq_f32_e32 vcc, s42, v32
	v_add_f32_e32 v5, v6, v5
	v_add_f32_e32 v4, v4, v5
	;; [unrolled: 1-line block ×3, first 2 shown]
	v_mul_f32_e32 v6, v29, v5
	v_mul_f32_e32 v20, v27, v6
	v_fma_f32 v22, v6, v27, -v20
	v_fmac_f32_e32 v22, v6, v28
	v_sub_f32_e32 v21, v21, v5
	v_add_f32_e32 v27, v4, v21
	v_add_f32_e32 v4, v20, v22
	v_sub_f32_e32 v21, v5, v4
	v_pk_add_f32 v[24:25], v[4:5], v[20:21] neg_lo:[0,1] neg_hi:[0,1]
	v_mov_b32_e32 v23, v4
	v_pk_add_f32 v[4:5], v[24:25], v[22:23] neg_lo:[0,1] neg_hi:[0,1]
	s_or_b64 vcc, s[2:3], vcc
	v_add_f32_e32 v5, v27, v5
	v_add_f32_e32 v4, v4, v5
	v_add_f32_e32 v5, v19, v6
	v_add_f32_e32 v4, v21, v4
	v_sub_f32_e32 v19, v5, v19
	v_mul_f32_e32 v4, v29, v4
	v_sub_f32_e32 v6, v6, v19
	v_add_f32_e32 v6, v6, v4
	v_add_f32_e32 v20, v5, v6
	v_mul_f32_e32 v22, v20, v20
	v_fmamk_f32 v4, v22, 0x3e9b6dac, v71
	v_fmaak_f32 v19, v22, v4, 0x3f2aaada
	v_cvt_f32_i32_e32 v4, v26
	v_sub_f32_e32 v5, v20, v5
	v_sub_f32_e32 v5, v6, v5
	v_ldexp_f32 v6, v5, 1
	v_mul_f32_e32 v5, v20, v22
	v_pk_mul_f32 v[22:23], v[4:5], v[18:19]
	v_ldexp_f32 v21, v20, 1
	v_fma_f32 v20, v4, s44, -v22
	v_fmac_f32_e32 v20, 0xb102e308, v4
	v_pk_add_f32 v[4:5], v[22:23], v[20:21]
	v_mov_b32_e32 v24, v22
	v_sub_f32_e32 v19, v5, v21
	v_sub_f32_e32 v19, v23, v19
	v_add_f32_e32 v25, v6, v19
	v_pk_add_f32 v[22:23], v[4:5], v[22:23] neg_lo:[0,1] neg_hi:[0,1]
	v_pk_add_f32 v[26:27], v[4:5], v[24:25]
	v_mov_b32_e32 v21, v4
	v_mov_b32_e32 v23, v27
	v_pk_add_f32 v[28:29], v[20:21], v[22:23] neg_lo:[0,1] neg_hi:[0,1]
	v_pk_add_f32 v[20:21], v[20:21], v[22:23]
	s_nop 0
	v_mov_b32_e32 v6, v21
	v_pk_add_f32 v[22:23], v[6:7], v[4:5] neg_lo:[0,1] neg_hi:[0,1]
	v_mov_b32_e32 v20, v27
	v_mov_b32_e32 v19, v22
	v_pk_add_f32 v[30:31], v[26:27], v[18:19] neg_lo:[0,1] neg_hi:[0,1]
	v_mov_b32_e32 v26, v5
	v_mov_b32_e32 v27, v22
	;; [unrolled: 1-line block ×3, first 2 shown]
	v_pk_add_f32 v[20:21], v[20:21], v[26:27] neg_lo:[0,1] neg_hi:[0,1]
	v_mov_b32_e32 v22, v25
	v_mov_b32_e32 v23, v4
	v_pk_add_f32 v[4:5], v[22:23], v[20:21] neg_lo:[0,1] neg_hi:[0,1]
	v_mov_b32_e32 v30, v28
	v_pk_add_f32 v[20:21], v[30:31], v[4:5]
	s_nop 0
	v_mov_b32_e32 v22, v21
	v_pk_add_f32 v[22:23], v[20:21], v[22:23]
	s_nop 0
	v_pk_add_f32 v[24:25], v[6:7], v[22:23]
	v_mov_b32_e32 v5, v22
	v_mov_b32_e32 v21, v24
	v_pk_add_f32 v[26:27], v[20:21], v[28:29] neg_lo:[0,1] neg_hi:[0,1]
	s_nop 0
	v_sub_f32_e32 v6, v20, v26
	v_pk_add_f32 v[4:5], v[4:5], v[26:27] neg_lo:[0,1] neg_hi:[0,1]
	v_sub_f32_e32 v6, v28, v6
	v_add_f32_e32 v4, v4, v6
	v_add_f32_e32 v4, v4, v5
	;; [unrolled: 1-line block ×3, first 2 shown]
	v_cndmask_b32_e32 v80, v4, v32, vcc
.LBB77_54:                              ;   in Loop: Header=BB77_12 Depth=1
	s_or_b64 exec, exec, s[36:37]
	v_cvt_f32_f16_e32 v4, v7
	v_add_f32_e32 v81, s33, v4
	v_cmp_ge_f32_e32 vcc, s38, v81
	s_and_b64 s[2:3], s[76:77], vcc
	s_and_saveexec_b64 s[36:37], s[2:3]
	s_cbranch_execz .LBB77_56
; %bb.55:                               ;   in Loop: Header=BB77_12 Depth=1
	v_mul_f32_e32 v4, 0x3fb8aa3b, v81
	v_rndne_f32_e32 v5, v4
	v_sub_f32_e32 v6, v4, v5
	v_fma_f32 v4, v81, s39, -v4
	v_fmac_f32_e32 v4, 0x32a5705f, v81
	v_add_f32_e32 v4, v6, v4
	v_cvt_i32_f32_e32 v5, v5
	v_exp_f32_e32 v4, v4
	v_cmp_ngt_f32_e32 vcc, s40, v81
	v_ldexp_f32 v4, v4, v5
	s_nop 0
	v_cndmask_b32_e32 v4, 0, v4, vcc
	v_cmp_nlt_f32_e32 vcc, s41, v81
	s_nop 1
	v_cndmask_b32_e32 v32, v72, v4, vcc
	v_add_f32_e32 v6, 1.0, v32
	v_add_f32_e32 v4, -1.0, v6
	v_sub_f32_e32 v5, v4, v6
	v_add_f32_e32 v5, 1.0, v5
	v_sub_f32_e32 v4, v32, v4
	v_add_f32_e32 v19, v4, v5
	v_frexp_mant_f32_e32 v20, v6
	v_cvt_f64_f32_e32 v[4:5], v6
	v_frexp_exp_i32_f64_e32 v4, v[4:5]
	v_cmp_gt_f32_e32 vcc, s43, v20
	v_cmp_gt_f32_e64 s[2:3], s45, v32
	s_nop 0
	v_subbrev_co_u32_e32 v26, vcc, 0, v4, vcc
	v_sub_u32_e32 v4, 0, v26
	v_ldexp_f32 v5, v6, v4
	v_add_f32_e32 v6, -1.0, v5
	v_add_f32_e32 v20, 1.0, v5
	v_ldexp_f32 v4, v19, v4
	v_add_f32_e32 v19, 1.0, v6
	v_add_f32_e32 v21, -1.0, v20
	v_sub_f32_e32 v19, v5, v19
	v_sub_f32_e32 v5, v5, v21
	v_add_f32_e32 v19, v4, v19
	v_add_f32_e32 v4, v4, v5
	;; [unrolled: 1-line block ×3, first 2 shown]
	v_rcp_f32_e32 v29, v27
	v_sub_f32_e32 v5, v20, v27
	v_add_f32_e32 v28, v4, v5
	v_add_f32_e32 v5, v6, v19
	v_sub_f32_e32 v4, v6, v5
	v_add_f32_e32 v6, v19, v4
	v_mul_f32_e32 v19, v5, v29
	v_mul_f32_e32 v20, v27, v19
	v_fma_f32 v22, v19, v27, -v20
	v_fmac_f32_e32 v22, v19, v28
	v_add_f32_e32 v4, v20, v22
	v_sub_f32_e32 v21, v5, v4
	v_pk_add_f32 v[24:25], v[4:5], v[20:21] neg_lo:[0,1] neg_hi:[0,1]
	v_mov_b32_e32 v23, v4
	v_pk_add_f32 v[4:5], v[24:25], v[22:23] neg_lo:[0,1] neg_hi:[0,1]
	v_cmp_eq_f32_e32 vcc, s42, v32
	v_add_f32_e32 v5, v6, v5
	v_add_f32_e32 v4, v4, v5
	;; [unrolled: 1-line block ×3, first 2 shown]
	v_mul_f32_e32 v6, v29, v5
	v_mul_f32_e32 v20, v27, v6
	v_fma_f32 v22, v6, v27, -v20
	v_fmac_f32_e32 v22, v6, v28
	v_sub_f32_e32 v21, v21, v5
	v_add_f32_e32 v27, v4, v21
	v_add_f32_e32 v4, v20, v22
	v_sub_f32_e32 v21, v5, v4
	v_pk_add_f32 v[24:25], v[4:5], v[20:21] neg_lo:[0,1] neg_hi:[0,1]
	v_mov_b32_e32 v23, v4
	v_pk_add_f32 v[4:5], v[24:25], v[22:23] neg_lo:[0,1] neg_hi:[0,1]
	s_or_b64 vcc, s[2:3], vcc
	v_add_f32_e32 v5, v27, v5
	v_add_f32_e32 v4, v4, v5
	;; [unrolled: 1-line block ×4, first 2 shown]
	v_sub_f32_e32 v19, v5, v19
	v_mul_f32_e32 v4, v29, v4
	v_sub_f32_e32 v6, v6, v19
	v_add_f32_e32 v6, v6, v4
	v_add_f32_e32 v20, v5, v6
	v_mul_f32_e32 v22, v20, v20
	v_fmamk_f32 v4, v22, 0x3e9b6dac, v71
	v_fmaak_f32 v19, v22, v4, 0x3f2aaada
	v_cvt_f32_i32_e32 v4, v26
	v_sub_f32_e32 v5, v20, v5
	v_sub_f32_e32 v5, v6, v5
	v_ldexp_f32 v6, v5, 1
	v_mul_f32_e32 v5, v20, v22
	v_pk_mul_f32 v[22:23], v[4:5], v[18:19]
	v_ldexp_f32 v21, v20, 1
	v_fma_f32 v20, v4, s44, -v22
	v_fmac_f32_e32 v20, 0xb102e308, v4
	v_pk_add_f32 v[4:5], v[22:23], v[20:21]
	v_mov_b32_e32 v24, v22
	v_sub_f32_e32 v19, v5, v21
	v_sub_f32_e32 v19, v23, v19
	v_add_f32_e32 v25, v6, v19
	v_pk_add_f32 v[22:23], v[4:5], v[22:23] neg_lo:[0,1] neg_hi:[0,1]
	v_pk_add_f32 v[26:27], v[4:5], v[24:25]
	v_mov_b32_e32 v21, v4
	v_mov_b32_e32 v23, v27
	v_pk_add_f32 v[28:29], v[20:21], v[22:23] neg_lo:[0,1] neg_hi:[0,1]
	v_pk_add_f32 v[20:21], v[20:21], v[22:23]
	s_nop 0
	v_mov_b32_e32 v6, v21
	v_pk_add_f32 v[22:23], v[6:7], v[4:5] neg_lo:[0,1] neg_hi:[0,1]
	v_mov_b32_e32 v20, v27
	v_mov_b32_e32 v19, v22
	v_pk_add_f32 v[30:31], v[26:27], v[18:19] neg_lo:[0,1] neg_hi:[0,1]
	v_mov_b32_e32 v26, v5
	v_mov_b32_e32 v27, v22
	;; [unrolled: 1-line block ×3, first 2 shown]
	v_pk_add_f32 v[20:21], v[20:21], v[26:27] neg_lo:[0,1] neg_hi:[0,1]
	v_mov_b32_e32 v22, v25
	v_mov_b32_e32 v23, v4
	v_pk_add_f32 v[4:5], v[22:23], v[20:21] neg_lo:[0,1] neg_hi:[0,1]
	v_mov_b32_e32 v30, v28
	v_pk_add_f32 v[20:21], v[30:31], v[4:5]
	s_nop 0
	v_mov_b32_e32 v22, v21
	v_pk_add_f32 v[22:23], v[20:21], v[22:23]
	s_nop 0
	v_pk_add_f32 v[24:25], v[6:7], v[22:23]
	v_mov_b32_e32 v5, v22
	v_mov_b32_e32 v21, v24
	v_pk_add_f32 v[26:27], v[20:21], v[28:29] neg_lo:[0,1] neg_hi:[0,1]
	s_nop 0
	v_sub_f32_e32 v6, v20, v26
	v_pk_add_f32 v[4:5], v[4:5], v[26:27] neg_lo:[0,1] neg_hi:[0,1]
	v_sub_f32_e32 v6, v28, v6
	v_add_f32_e32 v4, v4, v6
	v_add_f32_e32 v4, v4, v5
	;; [unrolled: 1-line block ×3, first 2 shown]
	v_cndmask_b32_e32 v81, v4, v32, vcc
.LBB77_56:                              ;   in Loop: Header=BB77_12 Depth=1
	s_or_b64 exec, exec, s[36:37]
	v_cvt_f32_f16_sdwa v4, v7 dst_sel:DWORD dst_unused:UNUSED_PAD src0_sel:WORD_1
	v_add_f32_e32 v19, s33, v4
	v_cmp_ge_f32_e32 vcc, s38, v19
	s_and_b64 s[2:3], s[76:77], vcc
	s_and_saveexec_b64 s[36:37], s[2:3]
	s_cbranch_execz .LBB77_58
; %bb.57:                               ;   in Loop: Header=BB77_12 Depth=1
	v_mul_f32_e32 v4, 0x3fb8aa3b, v19
	v_rndne_f32_e32 v5, v4
	v_sub_f32_e32 v6, v4, v5
	v_fma_f32 v4, v19, s39, -v4
	v_fmac_f32_e32 v4, 0x32a5705f, v19
	v_add_f32_e32 v4, v6, v4
	v_cvt_i32_f32_e32 v5, v5
	v_exp_f32_e32 v4, v4
	v_cmp_ngt_f32_e32 vcc, s40, v19
	v_ldexp_f32 v4, v4, v5
	s_nop 0
	v_cndmask_b32_e32 v4, 0, v4, vcc
	v_cmp_nlt_f32_e32 vcc, s41, v19
	s_nop 1
	v_cndmask_b32_e32 v32, v72, v4, vcc
	v_add_f32_e32 v6, 1.0, v32
	v_add_f32_e32 v4, -1.0, v6
	v_sub_f32_e32 v5, v4, v6
	v_add_f32_e32 v5, 1.0, v5
	v_sub_f32_e32 v4, v32, v4
	v_add_f32_e32 v7, v4, v5
	v_frexp_mant_f32_e32 v19, v6
	v_cvt_f64_f32_e32 v[4:5], v6
	v_frexp_exp_i32_f64_e32 v4, v[4:5]
	v_cmp_gt_f32_e32 vcc, s43, v19
	v_cmp_gt_f32_e64 s[2:3], s45, v32
	s_nop 0
	v_subbrev_co_u32_e32 v24, vcc, 0, v4, vcc
	v_sub_u32_e32 v4, 0, v24
	v_ldexp_f32 v5, v6, v4
	v_add_f32_e32 v6, -1.0, v5
	v_add_f32_e32 v19, 1.0, v5
	v_ldexp_f32 v4, v7, v4
	v_add_f32_e32 v7, 1.0, v6
	v_add_f32_e32 v20, -1.0, v19
	v_sub_f32_e32 v7, v5, v7
	v_sub_f32_e32 v5, v5, v20
	v_add_f32_e32 v7, v4, v7
	v_add_f32_e32 v4, v4, v5
	;; [unrolled: 1-line block ×3, first 2 shown]
	v_rcp_f32_e32 v26, v25
	v_sub_f32_e32 v5, v19, v25
	v_add_f32_e32 v19, v4, v5
	v_add_f32_e32 v5, v6, v7
	v_mul_f32_e32 v28, v5, v26
	v_sub_f32_e32 v4, v6, v5
	v_mul_f32_e32 v6, v25, v28
	v_fma_f32 v20, v28, v25, -v6
	v_fmac_f32_e32 v20, v28, v19
	v_add_f32_e32 v27, v7, v4
	v_add_f32_e32 v4, v6, v20
	v_sub_f32_e32 v7, v5, v4
	v_pk_add_f32 v[22:23], v[4:5], v[6:7] neg_lo:[0,1] neg_hi:[0,1]
	v_mov_b32_e32 v21, v4
	v_pk_add_f32 v[4:5], v[22:23], v[20:21] neg_lo:[0,1] neg_hi:[0,1]
	v_cmp_eq_f32_e32 vcc, s42, v32
	v_add_f32_e32 v5, v27, v5
	v_add_f32_e32 v4, v4, v5
	;; [unrolled: 1-line block ×3, first 2 shown]
	v_mul_f32_e32 v27, v26, v5
	v_mul_f32_e32 v6, v25, v27
	v_fma_f32 v20, v27, v25, -v6
	v_fmac_f32_e32 v20, v27, v19
	v_sub_f32_e32 v7, v7, v5
	v_add_f32_e32 v19, v4, v7
	v_add_f32_e32 v4, v6, v20
	v_sub_f32_e32 v7, v5, v4
	v_pk_add_f32 v[22:23], v[4:5], v[6:7] neg_lo:[0,1] neg_hi:[0,1]
	v_mov_b32_e32 v21, v4
	v_pk_add_f32 v[4:5], v[22:23], v[20:21] neg_lo:[0,1] neg_hi:[0,1]
	s_or_b64 vcc, s[2:3], vcc
	v_add_f32_e32 v5, v19, v5
	v_add_f32_e32 v4, v4, v5
	;; [unrolled: 1-line block ×4, first 2 shown]
	v_sub_f32_e32 v6, v5, v28
	v_mul_f32_e32 v4, v26, v4
	v_sub_f32_e32 v6, v27, v6
	v_add_f32_e32 v6, v6, v4
	v_add_f32_e32 v20, v5, v6
	v_mul_f32_e32 v21, v20, v20
	v_fmamk_f32 v4, v21, 0x3e9b6dac, v71
	v_fmaak_f32 v19, v21, v4, 0x3f2aaada
	v_cvt_f32_i32_e32 v4, v24
	v_sub_f32_e32 v5, v20, v5
	v_sub_f32_e32 v5, v6, v5
	v_ldexp_f32 v22, v5, 1
	v_mul_f32_e32 v5, v20, v21
	v_ldexp_f32 v7, v20, 1
	v_pk_mul_f32 v[20:21], v[4:5], v[18:19]
	s_nop 0
	v_fma_f32 v6, v4, s44, -v20
	v_fmac_f32_e32 v6, 0xb102e308, v4
	v_pk_add_f32 v[4:5], v[20:21], v[6:7]
	s_nop 0
	v_sub_f32_e32 v7, v5, v7
	v_sub_f32_e32 v7, v21, v7
	v_add_f32_e32 v23, v22, v7
	v_mov_b32_e32 v22, v20
	v_pk_add_f32 v[20:21], v[4:5], v[20:21] neg_lo:[0,1] neg_hi:[0,1]
	v_pk_add_f32 v[24:25], v[4:5], v[22:23]
	v_mov_b32_e32 v7, v4
	v_mov_b32_e32 v21, v25
	v_pk_add_f32 v[26:27], v[6:7], v[20:21] neg_lo:[0,1] neg_hi:[0,1]
	v_pk_add_f32 v[6:7], v[6:7], v[20:21]
	v_mov_b32_e32 v22, v23
	v_mov_b32_e32 v20, v7
	v_pk_add_f32 v[28:29], v[20:21], v[4:5] neg_lo:[0,1] neg_hi:[0,1]
	v_mov_b32_e32 v6, v25
	v_mov_b32_e32 v19, v28
	v_pk_add_f32 v[30:31], v[24:25], v[18:19] neg_lo:[0,1] neg_hi:[0,1]
	v_mov_b32_e32 v24, v5
	v_mov_b32_e32 v25, v28
	;; [unrolled: 1-line block ×3, first 2 shown]
	v_pk_add_f32 v[6:7], v[6:7], v[24:25] neg_lo:[0,1] neg_hi:[0,1]
	v_mov_b32_e32 v23, v4
	v_pk_add_f32 v[4:5], v[22:23], v[6:7] neg_lo:[0,1] neg_hi:[0,1]
	v_mov_b32_e32 v30, v26
	v_pk_add_f32 v[6:7], v[30:31], v[4:5]
	s_nop 0
	v_mov_b32_e32 v22, v7
	v_pk_add_f32 v[22:23], v[6:7], v[22:23]
	s_nop 0
	v_pk_add_f32 v[20:21], v[20:21], v[22:23]
	v_mov_b32_e32 v5, v22
	v_mov_b32_e32 v7, v20
	v_pk_add_f32 v[24:25], v[6:7], v[26:27] neg_lo:[0,1] neg_hi:[0,1]
	s_nop 0
	v_sub_f32_e32 v6, v6, v24
	v_pk_add_f32 v[4:5], v[4:5], v[24:25] neg_lo:[0,1] neg_hi:[0,1]
	v_sub_f32_e32 v6, v26, v6
	v_add_f32_e32 v4, v4, v6
	v_add_f32_e32 v4, v4, v5
	;; [unrolled: 1-line block ×3, first 2 shown]
	v_cndmask_b32_e32 v19, v4, v32, vcc
.LBB77_58:                              ;   in Loop: Header=BB77_12 Depth=1
	s_or_b64 exec, exec, s[36:37]
	v_cvt_f32_f16_e32 v4, v3
	v_cvt_f32_f16_sdwa v5, v2 dst_sel:DWORD dst_unused:UNUSED_PAD src0_sel:WORD_1
	v_cvt_f32_f16_e32 v2, v2
	v_cvt_f32_f16_sdwa v7, v3 dst_sel:DWORD dst_unused:UNUSED_PAD src0_sel:WORD_1
	v_cvt_f32_f16_sdwa v3, v1 dst_sel:DWORD dst_unused:UNUSED_PAD src0_sel:WORD_1
	v_cvt_f32_f16_e32 v1, v1
	v_cvt_f32_f16_sdwa v6, v0 dst_sel:DWORD dst_unused:UNUSED_PAD src0_sel:WORD_1
	v_cvt_f32_f16_e32 v0, v0
	v_readlane_b32 s2, v95, 0
	v_readlane_b32 s3, v95, 1
	v_mul_f32_e32 v22, s94, v4
	v_mul_f32_e32 v21, s94, v5
	;; [unrolled: 1-line block ×8, first 2 shown]
	s_and_b64 vcc, exec, s[2:3]
	s_waitcnt lgkmcnt(0)
	; wave barrier
	s_cbranch_vccz .LBB77_119
; %bb.59:                               ;   in Loop: Header=BB77_12 Depth=1
	s_cmp_lg_u32 s98, 0
	v_readlane_b32 s36, v95, 5
	v_mul_f32_e32 v89, v75, v0
	s_cselect_b64 s[2:3], -1, 0
	s_cmp_eq_u32 s98, s36
	v_cmp_gt_u32_e32 vcc, s50, v11
	v_or_b32_e32 v0, 1, v11
	s_cselect_b64 s[82:83], -1, 0
	s_or_b64 s[36:37], s[80:81], vcc
	v_cmp_gt_u32_e32 vcc, s50, v0
	v_or_b32_e32 v0, 2, v11
	s_or_b64 s[38:39], s[80:81], vcc
	v_cmp_gt_u32_e32 vcc, s50, v0
	v_or_b32_e32 v0, 3, v11
	s_or_b64 s[40:41], s[80:81], vcc
	v_cmp_gt_u32_e32 vcc, s50, v0
	v_or_b32_e32 v0, 4, v11
	s_or_b64 s[42:43], s[80:81], vcc
	v_cmp_gt_u32_e32 vcc, s50, v0
	v_or_b32_e32 v0, 5, v11
	s_or_b64 s[44:45], s[80:81], vcc
	v_cmp_gt_u32_e32 vcc, s50, v0
	v_or_b32_e32 v0, 6, v11
	s_or_b64 s[46:47], s[80:81], vcc
	v_cmp_gt_u32_e32 vcc, s50, v0
	v_readlane_b32 s90, v95, 2
	s_mov_b32 s74, 0
	s_or_b64 s[48:49], s[80:81], vcc
	v_cmp_gt_u32_e32 vcc, s50, v70
	v_readlane_b32 s91, v95, 3
	v_mul_f32_e32 v82, v19, v7
	v_lshl_add_u64 v[28:29], s[58:59], 0, v[8:9]
	v_lshl_add_u64 v[30:31], s[62:63], 0, v[8:9]
	v_mul_f32_e32 v83, v81, v4
	v_mul_f32_e32 v84, v80, v5
	;; [unrolled: 1-line block ×6, first 2 shown]
	s_or_b64 s[50:51], s[80:81], vcc
	s_mov_b32 s84, s74
	s_mov_b32 s86, s74
	s_mov_b32 s88, s74
	s_mov_b32 s71, s91
	v_readlane_b32 s99, v95, 6
	s_branch .LBB77_61
.LBB77_60:                              ;   in Loop: Header=BB77_61 Depth=2
	s_or_b64 exec, exec, s[90:91]
	v_mul_f32_e32 v32, v90, v67
	v_fma_f32 v33, v90, v68, v4
	v_cndmask_b32_e64 v4, v33, v4, s[16:17]
	v_cndmask_b32_e64 v32, v32, v90, s[16:17]
	s_waitcnt lgkmcnt(0)
	v_fmac_f32_e32 v4, v38, v32
	v_fmac_f32_e32 v5, v4, v91
	v_fmac_f32_e32 v34, v5, v92
	v_fmac_f32_e32 v35, v34, v93
	v_fmac_f32_e32 v6, v35, v94
	v_fmac_f32_e32 v7, v6, v64
	v_fmac_f32_e32 v36, v7, v65
	v_cvt_f32_f16_sdwa v33, v0 dst_sel:DWORD dst_unused:UNUSED_PAD src0_sel:WORD_1
	v_cvt_f32_f16_sdwa v39, v1 dst_sel:DWORD dst_unused:UNUSED_PAD src0_sel:WORD_1
	v_cvt_f32_f16_e32 v32, v0
	v_cvt_f32_f16_e32 v38, v1
	v_cvt_f32_f16_sdwa v1, v2 dst_sel:DWORD dst_unused:UNUSED_PAD src0_sel:WORD_1
	v_cvt_f32_f16_sdwa v65, v3 dst_sel:DWORD dst_unused:UNUSED_PAD src0_sel:WORD_1
	v_cvt_f32_f16_e32 v64, v3
	v_cvt_f32_f16_e32 v0, v2
	v_fmac_f32_e32 v37, v36, v66
	s_add_i32 s99, s99, 8
	s_add_i32 s71, s71, -1
	s_add_i32 s88, s88, s95
	s_add_i32 s86, s86, s64
	;; [unrolled: 1-line block ×4, first 2 shown]
	v_pk_fma_f32 v[26:27], v[34:35], v[38:39], v[26:27]
	v_pk_fma_f32 v[24:25], v[4:5], v[32:33], v[24:25]
	v_pk_fma_f32 v[22:23], v[36:37], v[64:65], v[22:23]
	s_cmp_eq_u32 s71, 0
	v_pk_fma_f32 v[20:21], v[6:7], v[0:1], v[20:21]
	s_cbranch_scc1 .LBB77_118
.LBB77_61:                              ;   Parent Loop BB77_12 Depth=1
                                        ; =>  This Inner Loop Header: Depth=2
	s_lshl_b64 s[90:91], s[74:75], 2
	s_add_u32 s90, s56, s90
	s_addc_u32 s91, s96, s91
	global_load_dword v34, v9, s[90:91]
	s_mov_b32 s85, s75
	v_lshl_add_u64 v[0:1], s[84:85], 1, v[28:29]
	v_mov_b32_e32 v2, 0
	v_mov_b32_e32 v3, 0
	s_and_saveexec_b64 s[90:91], s[18:19]
	s_cbranch_execnz .LBB77_81
; %bb.62:                               ;   in Loop: Header=BB77_61 Depth=2
	s_or_b64 exec, exec, s[90:91]
	s_and_saveexec_b64 s[90:91], s[20:21]
	s_cbranch_execnz .LBB77_82
.LBB77_63:                              ;   in Loop: Header=BB77_61 Depth=2
	s_or_b64 exec, exec, s[90:91]
	v_mov_b32_e32 v4, 0
	s_and_saveexec_b64 s[90:91], s[22:23]
	s_cbranch_execnz .LBB77_83
.LBB77_64:                              ;   in Loop: Header=BB77_61 Depth=2
	s_or_b64 exec, exec, s[90:91]
	s_and_saveexec_b64 s[90:91], s[24:25]
	s_cbranch_execnz .LBB77_84
.LBB77_65:                              ;   in Loop: Header=BB77_61 Depth=2
	s_or_b64 exec, exec, s[90:91]
	v_mov_b32_e32 v5, 0
	s_and_saveexec_b64 s[90:91], s[26:27]
	s_cbranch_execnz .LBB77_85
.LBB77_66:                              ;   in Loop: Header=BB77_61 Depth=2
	s_or_b64 exec, exec, s[90:91]
	s_and_saveexec_b64 s[90:91], s[28:29]
	s_cbranch_execnz .LBB77_86
.LBB77_67:                              ;   in Loop: Header=BB77_61 Depth=2
	s_or_b64 exec, exec, s[90:91]
	v_mov_b32_e32 v6, 0
	s_and_saveexec_b64 s[90:91], s[30:31]
	s_cbranch_execnz .LBB77_87
.LBB77_68:                              ;   in Loop: Header=BB77_61 Depth=2
	s_or_b64 exec, exec, s[90:91]
	s_and_saveexec_b64 s[90:91], s[34:35]
	s_cbranch_execz .LBB77_70
.LBB77_69:                              ;   in Loop: Header=BB77_61 Depth=2
	global_load_ushort v0, v[0:1], off offset:896
	s_waitcnt vmcnt(0)
	v_lshl_or_b32 v6, v0, 16, v6
.LBB77_70:                              ;   in Loop: Header=BB77_61 Depth=2
	s_or_b64 exec, exec, s[90:91]
	s_waitcnt vmcnt(0)
	ds_write_b16 v47, v3
	ds_write_b16 v48, v2 offset:128
	ds_write_b16 v49, v4 offset:256
	ds_write_b16_d16_hi v50, v4 offset:384
	ds_write_b16 v51, v5 offset:512
	ds_write_b16_d16_hi v52, v5 offset:640
	;; [unrolled: 2-line block ×3, first 2 shown]
	; wave barrier
	ds_read_b128 v[4:7], v55
	s_mov_b32 s87, s75
	v_lshl_add_u64 v[0:1], s[86:87], 1, v[30:31]
	v_mov_b32_e32 v2, 0
	v_mov_b32_e32 v3, 0
	s_and_saveexec_b64 s[90:91], s[18:19]
	s_cbranch_execnz .LBB77_88
; %bb.71:                               ;   in Loop: Header=BB77_61 Depth=2
	s_or_b64 exec, exec, s[90:91]
	s_and_saveexec_b64 s[90:91], s[20:21]
	s_cbranch_execnz .LBB77_89
.LBB77_72:                              ;   in Loop: Header=BB77_61 Depth=2
	s_or_b64 exec, exec, s[90:91]
	v_mov_b32_e32 v32, 0
	s_and_saveexec_b64 s[90:91], s[22:23]
	s_cbranch_execnz .LBB77_90
.LBB77_73:                              ;   in Loop: Header=BB77_61 Depth=2
	s_or_b64 exec, exec, s[90:91]
	s_and_saveexec_b64 s[90:91], s[24:25]
	s_cbranch_execnz .LBB77_91
.LBB77_74:                              ;   in Loop: Header=BB77_61 Depth=2
	s_or_b64 exec, exec, s[90:91]
	v_mov_b32_e32 v33, 0
	s_and_saveexec_b64 s[90:91], s[26:27]
	s_cbranch_execnz .LBB77_92
.LBB77_75:                              ;   in Loop: Header=BB77_61 Depth=2
	s_or_b64 exec, exec, s[90:91]
	s_and_saveexec_b64 s[90:91], s[28:29]
	s_cbranch_execnz .LBB77_93
.LBB77_76:                              ;   in Loop: Header=BB77_61 Depth=2
	s_or_b64 exec, exec, s[90:91]
	v_mov_b32_e32 v35, 0
	s_and_saveexec_b64 s[90:91], s[30:31]
	s_cbranch_execnz .LBB77_94
.LBB77_77:                              ;   in Loop: Header=BB77_61 Depth=2
	s_or_b64 exec, exec, s[90:91]
	s_and_saveexec_b64 s[90:91], s[34:35]
	s_cbranch_execz .LBB77_79
.LBB77_78:                              ;   in Loop: Header=BB77_61 Depth=2
	global_load_ushort v0, v[0:1], off offset:896
	s_waitcnt vmcnt(0)
	v_lshl_or_b32 v35, v0, 16, v35
.LBB77_79:                              ;   in Loop: Header=BB77_61 Depth=2
	s_or_b64 exec, exec, s[90:91]
	s_waitcnt vmcnt(0)
	ds_write_b16 v47, v3 offset:1056
	ds_write_b16 v56, v2 offset:128
	;; [unrolled: 1-line block ×3, first 2 shown]
	ds_write_b16_d16_hi v58, v32 offset:384
	ds_write_b16 v59, v33 offset:512
	ds_write_b16_d16_hi v60, v33 offset:640
	ds_write_b16 v61, v35 offset:768
	ds_write_b16_d16_hi v62, v35 offset:896
	; wave barrier
	ds_read_b128 v[0:3], v55 offset:1056
	s_andn2_b64 vcc, exec, s[2:3]
	s_cbranch_vccnz .LBB77_95
; %bb.80:                               ;   in Loop: Header=BB77_61 Depth=2
	v_mov_b32_e32 v32, s99
	ds_read_b64 v[32:33], v32
	s_cbranch_execz .LBB77_96
	s_branch .LBB77_99
.LBB77_81:                              ;   in Loop: Header=BB77_61 Depth=2
	global_load_ushort v3, v[0:1], off
	s_or_b64 exec, exec, s[90:91]
	s_and_saveexec_b64 s[90:91], s[20:21]
	s_cbranch_execz .LBB77_63
.LBB77_82:                              ;   in Loop: Header=BB77_61 Depth=2
	global_load_ushort v2, v[0:1], off offset:128
	s_or_b64 exec, exec, s[90:91]
	v_mov_b32_e32 v4, 0
	s_and_saveexec_b64 s[90:91], s[22:23]
	s_cbranch_execz .LBB77_64
.LBB77_83:                              ;   in Loop: Header=BB77_61 Depth=2
	global_load_ushort v4, v[0:1], off offset:256
	s_or_b64 exec, exec, s[90:91]
	s_and_saveexec_b64 s[90:91], s[24:25]
	s_cbranch_execz .LBB77_65
.LBB77_84:                              ;   in Loop: Header=BB77_61 Depth=2
	global_load_ushort v5, v[0:1], off offset:384
	s_waitcnt vmcnt(0)
	v_lshl_or_b32 v4, v5, 16, v4
	s_or_b64 exec, exec, s[90:91]
	v_mov_b32_e32 v5, 0
	s_and_saveexec_b64 s[90:91], s[26:27]
	s_cbranch_execz .LBB77_66
.LBB77_85:                              ;   in Loop: Header=BB77_61 Depth=2
	global_load_ushort v5, v[0:1], off offset:512
	s_or_b64 exec, exec, s[90:91]
	s_and_saveexec_b64 s[90:91], s[28:29]
	s_cbranch_execz .LBB77_67
.LBB77_86:                              ;   in Loop: Header=BB77_61 Depth=2
	global_load_ushort v6, v[0:1], off offset:640
	s_waitcnt vmcnt(0)
	v_lshl_or_b32 v5, v6, 16, v5
	s_or_b64 exec, exec, s[90:91]
	v_mov_b32_e32 v6, 0
	s_and_saveexec_b64 s[90:91], s[30:31]
	s_cbranch_execz .LBB77_68
.LBB77_87:                              ;   in Loop: Header=BB77_61 Depth=2
	global_load_ushort v6, v[0:1], off offset:768
	s_or_b64 exec, exec, s[90:91]
	s_and_saveexec_b64 s[90:91], s[34:35]
	s_cbranch_execnz .LBB77_69
	s_branch .LBB77_70
.LBB77_88:                              ;   in Loop: Header=BB77_61 Depth=2
	global_load_ushort v3, v[0:1], off
	s_or_b64 exec, exec, s[90:91]
	s_and_saveexec_b64 s[90:91], s[20:21]
	s_cbranch_execz .LBB77_72
.LBB77_89:                              ;   in Loop: Header=BB77_61 Depth=2
	global_load_ushort v2, v[0:1], off offset:128
	s_or_b64 exec, exec, s[90:91]
	v_mov_b32_e32 v32, 0
	s_and_saveexec_b64 s[90:91], s[22:23]
	s_cbranch_execz .LBB77_73
.LBB77_90:                              ;   in Loop: Header=BB77_61 Depth=2
	global_load_ushort v32, v[0:1], off offset:256
	s_or_b64 exec, exec, s[90:91]
	s_and_saveexec_b64 s[90:91], s[24:25]
	s_cbranch_execz .LBB77_74
.LBB77_91:                              ;   in Loop: Header=BB77_61 Depth=2
	global_load_ushort v33, v[0:1], off offset:384
	s_waitcnt vmcnt(0)
	v_lshl_or_b32 v32, v33, 16, v32
	s_or_b64 exec, exec, s[90:91]
	v_mov_b32_e32 v33, 0
	s_and_saveexec_b64 s[90:91], s[26:27]
	s_cbranch_execz .LBB77_75
.LBB77_92:                              ;   in Loop: Header=BB77_61 Depth=2
	global_load_ushort v33, v[0:1], off offset:512
	s_or_b64 exec, exec, s[90:91]
	s_and_saveexec_b64 s[90:91], s[28:29]
	s_cbranch_execz .LBB77_76
.LBB77_93:                              ;   in Loop: Header=BB77_61 Depth=2
	global_load_ushort v35, v[0:1], off offset:640
	s_waitcnt vmcnt(0)
	v_lshl_or_b32 v33, v35, 16, v33
	s_or_b64 exec, exec, s[90:91]
	v_mov_b32_e32 v35, 0
	s_and_saveexec_b64 s[90:91], s[30:31]
	s_cbranch_execz .LBB77_77
.LBB77_94:                              ;   in Loop: Header=BB77_61 Depth=2
	global_load_ushort v35, v[0:1], off offset:768
	s_or_b64 exec, exec, s[90:91]
	s_and_saveexec_b64 s[90:91], s[34:35]
	s_cbranch_execnz .LBB77_78
	s_branch .LBB77_79
.LBB77_95:                              ;   in Loop: Header=BB77_61 Depth=2
                                        ; implicit-def: $vgpr33
.LBB77_96:                              ;   in Loop: Header=BB77_61 Depth=2
	s_andn2_b64 vcc, exec, s[54:55]
	s_waitcnt lgkmcnt(0)
	v_mov_b32_e32 v33, 0
	s_cbranch_vccnz .LBB77_98
; %bb.97:                               ;   in Loop: Header=BB77_61 Depth=2
	s_mov_b32 s89, s75
	s_lshl_b64 s[90:91], s[88:89], 1
	s_add_u32 s90, s61, s90
	s_addc_u32 s91, s65, s91
	global_load_ushort v32, v9, s[90:91]
	s_waitcnt vmcnt(0)
	v_cvt_f32_f16_e32 v33, v32
.LBB77_98:                              ;   in Loop: Header=BB77_61 Depth=2
	v_mov_b32_e32 v32, 1.0
.LBB77_99:                              ;   in Loop: Header=BB77_61 Depth=2
	v_mul_f32_e32 v65, 0x3fb8aa3b, v34
	s_waitcnt lgkmcnt(9)
	v_cvt_f32_f16_e32 v35, v4
	v_cvt_f32_f16_sdwa v36, v4 dst_sel:DWORD dst_unused:UNUSED_PAD src0_sel:WORD_1
	v_mul_f32_e32 v4, v65, v75
	v_cmp_gt_f32_e32 vcc, s72, v4
	v_cvt_f32_f16_e32 v39, v6
	v_cvt_f32_f16_sdwa v64, v6 dst_sel:DWORD dst_unused:UNUSED_PAD src0_sel:WORD_1
	v_cndmask_b32_e32 v4, 0, v73, vcc
	v_mul_f32_e32 v6, v65, v76
	v_cvt_f32_f16_e32 v37, v5
	v_cvt_f32_f16_sdwa v38, v5 dst_sel:DWORD dst_unused:UNUSED_PAD src0_sel:WORD_1
	v_fmac_f32_e32 v4, v65, v75
	v_cndmask_b32_e32 v5, 1.0, v74, vcc
	v_cmp_gt_f32_e32 vcc, s72, v6
	v_exp_f32_e32 v4, v4
	v_cvt_f32_f16_e32 v66, v7
	v_cndmask_b32_e32 v6, 0, v73, vcc
	v_fmac_f32_e32 v6, v65, v76
	v_exp_f32_e32 v6, v6
	v_cvt_f32_f16_sdwa v67, v7 dst_sel:DWORD dst_unused:UNUSED_PAD src0_sel:WORD_1
	v_mul_f32_e32 v5, v4, v5
	v_mul_f32_e32 v7, v65, v77
	v_cndmask_b32_e64 v90, 1.0, v5, s[36:37]
	v_cndmask_b32_e32 v5, 1.0, v74, vcc
	v_cmp_gt_f32_e32 vcc, s72, v7
	v_mul_f32_e32 v6, v6, v5
	v_mul_f32_e32 v34, v65, v78
	v_cndmask_b32_e32 v7, 0, v73, vcc
	v_fmac_f32_e32 v7, v65, v77
	v_cndmask_b32_e64 v91, 1.0, v6, s[38:39]
	v_cndmask_b32_e32 v6, 1.0, v74, vcc
	v_cmp_gt_f32_e32 vcc, s72, v34
	v_exp_f32_e32 v7, v7
	v_mul_f32_e32 v4, v89, v35
	v_cndmask_b32_e32 v34, 0, v73, vcc
	v_fmac_f32_e32 v34, v65, v78
	v_exp_f32_e32 v35, v34
	v_mul_f32_e32 v6, v7, v6
	v_cndmask_b32_e64 v92, 1.0, v6, s[40:41]
	v_cndmask_b32_e32 v6, 1.0, v74, vcc
	v_mul_f32_e32 v6, v35, v6
	v_mul_f32_e32 v35, v65, v79
	v_cmp_gt_f32_e32 vcc, s72, v35
	v_mul_f32_e32 v5, v88, v36
	v_mul_f32_e32 v7, v87, v37
	v_cndmask_b32_e32 v35, 0, v73, vcc
	v_fmac_f32_e32 v35, v65, v79
	v_exp_f32_e32 v36, v35
	v_cndmask_b32_e64 v34, 0, v7, s[40:41]
	v_mul_f32_e32 v7, v86, v38
	v_cndmask_b32_e64 v93, 1.0, v6, s[42:43]
	v_cndmask_b32_e32 v6, 1.0, v74, vcc
	v_cndmask_b32_e64 v35, 0, v7, s[42:43]
	v_mul_f32_e32 v7, v36, v6
	v_mul_f32_e32 v36, v65, v80
	v_cmp_gt_f32_e32 vcc, s72, v36
	v_mul_f32_e32 v37, v65, v81
	v_cndmask_b32_e64 v94, 1.0, v7, s[44:45]
	v_cndmask_b32_e32 v36, 0, v73, vcc
	v_fmac_f32_e32 v36, v65, v80
	v_exp_f32_e32 v36, v36
	v_cndmask_b32_e32 v7, 1.0, v74, vcc
	v_cmp_gt_f32_e32 vcc, s72, v37
	v_mul_f32_e32 v38, v65, v19
	v_mul_f32_e32 v36, v36, v7
	v_cndmask_b32_e32 v37, 0, v73, vcc
	v_mul_f32_e32 v7, v84, v64
	v_fmac_f32_e32 v37, v65, v81
	v_cndmask_b32_e64 v64, 1.0, v36, s[46:47]
	v_cndmask_b32_e32 v36, 1.0, v74, vcc
	v_cmp_gt_f32_e32 vcc, s72, v38
	v_exp_f32_e32 v37, v37
	v_cndmask_b32_e64 v4, 0, v4, s[36:37]
	v_cndmask_b32_e32 v38, 0, v73, vcc
	v_fmac_f32_e32 v38, v65, v19
	v_exp_f32_e32 v38, v38
	v_mul_f32_e32 v37, v37, v36
	v_cndmask_b32_e64 v65, 1.0, v37, s[48:49]
	v_cndmask_b32_e32 v37, 1.0, v74, vcc
	v_cndmask_b32_e64 v5, 0, v5, s[38:39]
	v_mul_f32_e32 v38, v38, v37
	v_mul_f32_e32 v6, v85, v39
	;; [unrolled: 1-line block ×3, first 2 shown]
	v_cndmask_b32_e64 v66, 1.0, v38, s[50:51]
	v_mul_f32_e32 v38, v91, v90
	v_fma_f32 v39, v91, v4, v5
	v_mul_f32_e32 v38, v38, v92
	v_fma_f32 v39, v39, v92, v34
	v_cndmask_b32_e64 v6, 0, v6, s[44:45]
	v_mul_f32_e32 v38, v38, v93
	v_fma_f32 v39, v39, v93, v35
	v_cndmask_b32_e64 v7, 0, v7, s[46:47]
	;; [unrolled: 3-line block ×3, first 2 shown]
	v_mul_f32_e32 v37, v82, v67
	v_mul_f32_e32 v38, v38, v64
	v_fma_f32 v39, v39, v64, v7
	v_cndmask_b32_e64 v37, 0, v37, s[50:51]
	v_mul_f32_e32 v38, v38, v65
	v_fma_f32 v39, v39, v65, v36
	v_mul_f32_e32 v38, v38, v66
	v_fma_f32 v69, v39, v66, v37
	s_nop 0
	v_mov_b32_dpp v68, v38 row_shr:1 row_mask:0xf bank_mask:0xf
	v_mov_b32_dpp v67, v69 row_shr:1 row_mask:0xf bank_mask:0xf
	s_and_saveexec_b64 s[90:91], s[0:1]
; %bb.100:                              ;   in Loop: Header=BB77_61 Depth=2
	v_mul_f32_e32 v68, v38, v68
	v_fmac_f32_e32 v69, v38, v67
	v_mov_b32_e32 v38, v68
; %bb.101:                              ;   in Loop: Header=BB77_61 Depth=2
	s_or_b64 exec, exec, s[90:91]
	s_nop 0
	v_mov_b32_dpp v67, v38 row_shr:2 row_mask:0xf bank_mask:0xf
	v_mov_b32_dpp v68, v69 row_shr:2 row_mask:0xf bank_mask:0xf
	s_and_saveexec_b64 s[90:91], s[52:53]
; %bb.102:                              ;   in Loop: Header=BB77_61 Depth=2
	v_fmac_f32_e32 v69, v38, v68
	v_mul_f32_e32 v38, v38, v67
; %bb.103:                              ;   in Loop: Header=BB77_61 Depth=2
	s_or_b64 exec, exec, s[90:91]
	s_nop 0
	v_mov_b32_dpp v67, v38 row_shr:4 row_mask:0xf bank_mask:0xf
	v_mov_b32_dpp v68, v69 row_shr:4 row_mask:0xf bank_mask:0xf
	s_and_saveexec_b64 s[90:91], s[4:5]
; %bb.104:                              ;   in Loop: Header=BB77_61 Depth=2
	v_fmac_f32_e32 v69, v38, v68
	v_mul_f32_e32 v38, v38, v67
	;; [unrolled: 9-line block ×3, first 2 shown]
; %bb.107:                              ;   in Loop: Header=BB77_61 Depth=2
	s_or_b64 exec, exec, s[90:91]
	s_nop 0
	v_mov_b32_dpp v67, v38 row_bcast:15 row_mask:0xf bank_mask:0xf
	v_mov_b32_dpp v68, v69 row_bcast:15 row_mask:0xf bank_mask:0xf
	s_and_saveexec_b64 s[90:91], s[8:9]
; %bb.108:                              ;   in Loop: Header=BB77_61 Depth=2
	v_fmac_f32_e32 v69, v38, v68
	v_mul_f32_e32 v38, v38, v67
; %bb.109:                              ;   in Loop: Header=BB77_61 Depth=2
	s_or_b64 exec, exec, s[90:91]
	s_nop 0
	v_mov_b32_dpp v67, v38 row_bcast:31 row_mask:0xf bank_mask:0xf
	v_mov_b32_dpp v68, v69 row_bcast:31 row_mask:0xf bank_mask:0xf
	v_mov_b32_e32 v39, v69
	v_mul_f32_e32 v67, v38, v67
	v_fmac_f32_e32 v39, v38, v68
	v_cndmask_b32_e64 v38, v38, v67, s[10:11]
	v_cndmask_b32_e64 v39, v69, v39, s[10:11]
	s_and_saveexec_b64 s[90:91], s[12:13]
	s_cbranch_execz .LBB77_111
; %bb.110:                              ;   in Loop: Header=BB77_61 Depth=2
	ds_write_b64 v9, v[38:39] offset:2112
.LBB77_111:                             ;   in Loop: Header=BB77_61 Depth=2
	s_or_b64 exec, exec, s[90:91]
	ds_bpermute_b32 v67, v63, v38
	ds_bpermute_b32 v68, v63, v39
	s_waitcnt lgkmcnt(2)
	v_mov_b32_e32 v39, v33
	s_waitcnt lgkmcnt(0)
	; wave barrier
	s_waitcnt lgkmcnt(0)
	s_and_saveexec_b64 s[90:91], s[14:15]
	s_cbranch_execz .LBB77_115
; %bb.112:                              ;   in Loop: Header=BB77_61 Depth=2
	ds_read_b64 v[38:39], v9 offset:2112
	s_and_saveexec_b64 s[92:93], s[16:17]
	s_cbranch_execz .LBB77_114
; %bb.113:                              ;   in Loop: Header=BB77_61 Depth=2
	ds_write_b64 v9, v[32:33] offset:2112
.LBB77_114:                             ;   in Loop: Header=BB77_61 Depth=2
	s_or_b64 exec, exec, s[92:93]
	s_waitcnt lgkmcnt(0)
	v_fmac_f32_e32 v39, v33, v38
	v_mul_f32_e32 v32, v32, v38
	v_mov_b32_e32 v33, v39
.LBB77_115:                             ;   in Loop: Header=BB77_61 Depth=2
	s_or_b64 exec, exec, s[90:91]
	s_waitcnt lgkmcnt(0)
	; wave barrier
	ds_read_b32 v38, v9 offset:2116
	s_and_saveexec_b64 s[90:91], s[16:17]
	s_cbranch_execz .LBB77_60
; %bb.116:                              ;   in Loop: Header=BB77_61 Depth=2
	v_mov_b32_e32 v69, s99
	s_andn2_b64 vcc, exec, s[82:83]
	ds_write_b64 v69, v[32:33]
	s_cbranch_vccnz .LBB77_60
; %bb.117:                              ;   in Loop: Header=BB77_61 Depth=2
	s_mov_b32 s89, s75
	v_cvt_f16_f32_e32 v32, v39
	s_lshl_b64 s[92:93], s[88:89], 1
	s_add_u32 s92, s61, s92
	s_addc_u32 s93, s65, s93
	global_store_short v9, v32, s[92:93]
	s_branch .LBB77_60
.LBB77_118:                             ;   in Loop: Header=BB77_12 Depth=1
	s_mov_b32 s38, 0x41a00000
	s_mov_b32 s39, 0x3fb8aa3b
	;; [unrolled: 1-line block ×8, first 2 shown]
.LBB77_119:                             ;   in Loop: Header=BB77_12 Depth=1
	v_cvt_f16_f32_e32 v0, v24
	v_cvt_f16_f32_e32 v1, v26
	;; [unrolled: 1-line block ×8, first 2 shown]
	v_pack_b32_f16 v3, v3, v4
	v_pack_b32_f16 v2, v2, v5
	;; [unrolled: 1-line block ×4, first 2 shown]
	s_waitcnt lgkmcnt(0)
	; wave barrier
	ds_write_b128 v55, v[0:3]
	; wave barrier
	ds_read_u16 v19, v48 offset:128
	ds_read_u16 v7, v49 offset:256
	;; [unrolled: 1-line block ×7, first 2 shown]
	s_mov_b32 s71, s75
	v_lshl_add_u64 v[0:1], s[70:71], 1, v[12:13]
	s_and_saveexec_b64 s[2:3], s[18:19]
	s_cbranch_execnz .LBB77_154
; %bb.120:                              ;   in Loop: Header=BB77_12 Depth=1
	s_or_b64 exec, exec, s[2:3]
	s_and_saveexec_b64 s[2:3], s[20:21]
	s_cbranch_execnz .LBB77_155
.LBB77_121:                             ;   in Loop: Header=BB77_12 Depth=1
	s_or_b64 exec, exec, s[2:3]
	s_and_saveexec_b64 s[2:3], s[22:23]
	s_cbranch_execnz .LBB77_156
.LBB77_122:                             ;   in Loop: Header=BB77_12 Depth=1
	s_or_b64 exec, exec, s[2:3]
	s_and_saveexec_b64 s[2:3], s[24:25]
	s_cbranch_execnz .LBB77_157
.LBB77_123:                             ;   in Loop: Header=BB77_12 Depth=1
	s_or_b64 exec, exec, s[2:3]
	s_and_saveexec_b64 s[2:3], s[26:27]
	s_cbranch_execnz .LBB77_158
.LBB77_124:                             ;   in Loop: Header=BB77_12 Depth=1
	s_or_b64 exec, exec, s[2:3]
	s_and_saveexec_b64 s[2:3], s[28:29]
	s_cbranch_execnz .LBB77_159
.LBB77_125:                             ;   in Loop: Header=BB77_12 Depth=1
	s_or_b64 exec, exec, s[2:3]
	s_and_saveexec_b64 s[2:3], s[30:31]
	s_cbranch_execnz .LBB77_160
.LBB77_126:                             ;   in Loop: Header=BB77_12 Depth=1
	s_or_b64 exec, exec, s[2:3]
	s_and_saveexec_b64 s[2:3], s[34:35]
	s_cbranch_execz .LBB77_128
.LBB77_127:                             ;   in Loop: Header=BB77_12 Depth=1
	s_waitcnt lgkmcnt(0)
	global_store_short v[0:1], v2, off offset:896
.LBB77_128:                             ;   in Loop: Header=BB77_12 Depth=1
	s_or_b64 exec, exec, s[2:3]
	v_lshl_add_u64 v[0:1], s[70:71], 1, v[14:15]
	s_waitcnt lgkmcnt(0)
	v_mov_b32_e32 v2, 0
	v_mov_b32_e32 v3, 0
	s_waitcnt lgkmcnt(0)
	; wave barrier
	s_and_saveexec_b64 s[2:3], s[18:19]
	s_cbranch_execz .LBB77_130
; %bb.129:                              ;   in Loop: Header=BB77_12 Depth=1
	global_load_ushort v3, v[0:1], off
.LBB77_130:                             ;   in Loop: Header=BB77_12 Depth=1
	s_or_b64 exec, exec, s[2:3]
	s_and_saveexec_b64 s[2:3], s[20:21]
	s_cbranch_execz .LBB77_132
; %bb.131:                              ;   in Loop: Header=BB77_12 Depth=1
	global_load_ushort v2, v[0:1], off offset:128
.LBB77_132:                             ;   in Loop: Header=BB77_12 Depth=1
	s_or_b64 exec, exec, s[2:3]
	v_mov_b32_e32 v4, 0
	v_mov_b32_e32 v5, 0
	s_and_saveexec_b64 s[2:3], s[22:23]
	s_cbranch_execz .LBB77_134
; %bb.133:                              ;   in Loop: Header=BB77_12 Depth=1
	global_load_ushort v5, v[0:1], off offset:256
.LBB77_134:                             ;   in Loop: Header=BB77_12 Depth=1
	s_or_b64 exec, exec, s[2:3]
	s_and_saveexec_b64 s[2:3], s[24:25]
	s_cbranch_execz .LBB77_136
; %bb.135:                              ;   in Loop: Header=BB77_12 Depth=1
	global_load_ushort v4, v[0:1], off offset:384
.LBB77_136:                             ;   in Loop: Header=BB77_12 Depth=1
	s_or_b64 exec, exec, s[2:3]
	v_mov_b32_e32 v6, 0
	v_mov_b32_e32 v7, 0
	s_and_saveexec_b64 s[2:3], s[26:27]
	s_cbranch_execz .LBB77_138
; %bb.137:                              ;   in Loop: Header=BB77_12 Depth=1
	global_load_ushort v7, v[0:1], off offset:512
.LBB77_138:                             ;   in Loop: Header=BB77_12 Depth=1
	;; [unrolled: 14-line block ×3, first 2 shown]
	s_or_b64 exec, exec, s[2:3]
	s_and_saveexec_b64 s[2:3], s[34:35]
	s_cbranch_execz .LBB77_144
; %bb.143:                              ;   in Loop: Header=BB77_12 Depth=1
	global_load_ushort v19, v[0:1], off offset:896
.LBB77_144:                             ;   in Loop: Header=BB77_12 Depth=1
	s_or_b64 exec, exec, s[2:3]
	s_waitcnt vmcnt(0)
	ds_write_b16 v47, v3
	ds_write_b16 v48, v2 offset:128
	ds_write_b16 v49, v5 offset:256
	;; [unrolled: 1-line block ×7, first 2 shown]
	; wave barrier
	ds_read_b128 v[0:3], v55
	s_waitcnt lgkmcnt(0)
	; wave barrier
	s_waitcnt lgkmcnt(0)
	v_cvt_f32_f16_e32 v6, v0
	v_cvt_f32_f16_e32 v28, v1
	v_cvt_f32_f16_sdwa v19, v1 dst_sel:DWORD dst_unused:UNUSED_PAD src0_sel:WORD_1
	v_mul_f32_e32 v4, 0xbfb8aa3b, v6
	v_rndne_f32_e32 v5, v4
	v_sub_f32_e32 v7, v4, v5
	v_fma_mix_f32 v4, v0, s73, -v4 op_sel_hi:[1,0,0]
	v_cvt_i32_f32_e32 v5, v5
	v_fma_mix_f32 v4, v0, s78, v4 op_sel_hi:[1,0,0]
	v_cmp_nlt_f32_e32 vcc, s79, v6
	v_add_f32_e32 v4, v7, v4
	v_exp_f32_e32 v4, v4
	v_cvt_f32_f16_sdwa v7, v0 dst_sel:DWORD dst_unused:UNUSED_PAD src0_sel:WORD_1
	v_ldexp_f32 v4, v4, v5
	v_mul_f32_e32 v5, 0xbfb8aa3b, v7
	v_rndne_f32_e32 v29, v5
	v_sub_f32_e32 v30, v5, v29
	v_fma_mix_f32 v5, v0, s73, -v5 op_sel:[1,0,0] op_sel_hi:[1,0,0]
	v_cndmask_b32_e32 v4, 0, v4, vcc
	v_fma_mix_f32 v0, v0, s78, v5 op_sel:[1,0,0] op_sel_hi:[1,0,0]
	v_cvt_i32_f32_e32 v5, v29
	v_add_f32_e32 v0, v30, v0
	v_exp_f32_e32 v0, v0
	v_cmp_ngt_f32_e32 vcc, s97, v6
	v_ldexp_f32 v0, v0, v5
	v_mul_f32_e32 v5, 0xbfb8aa3b, v28
	v_rndne_f32_e32 v29, v5
	v_sub_f32_e32 v30, v5, v29
	v_fma_mix_f32 v5, v1, s73, -v5 op_sel_hi:[1,0,0]
	v_cvt_i32_f32_e32 v29, v29
	v_fma_mix_f32 v5, v1, s78, v5 op_sel_hi:[1,0,0]
	v_cndmask_b32_e32 v4, v72, v4, vcc
	v_add_f32_e32 v5, v30, v5
	v_exp_f32_e32 v30, v5
	v_cmp_nlt_f32_e32 vcc, s79, v7
	s_nop 1
	v_cndmask_b32_e32 v0, 0, v0, vcc
	v_cmp_ngt_f32_e32 vcc, s97, v7
	s_nop 1
	v_cndmask_b32_e32 v5, v72, v0, vcc
	v_ldexp_f32 v0, v30, v29
	v_mul_f32_e32 v29, 0xbfb8aa3b, v19
	v_rndne_f32_e32 v30, v29
	v_sub_f32_e32 v31, v29, v30
	v_fma_mix_f32 v29, v1, s73, -v29 op_sel:[1,0,0] op_sel_hi:[1,0,0]
	v_pk_add_f32 v[4:5], v[4:5], 1.0 op_sel_hi:[1,0]
	v_fma_mix_f32 v1, v1, s78, v29 op_sel:[1,0,0] op_sel_hi:[1,0,0]
	v_cvt_i32_f32_e32 v29, v30
	v_add_f32_e32 v1, v31, v1
	v_exp_f32_e32 v1, v1
	v_cmp_nlt_f32_e32 vcc, s79, v28
	v_ldexp_f32 v1, v1, v29
	v_div_scale_f32 v29, s[2:3], v5, v5, v7
	v_rcp_f32_e32 v30, v29
	v_cndmask_b32_e32 v0, 0, v0, vcc
	v_cmp_ngt_f32_e32 vcc, s97, v28
	v_fma_f32 v31, -v29, v30, 1.0
	s_nop 0
	v_cndmask_b32_e32 v0, v72, v0, vcc
	v_cmp_nlt_f32_e32 vcc, s79, v19
	v_fmac_f32_e32 v30, v31, v30
	s_nop 0
	v_cndmask_b32_e32 v1, 0, v1, vcc
	v_cmp_ngt_f32_e32 vcc, s97, v19
	s_nop 1
	v_cndmask_b32_e32 v1, v72, v1, vcc
	v_div_scale_f32 v31, vcc, v7, v5, v7
	v_mul_f32_e32 v32, v31, v30
	v_fma_f32 v33, -v29, v32, v31
	v_fmac_f32_e32 v32, v33, v30
	v_fma_f32 v29, -v29, v32, v31
	v_div_scale_f32 v31, s[2:3], v4, v4, v6
	v_rcp_f32_e32 v33, v31
	v_div_fmas_f32 v29, v29, v30, v32
	v_div_fixup_f32 v5, v29, v5, v7
	v_pk_add_f32 v[0:1], v[0:1], 1.0 op_sel_hi:[1,0]
	v_fma_f32 v7, -v31, v33, 1.0
	v_fmac_f32_e32 v33, v7, v33
	v_div_scale_f32 v7, vcc, v6, v4, v6
	v_mul_f32_e32 v29, v7, v33
	v_fma_f32 v30, -v31, v29, v7
	v_fmac_f32_e32 v29, v30, v33
	v_div_scale_f32 v30, s[2:3], v1, v1, v19
	v_fma_f32 v7, -v31, v29, v7
	v_rcp_f32_e32 v31, v30
	v_div_fmas_f32 v7, v7, v33, v29
	v_div_fixup_f32 v4, v7, v4, v6
	v_pk_mul_f32 v[4:5], v[24:25], v[4:5]
	v_fma_f32 v6, -v30, v31, 1.0
	v_fmac_f32_e32 v31, v6, v31
	v_div_scale_f32 v6, vcc, v19, v1, v19
	v_mul_f32_e32 v7, v6, v31
	v_fma_f32 v29, -v30, v7, v6
	v_fmac_f32_e32 v7, v29, v31
	v_div_scale_f32 v29, s[2:3], v0, v0, v28
	v_fma_f32 v6, -v30, v7, v6
	v_rcp_f32_e32 v30, v29
	v_div_fmas_f32 v6, v6, v31, v7
	v_div_fixup_f32 v1, v6, v1, v19
	v_cvt_f32_f16_sdwa v25, v3 dst_sel:DWORD dst_unused:UNUSED_PAD src0_sel:WORD_1
	v_fma_f32 v6, -v29, v30, 1.0
	v_fmac_f32_e32 v30, v6, v30
	v_div_scale_f32 v6, vcc, v28, v0, v28
	v_mul_f32_e32 v7, v6, v30
	v_fma_f32 v19, -v29, v7, v6
	v_fmac_f32_e32 v7, v19, v30
	v_fma_f32 v6, -v29, v7, v6
	v_div_fmas_f32 v6, v6, v30, v7
	v_div_fixup_f32 v0, v6, v0, v28
	v_cvt_f32_f16_e32 v6, v2
	v_pk_mul_f32 v[0:1], v[26:27], v[0:1]
	v_cvt_f32_f16_e32 v26, v3
	v_cvt_f16_f32_e32 v19, v0
	v_mul_f32_e32 v0, 0xbfb8aa3b, v6
	v_cvt_f16_f32_e32 v7, v1
	v_rndne_f32_e32 v1, v0
	v_sub_f32_e32 v24, v0, v1
	v_fma_mix_f32 v0, v2, s73, -v0 op_sel_hi:[1,0,0]
	v_cvt_i32_f32_e32 v1, v1
	v_fma_mix_f32 v0, v2, s78, v0 op_sel_hi:[1,0,0]
	v_cmp_nlt_f32_e32 vcc, s79, v6
	v_add_f32_e32 v0, v24, v0
	v_exp_f32_e32 v0, v0
	v_cvt_f32_f16_sdwa v24, v2 dst_sel:DWORD dst_unused:UNUSED_PAD src0_sel:WORD_1
	v_cvt_f16_f32_e32 v5, v5
	v_cvt_f16_f32_e32 v4, v4
	v_ldexp_f32 v0, v0, v1
	v_mul_f32_e32 v1, 0xbfb8aa3b, v24
	v_rndne_f32_e32 v27, v1
	v_sub_f32_e32 v28, v1, v27
	v_fma_mix_f32 v1, v2, s73, -v1 op_sel:[1,0,0] op_sel_hi:[1,0,0]
	v_cndmask_b32_e32 v0, 0, v0, vcc
	v_fma_mix_f32 v1, v2, s78, v1 op_sel:[1,0,0] op_sel_hi:[1,0,0]
	v_cvt_i32_f32_e32 v2, v27
	v_add_f32_e32 v1, v28, v1
	v_exp_f32_e32 v1, v1
	v_cmp_ngt_f32_e32 vcc, s97, v6
	v_ldexp_f32 v1, v1, v2
	v_mul_f32_e32 v2, 0xbfb8aa3b, v26
	v_rndne_f32_e32 v27, v2
	v_sub_f32_e32 v28, v2, v27
	v_fma_mix_f32 v2, v3, s73, -v2 op_sel_hi:[1,0,0]
	v_cvt_i32_f32_e32 v27, v27
	v_fma_mix_f32 v2, v3, s78, v2 op_sel_hi:[1,0,0]
	v_cndmask_b32_e32 v0, v72, v0, vcc
	v_add_f32_e32 v2, v28, v2
	v_exp_f32_e32 v2, v2
	v_cmp_nlt_f32_e32 vcc, s79, v24
	v_ldexp_f32 v2, v2, v27
	v_mul_f32_e32 v27, 0xbfb8aa3b, v25
	v_rndne_f32_e32 v28, v27
	v_sub_f32_e32 v29, v27, v28
	v_fma_mix_f32 v27, v3, s73, -v27 op_sel:[1,0,0] op_sel_hi:[1,0,0]
	v_cndmask_b32_e32 v1, 0, v1, vcc
	v_fma_mix_f32 v3, v3, s78, v27 op_sel:[1,0,0] op_sel_hi:[1,0,0]
	v_cvt_i32_f32_e32 v27, v28
	v_add_f32_e32 v3, v29, v3
	v_exp_f32_e32 v3, v3
	v_cmp_ngt_f32_e32 vcc, s97, v24
	v_ldexp_f32 v3, v3, v27
	s_nop 0
	v_cndmask_b32_e32 v1, v72, v1, vcc
	v_pk_add_f32 v[0:1], v[0:1], 1.0 op_sel_hi:[1,0]
	v_cmp_nlt_f32_e32 vcc, s79, v26
	v_div_scale_f32 v27, s[2:3], v1, v1, v24
	v_rcp_f32_e32 v28, v27
	v_cndmask_b32_e32 v2, 0, v2, vcc
	v_cmp_ngt_f32_e32 vcc, s97, v26
	v_fma_f32 v29, -v27, v28, 1.0
	s_nop 0
	v_cndmask_b32_e32 v2, v72, v2, vcc
	v_cmp_nlt_f32_e32 vcc, s79, v25
	v_fmac_f32_e32 v28, v29, v28
	s_nop 0
	v_cndmask_b32_e32 v3, 0, v3, vcc
	v_cmp_ngt_f32_e32 vcc, s97, v25
	s_nop 1
	v_cndmask_b32_e32 v3, v72, v3, vcc
	v_div_scale_f32 v29, vcc, v24, v1, v24
	v_mul_f32_e32 v30, v29, v28
	v_fma_f32 v31, -v27, v30, v29
	v_fmac_f32_e32 v30, v31, v28
	v_fma_f32 v27, -v27, v30, v29
	v_div_scale_f32 v29, s[2:3], v0, v0, v6
	v_rcp_f32_e32 v31, v29
	v_div_fmas_f32 v27, v27, v28, v30
	v_div_fixup_f32 v1, v27, v1, v24
	v_pk_add_f32 v[2:3], v[2:3], 1.0 op_sel_hi:[1,0]
	v_fma_f32 v24, -v29, v31, 1.0
	v_fmac_f32_e32 v31, v24, v31
	v_div_scale_f32 v24, vcc, v6, v0, v6
	v_mul_f32_e32 v27, v24, v31
	v_fma_f32 v28, -v29, v27, v24
	v_fmac_f32_e32 v27, v28, v31
	v_div_scale_f32 v28, s[2:3], v3, v3, v25
	v_fma_f32 v24, -v29, v27, v24
	v_rcp_f32_e32 v29, v28
	v_div_fmas_f32 v24, v24, v31, v27
	v_div_fixup_f32 v0, v24, v0, v6
	v_pk_mul_f32 v[0:1], v[20:21], v[0:1]
	v_fma_f32 v6, -v28, v29, 1.0
	v_fmac_f32_e32 v29, v6, v29
	v_div_scale_f32 v6, vcc, v25, v3, v25
	v_mul_f32_e32 v24, v6, v29
	v_fma_f32 v27, -v28, v24, v6
	v_fmac_f32_e32 v24, v27, v29
	v_div_scale_f32 v27, s[2:3], v2, v2, v26
	v_fma_f32 v6, -v28, v24, v6
	v_rcp_f32_e32 v28, v27
	v_div_fmas_f32 v6, v6, v29, v24
	v_div_fixup_f32 v3, v6, v3, v25
	v_cvt_f16_f32_e32 v1, v1
	v_fma_f32 v6, -v27, v28, 1.0
	v_fmac_f32_e32 v28, v6, v28
	v_div_scale_f32 v6, vcc, v26, v2, v26
	v_mul_f32_e32 v24, v6, v28
	v_fma_f32 v25, -v27, v24, v6
	v_fmac_f32_e32 v24, v25, v28
	v_fma_f32 v6, -v27, v24, v6
	v_div_fmas_f32 v6, v6, v28, v24
	v_div_fixup_f32 v2, v6, v2, v26
	v_pk_mul_f32 v[2:3], v[22:23], v[2:3]
	v_cvt_f16_f32_e32 v0, v0
	v_cvt_f16_f32_e32 v3, v3
	;; [unrolled: 1-line block ×3, first 2 shown]
	v_pack_b32_f16 v3, v2, v3
	v_pack_b32_f16 v2, v0, v1
	;; [unrolled: 1-line block ×4, first 2 shown]
	ds_write_b128 v55, v[0:3]
	; wave barrier
	ds_read_u16 v19, v48 offset:128
	ds_read_u16 v7, v49 offset:256
	;; [unrolled: 1-line block ×7, first 2 shown]
	v_lshl_add_u64 v[0:1], s[70:71], 1, v[16:17]
	s_and_saveexec_b64 s[2:3], s[18:19]
	s_cbranch_execnz .LBB77_161
; %bb.145:                              ;   in Loop: Header=BB77_12 Depth=1
	s_or_b64 exec, exec, s[2:3]
	s_and_saveexec_b64 s[2:3], s[20:21]
	s_cbranch_execnz .LBB77_162
.LBB77_146:                             ;   in Loop: Header=BB77_12 Depth=1
	s_or_b64 exec, exec, s[2:3]
	s_and_saveexec_b64 s[2:3], s[22:23]
	s_cbranch_execnz .LBB77_163
.LBB77_147:                             ;   in Loop: Header=BB77_12 Depth=1
	s_or_b64 exec, exec, s[2:3]
	s_and_saveexec_b64 s[2:3], s[24:25]
	s_cbranch_execnz .LBB77_164
.LBB77_148:                             ;   in Loop: Header=BB77_12 Depth=1
	s_or_b64 exec, exec, s[2:3]
	s_and_saveexec_b64 s[2:3], s[26:27]
	s_cbranch_execnz .LBB77_165
.LBB77_149:                             ;   in Loop: Header=BB77_12 Depth=1
	s_or_b64 exec, exec, s[2:3]
	s_and_saveexec_b64 s[2:3], s[28:29]
	s_cbranch_execnz .LBB77_166
.LBB77_150:                             ;   in Loop: Header=BB77_12 Depth=1
	s_or_b64 exec, exec, s[2:3]
	s_and_saveexec_b64 s[2:3], s[30:31]
	s_cbranch_execnz .LBB77_167
.LBB77_151:                             ;   in Loop: Header=BB77_12 Depth=1
	s_or_b64 exec, exec, s[2:3]
	s_and_saveexec_b64 s[2:3], s[34:35]
	s_cbranch_execz .LBB77_11
	s_branch .LBB77_168
.LBB77_152:                             ;   in Loop: Header=BB77_12 Depth=1
	global_load_ushort v23, v[4:5], off offset:640
	s_or_b64 exec, exec, s[2:3]
	s_and_saveexec_b64 s[2:3], s[30:31]
	s_cbranch_execz .LBB77_40
.LBB77_153:                             ;   in Loop: Header=BB77_12 Depth=1
	global_load_ushort v22, v[4:5], off offset:768
	s_or_b64 exec, exec, s[2:3]
	v_mov_b32_e32 v24, 0
	s_and_saveexec_b64 s[2:3], s[34:35]
	s_cbranch_execnz .LBB77_41
	s_branch .LBB77_42
.LBB77_154:                             ;   in Loop: Header=BB77_12 Depth=1
	ds_read_u16 v28, v47
	s_waitcnt lgkmcnt(0)
	global_store_short v[0:1], v28, off
	s_or_b64 exec, exec, s[2:3]
	s_and_saveexec_b64 s[2:3], s[20:21]
	s_cbranch_execz .LBB77_121
.LBB77_155:                             ;   in Loop: Header=BB77_12 Depth=1
	s_waitcnt lgkmcnt(6)
	global_store_short v[0:1], v19, off offset:128
	s_or_b64 exec, exec, s[2:3]
	s_and_saveexec_b64 s[2:3], s[22:23]
	s_cbranch_execz .LBB77_122
.LBB77_156:                             ;   in Loop: Header=BB77_12 Depth=1
	s_waitcnt lgkmcnt(5)
	global_store_short v[0:1], v7, off offset:256
	s_or_b64 exec, exec, s[2:3]
	s_and_saveexec_b64 s[2:3], s[24:25]
	s_cbranch_execz .LBB77_123
.LBB77_157:                             ;   in Loop: Header=BB77_12 Depth=1
	s_waitcnt lgkmcnt(4)
	global_store_short v[0:1], v6, off offset:384
	s_or_b64 exec, exec, s[2:3]
	s_and_saveexec_b64 s[2:3], s[26:27]
	s_cbranch_execz .LBB77_124
.LBB77_158:                             ;   in Loop: Header=BB77_12 Depth=1
	s_waitcnt lgkmcnt(3)
	global_store_short v[0:1], v5, off offset:512
	s_or_b64 exec, exec, s[2:3]
	s_and_saveexec_b64 s[2:3], s[28:29]
	s_cbranch_execz .LBB77_125
.LBB77_159:                             ;   in Loop: Header=BB77_12 Depth=1
	s_waitcnt lgkmcnt(2)
	global_store_short v[0:1], v4, off offset:640
	s_or_b64 exec, exec, s[2:3]
	s_and_saveexec_b64 s[2:3], s[30:31]
	s_cbranch_execz .LBB77_126
.LBB77_160:                             ;   in Loop: Header=BB77_12 Depth=1
	s_waitcnt lgkmcnt(1)
	global_store_short v[0:1], v3, off offset:768
	s_or_b64 exec, exec, s[2:3]
	s_and_saveexec_b64 s[2:3], s[34:35]
	s_cbranch_execnz .LBB77_127
	s_branch .LBB77_128
.LBB77_161:                             ;   in Loop: Header=BB77_12 Depth=1
	ds_read_u16 v20, v47
	s_waitcnt lgkmcnt(0)
	global_store_short v[0:1], v20, off
	s_or_b64 exec, exec, s[2:3]
	s_and_saveexec_b64 s[2:3], s[20:21]
	s_cbranch_execz .LBB77_146
.LBB77_162:                             ;   in Loop: Header=BB77_12 Depth=1
	s_waitcnt lgkmcnt(6)
	global_store_short v[0:1], v19, off offset:128
	s_or_b64 exec, exec, s[2:3]
	s_and_saveexec_b64 s[2:3], s[22:23]
	s_cbranch_execz .LBB77_147
.LBB77_163:                             ;   in Loop: Header=BB77_12 Depth=1
	s_waitcnt lgkmcnt(5)
	global_store_short v[0:1], v7, off offset:256
	s_or_b64 exec, exec, s[2:3]
	s_and_saveexec_b64 s[2:3], s[24:25]
	s_cbranch_execz .LBB77_148
.LBB77_164:                             ;   in Loop: Header=BB77_12 Depth=1
	s_waitcnt lgkmcnt(4)
	global_store_short v[0:1], v6, off offset:384
	s_or_b64 exec, exec, s[2:3]
	s_and_saveexec_b64 s[2:3], s[26:27]
	s_cbranch_execz .LBB77_149
.LBB77_165:                             ;   in Loop: Header=BB77_12 Depth=1
	s_waitcnt lgkmcnt(3)
	global_store_short v[0:1], v5, off offset:512
	s_or_b64 exec, exec, s[2:3]
	s_and_saveexec_b64 s[2:3], s[28:29]
	s_cbranch_execz .LBB77_150
.LBB77_166:                             ;   in Loop: Header=BB77_12 Depth=1
	s_waitcnt lgkmcnt(2)
	global_store_short v[0:1], v4, off offset:640
	s_or_b64 exec, exec, s[2:3]
	s_and_saveexec_b64 s[2:3], s[30:31]
	s_cbranch_execz .LBB77_151
.LBB77_167:                             ;   in Loop: Header=BB77_12 Depth=1
	s_waitcnt lgkmcnt(1)
	global_store_short v[0:1], v3, off offset:768
	s_or_b64 exec, exec, s[2:3]
	s_and_saveexec_b64 s[2:3], s[34:35]
	s_cbranch_execz .LBB77_11
.LBB77_168:                             ;   in Loop: Header=BB77_12 Depth=1
	s_waitcnt lgkmcnt(0)
	global_store_short v[0:1], v2, off offset:896
	s_branch .LBB77_11
.LBB77_169:
	s_endpgm
	.section	.rodata,"a",@progbits
	.p2align	6, 0x0
	.amdhsa_kernel _Z25selective_scan_fwd_kernelI32Selective_Scan_fwd_kernel_traitsILi64ELi8ELi1ELb0ELb1ELb1ELb1ELb0EN3c104HalfEfS2_EEv13SSMParamsBase
		.amdhsa_group_segment_fixed_size 0
		.amdhsa_private_segment_fixed_size 0
		.amdhsa_kernarg_size 248
		.amdhsa_user_sgpr_count 2
		.amdhsa_user_sgpr_dispatch_ptr 0
		.amdhsa_user_sgpr_queue_ptr 0
		.amdhsa_user_sgpr_kernarg_segment_ptr 1
		.amdhsa_user_sgpr_dispatch_id 0
		.amdhsa_user_sgpr_kernarg_preload_length 0
		.amdhsa_user_sgpr_kernarg_preload_offset 0
		.amdhsa_user_sgpr_private_segment_size 0
		.amdhsa_uses_dynamic_stack 0
		.amdhsa_enable_private_segment 0
		.amdhsa_system_sgpr_workgroup_id_x 1
		.amdhsa_system_sgpr_workgroup_id_y 1
		.amdhsa_system_sgpr_workgroup_id_z 0
		.amdhsa_system_sgpr_workgroup_info 0
		.amdhsa_system_vgpr_workitem_id 0
		.amdhsa_next_free_vgpr 96
		.amdhsa_next_free_sgpr 100
		.amdhsa_accum_offset 96
		.amdhsa_reserve_vcc 1
		.amdhsa_float_round_mode_32 0
		.amdhsa_float_round_mode_16_64 0
		.amdhsa_float_denorm_mode_32 3
		.amdhsa_float_denorm_mode_16_64 3
		.amdhsa_dx10_clamp 1
		.amdhsa_ieee_mode 1
		.amdhsa_fp16_overflow 0
		.amdhsa_tg_split 0
		.amdhsa_exception_fp_ieee_invalid_op 0
		.amdhsa_exception_fp_denorm_src 0
		.amdhsa_exception_fp_ieee_div_zero 0
		.amdhsa_exception_fp_ieee_overflow 0
		.amdhsa_exception_fp_ieee_underflow 0
		.amdhsa_exception_fp_ieee_inexact 0
		.amdhsa_exception_int_div_zero 0
	.end_amdhsa_kernel
	.section	.text._Z25selective_scan_fwd_kernelI32Selective_Scan_fwd_kernel_traitsILi64ELi8ELi1ELb0ELb1ELb1ELb1ELb0EN3c104HalfEfS2_EEv13SSMParamsBase,"axG",@progbits,_Z25selective_scan_fwd_kernelI32Selective_Scan_fwd_kernel_traitsILi64ELi8ELi1ELb0ELb1ELb1ELb1ELb0EN3c104HalfEfS2_EEv13SSMParamsBase,comdat
.Lfunc_end77:
	.size	_Z25selective_scan_fwd_kernelI32Selective_Scan_fwd_kernel_traitsILi64ELi8ELi1ELb0ELb1ELb1ELb1ELb0EN3c104HalfEfS2_EEv13SSMParamsBase, .Lfunc_end77-_Z25selective_scan_fwd_kernelI32Selective_Scan_fwd_kernel_traitsILi64ELi8ELi1ELb0ELb1ELb1ELb1ELb0EN3c104HalfEfS2_EEv13SSMParamsBase
                                        ; -- End function
	.section	.AMDGPU.csdata,"",@progbits
; Kernel info:
; codeLenInByte = 12656
; NumSgprs: 106
; NumVgprs: 96
; NumAgprs: 0
; TotalNumVgprs: 96
; ScratchSize: 0
; MemoryBound: 0
; FloatMode: 240
; IeeeMode: 1
; LDSByteSize: 0 bytes/workgroup (compile time only)
; SGPRBlocks: 13
; VGPRBlocks: 11
; NumSGPRsForWavesPerEU: 106
; NumVGPRsForWavesPerEU: 96
; AccumOffset: 96
; Occupancy: 5
; WaveLimiterHint : 0
; COMPUTE_PGM_RSRC2:SCRATCH_EN: 0
; COMPUTE_PGM_RSRC2:USER_SGPR: 2
; COMPUTE_PGM_RSRC2:TRAP_HANDLER: 0
; COMPUTE_PGM_RSRC2:TGID_X_EN: 1
; COMPUTE_PGM_RSRC2:TGID_Y_EN: 1
; COMPUTE_PGM_RSRC2:TGID_Z_EN: 0
; COMPUTE_PGM_RSRC2:TIDIG_COMP_CNT: 0
; COMPUTE_PGM_RSRC3_GFX90A:ACCUM_OFFSET: 23
; COMPUTE_PGM_RSRC3_GFX90A:TG_SPLIT: 0
	.section	.text._Z25selective_scan_fwd_kernelI32Selective_Scan_fwd_kernel_traitsILi64ELi8ELi1ELb0ELb1ELb1ELb0ELb1EN3c104HalfEfS2_EEv13SSMParamsBase,"axG",@progbits,_Z25selective_scan_fwd_kernelI32Selective_Scan_fwd_kernel_traitsILi64ELi8ELi1ELb0ELb1ELb1ELb0ELb1EN3c104HalfEfS2_EEv13SSMParamsBase,comdat
	.protected	_Z25selective_scan_fwd_kernelI32Selective_Scan_fwd_kernel_traitsILi64ELi8ELi1ELb0ELb1ELb1ELb0ELb1EN3c104HalfEfS2_EEv13SSMParamsBase ; -- Begin function _Z25selective_scan_fwd_kernelI32Selective_Scan_fwd_kernel_traitsILi64ELi8ELi1ELb0ELb1ELb1ELb0ELb1EN3c104HalfEfS2_EEv13SSMParamsBase
	.globl	_Z25selective_scan_fwd_kernelI32Selective_Scan_fwd_kernel_traitsILi64ELi8ELi1ELb0ELb1ELb1ELb0ELb1EN3c104HalfEfS2_EEv13SSMParamsBase
	.p2align	8
	.type	_Z25selective_scan_fwd_kernelI32Selective_Scan_fwd_kernel_traitsILi64ELi8ELi1ELb0ELb1ELb1ELb0ELb1EN3c104HalfEfS2_EEv13SSMParamsBase,@function
_Z25selective_scan_fwd_kernelI32Selective_Scan_fwd_kernel_traitsILi64ELi8ELi1ELb0ELb1ELb1ELb0ELb1EN3c104HalfEfS2_EEv13SSMParamsBase: ; @_Z25selective_scan_fwd_kernelI32Selective_Scan_fwd_kernel_traitsILi64ELi8ELi1ELb0ELb1ELb1ELb0ELb1EN3c104HalfEfS2_EEv13SSMParamsBase
; %bb.0:
	s_load_dword s27, s[0:1], 0x18
	s_load_dwordx4 s[4:7], s[0:1], 0xe0
	s_load_dwordx2 s[10:11], s[0:1], 0xf0
	s_mov_b32 s20, s3
	s_ashr_i32 s3, s2, 31
	s_waitcnt lgkmcnt(0)
	s_abs_i32 s26, s27
	v_cvt_f32_u32_e32 v1, s26
	s_lshl_b64 s[8:9], s[2:3], 2
	s_add_u32 s24, s4, s8
	s_addc_u32 s25, s5, s9
	v_rcp_iflag_f32_e32 v1, v1
	s_cmp_eq_u64 s[10:11], 0
	v_mul_f32_e32 v1, 0x4f7ffffe, v1
	v_cvt_u32_f32_e32 v1, v1
	s_nop 0
	v_readfirstlane_b32 s28, v1
	s_cbranch_scc1 .LBB78_137
; %bb.1:
	s_add_u32 s4, s10, s2
	s_addc_u32 s5, s11, s3
	v_mov_b32_e32 v1, 0
	global_load_ubyte v1, v1, s[4:5]
	s_waitcnt vmcnt(0)
	v_and_b32_e32 v1, 1, v1
	v_cmp_eq_u32_e64 s[68:69], 1, v1
	s_load_dwordx2 s[4:5], s[0:1], 0x20
	s_cmp_eq_u64 s[6:7], 0
	s_cbranch_scc1 .LBB78_3
.LBB78_2:
	s_add_u32 s2, s6, s8
	s_addc_u32 s3, s7, s9
	s_load_dword s2, s[2:3], 0x0
	s_waitcnt lgkmcnt(0)
	s_ashr_i32 s3, s2, 31
.LBB78_3:
	s_waitcnt lgkmcnt(0)
	s_cmp_eq_u64 s[4:5], s[2:3]
	s_cbranch_scc1 .LBB78_136
; %bb.4:
	s_load_dwordx16 s[4:19], s[0:1], 0x88
	s_load_dwordx2 s[22:23], s[24:25], 0x0
	s_mov_b32 s33, 0
	s_mov_b32 s94, 0
	s_waitcnt lgkmcnt(0)
	s_cmp_eq_u64 s[10:11], 0
	s_cbranch_scc1 .LBB78_6
; %bb.5:
	s_ashr_i32 s21, s20, 31
	s_lshl_b64 s[24:25], s[20:21], 2
	s_add_u32 s10, s10, s24
	s_addc_u32 s11, s11, s25
	s_load_dword s94, s[10:11], 0x0
.LBB78_6:
	s_cmp_eq_u64 s[16:17], 0
	s_cbranch_scc1 .LBB78_8
; %bb.7:
	s_ashr_i32 s21, s20, 31
	s_lshl_b64 s[10:11], s[20:21], 2
	s_add_u32 s10, s16, s10
	s_addc_u32 s11, s17, s11
	s_load_dword s33, s[10:11], 0x0
.LBB78_8:
	s_sub_i32 s29, s23, s22
	s_cmp_lt_i32 s29, 1
	s_cbranch_scc1 .LBB78_136
; %bb.9:
	s_sub_i32 s3, 0, s26
	s_mul_i32 s3, s3, s28
	s_mul_hi_u32 s3, s28, s3
	s_abs_i32 s21, s20
	s_add_i32 s28, s28, s3
	s_load_dwordx8 s[52:59], s[0:1], 0x2c
	s_load_dwordx2 s[10:11], s[0:1], 0x5c
	s_load_dwordx4 s[60:63], s[0:1], 0x4c
	s_load_dwordx4 s[64:67], s[0:1], 0x7c
	s_load_dwordx2 s[24:25], s[0:1], 0x6c
	s_load_dwordx2 s[16:17], s[0:1], 0xc8
	s_mul_hi_u32 s3, s21, s28
	s_load_dword s28, s[0:1], 0xc
	s_load_dword s23, s[0:1], 0x28
	s_ashr_i32 s0, s20, 31
	s_ashr_i32 s1, s27, 31
	s_xor_b32 s0, s0, s1
	s_mul_i32 s1, s3, s26
	s_sub_i32 s1, s21, s1
	s_add_i32 s21, s3, 1
	s_sub_i32 s27, s1, s26
	s_cmp_ge_u32 s1, s26
	s_cselect_b32 s3, s21, s3
	s_cselect_b32 s1, s27, s1
	s_add_i32 s21, s3, 1
	s_cmp_ge_u32 s1, s26
	s_cselect_b32 s1, s21, s3
	s_xor_b32 s1, s1, s0
	s_waitcnt lgkmcnt(0)
	s_mul_i32 s70, s22, s62
	s_mov_b32 s71, 0
	s_sub_i32 s3, s1, s0
	s_lshl_b64 s[0:1], s[70:71], 1
	s_add_u32 s12, s12, s0
	s_mul_i32 s70, s63, s20
	s_addc_u32 s13, s13, s1
	s_lshl_b64 s[0:1], s[70:71], 1
	s_add_u32 s62, s12, s0
	s_mul_i32 s70, s22, s10
	s_addc_u32 s63, s13, s1
	;; [unrolled: 4-line block ×10, first 2 shown]
	s_lshl_b64 s[0:1], s[70:71], 1
	s_add_u32 s57, s2, s0
	v_mbcnt_lo_u32_b32 v1, -1, 0
	s_addc_u32 s61, s3, s1
	s_add_i32 s0, s29, 0x7ff
	v_mbcnt_hi_u32_b32 v10, -1, v1
	s_lshr_b32 s12, s0, 11
	v_lshrrev_b32_e32 v1, 5, v10
	v_and_b32_e32 v1, 2, v1
	s_bitcmp1_b32 s23, 0
	v_add_u32_e32 v36, 64, v10
	v_or_b32_e32 v37, 0x80, v10
	v_add_u32_e32 v38, 0xc0, v10
	v_or_b32_e32 v39, 0x100, v10
	v_add_u32_e32 v40, 0x140, v10
	v_or_b32_e32 v41, 0x180, v10
	v_add_u32_e32 v42, 0x1c0, v10
	v_add_u32_e32 v1, v1, v10
	s_cselect_b64 s[64:65], -1, 0
                                        ; implicit-def: $vgpr95 : SGPR spill to VGPR lane
	s_cmp_gt_i32 s28, 0
	v_lshl_add_u32 v43, v1, 1, 0
	v_lshrrev_b32_e32 v1, 5, v36
	v_lshrrev_b32_e32 v2, 5, v37
	;; [unrolled: 1-line block ×7, first 2 shown]
	v_writelane_b32 v95, s28, 0
	s_cselect_b64 s[0:1], -1, 0
	v_and_b32_e32 v1, 6, v1
	v_and_b32_e32 v2, 6, v2
	;; [unrolled: 1-line block ×7, first 2 shown]
	v_writelane_b32 v95, s0, 1
	v_add_lshl_u32 v1, v1, v10, 1
	v_add_lshl_u32 v2, v2, v10, 1
	;; [unrolled: 1-line block ×7, first 2 shown]
	v_writelane_b32 v95, s1, 2
	s_add_i32 s0, 0, 0x420
	v_add_u32_e32 v52, s0, v1
	v_add_u32_e32 v53, s0, v2
	;; [unrolled: 1-line block ×7, first 2 shown]
	s_and_b32 s0, s29, 0x1ff
	v_writelane_b32 v95, s29, 3
	s_cmp_eq_u32 s0, 0
	s_cselect_b64 s[76:77], -1, 0
	v_writelane_b32 v95, s12, 4
	s_add_i32 s12, s12, -1
	s_mul_i32 s70, s22, s24
	v_writelane_b32 v95, s12, 5
	s_lshl_b64 s[12:13], s[70:71], 1
	v_add_u32_e32 v44, 0, v1
	v_lshrrev_b32_e32 v8, 2, v10
	v_and_b32_e32 v1, 15, v10
	s_add_u32 s21, s18, s12
	s_mul_i32 s70, s25, s20
	v_and_b32_e32 v8, 30, v8
	v_cmp_ne_u32_e64 s[0:1], 0, v1
	v_cmp_lt_u32_e64 s[2:3], 1, v1
	v_cmp_lt_u32_e64 s[4:5], 3, v1
	;; [unrolled: 1-line block ×3, first 2 shown]
	v_and_b32_e32 v1, 16, v10
	s_addc_u32 s22, s19, s13
	s_lshl_b64 s[18:19], s[70:71], 1
	v_add_u32_e32 v45, 0, v2
	v_lshl_add_u32 v8, v10, 3, v8
	v_cmp_ne_u32_e64 s[8:9], 0, v1
	v_add_u32_e32 v1, -1, v10
	v_and_b32_e32 v2, 64, v10
	s_add_u32 s18, s21, s18
	v_mov_b32_e32 v9, 0
	v_lshl_add_u32 v51, v8, 1, 0
	v_cmp_lt_i32_e32 vcc, v1, v2
	s_addc_u32 s19, s22, s19
	v_lshlrev_b32_e32 v8, 1, v10
	v_lshlrev_b32_e32 v11, 3, v0
	v_cndmask_b32_e32 v1, v1, v10, vcc
	v_lshl_add_u64 v[12:13], s[18:19], 0, v[8:9]
	s_add_i32 s18, 0, 0x848
	v_add_u32_e32 v46, 0, v3
	v_add_u32_e32 v47, 0, v4
	;; [unrolled: 1-line block ×5, first 2 shown]
	v_cmp_lt_u32_e64 s[10:11], 31, v10
	v_cmp_eq_u32_e64 s[12:13], 63, v0
	v_lshlrev_b32_e32 v59, 2, v1
	v_cmp_gt_u32_e64 s[14:15], 64, v0
	v_cmp_eq_u32_e64 s[16:17], 0, v0
	v_or_b32_e32 v62, 3, v11
	v_or_b32_e32 v63, 4, v11
	;; [unrolled: 1-line block ×5, first 2 shown]
	v_lshlrev_b32_e32 v8, 1, v10
	s_mov_b32 s99, 0x41a00000
	s_mov_b32 s40, 0x3fb8aa3b
	;; [unrolled: 1-line block ×6, first 2 shown]
	v_mov_b32_e32 v67, 0x3ecc95a3
	s_mov_b32 s95, 0x3f317218
	s_mov_b32 s67, 0x33800000
	v_writelane_b32 v95, s18, 6
	s_mov_b32 s98, 0xc2fc0000
	v_mov_b32_e32 v68, 0x7f800000
	v_mov_b32_e32 v14, 0x3f317218
	;; [unrolled: 1-line block ×4, first 2 shown]
	s_mov_b32 s74, 0
                                        ; implicit-def: $vgpr0
	s_branch .LBB78_11
.LBB78_10:                              ;   in Loop: Header=BB78_11 Depth=1
	s_or_b64 exec, exec, s[18:19]
	s_add_u32 s72, s72, 0x400
	s_addc_u32 s73, s73, 0
	s_add_u32 s62, s62, 0x400
	s_addc_u32 s63, s63, 0
	;; [unrolled: 2-line block ×4, first 2 shown]
	s_add_i32 s74, s74, 1
	v_readlane_b32 s18, v95, 4
	s_cmp_eq_u32 s74, s18
	s_cbranch_scc1 .LBB78_136
.LBB78_11:                              ; =>This Loop Header: Depth=1
                                        ;     Child Loop BB78_60 Depth 2
	s_lshl_b32 s78, s74, 9
	v_readlane_b32 s18, v95, 3
	s_sub_i32 s50, s18, s78
	v_lshl_add_u64 v[0:1], s[62:63], 0, v[8:9]
	v_cmp_gt_u32_e64 s[18:19], s50, v10
	s_waitcnt lgkmcnt(0)
	v_mov_b32_e32 v2, 0
	s_waitcnt lgkmcnt(0)
	; wave barrier
	s_and_saveexec_b64 s[20:21], s[18:19]
	s_cbranch_execz .LBB78_13
; %bb.12:                               ;   in Loop: Header=BB78_11 Depth=1
	global_load_ushort v2, v[0:1], off
.LBB78_13:                              ;   in Loop: Header=BB78_11 Depth=1
	s_or_b64 exec, exec, s[20:21]
	v_cmp_gt_u32_e64 s[20:21], s50, v36
	v_mov_b32_e32 v3, 0
	v_mov_b32_e32 v4, 0
	s_and_saveexec_b64 s[22:23], s[20:21]
	s_cbranch_execz .LBB78_15
; %bb.14:                               ;   in Loop: Header=BB78_11 Depth=1
	global_load_ushort v4, v[0:1], off offset:128
.LBB78_15:                              ;   in Loop: Header=BB78_11 Depth=1
	s_or_b64 exec, exec, s[22:23]
	v_cmp_gt_u32_e64 s[22:23], s50, v37
	s_and_saveexec_b64 s[24:25], s[22:23]
	s_cbranch_execz .LBB78_17
; %bb.16:                               ;   in Loop: Header=BB78_11 Depth=1
	global_load_ushort v3, v[0:1], off offset:256
.LBB78_17:                              ;   in Loop: Header=BB78_11 Depth=1
	s_or_b64 exec, exec, s[24:25]
	v_cmp_gt_u32_e64 s[24:25], s50, v38
	v_mov_b32_e32 v5, 0
	v_mov_b32_e32 v7, 0
	s_and_saveexec_b64 s[26:27], s[24:25]
	s_cbranch_execz .LBB78_19
; %bb.18:                               ;   in Loop: Header=BB78_11 Depth=1
	global_load_ushort v7, v[0:1], off offset:384
.LBB78_19:                              ;   in Loop: Header=BB78_11 Depth=1
	s_or_b64 exec, exec, s[26:27]
	v_cmp_gt_u32_e64 s[26:27], s50, v39
	s_and_saveexec_b64 s[28:29], s[26:27]
	s_cbranch_execz .LBB78_21
; %bb.20:                               ;   in Loop: Header=BB78_11 Depth=1
	global_load_ushort v5, v[0:1], off offset:512
.LBB78_21:                              ;   in Loop: Header=BB78_11 Depth=1
	;; [unrolled: 16-line block ×3, first 2 shown]
	s_or_b64 exec, exec, s[34:35]
	v_cmp_gt_u32_e64 s[34:35], s50, v42
	v_mov_b32_e32 v6, 0
	v_mov_b32_e32 v17, 0
	s_and_saveexec_b64 s[36:37], s[34:35]
	s_cbranch_execz .LBB78_27
; %bb.26:                               ;   in Loop: Header=BB78_11 Depth=1
	global_load_ushort v17, v[0:1], off offset:896
.LBB78_27:                              ;   in Loop: Header=BB78_11 Depth=1
	s_or_b64 exec, exec, s[36:37]
	s_waitcnt vmcnt(0)
	ds_write_b16 v43, v2
	ds_write_b16 v44, v4 offset:128
	ds_write_b16 v45, v3 offset:256
	;; [unrolled: 1-line block ×7, first 2 shown]
	; wave barrier
	ds_read_b128 v[0:3], v51
	v_lshl_add_u64 v[4:5], s[72:73], 0, v[8:9]
	s_waitcnt lgkmcnt(0)
	; wave barrier
	s_waitcnt lgkmcnt(0)
	s_and_saveexec_b64 s[36:37], s[18:19]
	s_cbranch_execz .LBB78_29
; %bb.28:                               ;   in Loop: Header=BB78_11 Depth=1
	global_load_ushort v6, v[4:5], off
.LBB78_29:                              ;   in Loop: Header=BB78_11 Depth=1
	s_or_b64 exec, exec, s[36:37]
	v_mov_b32_e32 v7, 0
	v_mov_b32_e32 v15, 0
	s_and_saveexec_b64 s[36:37], s[20:21]
	s_cbranch_execz .LBB78_31
; %bb.30:                               ;   in Loop: Header=BB78_11 Depth=1
	global_load_ushort v15, v[4:5], off offset:128
.LBB78_31:                              ;   in Loop: Header=BB78_11 Depth=1
	s_or_b64 exec, exec, s[36:37]
	s_and_saveexec_b64 s[36:37], s[22:23]
	s_cbranch_execz .LBB78_33
; %bb.32:                               ;   in Loop: Header=BB78_11 Depth=1
	global_load_ushort v7, v[4:5], off offset:256
.LBB78_33:                              ;   in Loop: Header=BB78_11 Depth=1
	s_or_b64 exec, exec, s[36:37]
	v_mov_b32_e32 v16, 0
	v_mov_b32_e32 v17, 0
	s_and_saveexec_b64 s[36:37], s[24:25]
	s_cbranch_execz .LBB78_35
; %bb.34:                               ;   in Loop: Header=BB78_11 Depth=1
	global_load_ushort v17, v[4:5], off offset:384
.LBB78_35:                              ;   in Loop: Header=BB78_11 Depth=1
	s_or_b64 exec, exec, s[36:37]
	s_and_saveexec_b64 s[36:37], s[26:27]
	s_cbranch_execz .LBB78_37
; %bb.36:                               ;   in Loop: Header=BB78_11 Depth=1
	global_load_ushort v16, v[4:5], off offset:512
.LBB78_37:                              ;   in Loop: Header=BB78_11 Depth=1
	s_or_b64 exec, exec, s[36:37]
	v_mov_b32_e32 v18, 0
	v_mov_b32_e32 v19, 0
	s_and_saveexec_b64 s[36:37], s[28:29]
	s_cbranch_execnz .LBB78_126
; %bb.38:                               ;   in Loop: Header=BB78_11 Depth=1
	s_or_b64 exec, exec, s[36:37]
	s_and_saveexec_b64 s[36:37], s[30:31]
	s_cbranch_execnz .LBB78_127
.LBB78_39:                              ;   in Loop: Header=BB78_11 Depth=1
	s_or_b64 exec, exec, s[36:37]
	v_mov_b32_e32 v20, 0
	s_and_saveexec_b64 s[36:37], s[34:35]
	s_cbranch_execz .LBB78_41
.LBB78_40:                              ;   in Loop: Header=BB78_11 Depth=1
	global_load_ushort v20, v[4:5], off offset:896
.LBB78_41:                              ;   in Loop: Header=BB78_11 Depth=1
	s_or_b64 exec, exec, s[36:37]
	s_waitcnt vmcnt(0)
	ds_write_b16 v43, v6
	ds_write_b16 v44, v15 offset:128
	ds_write_b16 v45, v7 offset:256
	;; [unrolled: 1-line block ×7, first 2 shown]
	; wave barrier
	ds_read_b128 v[4:7], v51
	s_waitcnt lgkmcnt(0)
	v_cvt_f32_f16_e32 v15, v4
	v_add_f32_e32 v71, s33, v15
	v_cmp_ge_f32_e32 vcc, s99, v71
	s_and_b64 s[36:37], s[64:65], vcc
	s_and_saveexec_b64 s[38:39], s[36:37]
	s_cbranch_execz .LBB78_43
; %bb.42:                               ;   in Loop: Header=BB78_11 Depth=1
	v_mul_f32_e32 v15, 0x3fb8aa3b, v71
	v_rndne_f32_e32 v16, v15
	v_sub_f32_e32 v17, v15, v16
	v_fma_f32 v15, v71, s40, -v15
	v_fmac_f32_e32 v15, 0x32a5705f, v71
	v_add_f32_e32 v15, v17, v15
	v_cvt_i32_f32_e32 v16, v16
	v_exp_f32_e32 v15, v15
	v_cmp_ngt_f32_e32 vcc, s41, v71
	v_ldexp_f32 v15, v15, v16
	s_nop 0
	v_cndmask_b32_e32 v15, 0, v15, vcc
	v_cmp_nlt_f32_e32 vcc, s42, v71
	s_nop 1
	v_cndmask_b32_e32 v32, v68, v15, vcc
	v_add_f32_e32 v15, 1.0, v32
	v_add_f32_e32 v16, -1.0, v15
	v_sub_f32_e32 v17, v16, v15
	v_add_f32_e32 v17, 1.0, v17
	v_sub_f32_e32 v16, v32, v16
	v_add_f32_e32 v18, v16, v17
	v_frexp_mant_f32_e32 v19, v15
	v_cvt_f64_f32_e32 v[16:17], v15
	v_frexp_exp_i32_f64_e32 v16, v[16:17]
	v_cmp_gt_f32_e32 vcc, s97, v19
	v_cmp_gt_f32_e64 s[36:37], s67, v32
	s_nop 0
	v_subbrev_co_u32_e32 v24, vcc, 0, v16, vcc
	v_sub_u32_e32 v16, 0, v24
	v_ldexp_f32 v15, v15, v16
	v_ldexp_f32 v16, v18, v16
	v_add_f32_e32 v18, -1.0, v15
	v_add_f32_e32 v17, 1.0, v18
	v_sub_f32_e32 v17, v15, v17
	v_add_f32_e32 v19, v16, v17
	v_add_f32_e32 v17, 1.0, v15
	v_add_f32_e32 v20, -1.0, v17
	v_sub_f32_e32 v15, v15, v20
	v_add_f32_e32 v15, v16, v15
	v_add_f32_e32 v25, v17, v15
	v_rcp_f32_e32 v26, v25
	v_sub_f32_e32 v16, v17, v25
	v_add_f32_e32 v17, v18, v19
	v_add_f32_e32 v15, v15, v16
	v_mul_f32_e32 v28, v17, v26
	v_sub_f32_e32 v16, v18, v17
	v_mul_f32_e32 v18, v25, v28
	v_fma_f32 v20, v28, v25, -v18
	v_fmac_f32_e32 v20, v28, v15
	v_add_f32_e32 v27, v19, v16
	v_add_f32_e32 v16, v18, v20
	v_sub_f32_e32 v19, v17, v16
	v_pk_add_f32 v[22:23], v[16:17], v[18:19] neg_lo:[0,1] neg_hi:[0,1]
	v_mov_b32_e32 v21, v16
	v_pk_add_f32 v[16:17], v[22:23], v[20:21] neg_lo:[0,1] neg_hi:[0,1]
	v_cmp_eq_f32_e32 vcc, s43, v32
	v_add_f32_e32 v17, v27, v17
	v_add_f32_e32 v16, v16, v17
	;; [unrolled: 1-line block ×3, first 2 shown]
	v_mul_f32_e32 v27, v26, v17
	v_mul_f32_e32 v18, v25, v27
	v_fma_f32 v20, v27, v25, -v18
	v_fmac_f32_e32 v20, v27, v15
	v_sub_f32_e32 v15, v19, v17
	v_add_f32_e32 v15, v16, v15
	v_add_f32_e32 v16, v18, v20
	v_sub_f32_e32 v19, v17, v16
	v_pk_add_f32 v[22:23], v[16:17], v[18:19] neg_lo:[0,1] neg_hi:[0,1]
	v_mov_b32_e32 v21, v16
	v_pk_add_f32 v[16:17], v[22:23], v[20:21] neg_lo:[0,1] neg_hi:[0,1]
	s_or_b64 vcc, s[36:37], vcc
	v_add_f32_e32 v15, v15, v17
	v_add_f32_e32 v15, v16, v15
	;; [unrolled: 1-line block ×4, first 2 shown]
	v_sub_f32_e32 v16, v17, v28
	v_mul_f32_e32 v15, v26, v15
	v_sub_f32_e32 v16, v27, v16
	v_add_f32_e32 v18, v16, v15
	v_add_f32_e32 v20, v17, v18
	v_cvt_f32_i32_e32 v16, v24
	v_mul_f32_e32 v21, v20, v20
	v_sub_f32_e32 v17, v20, v17
	v_fmamk_f32 v15, v21, 0x3e9b6dac, v67
	v_sub_f32_e32 v17, v18, v17
	v_fmaak_f32 v15, v21, v15, 0x3f2aaada
	v_ldexp_f32 v22, v17, 1
	v_mul_f32_e32 v17, v20, v21
	v_ldexp_f32 v19, v20, 1
	v_pk_mul_f32 v[20:21], v[16:17], v[14:15]
	s_nop 0
	v_fma_f32 v18, v16, s95, -v20
	v_fmac_f32_e32 v18, 0xb102e308, v16
	v_pk_add_f32 v[16:17], v[20:21], v[18:19]
	s_nop 0
	v_sub_f32_e32 v15, v17, v19
	v_sub_f32_e32 v15, v21, v15
	v_add_f32_e32 v23, v22, v15
	v_mov_b32_e32 v22, v20
	v_pk_add_f32 v[20:21], v[16:17], v[20:21] neg_lo:[0,1] neg_hi:[0,1]
	v_pk_add_f32 v[24:25], v[16:17], v[22:23]
	v_mov_b32_e32 v19, v16
	v_mov_b32_e32 v21, v25
	v_pk_add_f32 v[26:27], v[18:19], v[20:21] neg_lo:[0,1] neg_hi:[0,1]
	v_pk_add_f32 v[18:19], v[18:19], v[20:21]
	v_mov_b32_e32 v22, v23
	v_mov_b32_e32 v20, v19
	v_pk_add_f32 v[28:29], v[20:21], v[16:17] neg_lo:[0,1] neg_hi:[0,1]
	v_mov_b32_e32 v18, v25
	v_mov_b32_e32 v15, v28
	v_pk_add_f32 v[30:31], v[24:25], v[14:15] neg_lo:[0,1] neg_hi:[0,1]
	v_mov_b32_e32 v24, v17
	v_mov_b32_e32 v25, v28
	;; [unrolled: 1-line block ×3, first 2 shown]
	v_pk_add_f32 v[18:19], v[18:19], v[24:25] neg_lo:[0,1] neg_hi:[0,1]
	v_mov_b32_e32 v23, v16
	v_pk_add_f32 v[16:17], v[22:23], v[18:19] neg_lo:[0,1] neg_hi:[0,1]
	v_mov_b32_e32 v30, v26
	v_pk_add_f32 v[18:19], v[30:31], v[16:17]
	s_nop 0
	v_mov_b32_e32 v22, v19
	v_pk_add_f32 v[22:23], v[18:19], v[22:23]
	s_nop 0
	v_pk_add_f32 v[20:21], v[20:21], v[22:23]
	v_mov_b32_e32 v17, v22
	v_mov_b32_e32 v19, v20
	v_pk_add_f32 v[24:25], v[18:19], v[26:27] neg_lo:[0,1] neg_hi:[0,1]
	s_nop 0
	v_sub_f32_e32 v15, v18, v24
	v_pk_add_f32 v[16:17], v[16:17], v[24:25] neg_lo:[0,1] neg_hi:[0,1]
	v_sub_f32_e32 v15, v26, v15
	v_add_f32_e32 v15, v16, v15
	v_add_f32_e32 v15, v15, v17
	v_add_f32_e32 v15, v20, v15
	v_cndmask_b32_e32 v71, v15, v32, vcc
.LBB78_43:                              ;   in Loop: Header=BB78_11 Depth=1
	s_or_b64 exec, exec, s[38:39]
	v_cvt_f32_f16_sdwa v4, v4 dst_sel:DWORD dst_unused:UNUSED_PAD src0_sel:WORD_1
	v_add_f32_e32 v72, s33, v4
	v_cmp_ge_f32_e32 vcc, s99, v72
	s_and_b64 s[36:37], s[64:65], vcc
	s_and_saveexec_b64 s[38:39], s[36:37]
	s_cbranch_execz .LBB78_45
; %bb.44:                               ;   in Loop: Header=BB78_11 Depth=1
	v_mul_f32_e32 v4, 0x3fb8aa3b, v72
	v_rndne_f32_e32 v15, v4
	v_sub_f32_e32 v16, v4, v15
	v_fma_f32 v4, v72, s40, -v4
	v_fmac_f32_e32 v4, 0x32a5705f, v72
	v_add_f32_e32 v4, v16, v4
	v_cvt_i32_f32_e32 v15, v15
	v_exp_f32_e32 v4, v4
	v_cmp_ngt_f32_e32 vcc, s41, v72
	v_ldexp_f32 v4, v4, v15
	s_nop 0
	v_cndmask_b32_e32 v4, 0, v4, vcc
	v_cmp_nlt_f32_e32 vcc, s42, v72
	s_nop 1
	v_cndmask_b32_e32 v30, v68, v4, vcc
	v_add_f32_e32 v4, 1.0, v30
	v_add_f32_e32 v15, -1.0, v4
	v_sub_f32_e32 v16, v15, v4
	v_add_f32_e32 v16, 1.0, v16
	v_sub_f32_e32 v15, v30, v15
	v_add_f32_e32 v15, v15, v16
	v_frexp_mant_f32_e32 v18, v4
	v_cvt_f64_f32_e32 v[16:17], v4
	v_frexp_exp_i32_f64_e32 v16, v[16:17]
	v_cmp_gt_f32_e32 vcc, s97, v18
	v_cmp_gt_f32_e64 s[36:37], s67, v30
	s_nop 0
	v_subbrev_co_u32_e32 v24, vcc, 0, v16, vcc
	v_sub_u32_e32 v16, 0, v24
	v_ldexp_f32 v4, v4, v16
	v_ldexp_f32 v15, v15, v16
	v_add_f32_e32 v16, -1.0, v4
	v_add_f32_e32 v17, 1.0, v16
	v_sub_f32_e32 v17, v4, v17
	v_add_f32_e32 v18, v15, v17
	v_add_f32_e32 v17, 1.0, v4
	v_add_f32_e32 v19, -1.0, v17
	v_sub_f32_e32 v4, v4, v19
	v_add_f32_e32 v4, v15, v4
	v_add_f32_e32 v15, v17, v4
	v_rcp_f32_e32 v25, v15
	v_sub_f32_e32 v17, v17, v15
	v_add_f32_e32 v4, v4, v17
	v_add_f32_e32 v17, v16, v18
	v_sub_f32_e32 v16, v16, v17
	v_mul_f32_e32 v27, v17, v25
	v_add_f32_e32 v26, v18, v16
	v_mul_f32_e32 v18, v15, v27
	v_fma_f32 v20, v27, v15, -v18
	v_fmac_f32_e32 v20, v27, v4
	v_add_f32_e32 v16, v18, v20
	v_sub_f32_e32 v19, v17, v16
	v_pk_add_f32 v[22:23], v[16:17], v[18:19] neg_lo:[0,1] neg_hi:[0,1]
	v_mov_b32_e32 v21, v16
	v_pk_add_f32 v[16:17], v[22:23], v[20:21] neg_lo:[0,1] neg_hi:[0,1]
	v_cmp_eq_f32_e32 vcc, s43, v30
	v_add_f32_e32 v17, v26, v17
	v_add_f32_e32 v16, v16, v17
	v_add_f32_e32 v17, v19, v16
	v_mul_f32_e32 v26, v25, v17
	v_mul_f32_e32 v18, v15, v26
	v_fma_f32 v20, v26, v15, -v18
	v_fmac_f32_e32 v20, v26, v4
	v_sub_f32_e32 v4, v19, v17
	v_add_f32_e32 v4, v16, v4
	v_add_f32_e32 v16, v18, v20
	v_sub_f32_e32 v19, v17, v16
	v_pk_add_f32 v[22:23], v[16:17], v[18:19] neg_lo:[0,1] neg_hi:[0,1]
	v_mov_b32_e32 v21, v16
	v_pk_add_f32 v[16:17], v[22:23], v[20:21] neg_lo:[0,1] neg_hi:[0,1]
	s_or_b64 vcc, s[36:37], vcc
	v_add_f32_e32 v4, v4, v17
	v_add_f32_e32 v4, v16, v4
	;; [unrolled: 1-line block ×4, first 2 shown]
	v_sub_f32_e32 v15, v17, v27
	v_mul_f32_e32 v4, v25, v4
	v_sub_f32_e32 v15, v26, v15
	v_add_f32_e32 v4, v15, v4
	v_add_f32_e32 v18, v17, v4
	v_cvt_f32_i32_e32 v16, v24
	v_mul_f32_e32 v20, v18, v18
	v_fmamk_f32 v15, v20, 0x3e9b6dac, v67
	v_sub_f32_e32 v17, v18, v17
	v_fmaak_f32 v15, v20, v15, 0x3f2aaada
	v_sub_f32_e32 v4, v4, v17
	v_mul_f32_e32 v17, v18, v20
	v_pk_mul_f32 v[20:21], v[16:17], v[14:15]
	v_ldexp_f32 v19, v18, 1
	v_fma_f32 v18, v16, s95, -v20
	v_fmac_f32_e32 v18, 0xb102e308, v16
	v_pk_add_f32 v[16:17], v[20:21], v[18:19]
	v_ldexp_f32 v4, v4, 1
	v_sub_f32_e32 v15, v17, v19
	v_sub_f32_e32 v15, v21, v15
	v_add_f32_e32 v23, v4, v15
	v_mov_b32_e32 v22, v20
	v_pk_add_f32 v[20:21], v[16:17], v[20:21] neg_lo:[0,1] neg_hi:[0,1]
	v_pk_add_f32 v[24:25], v[16:17], v[22:23]
	v_mov_b32_e32 v19, v16
	v_mov_b32_e32 v21, v25
	v_pk_add_f32 v[26:27], v[18:19], v[20:21] neg_lo:[0,1] neg_hi:[0,1]
	v_pk_add_f32 v[18:19], v[18:19], v[20:21]
	s_nop 0
	v_mov_b32_e32 v4, v19
	v_pk_add_f32 v[20:21], v[4:5], v[16:17] neg_lo:[0,1] neg_hi:[0,1]
	v_mov_b32_e32 v18, v25
	v_mov_b32_e32 v15, v20
	v_pk_add_f32 v[28:29], v[24:25], v[14:15] neg_lo:[0,1] neg_hi:[0,1]
	v_mov_b32_e32 v24, v17
	v_mov_b32_e32 v25, v20
	;; [unrolled: 1-line block ×3, first 2 shown]
	v_pk_add_f32 v[18:19], v[18:19], v[24:25] neg_lo:[0,1] neg_hi:[0,1]
	v_mov_b32_e32 v20, v23
	v_mov_b32_e32 v21, v16
	v_pk_add_f32 v[16:17], v[20:21], v[18:19] neg_lo:[0,1] neg_hi:[0,1]
	v_mov_b32_e32 v28, v26
	v_pk_add_f32 v[18:19], v[28:29], v[16:17]
	s_nop 0
	v_mov_b32_e32 v20, v19
	v_pk_add_f32 v[20:21], v[18:19], v[20:21]
	s_nop 0
	v_pk_add_f32 v[22:23], v[4:5], v[20:21]
	v_mov_b32_e32 v17, v20
	v_mov_b32_e32 v19, v22
	v_pk_add_f32 v[24:25], v[18:19], v[26:27] neg_lo:[0,1] neg_hi:[0,1]
	s_nop 0
	v_sub_f32_e32 v4, v18, v24
	v_pk_add_f32 v[16:17], v[16:17], v[24:25] neg_lo:[0,1] neg_hi:[0,1]
	v_sub_f32_e32 v4, v26, v4
	v_add_f32_e32 v4, v16, v4
	v_add_f32_e32 v4, v4, v17
	;; [unrolled: 1-line block ×3, first 2 shown]
	v_cndmask_b32_e32 v72, v4, v30, vcc
.LBB78_45:                              ;   in Loop: Header=BB78_11 Depth=1
	s_or_b64 exec, exec, s[38:39]
	v_cvt_f32_f16_e32 v4, v5
	v_add_f32_e32 v73, s33, v4
	v_cmp_ge_f32_e32 vcc, s99, v73
	s_and_b64 s[36:37], s[64:65], vcc
	s_and_saveexec_b64 s[38:39], s[36:37]
	s_cbranch_execz .LBB78_47
; %bb.46:                               ;   in Loop: Header=BB78_11 Depth=1
	v_mul_f32_e32 v4, 0x3fb8aa3b, v73
	v_rndne_f32_e32 v15, v4
	v_sub_f32_e32 v16, v4, v15
	v_fma_f32 v4, v73, s40, -v4
	v_fmac_f32_e32 v4, 0x32a5705f, v73
	v_add_f32_e32 v4, v16, v4
	v_cvt_i32_f32_e32 v15, v15
	v_exp_f32_e32 v4, v4
	v_cmp_ngt_f32_e32 vcc, s41, v73
	v_ldexp_f32 v4, v4, v15
	s_nop 0
	v_cndmask_b32_e32 v4, 0, v4, vcc
	v_cmp_nlt_f32_e32 vcc, s42, v73
	s_nop 1
	v_cndmask_b32_e32 v30, v68, v4, vcc
	v_add_f32_e32 v4, 1.0, v30
	v_add_f32_e32 v15, -1.0, v4
	v_sub_f32_e32 v16, v15, v4
	v_add_f32_e32 v16, 1.0, v16
	v_sub_f32_e32 v15, v30, v15
	v_add_f32_e32 v15, v15, v16
	v_frexp_mant_f32_e32 v18, v4
	v_cvt_f64_f32_e32 v[16:17], v4
	v_frexp_exp_i32_f64_e32 v16, v[16:17]
	v_cmp_gt_f32_e32 vcc, s97, v18
	v_cmp_gt_f32_e64 s[36:37], s67, v30
	s_nop 0
	v_subbrev_co_u32_e32 v24, vcc, 0, v16, vcc
	v_sub_u32_e32 v16, 0, v24
	v_ldexp_f32 v4, v4, v16
	v_ldexp_f32 v15, v15, v16
	v_add_f32_e32 v16, -1.0, v4
	v_add_f32_e32 v17, 1.0, v16
	v_sub_f32_e32 v17, v4, v17
	v_add_f32_e32 v18, v15, v17
	v_add_f32_e32 v17, 1.0, v4
	v_add_f32_e32 v19, -1.0, v17
	v_sub_f32_e32 v4, v4, v19
	v_add_f32_e32 v4, v15, v4
	v_add_f32_e32 v15, v17, v4
	v_rcp_f32_e32 v25, v15
	v_sub_f32_e32 v17, v17, v15
	v_add_f32_e32 v4, v4, v17
	v_add_f32_e32 v17, v16, v18
	v_sub_f32_e32 v16, v16, v17
	v_mul_f32_e32 v27, v17, v25
	v_add_f32_e32 v26, v18, v16
	v_mul_f32_e32 v18, v15, v27
	v_fma_f32 v20, v27, v15, -v18
	v_fmac_f32_e32 v20, v27, v4
	v_add_f32_e32 v16, v18, v20
	v_sub_f32_e32 v19, v17, v16
	v_pk_add_f32 v[22:23], v[16:17], v[18:19] neg_lo:[0,1] neg_hi:[0,1]
	v_mov_b32_e32 v21, v16
	v_pk_add_f32 v[16:17], v[22:23], v[20:21] neg_lo:[0,1] neg_hi:[0,1]
	v_cmp_eq_f32_e32 vcc, s43, v30
	v_add_f32_e32 v17, v26, v17
	v_add_f32_e32 v16, v16, v17
	;; [unrolled: 1-line block ×3, first 2 shown]
	v_mul_f32_e32 v26, v25, v17
	v_mul_f32_e32 v18, v15, v26
	v_fma_f32 v20, v26, v15, -v18
	v_fmac_f32_e32 v20, v26, v4
	v_sub_f32_e32 v4, v19, v17
	v_add_f32_e32 v4, v16, v4
	v_add_f32_e32 v16, v18, v20
	v_sub_f32_e32 v19, v17, v16
	v_pk_add_f32 v[22:23], v[16:17], v[18:19] neg_lo:[0,1] neg_hi:[0,1]
	v_mov_b32_e32 v21, v16
	v_pk_add_f32 v[16:17], v[22:23], v[20:21] neg_lo:[0,1] neg_hi:[0,1]
	s_or_b64 vcc, s[36:37], vcc
	v_add_f32_e32 v4, v4, v17
	v_add_f32_e32 v4, v16, v4
	;; [unrolled: 1-line block ×4, first 2 shown]
	v_sub_f32_e32 v15, v17, v27
	v_mul_f32_e32 v4, v25, v4
	v_sub_f32_e32 v15, v26, v15
	v_add_f32_e32 v4, v15, v4
	v_add_f32_e32 v18, v17, v4
	v_cvt_f32_i32_e32 v16, v24
	v_mul_f32_e32 v20, v18, v18
	v_fmamk_f32 v15, v20, 0x3e9b6dac, v67
	v_sub_f32_e32 v17, v18, v17
	v_fmaak_f32 v15, v20, v15, 0x3f2aaada
	v_sub_f32_e32 v4, v4, v17
	v_mul_f32_e32 v17, v18, v20
	v_pk_mul_f32 v[20:21], v[16:17], v[14:15]
	v_ldexp_f32 v19, v18, 1
	v_fma_f32 v18, v16, s95, -v20
	v_fmac_f32_e32 v18, 0xb102e308, v16
	v_pk_add_f32 v[16:17], v[20:21], v[18:19]
	v_ldexp_f32 v4, v4, 1
	v_sub_f32_e32 v15, v17, v19
	v_sub_f32_e32 v15, v21, v15
	v_add_f32_e32 v23, v4, v15
	v_mov_b32_e32 v22, v20
	v_pk_add_f32 v[20:21], v[16:17], v[20:21] neg_lo:[0,1] neg_hi:[0,1]
	v_pk_add_f32 v[24:25], v[16:17], v[22:23]
	v_mov_b32_e32 v19, v16
	v_mov_b32_e32 v21, v25
	v_pk_add_f32 v[26:27], v[18:19], v[20:21] neg_lo:[0,1] neg_hi:[0,1]
	v_pk_add_f32 v[18:19], v[18:19], v[20:21]
	s_nop 0
	v_mov_b32_e32 v4, v19
	v_pk_add_f32 v[20:21], v[4:5], v[16:17] neg_lo:[0,1] neg_hi:[0,1]
	v_mov_b32_e32 v18, v25
	v_mov_b32_e32 v15, v20
	v_pk_add_f32 v[28:29], v[24:25], v[14:15] neg_lo:[0,1] neg_hi:[0,1]
	v_mov_b32_e32 v24, v17
	v_mov_b32_e32 v25, v20
	v_mov_b32_e32 v27, v19
	v_pk_add_f32 v[18:19], v[18:19], v[24:25] neg_lo:[0,1] neg_hi:[0,1]
	v_mov_b32_e32 v20, v23
	v_mov_b32_e32 v21, v16
	v_pk_add_f32 v[16:17], v[20:21], v[18:19] neg_lo:[0,1] neg_hi:[0,1]
	v_mov_b32_e32 v28, v26
	v_pk_add_f32 v[18:19], v[28:29], v[16:17]
	s_nop 0
	v_mov_b32_e32 v20, v19
	v_pk_add_f32 v[20:21], v[18:19], v[20:21]
	s_nop 0
	v_pk_add_f32 v[22:23], v[4:5], v[20:21]
	v_mov_b32_e32 v17, v20
	v_mov_b32_e32 v19, v22
	v_pk_add_f32 v[24:25], v[18:19], v[26:27] neg_lo:[0,1] neg_hi:[0,1]
	s_nop 0
	v_sub_f32_e32 v4, v18, v24
	v_pk_add_f32 v[16:17], v[16:17], v[24:25] neg_lo:[0,1] neg_hi:[0,1]
	v_sub_f32_e32 v4, v26, v4
	v_add_f32_e32 v4, v16, v4
	v_add_f32_e32 v4, v4, v17
	v_add_f32_e32 v4, v22, v4
	v_cndmask_b32_e32 v73, v4, v30, vcc
.LBB78_47:                              ;   in Loop: Header=BB78_11 Depth=1
	s_or_b64 exec, exec, s[38:39]
	v_cvt_f32_f16_sdwa v4, v5 dst_sel:DWORD dst_unused:UNUSED_PAD src0_sel:WORD_1
	v_add_f32_e32 v74, s33, v4
	v_cmp_ge_f32_e32 vcc, s99, v74
	s_and_b64 s[36:37], s[64:65], vcc
	s_and_saveexec_b64 s[38:39], s[36:37]
	s_cbranch_execz .LBB78_49
; %bb.48:                               ;   in Loop: Header=BB78_11 Depth=1
	v_mul_f32_e32 v4, 0x3fb8aa3b, v74
	v_rndne_f32_e32 v5, v4
	v_sub_f32_e32 v15, v4, v5
	v_fma_f32 v4, v74, s40, -v4
	v_fmac_f32_e32 v4, 0x32a5705f, v74
	v_add_f32_e32 v4, v15, v4
	v_cvt_i32_f32_e32 v5, v5
	v_exp_f32_e32 v4, v4
	v_cmp_ngt_f32_e32 vcc, s41, v74
	v_ldexp_f32 v4, v4, v5
	s_nop 0
	v_cndmask_b32_e32 v4, 0, v4, vcc
	v_cmp_nlt_f32_e32 vcc, s42, v74
	s_nop 1
	v_cndmask_b32_e32 v30, v68, v4, vcc
	v_add_f32_e32 v15, 1.0, v30
	v_add_f32_e32 v4, -1.0, v15
	v_sub_f32_e32 v5, v4, v15
	v_add_f32_e32 v5, 1.0, v5
	v_sub_f32_e32 v4, v30, v4
	v_add_f32_e32 v16, v4, v5
	v_frexp_mant_f32_e32 v17, v15
	v_cvt_f64_f32_e32 v[4:5], v15
	v_frexp_exp_i32_f64_e32 v4, v[4:5]
	v_cmp_gt_f32_e32 vcc, s97, v17
	v_cmp_gt_f32_e64 s[36:37], s67, v30
	s_nop 0
	v_subbrev_co_u32_e32 v22, vcc, 0, v4, vcc
	v_sub_u32_e32 v4, 0, v22
	v_ldexp_f32 v5, v15, v4
	v_add_f32_e32 v15, -1.0, v5
	v_add_f32_e32 v17, 1.0, v5
	v_ldexp_f32 v4, v16, v4
	v_add_f32_e32 v16, 1.0, v15
	v_add_f32_e32 v18, -1.0, v17
	v_sub_f32_e32 v16, v5, v16
	v_sub_f32_e32 v5, v5, v18
	v_add_f32_e32 v16, v4, v16
	v_add_f32_e32 v4, v4, v5
	;; [unrolled: 1-line block ×3, first 2 shown]
	v_rcp_f32_e32 v25, v23
	v_sub_f32_e32 v5, v17, v23
	v_add_f32_e32 v24, v4, v5
	v_add_f32_e32 v5, v15, v16
	v_sub_f32_e32 v4, v15, v5
	v_mul_f32_e32 v26, v5, v25
	v_add_f32_e32 v15, v16, v4
	v_mul_f32_e32 v16, v23, v26
	v_fma_f32 v18, v26, v23, -v16
	v_fmac_f32_e32 v18, v26, v24
	v_add_f32_e32 v4, v16, v18
	v_sub_f32_e32 v17, v5, v4
	v_pk_add_f32 v[20:21], v[4:5], v[16:17] neg_lo:[0,1] neg_hi:[0,1]
	v_mov_b32_e32 v19, v4
	v_pk_add_f32 v[4:5], v[20:21], v[18:19] neg_lo:[0,1] neg_hi:[0,1]
	v_cmp_eq_f32_e32 vcc, s43, v30
	v_add_f32_e32 v5, v15, v5
	v_add_f32_e32 v4, v4, v5
	;; [unrolled: 1-line block ×3, first 2 shown]
	v_mul_f32_e32 v15, v25, v5
	v_mul_f32_e32 v16, v23, v15
	v_fma_f32 v18, v15, v23, -v16
	v_fmac_f32_e32 v18, v15, v24
	v_sub_f32_e32 v17, v17, v5
	v_add_f32_e32 v23, v4, v17
	v_add_f32_e32 v4, v16, v18
	v_sub_f32_e32 v17, v5, v4
	v_pk_add_f32 v[20:21], v[4:5], v[16:17] neg_lo:[0,1] neg_hi:[0,1]
	v_mov_b32_e32 v19, v4
	v_pk_add_f32 v[4:5], v[20:21], v[18:19] neg_lo:[0,1] neg_hi:[0,1]
	s_or_b64 vcc, s[36:37], vcc
	v_add_f32_e32 v5, v23, v5
	v_add_f32_e32 v4, v4, v5
	v_add_f32_e32 v5, v26, v15
	v_add_f32_e32 v4, v17, v4
	v_sub_f32_e32 v16, v5, v26
	v_mul_f32_e32 v4, v25, v4
	v_sub_f32_e32 v15, v15, v16
	v_add_f32_e32 v16, v15, v4
	v_add_f32_e32 v18, v5, v16
	v_mul_f32_e32 v19, v18, v18
	v_fmamk_f32 v4, v19, 0x3e9b6dac, v67
	v_fmaak_f32 v15, v19, v4, 0x3f2aaada
	v_cvt_f32_i32_e32 v4, v22
	v_sub_f32_e32 v5, v18, v5
	v_sub_f32_e32 v5, v16, v5
	v_ldexp_f32 v20, v5, 1
	v_mul_f32_e32 v5, v18, v19
	v_ldexp_f32 v17, v18, 1
	v_pk_mul_f32 v[18:19], v[4:5], v[14:15]
	s_nop 0
	v_fma_f32 v16, v4, s95, -v18
	v_fmac_f32_e32 v16, 0xb102e308, v4
	v_pk_add_f32 v[4:5], v[18:19], v[16:17]
	s_nop 0
	v_sub_f32_e32 v15, v5, v17
	v_sub_f32_e32 v15, v19, v15
	v_add_f32_e32 v21, v20, v15
	v_mov_b32_e32 v20, v18
	v_pk_add_f32 v[18:19], v[4:5], v[18:19] neg_lo:[0,1] neg_hi:[0,1]
	v_pk_add_f32 v[22:23], v[4:5], v[20:21]
	v_mov_b32_e32 v17, v4
	v_mov_b32_e32 v19, v23
	v_pk_add_f32 v[24:25], v[16:17], v[18:19] neg_lo:[0,1] neg_hi:[0,1]
	v_pk_add_f32 v[16:17], v[16:17], v[18:19]
	v_mov_b32_e32 v20, v21
	v_mov_b32_e32 v18, v17
	v_pk_add_f32 v[26:27], v[18:19], v[4:5] neg_lo:[0,1] neg_hi:[0,1]
	v_mov_b32_e32 v16, v23
	v_mov_b32_e32 v15, v26
	v_pk_add_f32 v[28:29], v[22:23], v[14:15] neg_lo:[0,1] neg_hi:[0,1]
	v_mov_b32_e32 v22, v5
	v_mov_b32_e32 v23, v26
	;; [unrolled: 1-line block ×3, first 2 shown]
	v_pk_add_f32 v[16:17], v[16:17], v[22:23] neg_lo:[0,1] neg_hi:[0,1]
	v_mov_b32_e32 v21, v4
	v_pk_add_f32 v[4:5], v[20:21], v[16:17] neg_lo:[0,1] neg_hi:[0,1]
	v_mov_b32_e32 v28, v24
	v_pk_add_f32 v[16:17], v[28:29], v[4:5]
	s_nop 0
	v_mov_b32_e32 v20, v17
	v_pk_add_f32 v[20:21], v[16:17], v[20:21]
	s_nop 0
	v_pk_add_f32 v[18:19], v[18:19], v[20:21]
	v_mov_b32_e32 v5, v20
	v_mov_b32_e32 v17, v18
	v_pk_add_f32 v[22:23], v[16:17], v[24:25] neg_lo:[0,1] neg_hi:[0,1]
	s_nop 0
	v_sub_f32_e32 v15, v16, v22
	v_pk_add_f32 v[4:5], v[4:5], v[22:23] neg_lo:[0,1] neg_hi:[0,1]
	v_sub_f32_e32 v15, v24, v15
	v_add_f32_e32 v4, v4, v15
	v_add_f32_e32 v4, v4, v5
	;; [unrolled: 1-line block ×3, first 2 shown]
	v_cndmask_b32_e32 v74, v4, v30, vcc
.LBB78_49:                              ;   in Loop: Header=BB78_11 Depth=1
	s_or_b64 exec, exec, s[38:39]
	v_cvt_f32_f16_e32 v4, v6
	v_add_f32_e32 v75, s33, v4
	v_cmp_ge_f32_e32 vcc, s99, v75
	s_and_b64 s[36:37], s[64:65], vcc
	s_and_saveexec_b64 s[38:39], s[36:37]
	s_cbranch_execz .LBB78_51
; %bb.50:                               ;   in Loop: Header=BB78_11 Depth=1
	v_mul_f32_e32 v4, 0x3fb8aa3b, v75
	v_rndne_f32_e32 v5, v4
	v_sub_f32_e32 v15, v4, v5
	v_fma_f32 v4, v75, s40, -v4
	v_fmac_f32_e32 v4, 0x32a5705f, v75
	v_add_f32_e32 v4, v15, v4
	v_cvt_i32_f32_e32 v5, v5
	v_exp_f32_e32 v4, v4
	v_cmp_ngt_f32_e32 vcc, s41, v75
	v_ldexp_f32 v4, v4, v5
	s_nop 0
	v_cndmask_b32_e32 v4, 0, v4, vcc
	v_cmp_nlt_f32_e32 vcc, s42, v75
	s_nop 1
	v_cndmask_b32_e32 v30, v68, v4, vcc
	v_add_f32_e32 v15, 1.0, v30
	v_add_f32_e32 v4, -1.0, v15
	v_sub_f32_e32 v5, v4, v15
	v_add_f32_e32 v5, 1.0, v5
	v_sub_f32_e32 v4, v30, v4
	v_add_f32_e32 v16, v4, v5
	v_frexp_mant_f32_e32 v17, v15
	v_cvt_f64_f32_e32 v[4:5], v15
	v_frexp_exp_i32_f64_e32 v4, v[4:5]
	v_cmp_gt_f32_e32 vcc, s97, v17
	v_cmp_gt_f32_e64 s[36:37], s67, v30
	s_nop 0
	v_subbrev_co_u32_e32 v22, vcc, 0, v4, vcc
	v_sub_u32_e32 v4, 0, v22
	v_ldexp_f32 v5, v15, v4
	v_add_f32_e32 v15, -1.0, v5
	v_add_f32_e32 v17, 1.0, v5
	v_ldexp_f32 v4, v16, v4
	v_add_f32_e32 v16, 1.0, v15
	v_add_f32_e32 v18, -1.0, v17
	v_sub_f32_e32 v16, v5, v16
	v_sub_f32_e32 v5, v5, v18
	v_add_f32_e32 v16, v4, v16
	v_add_f32_e32 v4, v4, v5
	;; [unrolled: 1-line block ×3, first 2 shown]
	v_rcp_f32_e32 v25, v23
	v_sub_f32_e32 v5, v17, v23
	v_add_f32_e32 v24, v4, v5
	v_add_f32_e32 v5, v15, v16
	v_sub_f32_e32 v4, v15, v5
	v_mul_f32_e32 v26, v5, v25
	v_add_f32_e32 v15, v16, v4
	v_mul_f32_e32 v16, v23, v26
	v_fma_f32 v18, v26, v23, -v16
	v_fmac_f32_e32 v18, v26, v24
	v_add_f32_e32 v4, v16, v18
	v_sub_f32_e32 v17, v5, v4
	v_pk_add_f32 v[20:21], v[4:5], v[16:17] neg_lo:[0,1] neg_hi:[0,1]
	v_mov_b32_e32 v19, v4
	v_pk_add_f32 v[4:5], v[20:21], v[18:19] neg_lo:[0,1] neg_hi:[0,1]
	v_cmp_eq_f32_e32 vcc, s43, v30
	v_add_f32_e32 v5, v15, v5
	v_add_f32_e32 v4, v4, v5
	;; [unrolled: 1-line block ×3, first 2 shown]
	v_mul_f32_e32 v15, v25, v5
	v_mul_f32_e32 v16, v23, v15
	v_fma_f32 v18, v15, v23, -v16
	v_fmac_f32_e32 v18, v15, v24
	v_sub_f32_e32 v17, v17, v5
	v_add_f32_e32 v23, v4, v17
	v_add_f32_e32 v4, v16, v18
	v_sub_f32_e32 v17, v5, v4
	v_pk_add_f32 v[20:21], v[4:5], v[16:17] neg_lo:[0,1] neg_hi:[0,1]
	v_mov_b32_e32 v19, v4
	v_pk_add_f32 v[4:5], v[20:21], v[18:19] neg_lo:[0,1] neg_hi:[0,1]
	s_or_b64 vcc, s[36:37], vcc
	v_add_f32_e32 v5, v23, v5
	v_add_f32_e32 v4, v4, v5
	;; [unrolled: 1-line block ×4, first 2 shown]
	v_sub_f32_e32 v16, v5, v26
	v_mul_f32_e32 v4, v25, v4
	v_sub_f32_e32 v15, v15, v16
	v_add_f32_e32 v16, v15, v4
	v_add_f32_e32 v18, v5, v16
	v_mul_f32_e32 v19, v18, v18
	v_fmamk_f32 v4, v19, 0x3e9b6dac, v67
	v_fmaak_f32 v15, v19, v4, 0x3f2aaada
	v_cvt_f32_i32_e32 v4, v22
	v_sub_f32_e32 v5, v18, v5
	v_sub_f32_e32 v5, v16, v5
	v_ldexp_f32 v20, v5, 1
	v_mul_f32_e32 v5, v18, v19
	v_ldexp_f32 v17, v18, 1
	v_pk_mul_f32 v[18:19], v[4:5], v[14:15]
	s_nop 0
	v_fma_f32 v16, v4, s95, -v18
	v_fmac_f32_e32 v16, 0xb102e308, v4
	v_pk_add_f32 v[4:5], v[18:19], v[16:17]
	s_nop 0
	v_sub_f32_e32 v15, v5, v17
	v_sub_f32_e32 v15, v19, v15
	v_add_f32_e32 v21, v20, v15
	v_mov_b32_e32 v20, v18
	v_pk_add_f32 v[18:19], v[4:5], v[18:19] neg_lo:[0,1] neg_hi:[0,1]
	v_pk_add_f32 v[22:23], v[4:5], v[20:21]
	v_mov_b32_e32 v17, v4
	v_mov_b32_e32 v19, v23
	v_pk_add_f32 v[24:25], v[16:17], v[18:19] neg_lo:[0,1] neg_hi:[0,1]
	v_pk_add_f32 v[16:17], v[16:17], v[18:19]
	v_mov_b32_e32 v20, v21
	v_mov_b32_e32 v18, v17
	v_pk_add_f32 v[26:27], v[18:19], v[4:5] neg_lo:[0,1] neg_hi:[0,1]
	v_mov_b32_e32 v16, v23
	v_mov_b32_e32 v15, v26
	v_pk_add_f32 v[28:29], v[22:23], v[14:15] neg_lo:[0,1] neg_hi:[0,1]
	v_mov_b32_e32 v22, v5
	v_mov_b32_e32 v23, v26
	;; [unrolled: 1-line block ×3, first 2 shown]
	v_pk_add_f32 v[16:17], v[16:17], v[22:23] neg_lo:[0,1] neg_hi:[0,1]
	v_mov_b32_e32 v21, v4
	v_pk_add_f32 v[4:5], v[20:21], v[16:17] neg_lo:[0,1] neg_hi:[0,1]
	v_mov_b32_e32 v28, v24
	v_pk_add_f32 v[16:17], v[28:29], v[4:5]
	s_nop 0
	v_mov_b32_e32 v20, v17
	v_pk_add_f32 v[20:21], v[16:17], v[20:21]
	s_nop 0
	v_pk_add_f32 v[18:19], v[18:19], v[20:21]
	v_mov_b32_e32 v5, v20
	v_mov_b32_e32 v17, v18
	v_pk_add_f32 v[22:23], v[16:17], v[24:25] neg_lo:[0,1] neg_hi:[0,1]
	s_nop 0
	v_sub_f32_e32 v15, v16, v22
	v_pk_add_f32 v[4:5], v[4:5], v[22:23] neg_lo:[0,1] neg_hi:[0,1]
	v_sub_f32_e32 v15, v24, v15
	v_add_f32_e32 v4, v4, v15
	v_add_f32_e32 v4, v4, v5
	;; [unrolled: 1-line block ×3, first 2 shown]
	v_cndmask_b32_e32 v75, v4, v30, vcc
.LBB78_51:                              ;   in Loop: Header=BB78_11 Depth=1
	s_or_b64 exec, exec, s[38:39]
	v_cvt_f32_f16_sdwa v4, v6 dst_sel:DWORD dst_unused:UNUSED_PAD src0_sel:WORD_1
	v_add_f32_e32 v76, s33, v4
	v_cmp_ge_f32_e32 vcc, s99, v76
	s_and_b64 s[36:37], s[64:65], vcc
	s_and_saveexec_b64 s[38:39], s[36:37]
	s_cbranch_execz .LBB78_53
; %bb.52:                               ;   in Loop: Header=BB78_11 Depth=1
	v_mul_f32_e32 v4, 0x3fb8aa3b, v76
	v_rndne_f32_e32 v5, v4
	v_sub_f32_e32 v6, v4, v5
	v_fma_f32 v4, v76, s40, -v4
	v_fmac_f32_e32 v4, 0x32a5705f, v76
	v_add_f32_e32 v4, v6, v4
	v_cvt_i32_f32_e32 v5, v5
	v_exp_f32_e32 v4, v4
	v_cmp_ngt_f32_e32 vcc, s41, v76
	v_ldexp_f32 v4, v4, v5
	s_nop 0
	v_cndmask_b32_e32 v4, 0, v4, vcc
	v_cmp_nlt_f32_e32 vcc, s42, v76
	s_nop 1
	v_cndmask_b32_e32 v28, v68, v4, vcc
	v_add_f32_e32 v6, 1.0, v28
	v_add_f32_e32 v4, -1.0, v6
	v_sub_f32_e32 v5, v4, v6
	v_add_f32_e32 v5, 1.0, v5
	v_sub_f32_e32 v4, v28, v4
	v_add_f32_e32 v15, v4, v5
	v_frexp_mant_f32_e32 v16, v6
	v_cvt_f64_f32_e32 v[4:5], v6
	v_frexp_exp_i32_f64_e32 v4, v[4:5]
	v_cmp_gt_f32_e32 vcc, s97, v16
	v_cmp_gt_f32_e64 s[36:37], s67, v28
	s_nop 0
	v_subbrev_co_u32_e32 v22, vcc, 0, v4, vcc
	v_sub_u32_e32 v4, 0, v22
	v_ldexp_f32 v5, v6, v4
	v_add_f32_e32 v6, -1.0, v5
	v_add_f32_e32 v16, 1.0, v5
	v_ldexp_f32 v4, v15, v4
	v_add_f32_e32 v15, 1.0, v6
	v_add_f32_e32 v17, -1.0, v16
	v_sub_f32_e32 v15, v5, v15
	v_sub_f32_e32 v5, v5, v17
	v_add_f32_e32 v15, v4, v15
	v_add_f32_e32 v4, v4, v5
	;; [unrolled: 1-line block ×3, first 2 shown]
	v_rcp_f32_e32 v25, v23
	v_sub_f32_e32 v5, v16, v23
	v_add_f32_e32 v24, v4, v5
	v_add_f32_e32 v5, v6, v15
	v_sub_f32_e32 v4, v6, v5
	v_add_f32_e32 v6, v15, v4
	v_mul_f32_e32 v15, v5, v25
	v_mul_f32_e32 v16, v23, v15
	v_fma_f32 v18, v15, v23, -v16
	v_fmac_f32_e32 v18, v15, v24
	v_add_f32_e32 v4, v16, v18
	v_sub_f32_e32 v17, v5, v4
	v_pk_add_f32 v[20:21], v[4:5], v[16:17] neg_lo:[0,1] neg_hi:[0,1]
	v_mov_b32_e32 v19, v4
	v_pk_add_f32 v[4:5], v[20:21], v[18:19] neg_lo:[0,1] neg_hi:[0,1]
	v_cmp_eq_f32_e32 vcc, s43, v28
	v_add_f32_e32 v5, v6, v5
	v_add_f32_e32 v4, v4, v5
	;; [unrolled: 1-line block ×3, first 2 shown]
	v_mul_f32_e32 v6, v25, v5
	v_mul_f32_e32 v16, v23, v6
	v_fma_f32 v18, v6, v23, -v16
	v_fmac_f32_e32 v18, v6, v24
	v_sub_f32_e32 v17, v17, v5
	v_add_f32_e32 v23, v4, v17
	v_add_f32_e32 v4, v16, v18
	v_sub_f32_e32 v17, v5, v4
	v_pk_add_f32 v[20:21], v[4:5], v[16:17] neg_lo:[0,1] neg_hi:[0,1]
	v_mov_b32_e32 v19, v4
	v_pk_add_f32 v[4:5], v[20:21], v[18:19] neg_lo:[0,1] neg_hi:[0,1]
	s_or_b64 vcc, s[36:37], vcc
	v_add_f32_e32 v5, v23, v5
	v_add_f32_e32 v4, v4, v5
	;; [unrolled: 1-line block ×4, first 2 shown]
	v_sub_f32_e32 v15, v5, v15
	v_mul_f32_e32 v4, v25, v4
	v_sub_f32_e32 v6, v6, v15
	v_add_f32_e32 v6, v6, v4
	v_add_f32_e32 v16, v5, v6
	v_mul_f32_e32 v18, v16, v16
	v_fmamk_f32 v4, v18, 0x3e9b6dac, v67
	v_fmaak_f32 v15, v18, v4, 0x3f2aaada
	v_cvt_f32_i32_e32 v4, v22
	v_sub_f32_e32 v5, v16, v5
	v_sub_f32_e32 v5, v6, v5
	v_ldexp_f32 v6, v5, 1
	v_mul_f32_e32 v5, v16, v18
	v_pk_mul_f32 v[18:19], v[4:5], v[14:15]
	v_ldexp_f32 v17, v16, 1
	v_fma_f32 v16, v4, s95, -v18
	v_fmac_f32_e32 v16, 0xb102e308, v4
	v_pk_add_f32 v[4:5], v[18:19], v[16:17]
	v_mov_b32_e32 v20, v18
	v_sub_f32_e32 v15, v5, v17
	v_sub_f32_e32 v15, v19, v15
	v_add_f32_e32 v21, v6, v15
	v_pk_add_f32 v[18:19], v[4:5], v[18:19] neg_lo:[0,1] neg_hi:[0,1]
	v_pk_add_f32 v[22:23], v[4:5], v[20:21]
	v_mov_b32_e32 v17, v4
	v_mov_b32_e32 v19, v23
	v_pk_add_f32 v[24:25], v[16:17], v[18:19] neg_lo:[0,1] neg_hi:[0,1]
	v_pk_add_f32 v[16:17], v[16:17], v[18:19]
	s_nop 0
	v_mov_b32_e32 v6, v17
	v_pk_add_f32 v[18:19], v[6:7], v[4:5] neg_lo:[0,1] neg_hi:[0,1]
	v_mov_b32_e32 v16, v23
	v_mov_b32_e32 v15, v18
	v_pk_add_f32 v[26:27], v[22:23], v[14:15] neg_lo:[0,1] neg_hi:[0,1]
	v_mov_b32_e32 v22, v5
	v_mov_b32_e32 v23, v18
	;; [unrolled: 1-line block ×3, first 2 shown]
	v_pk_add_f32 v[16:17], v[16:17], v[22:23] neg_lo:[0,1] neg_hi:[0,1]
	v_mov_b32_e32 v18, v21
	v_mov_b32_e32 v19, v4
	v_pk_add_f32 v[4:5], v[18:19], v[16:17] neg_lo:[0,1] neg_hi:[0,1]
	v_mov_b32_e32 v26, v24
	v_pk_add_f32 v[16:17], v[26:27], v[4:5]
	s_nop 0
	v_mov_b32_e32 v18, v17
	v_pk_add_f32 v[18:19], v[16:17], v[18:19]
	s_nop 0
	v_pk_add_f32 v[20:21], v[6:7], v[18:19]
	v_mov_b32_e32 v5, v18
	v_mov_b32_e32 v17, v20
	v_pk_add_f32 v[22:23], v[16:17], v[24:25] neg_lo:[0,1] neg_hi:[0,1]
	s_nop 0
	v_sub_f32_e32 v6, v16, v22
	v_pk_add_f32 v[4:5], v[4:5], v[22:23] neg_lo:[0,1] neg_hi:[0,1]
	v_sub_f32_e32 v6, v24, v6
	v_add_f32_e32 v4, v4, v6
	v_add_f32_e32 v4, v4, v5
	;; [unrolled: 1-line block ×3, first 2 shown]
	v_cndmask_b32_e32 v76, v4, v28, vcc
.LBB78_53:                              ;   in Loop: Header=BB78_11 Depth=1
	s_or_b64 exec, exec, s[38:39]
	v_cvt_f32_f16_e32 v4, v7
	v_add_f32_e32 v77, s33, v4
	v_cmp_ge_f32_e32 vcc, s99, v77
	s_and_b64 s[36:37], s[64:65], vcc
	s_and_saveexec_b64 s[38:39], s[36:37]
	s_cbranch_execz .LBB78_55
; %bb.54:                               ;   in Loop: Header=BB78_11 Depth=1
	v_mul_f32_e32 v4, 0x3fb8aa3b, v77
	v_rndne_f32_e32 v5, v4
	v_sub_f32_e32 v6, v4, v5
	v_fma_f32 v4, v77, s40, -v4
	v_fmac_f32_e32 v4, 0x32a5705f, v77
	v_add_f32_e32 v4, v6, v4
	v_cvt_i32_f32_e32 v5, v5
	v_exp_f32_e32 v4, v4
	v_cmp_ngt_f32_e32 vcc, s41, v77
	v_ldexp_f32 v4, v4, v5
	s_nop 0
	v_cndmask_b32_e32 v4, 0, v4, vcc
	v_cmp_nlt_f32_e32 vcc, s42, v77
	s_nop 1
	v_cndmask_b32_e32 v28, v68, v4, vcc
	v_add_f32_e32 v6, 1.0, v28
	v_add_f32_e32 v4, -1.0, v6
	v_sub_f32_e32 v5, v4, v6
	v_add_f32_e32 v5, 1.0, v5
	v_sub_f32_e32 v4, v28, v4
	v_add_f32_e32 v15, v4, v5
	v_frexp_mant_f32_e32 v16, v6
	v_cvt_f64_f32_e32 v[4:5], v6
	v_frexp_exp_i32_f64_e32 v4, v[4:5]
	v_cmp_gt_f32_e32 vcc, s97, v16
	v_cmp_gt_f32_e64 s[36:37], s67, v28
	s_nop 0
	v_subbrev_co_u32_e32 v22, vcc, 0, v4, vcc
	v_sub_u32_e32 v4, 0, v22
	v_ldexp_f32 v5, v6, v4
	v_add_f32_e32 v6, -1.0, v5
	v_add_f32_e32 v16, 1.0, v5
	v_ldexp_f32 v4, v15, v4
	v_add_f32_e32 v15, 1.0, v6
	v_add_f32_e32 v17, -1.0, v16
	v_sub_f32_e32 v15, v5, v15
	v_sub_f32_e32 v5, v5, v17
	v_add_f32_e32 v15, v4, v15
	v_add_f32_e32 v4, v4, v5
	;; [unrolled: 1-line block ×3, first 2 shown]
	v_rcp_f32_e32 v25, v23
	v_sub_f32_e32 v5, v16, v23
	v_add_f32_e32 v24, v4, v5
	v_add_f32_e32 v5, v6, v15
	v_sub_f32_e32 v4, v6, v5
	v_add_f32_e32 v6, v15, v4
	v_mul_f32_e32 v15, v5, v25
	v_mul_f32_e32 v16, v23, v15
	v_fma_f32 v18, v15, v23, -v16
	v_fmac_f32_e32 v18, v15, v24
	v_add_f32_e32 v4, v16, v18
	v_sub_f32_e32 v17, v5, v4
	v_pk_add_f32 v[20:21], v[4:5], v[16:17] neg_lo:[0,1] neg_hi:[0,1]
	v_mov_b32_e32 v19, v4
	v_pk_add_f32 v[4:5], v[20:21], v[18:19] neg_lo:[0,1] neg_hi:[0,1]
	v_cmp_eq_f32_e32 vcc, s43, v28
	v_add_f32_e32 v5, v6, v5
	v_add_f32_e32 v4, v4, v5
	;; [unrolled: 1-line block ×3, first 2 shown]
	v_mul_f32_e32 v6, v25, v5
	v_mul_f32_e32 v16, v23, v6
	v_fma_f32 v18, v6, v23, -v16
	v_fmac_f32_e32 v18, v6, v24
	v_sub_f32_e32 v17, v17, v5
	v_add_f32_e32 v23, v4, v17
	v_add_f32_e32 v4, v16, v18
	v_sub_f32_e32 v17, v5, v4
	v_pk_add_f32 v[20:21], v[4:5], v[16:17] neg_lo:[0,1] neg_hi:[0,1]
	v_mov_b32_e32 v19, v4
	v_pk_add_f32 v[4:5], v[20:21], v[18:19] neg_lo:[0,1] neg_hi:[0,1]
	s_or_b64 vcc, s[36:37], vcc
	v_add_f32_e32 v5, v23, v5
	v_add_f32_e32 v4, v4, v5
	;; [unrolled: 1-line block ×4, first 2 shown]
	v_sub_f32_e32 v15, v5, v15
	v_mul_f32_e32 v4, v25, v4
	v_sub_f32_e32 v6, v6, v15
	v_add_f32_e32 v6, v6, v4
	v_add_f32_e32 v16, v5, v6
	v_mul_f32_e32 v18, v16, v16
	v_fmamk_f32 v4, v18, 0x3e9b6dac, v67
	v_fmaak_f32 v15, v18, v4, 0x3f2aaada
	v_cvt_f32_i32_e32 v4, v22
	v_sub_f32_e32 v5, v16, v5
	v_sub_f32_e32 v5, v6, v5
	v_ldexp_f32 v6, v5, 1
	v_mul_f32_e32 v5, v16, v18
	v_pk_mul_f32 v[18:19], v[4:5], v[14:15]
	v_ldexp_f32 v17, v16, 1
	v_fma_f32 v16, v4, s95, -v18
	v_fmac_f32_e32 v16, 0xb102e308, v4
	v_pk_add_f32 v[4:5], v[18:19], v[16:17]
	v_mov_b32_e32 v20, v18
	v_sub_f32_e32 v15, v5, v17
	v_sub_f32_e32 v15, v19, v15
	v_add_f32_e32 v21, v6, v15
	v_pk_add_f32 v[18:19], v[4:5], v[18:19] neg_lo:[0,1] neg_hi:[0,1]
	v_pk_add_f32 v[22:23], v[4:5], v[20:21]
	v_mov_b32_e32 v17, v4
	v_mov_b32_e32 v19, v23
	v_pk_add_f32 v[24:25], v[16:17], v[18:19] neg_lo:[0,1] neg_hi:[0,1]
	v_pk_add_f32 v[16:17], v[16:17], v[18:19]
	s_nop 0
	v_mov_b32_e32 v6, v17
	v_pk_add_f32 v[18:19], v[6:7], v[4:5] neg_lo:[0,1] neg_hi:[0,1]
	v_mov_b32_e32 v16, v23
	v_mov_b32_e32 v15, v18
	v_pk_add_f32 v[26:27], v[22:23], v[14:15] neg_lo:[0,1] neg_hi:[0,1]
	v_mov_b32_e32 v22, v5
	v_mov_b32_e32 v23, v18
	;; [unrolled: 1-line block ×3, first 2 shown]
	v_pk_add_f32 v[16:17], v[16:17], v[22:23] neg_lo:[0,1] neg_hi:[0,1]
	v_mov_b32_e32 v18, v21
	v_mov_b32_e32 v19, v4
	v_pk_add_f32 v[4:5], v[18:19], v[16:17] neg_lo:[0,1] neg_hi:[0,1]
	v_mov_b32_e32 v26, v24
	v_pk_add_f32 v[16:17], v[26:27], v[4:5]
	s_nop 0
	v_mov_b32_e32 v18, v17
	v_pk_add_f32 v[18:19], v[16:17], v[18:19]
	s_nop 0
	v_pk_add_f32 v[20:21], v[6:7], v[18:19]
	v_mov_b32_e32 v5, v18
	v_mov_b32_e32 v17, v20
	v_pk_add_f32 v[22:23], v[16:17], v[24:25] neg_lo:[0,1] neg_hi:[0,1]
	s_nop 0
	v_sub_f32_e32 v6, v16, v22
	v_pk_add_f32 v[4:5], v[4:5], v[22:23] neg_lo:[0,1] neg_hi:[0,1]
	v_sub_f32_e32 v6, v24, v6
	v_add_f32_e32 v4, v4, v6
	v_add_f32_e32 v4, v4, v5
	;; [unrolled: 1-line block ×3, first 2 shown]
	v_cndmask_b32_e32 v77, v4, v28, vcc
.LBB78_55:                              ;   in Loop: Header=BB78_11 Depth=1
	s_or_b64 exec, exec, s[38:39]
	v_cvt_f32_f16_sdwa v4, v7 dst_sel:DWORD dst_unused:UNUSED_PAD src0_sel:WORD_1
	v_add_f32_e32 v15, s33, v4
	v_cmp_ge_f32_e32 vcc, s99, v15
	s_and_b64 s[36:37], s[64:65], vcc
	s_and_saveexec_b64 s[38:39], s[36:37]
	s_cbranch_execz .LBB78_57
; %bb.56:                               ;   in Loop: Header=BB78_11 Depth=1
	v_mul_f32_e32 v4, 0x3fb8aa3b, v15
	v_rndne_f32_e32 v5, v4
	v_sub_f32_e32 v6, v4, v5
	v_fma_f32 v4, v15, s40, -v4
	v_fmac_f32_e32 v4, 0x32a5705f, v15
	v_add_f32_e32 v4, v6, v4
	v_cvt_i32_f32_e32 v5, v5
	v_exp_f32_e32 v4, v4
	v_cmp_ngt_f32_e32 vcc, s41, v15
	v_ldexp_f32 v4, v4, v5
	s_nop 0
	v_cndmask_b32_e32 v4, 0, v4, vcc
	v_cmp_nlt_f32_e32 vcc, s42, v15
	s_nop 1
	v_cndmask_b32_e32 v28, v68, v4, vcc
	v_add_f32_e32 v6, 1.0, v28
	v_add_f32_e32 v4, -1.0, v6
	v_sub_f32_e32 v5, v4, v6
	v_add_f32_e32 v5, 1.0, v5
	v_sub_f32_e32 v4, v28, v4
	v_add_f32_e32 v7, v4, v5
	v_frexp_mant_f32_e32 v15, v6
	v_cvt_f64_f32_e32 v[4:5], v6
	v_frexp_exp_i32_f64_e32 v4, v[4:5]
	v_cmp_gt_f32_e32 vcc, s97, v15
	v_cmp_gt_f32_e64 s[36:37], s67, v28
	s_nop 0
	v_subbrev_co_u32_e32 v20, vcc, 0, v4, vcc
	v_sub_u32_e32 v4, 0, v20
	v_ldexp_f32 v5, v6, v4
	v_add_f32_e32 v6, -1.0, v5
	v_add_f32_e32 v15, 1.0, v5
	v_ldexp_f32 v4, v7, v4
	v_add_f32_e32 v7, 1.0, v6
	v_add_f32_e32 v16, -1.0, v15
	v_sub_f32_e32 v7, v5, v7
	v_sub_f32_e32 v5, v5, v16
	v_add_f32_e32 v7, v4, v7
	v_add_f32_e32 v4, v4, v5
	;; [unrolled: 1-line block ×3, first 2 shown]
	v_rcp_f32_e32 v22, v21
	v_sub_f32_e32 v5, v15, v21
	v_add_f32_e32 v15, v4, v5
	v_add_f32_e32 v5, v6, v7
	v_mul_f32_e32 v24, v5, v22
	v_sub_f32_e32 v4, v6, v5
	v_mul_f32_e32 v6, v21, v24
	v_fma_f32 v16, v24, v21, -v6
	v_fmac_f32_e32 v16, v24, v15
	v_add_f32_e32 v23, v7, v4
	v_add_f32_e32 v4, v6, v16
	v_sub_f32_e32 v7, v5, v4
	v_pk_add_f32 v[18:19], v[4:5], v[6:7] neg_lo:[0,1] neg_hi:[0,1]
	v_mov_b32_e32 v17, v4
	v_pk_add_f32 v[4:5], v[18:19], v[16:17] neg_lo:[0,1] neg_hi:[0,1]
	v_cmp_eq_f32_e32 vcc, s43, v28
	v_add_f32_e32 v5, v23, v5
	v_add_f32_e32 v4, v4, v5
	;; [unrolled: 1-line block ×3, first 2 shown]
	v_mul_f32_e32 v23, v22, v5
	v_mul_f32_e32 v6, v21, v23
	v_fma_f32 v16, v23, v21, -v6
	v_fmac_f32_e32 v16, v23, v15
	v_sub_f32_e32 v7, v7, v5
	v_add_f32_e32 v15, v4, v7
	v_add_f32_e32 v4, v6, v16
	v_sub_f32_e32 v7, v5, v4
	v_pk_add_f32 v[18:19], v[4:5], v[6:7] neg_lo:[0,1] neg_hi:[0,1]
	v_mov_b32_e32 v17, v4
	v_pk_add_f32 v[4:5], v[18:19], v[16:17] neg_lo:[0,1] neg_hi:[0,1]
	s_or_b64 vcc, s[36:37], vcc
	v_add_f32_e32 v5, v15, v5
	v_add_f32_e32 v4, v4, v5
	;; [unrolled: 1-line block ×4, first 2 shown]
	v_sub_f32_e32 v6, v5, v24
	v_mul_f32_e32 v4, v22, v4
	v_sub_f32_e32 v6, v23, v6
	v_add_f32_e32 v6, v6, v4
	v_add_f32_e32 v16, v5, v6
	v_mul_f32_e32 v17, v16, v16
	v_fmamk_f32 v4, v17, 0x3e9b6dac, v67
	v_fmaak_f32 v15, v17, v4, 0x3f2aaada
	v_cvt_f32_i32_e32 v4, v20
	v_sub_f32_e32 v5, v16, v5
	v_sub_f32_e32 v5, v6, v5
	v_ldexp_f32 v18, v5, 1
	v_mul_f32_e32 v5, v16, v17
	v_ldexp_f32 v7, v16, 1
	v_pk_mul_f32 v[16:17], v[4:5], v[14:15]
	s_nop 0
	v_fma_f32 v6, v4, s95, -v16
	v_fmac_f32_e32 v6, 0xb102e308, v4
	v_pk_add_f32 v[4:5], v[16:17], v[6:7]
	s_nop 0
	v_sub_f32_e32 v7, v5, v7
	v_sub_f32_e32 v7, v17, v7
	v_add_f32_e32 v19, v18, v7
	v_mov_b32_e32 v18, v16
	v_pk_add_f32 v[16:17], v[4:5], v[16:17] neg_lo:[0,1] neg_hi:[0,1]
	v_pk_add_f32 v[20:21], v[4:5], v[18:19]
	v_mov_b32_e32 v7, v4
	v_mov_b32_e32 v17, v21
	v_pk_add_f32 v[22:23], v[6:7], v[16:17] neg_lo:[0,1] neg_hi:[0,1]
	v_pk_add_f32 v[6:7], v[6:7], v[16:17]
	v_mov_b32_e32 v18, v19
	v_mov_b32_e32 v16, v7
	v_pk_add_f32 v[24:25], v[16:17], v[4:5] neg_lo:[0,1] neg_hi:[0,1]
	v_mov_b32_e32 v6, v21
	v_mov_b32_e32 v15, v24
	v_pk_add_f32 v[26:27], v[20:21], v[14:15] neg_lo:[0,1] neg_hi:[0,1]
	v_mov_b32_e32 v20, v5
	v_mov_b32_e32 v21, v24
	;; [unrolled: 1-line block ×3, first 2 shown]
	v_pk_add_f32 v[6:7], v[6:7], v[20:21] neg_lo:[0,1] neg_hi:[0,1]
	v_mov_b32_e32 v19, v4
	v_pk_add_f32 v[4:5], v[18:19], v[6:7] neg_lo:[0,1] neg_hi:[0,1]
	v_mov_b32_e32 v26, v22
	v_pk_add_f32 v[6:7], v[26:27], v[4:5]
	s_nop 0
	v_mov_b32_e32 v18, v7
	v_pk_add_f32 v[18:19], v[6:7], v[18:19]
	s_nop 0
	v_pk_add_f32 v[16:17], v[16:17], v[18:19]
	v_mov_b32_e32 v5, v18
	v_mov_b32_e32 v7, v16
	v_pk_add_f32 v[20:21], v[6:7], v[22:23] neg_lo:[0,1] neg_hi:[0,1]
	s_nop 0
	v_sub_f32_e32 v6, v6, v20
	v_pk_add_f32 v[4:5], v[4:5], v[20:21] neg_lo:[0,1] neg_hi:[0,1]
	v_sub_f32_e32 v6, v22, v6
	v_add_f32_e32 v4, v4, v6
	v_add_f32_e32 v4, v4, v5
	;; [unrolled: 1-line block ×3, first 2 shown]
	v_cndmask_b32_e32 v15, v4, v28, vcc
.LBB78_57:                              ;   in Loop: Header=BB78_11 Depth=1
	s_or_b64 exec, exec, s[38:39]
	v_cvt_f32_f16_e32 v4, v3
	v_cvt_f32_f16_sdwa v5, v2 dst_sel:DWORD dst_unused:UNUSED_PAD src0_sel:WORD_1
	v_cvt_f32_f16_e32 v2, v2
	v_cvt_f32_f16_sdwa v7, v3 dst_sel:DWORD dst_unused:UNUSED_PAD src0_sel:WORD_1
	v_cvt_f32_f16_sdwa v3, v1 dst_sel:DWORD dst_unused:UNUSED_PAD src0_sel:WORD_1
	v_cvt_f32_f16_e32 v1, v1
	v_cvt_f32_f16_sdwa v6, v0 dst_sel:DWORD dst_unused:UNUSED_PAD src0_sel:WORD_1
	v_cvt_f32_f16_e32 v0, v0
	v_readlane_b32 s36, v95, 1
	v_readlane_b32 s37, v95, 2
	v_mul_f32_e32 v18, s94, v4
	v_mul_f32_e32 v17, s94, v5
	;; [unrolled: 1-line block ×8, first 2 shown]
	s_and_b64 vcc, exec, s[36:37]
	s_waitcnt lgkmcnt(0)
	; wave barrier
	s_cbranch_vccz .LBB78_118
; %bb.58:                               ;   in Loop: Header=BB78_11 Depth=1
	s_cmp_lg_u32 s74, 0
	v_readlane_b32 s36, v95, 5
	v_mul_f32_e32 v85, v71, v0
	s_cselect_b64 s[80:81], -1, 0
	s_cmp_eq_u32 s74, s36
	v_cmp_gt_u32_e32 vcc, s50, v11
	v_or_b32_e32 v0, 1, v11
	s_cselect_b64 s[82:83], -1, 0
	s_or_b64 s[36:37], s[76:77], vcc
	v_cmp_gt_u32_e32 vcc, s50, v0
	v_or_b32_e32 v0, 2, v11
	s_or_b64 s[38:39], s[76:77], vcc
	v_cmp_gt_u32_e32 vcc, s50, v0
	s_or_b64 s[40:41], s[76:77], vcc
	v_cmp_gt_u32_e32 vcc, s50, v62
	;; [unrolled: 2-line block ×5, first 2 shown]
	s_mov_b32 s70, 0
	s_or_b64 s[48:49], s[76:77], vcc
	v_cmp_gt_u32_e32 vcc, s50, v66
	v_mul_f32_e32 v78, v15, v7
	v_lshl_add_u64 v[24:25], s[54:55], 0, v[8:9]
	v_lshl_add_u64 v[26:27], s[58:59], 0, v[8:9]
	v_mul_f32_e32 v79, v77, v4
	v_mul_f32_e32 v80, v76, v5
	;; [unrolled: 1-line block ×6, first 2 shown]
	s_or_b64 s[50:51], s[76:77], vcc
	s_mov_b32 s84, s70
	s_mov_b32 s86, s70
	;; [unrolled: 1-line block ×3, first 2 shown]
	v_readlane_b32 s79, v95, 0
	v_readlane_b32 s75, v95, 6
	s_branch .LBB78_60
.LBB78_59:                              ;   in Loop: Header=BB78_60 Depth=2
	s_or_b64 exec, exec, s[90:91]
	v_mul_f32_e32 v28, v86, v94
	v_fma_f32 v29, v86, v60, v4
	v_cndmask_b32_e64 v4, v29, v4, s[16:17]
	v_cndmask_b32_e64 v28, v28, v86, s[16:17]
	s_waitcnt lgkmcnt(0)
	v_fmac_f32_e32 v4, v34, v28
	v_fmac_f32_e32 v5, v4, v87
	;; [unrolled: 1-line block ×5, first 2 shown]
	v_cvt_f32_f16_sdwa v29, v0 dst_sel:DWORD dst_unused:UNUSED_PAD src0_sel:WORD_1
	v_cvt_f32_f16_sdwa v35, v1 dst_sel:DWORD dst_unused:UNUSED_PAD src0_sel:WORD_1
	v_cvt_f32_f16_e32 v28, v0
	v_cvt_f32_f16_e32 v34, v1
	v_cvt_f32_f16_sdwa v1, v2 dst_sel:DWORD dst_unused:UNUSED_PAD src0_sel:WORD_1
	v_cvt_f32_f16_sdwa v87, v3 dst_sel:DWORD dst_unused:UNUSED_PAD src0_sel:WORD_1
	v_cvt_f32_f16_e32 v86, v3
	v_cvt_f32_f16_e32 v0, v2
	v_fmac_f32_e32 v7, v6, v91
	v_fmac_f32_e32 v32, v7, v92
	;; [unrolled: 1-line block ×3, first 2 shown]
	s_add_i32 s75, s75, 8
	s_add_i32 s79, s79, -1
	s_add_i32 s88, s88, s66
	s_add_i32 s86, s86, s60
	;; [unrolled: 1-line block ×4, first 2 shown]
	v_pk_fma_f32 v[20:21], v[30:31], v[34:35], v[20:21]
	v_pk_fma_f32 v[22:23], v[4:5], v[28:29], v[22:23]
	;; [unrolled: 1-line block ×3, first 2 shown]
	s_cmp_eq_u32 s79, 0
	v_pk_fma_f32 v[16:17], v[6:7], v[0:1], v[16:17]
	s_cbranch_scc1 .LBB78_117
.LBB78_60:                              ;   Parent Loop BB78_11 Depth=1
                                        ; =>  This Inner Loop Header: Depth=2
	s_lshl_b64 s[90:91], s[70:71], 2
	s_add_u32 s90, s52, s90
	s_addc_u32 s91, s96, s91
	global_load_dword v30, v9, s[90:91]
	s_mov_b32 s85, s71
	v_lshl_add_u64 v[0:1], s[84:85], 1, v[24:25]
	v_mov_b32_e32 v2, 0
	v_mov_b32_e32 v3, 0
	s_and_saveexec_b64 s[90:91], s[18:19]
	s_cbranch_execnz .LBB78_80
; %bb.61:                               ;   in Loop: Header=BB78_60 Depth=2
	s_or_b64 exec, exec, s[90:91]
	s_and_saveexec_b64 s[90:91], s[20:21]
	s_cbranch_execnz .LBB78_81
.LBB78_62:                              ;   in Loop: Header=BB78_60 Depth=2
	s_or_b64 exec, exec, s[90:91]
	v_mov_b32_e32 v4, 0
	s_and_saveexec_b64 s[90:91], s[22:23]
	s_cbranch_execnz .LBB78_82
.LBB78_63:                              ;   in Loop: Header=BB78_60 Depth=2
	s_or_b64 exec, exec, s[90:91]
	s_and_saveexec_b64 s[90:91], s[24:25]
	s_cbranch_execnz .LBB78_83
.LBB78_64:                              ;   in Loop: Header=BB78_60 Depth=2
	s_or_b64 exec, exec, s[90:91]
	v_mov_b32_e32 v5, 0
	s_and_saveexec_b64 s[90:91], s[26:27]
	s_cbranch_execnz .LBB78_84
.LBB78_65:                              ;   in Loop: Header=BB78_60 Depth=2
	s_or_b64 exec, exec, s[90:91]
	s_and_saveexec_b64 s[90:91], s[28:29]
	s_cbranch_execnz .LBB78_85
.LBB78_66:                              ;   in Loop: Header=BB78_60 Depth=2
	s_or_b64 exec, exec, s[90:91]
	v_mov_b32_e32 v6, 0
	s_and_saveexec_b64 s[90:91], s[30:31]
	s_cbranch_execnz .LBB78_86
.LBB78_67:                              ;   in Loop: Header=BB78_60 Depth=2
	s_or_b64 exec, exec, s[90:91]
	s_and_saveexec_b64 s[90:91], s[34:35]
	s_cbranch_execz .LBB78_69
.LBB78_68:                              ;   in Loop: Header=BB78_60 Depth=2
	global_load_ushort v0, v[0:1], off offset:896
	s_waitcnt vmcnt(0)
	v_lshl_or_b32 v6, v0, 16, v6
.LBB78_69:                              ;   in Loop: Header=BB78_60 Depth=2
	s_or_b64 exec, exec, s[90:91]
	s_waitcnt vmcnt(0)
	ds_write_b16 v43, v3
	ds_write_b16 v44, v2 offset:128
	ds_write_b16 v45, v4 offset:256
	ds_write_b16_d16_hi v46, v4 offset:384
	ds_write_b16 v47, v5 offset:512
	ds_write_b16_d16_hi v48, v5 offset:640
	ds_write_b16 v49, v6 offset:768
	ds_write_b16_d16_hi v50, v6 offset:896
	; wave barrier
	ds_read_b128 v[4:7], v51
	s_mov_b32 s87, s71
	v_lshl_add_u64 v[0:1], s[86:87], 1, v[26:27]
	v_mov_b32_e32 v2, 0
	v_mov_b32_e32 v3, 0
	s_and_saveexec_b64 s[90:91], s[18:19]
	s_cbranch_execnz .LBB78_87
; %bb.70:                               ;   in Loop: Header=BB78_60 Depth=2
	s_or_b64 exec, exec, s[90:91]
	s_and_saveexec_b64 s[90:91], s[20:21]
	s_cbranch_execnz .LBB78_88
.LBB78_71:                              ;   in Loop: Header=BB78_60 Depth=2
	s_or_b64 exec, exec, s[90:91]
	v_mov_b32_e32 v28, 0
	s_and_saveexec_b64 s[90:91], s[22:23]
	s_cbranch_execnz .LBB78_89
.LBB78_72:                              ;   in Loop: Header=BB78_60 Depth=2
	s_or_b64 exec, exec, s[90:91]
	s_and_saveexec_b64 s[90:91], s[24:25]
	s_cbranch_execnz .LBB78_90
.LBB78_73:                              ;   in Loop: Header=BB78_60 Depth=2
	s_or_b64 exec, exec, s[90:91]
	v_mov_b32_e32 v29, 0
	s_and_saveexec_b64 s[90:91], s[26:27]
	s_cbranch_execnz .LBB78_91
.LBB78_74:                              ;   in Loop: Header=BB78_60 Depth=2
	s_or_b64 exec, exec, s[90:91]
	s_and_saveexec_b64 s[90:91], s[28:29]
	s_cbranch_execnz .LBB78_92
.LBB78_75:                              ;   in Loop: Header=BB78_60 Depth=2
	s_or_b64 exec, exec, s[90:91]
	v_mov_b32_e32 v31, 0
	s_and_saveexec_b64 s[90:91], s[30:31]
	s_cbranch_execnz .LBB78_93
.LBB78_76:                              ;   in Loop: Header=BB78_60 Depth=2
	s_or_b64 exec, exec, s[90:91]
	s_and_saveexec_b64 s[90:91], s[34:35]
	s_cbranch_execz .LBB78_78
.LBB78_77:                              ;   in Loop: Header=BB78_60 Depth=2
	global_load_ushort v0, v[0:1], off offset:896
	s_waitcnt vmcnt(0)
	v_lshl_or_b32 v31, v0, 16, v31
.LBB78_78:                              ;   in Loop: Header=BB78_60 Depth=2
	s_or_b64 exec, exec, s[90:91]
	s_waitcnt vmcnt(0)
	ds_write_b16 v43, v3 offset:1056
	ds_write_b16 v52, v2 offset:128
	;; [unrolled: 1-line block ×3, first 2 shown]
	ds_write_b16_d16_hi v54, v28 offset:384
	ds_write_b16 v55, v29 offset:512
	ds_write_b16_d16_hi v56, v29 offset:640
	ds_write_b16 v57, v31 offset:768
	ds_write_b16_d16_hi v58, v31 offset:896
	; wave barrier
	ds_read_b128 v[0:3], v51 offset:1056
	s_andn2_b64 vcc, exec, s[80:81]
	s_cbranch_vccnz .LBB78_94
; %bb.79:                               ;   in Loop: Header=BB78_60 Depth=2
	v_mov_b32_e32 v28, s75
	ds_read_b64 v[28:29], v28
	s_cbranch_execz .LBB78_95
	s_branch .LBB78_98
.LBB78_80:                              ;   in Loop: Header=BB78_60 Depth=2
	global_load_ushort v3, v[0:1], off
	s_or_b64 exec, exec, s[90:91]
	s_and_saveexec_b64 s[90:91], s[20:21]
	s_cbranch_execz .LBB78_62
.LBB78_81:                              ;   in Loop: Header=BB78_60 Depth=2
	global_load_ushort v2, v[0:1], off offset:128
	s_or_b64 exec, exec, s[90:91]
	v_mov_b32_e32 v4, 0
	s_and_saveexec_b64 s[90:91], s[22:23]
	s_cbranch_execz .LBB78_63
.LBB78_82:                              ;   in Loop: Header=BB78_60 Depth=2
	global_load_ushort v4, v[0:1], off offset:256
	s_or_b64 exec, exec, s[90:91]
	s_and_saveexec_b64 s[90:91], s[24:25]
	s_cbranch_execz .LBB78_64
.LBB78_83:                              ;   in Loop: Header=BB78_60 Depth=2
	global_load_ushort v5, v[0:1], off offset:384
	s_waitcnt vmcnt(0)
	v_lshl_or_b32 v4, v5, 16, v4
	s_or_b64 exec, exec, s[90:91]
	v_mov_b32_e32 v5, 0
	s_and_saveexec_b64 s[90:91], s[26:27]
	s_cbranch_execz .LBB78_65
.LBB78_84:                              ;   in Loop: Header=BB78_60 Depth=2
	global_load_ushort v5, v[0:1], off offset:512
	s_or_b64 exec, exec, s[90:91]
	s_and_saveexec_b64 s[90:91], s[28:29]
	s_cbranch_execz .LBB78_66
.LBB78_85:                              ;   in Loop: Header=BB78_60 Depth=2
	global_load_ushort v6, v[0:1], off offset:640
	s_waitcnt vmcnt(0)
	v_lshl_or_b32 v5, v6, 16, v5
	s_or_b64 exec, exec, s[90:91]
	v_mov_b32_e32 v6, 0
	s_and_saveexec_b64 s[90:91], s[30:31]
	s_cbranch_execz .LBB78_67
.LBB78_86:                              ;   in Loop: Header=BB78_60 Depth=2
	global_load_ushort v6, v[0:1], off offset:768
	s_or_b64 exec, exec, s[90:91]
	s_and_saveexec_b64 s[90:91], s[34:35]
	s_cbranch_execnz .LBB78_68
	s_branch .LBB78_69
.LBB78_87:                              ;   in Loop: Header=BB78_60 Depth=2
	global_load_ushort v3, v[0:1], off
	s_or_b64 exec, exec, s[90:91]
	s_and_saveexec_b64 s[90:91], s[20:21]
	s_cbranch_execz .LBB78_71
.LBB78_88:                              ;   in Loop: Header=BB78_60 Depth=2
	global_load_ushort v2, v[0:1], off offset:128
	s_or_b64 exec, exec, s[90:91]
	v_mov_b32_e32 v28, 0
	s_and_saveexec_b64 s[90:91], s[22:23]
	s_cbranch_execz .LBB78_72
.LBB78_89:                              ;   in Loop: Header=BB78_60 Depth=2
	global_load_ushort v28, v[0:1], off offset:256
	s_or_b64 exec, exec, s[90:91]
	s_and_saveexec_b64 s[90:91], s[24:25]
	s_cbranch_execz .LBB78_73
.LBB78_90:                              ;   in Loop: Header=BB78_60 Depth=2
	global_load_ushort v29, v[0:1], off offset:384
	s_waitcnt vmcnt(0)
	v_lshl_or_b32 v28, v29, 16, v28
	s_or_b64 exec, exec, s[90:91]
	v_mov_b32_e32 v29, 0
	s_and_saveexec_b64 s[90:91], s[26:27]
	s_cbranch_execz .LBB78_74
.LBB78_91:                              ;   in Loop: Header=BB78_60 Depth=2
	global_load_ushort v29, v[0:1], off offset:512
	s_or_b64 exec, exec, s[90:91]
	s_and_saveexec_b64 s[90:91], s[28:29]
	s_cbranch_execz .LBB78_75
.LBB78_92:                              ;   in Loop: Header=BB78_60 Depth=2
	global_load_ushort v31, v[0:1], off offset:640
	s_waitcnt vmcnt(0)
	v_lshl_or_b32 v29, v31, 16, v29
	s_or_b64 exec, exec, s[90:91]
	v_mov_b32_e32 v31, 0
	s_and_saveexec_b64 s[90:91], s[30:31]
	s_cbranch_execz .LBB78_76
.LBB78_93:                              ;   in Loop: Header=BB78_60 Depth=2
	global_load_ushort v31, v[0:1], off offset:768
	s_or_b64 exec, exec, s[90:91]
	s_and_saveexec_b64 s[90:91], s[34:35]
	s_cbranch_execnz .LBB78_77
	s_branch .LBB78_78
.LBB78_94:                              ;   in Loop: Header=BB78_60 Depth=2
                                        ; implicit-def: $vgpr29
.LBB78_95:                              ;   in Loop: Header=BB78_60 Depth=2
	s_andn2_b64 vcc, exec, s[68:69]
	s_waitcnt lgkmcnt(0)
	v_mov_b32_e32 v29, 0
	s_cbranch_vccnz .LBB78_97
; %bb.96:                               ;   in Loop: Header=BB78_60 Depth=2
	s_mov_b32 s89, s71
	s_lshl_b64 s[90:91], s[88:89], 1
	s_add_u32 s90, s57, s90
	s_addc_u32 s91, s61, s91
	global_load_ushort v28, v9, s[90:91]
	s_waitcnt vmcnt(0)
	v_cvt_f32_f16_e32 v29, v28
.LBB78_97:                              ;   in Loop: Header=BB78_60 Depth=2
	v_mov_b32_e32 v28, 1.0
.LBB78_98:                              ;   in Loop: Header=BB78_60 Depth=2
	v_mul_f32_e32 v92, 0x3fb8aa3b, v30
	s_waitcnt lgkmcnt(9)
	v_cvt_f32_f16_e32 v31, v4
	v_cvt_f32_f16_sdwa v32, v4 dst_sel:DWORD dst_unused:UNUSED_PAD src0_sel:WORD_1
	v_mul_f32_e32 v4, v92, v71
	v_cmp_gt_f32_e32 vcc, s98, v4
	v_cvt_f32_f16_e32 v35, v6
	v_cvt_f32_f16_sdwa v60, v6 dst_sel:DWORD dst_unused:UNUSED_PAD src0_sel:WORD_1
	v_cndmask_b32_e32 v4, 0, v69, vcc
	v_mul_f32_e32 v6, v92, v72
	v_cvt_f32_f16_e32 v33, v5
	v_cvt_f32_f16_sdwa v34, v5 dst_sel:DWORD dst_unused:UNUSED_PAD src0_sel:WORD_1
	v_fmac_f32_e32 v4, v92, v71
	v_cndmask_b32_e32 v5, 1.0, v70, vcc
	v_cmp_gt_f32_e32 vcc, s98, v6
	v_exp_f32_e32 v4, v4
	v_cvt_f32_f16_e32 v93, v7
	v_cndmask_b32_e32 v6, 0, v69, vcc
	v_fmac_f32_e32 v6, v92, v72
	v_exp_f32_e32 v6, v6
	v_cvt_f32_f16_sdwa v94, v7 dst_sel:DWORD dst_unused:UNUSED_PAD src0_sel:WORD_1
	v_mul_f32_e32 v5, v4, v5
	v_mul_f32_e32 v7, v92, v73
	v_cndmask_b32_e64 v86, 1.0, v5, s[36:37]
	v_cndmask_b32_e32 v5, 1.0, v70, vcc
	v_cmp_gt_f32_e32 vcc, s98, v7
	v_mul_f32_e32 v6, v6, v5
	v_mul_f32_e32 v30, v92, v74
	v_cndmask_b32_e32 v7, 0, v69, vcc
	v_fmac_f32_e32 v7, v92, v73
	v_cndmask_b32_e64 v87, 1.0, v6, s[38:39]
	v_cndmask_b32_e32 v6, 1.0, v70, vcc
	v_cmp_gt_f32_e32 vcc, s98, v30
	v_exp_f32_e32 v7, v7
	v_mul_f32_e32 v4, v85, v31
	v_cndmask_b32_e32 v30, 0, v69, vcc
	v_fmac_f32_e32 v30, v92, v74
	v_exp_f32_e32 v31, v30
	v_mul_f32_e32 v6, v7, v6
	v_cndmask_b32_e64 v88, 1.0, v6, s[40:41]
	v_cndmask_b32_e32 v6, 1.0, v70, vcc
	v_mul_f32_e32 v6, v31, v6
	v_mul_f32_e32 v31, v92, v75
	v_cmp_gt_f32_e32 vcc, s98, v31
	v_mul_f32_e32 v5, v84, v32
	v_mul_f32_e32 v7, v83, v33
	v_cndmask_b32_e32 v31, 0, v69, vcc
	v_fmac_f32_e32 v31, v92, v75
	v_exp_f32_e32 v32, v31
	v_cndmask_b32_e64 v30, 0, v7, s[40:41]
	v_mul_f32_e32 v7, v82, v34
	v_cndmask_b32_e64 v89, 1.0, v6, s[42:43]
	v_cndmask_b32_e32 v6, 1.0, v70, vcc
	v_cndmask_b32_e64 v31, 0, v7, s[42:43]
	v_mul_f32_e32 v7, v32, v6
	v_mul_f32_e32 v32, v92, v76
	v_cmp_gt_f32_e32 vcc, s98, v32
	v_mul_f32_e32 v33, v92, v77
	v_cndmask_b32_e64 v90, 1.0, v7, s[44:45]
	v_cndmask_b32_e32 v32, 0, v69, vcc
	v_fmac_f32_e32 v32, v92, v76
	v_exp_f32_e32 v32, v32
	v_cndmask_b32_e32 v7, 1.0, v70, vcc
	v_cmp_gt_f32_e32 vcc, s98, v33
	v_mul_f32_e32 v34, v92, v15
	v_mul_f32_e32 v32, v32, v7
	v_cndmask_b32_e32 v33, 0, v69, vcc
	v_fmac_f32_e32 v33, v92, v77
	v_cndmask_b32_e64 v91, 1.0, v32, s[46:47]
	v_cndmask_b32_e32 v32, 1.0, v70, vcc
	v_cmp_gt_f32_e32 vcc, s98, v34
	v_exp_f32_e32 v33, v33
	v_cndmask_b32_e64 v4, 0, v4, s[36:37]
	v_cndmask_b32_e32 v34, 0, v69, vcc
	v_fmac_f32_e32 v34, v92, v15
	v_exp_f32_e32 v34, v34
	v_mul_f32_e32 v33, v33, v32
	v_cndmask_b32_e64 v92, 1.0, v33, s[48:49]
	v_cndmask_b32_e32 v33, 1.0, v70, vcc
	v_cndmask_b32_e64 v5, 0, v5, s[38:39]
	v_mul_f32_e32 v34, v34, v33
	v_mul_f32_e32 v6, v81, v35
	;; [unrolled: 1-line block ×3, first 2 shown]
	v_cndmask_b32_e64 v93, 1.0, v34, s[50:51]
	v_mul_f32_e32 v34, v87, v86
	v_fma_f32 v35, v87, v4, v5
	v_mul_f32_e32 v34, v34, v88
	v_fma_f32 v35, v35, v88, v30
	v_cndmask_b32_e64 v6, 0, v6, s[44:45]
	v_mul_f32_e32 v7, v80, v60
	v_mul_f32_e32 v34, v34, v89
	v_fma_f32 v35, v35, v89, v31
	v_cndmask_b32_e64 v7, 0, v7, s[46:47]
	v_mul_f32_e32 v34, v34, v90
	v_fma_f32 v35, v35, v90, v6
	v_cndmask_b32_e64 v32, 0, v32, s[48:49]
	v_mul_f32_e32 v33, v78, v94
	v_mul_f32_e32 v34, v34, v91
	v_fma_f32 v35, v35, v91, v7
	v_cndmask_b32_e64 v33, 0, v33, s[50:51]
	v_mul_f32_e32 v34, v34, v92
	v_fma_f32 v35, v35, v92, v32
	v_mul_f32_e32 v34, v34, v93
	v_fma_f32 v61, v35, v93, v33
	s_nop 0
	v_mov_b32_dpp v94, v34 row_shr:1 row_mask:0xf bank_mask:0xf
	v_mov_b32_dpp v60, v61 row_shr:1 row_mask:0xf bank_mask:0xf
	s_and_saveexec_b64 s[90:91], s[0:1]
; %bb.99:                               ;   in Loop: Header=BB78_60 Depth=2
	v_mul_f32_e32 v94, v34, v94
	v_fmac_f32_e32 v61, v34, v60
	v_mov_b32_e32 v34, v94
; %bb.100:                              ;   in Loop: Header=BB78_60 Depth=2
	s_or_b64 exec, exec, s[90:91]
	s_nop 0
	v_mov_b32_dpp v60, v34 row_shr:2 row_mask:0xf bank_mask:0xf
	v_mov_b32_dpp v94, v61 row_shr:2 row_mask:0xf bank_mask:0xf
	s_and_saveexec_b64 s[90:91], s[2:3]
; %bb.101:                              ;   in Loop: Header=BB78_60 Depth=2
	v_fmac_f32_e32 v61, v34, v94
	v_mul_f32_e32 v34, v34, v60
; %bb.102:                              ;   in Loop: Header=BB78_60 Depth=2
	s_or_b64 exec, exec, s[90:91]
	s_nop 0
	v_mov_b32_dpp v60, v34 row_shr:4 row_mask:0xf bank_mask:0xf
	v_mov_b32_dpp v94, v61 row_shr:4 row_mask:0xf bank_mask:0xf
	s_and_saveexec_b64 s[90:91], s[4:5]
; %bb.103:                              ;   in Loop: Header=BB78_60 Depth=2
	v_fmac_f32_e32 v61, v34, v94
	v_mul_f32_e32 v34, v34, v60
	;; [unrolled: 9-line block ×3, first 2 shown]
; %bb.106:                              ;   in Loop: Header=BB78_60 Depth=2
	s_or_b64 exec, exec, s[90:91]
	s_nop 0
	v_mov_b32_dpp v60, v34 row_bcast:15 row_mask:0xf bank_mask:0xf
	v_mov_b32_dpp v94, v61 row_bcast:15 row_mask:0xf bank_mask:0xf
	s_and_saveexec_b64 s[90:91], s[8:9]
; %bb.107:                              ;   in Loop: Header=BB78_60 Depth=2
	v_fmac_f32_e32 v61, v34, v94
	v_mul_f32_e32 v34, v34, v60
; %bb.108:                              ;   in Loop: Header=BB78_60 Depth=2
	s_or_b64 exec, exec, s[90:91]
	s_nop 0
	v_mov_b32_dpp v60, v34 row_bcast:31 row_mask:0xf bank_mask:0xf
	v_mov_b32_dpp v94, v61 row_bcast:31 row_mask:0xf bank_mask:0xf
	v_mov_b32_e32 v35, v61
	v_mul_f32_e32 v60, v34, v60
	v_fmac_f32_e32 v35, v34, v94
	v_cndmask_b32_e64 v34, v34, v60, s[10:11]
	v_cndmask_b32_e64 v35, v61, v35, s[10:11]
	s_and_saveexec_b64 s[90:91], s[12:13]
	s_cbranch_execz .LBB78_110
; %bb.109:                              ;   in Loop: Header=BB78_60 Depth=2
	ds_write_b64 v9, v[34:35] offset:2112
.LBB78_110:                             ;   in Loop: Header=BB78_60 Depth=2
	s_or_b64 exec, exec, s[90:91]
	ds_bpermute_b32 v94, v59, v34
	ds_bpermute_b32 v60, v59, v35
	s_waitcnt lgkmcnt(2)
	v_mov_b32_e32 v35, v29
	s_waitcnt lgkmcnt(0)
	; wave barrier
	s_waitcnt lgkmcnt(0)
	s_and_saveexec_b64 s[90:91], s[14:15]
	s_cbranch_execz .LBB78_114
; %bb.111:                              ;   in Loop: Header=BB78_60 Depth=2
	ds_read_b64 v[34:35], v9 offset:2112
	s_and_saveexec_b64 s[92:93], s[16:17]
	s_cbranch_execz .LBB78_113
; %bb.112:                              ;   in Loop: Header=BB78_60 Depth=2
	ds_write_b64 v9, v[28:29] offset:2112
.LBB78_113:                             ;   in Loop: Header=BB78_60 Depth=2
	s_or_b64 exec, exec, s[92:93]
	s_waitcnt lgkmcnt(0)
	v_fmac_f32_e32 v35, v29, v34
	v_mul_f32_e32 v28, v28, v34
	v_mov_b32_e32 v29, v35
.LBB78_114:                             ;   in Loop: Header=BB78_60 Depth=2
	s_or_b64 exec, exec, s[90:91]
	s_waitcnt lgkmcnt(0)
	; wave barrier
	ds_read_b32 v34, v9 offset:2116
	s_and_saveexec_b64 s[90:91], s[16:17]
	s_cbranch_execz .LBB78_59
; %bb.115:                              ;   in Loop: Header=BB78_60 Depth=2
	v_mov_b32_e32 v61, s75
	s_andn2_b64 vcc, exec, s[82:83]
	ds_write_b64 v61, v[28:29]
	s_cbranch_vccnz .LBB78_59
; %bb.116:                              ;   in Loop: Header=BB78_60 Depth=2
	s_mov_b32 s89, s71
	v_cvt_f16_f32_e32 v28, v35
	s_lshl_b64 s[92:93], s[88:89], 1
	s_add_u32 s92, s57, s92
	s_addc_u32 s93, s61, s93
	global_store_short v9, v28, s[92:93]
	s_branch .LBB78_59
.LBB78_117:                             ;   in Loop: Header=BB78_11 Depth=1
	s_mov_b32 s40, 0x3fb8aa3b
	s_mov_b32 s41, 0xc2ce8ed0
	;; [unrolled: 1-line block ×4, first 2 shown]
.LBB78_118:                             ;   in Loop: Header=BB78_11 Depth=1
	v_cvt_f16_f32_e32 v0, v23
	v_cvt_f16_f32_e32 v1, v21
	;; [unrolled: 1-line block ×8, first 2 shown]
	v_pack_b32_f16 v3, v4, v3
	v_pack_b32_f16 v2, v5, v2
	v_pack_b32_f16 v1, v6, v1
	v_pack_b32_f16 v0, v7, v0
	s_waitcnt lgkmcnt(0)
	; wave barrier
	ds_write_b128 v51, v[0:3]
	; wave barrier
	ds_read_u16 v15, v44 offset:128
	ds_read_u16 v7, v45 offset:256
	;; [unrolled: 1-line block ×7, first 2 shown]
	s_mov_b32 s79, s71
	v_lshl_add_u64 v[0:1], s[78:79], 1, v[12:13]
	s_and_saveexec_b64 s[36:37], s[18:19]
	s_cbranch_execnz .LBB78_128
; %bb.119:                              ;   in Loop: Header=BB78_11 Depth=1
	s_or_b64 exec, exec, s[36:37]
	s_and_saveexec_b64 s[18:19], s[20:21]
	s_cbranch_execnz .LBB78_129
.LBB78_120:                             ;   in Loop: Header=BB78_11 Depth=1
	s_or_b64 exec, exec, s[18:19]
	s_and_saveexec_b64 s[18:19], s[22:23]
	s_cbranch_execnz .LBB78_130
.LBB78_121:                             ;   in Loop: Header=BB78_11 Depth=1
	s_or_b64 exec, exec, s[18:19]
	s_and_saveexec_b64 s[18:19], s[24:25]
	s_cbranch_execnz .LBB78_131
.LBB78_122:                             ;   in Loop: Header=BB78_11 Depth=1
	s_or_b64 exec, exec, s[18:19]
	s_and_saveexec_b64 s[18:19], s[26:27]
	s_cbranch_execnz .LBB78_132
.LBB78_123:                             ;   in Loop: Header=BB78_11 Depth=1
	s_or_b64 exec, exec, s[18:19]
	s_and_saveexec_b64 s[18:19], s[28:29]
	s_cbranch_execnz .LBB78_133
.LBB78_124:                             ;   in Loop: Header=BB78_11 Depth=1
	s_or_b64 exec, exec, s[18:19]
	s_and_saveexec_b64 s[18:19], s[30:31]
	s_cbranch_execnz .LBB78_134
.LBB78_125:                             ;   in Loop: Header=BB78_11 Depth=1
	s_or_b64 exec, exec, s[18:19]
	s_and_saveexec_b64 s[18:19], s[34:35]
	s_cbranch_execz .LBB78_10
	s_branch .LBB78_135
.LBB78_126:                             ;   in Loop: Header=BB78_11 Depth=1
	global_load_ushort v19, v[4:5], off offset:640
	s_or_b64 exec, exec, s[36:37]
	s_and_saveexec_b64 s[36:37], s[30:31]
	s_cbranch_execz .LBB78_39
.LBB78_127:                             ;   in Loop: Header=BB78_11 Depth=1
	global_load_ushort v18, v[4:5], off offset:768
	s_or_b64 exec, exec, s[36:37]
	v_mov_b32_e32 v20, 0
	s_and_saveexec_b64 s[36:37], s[34:35]
	s_cbranch_execnz .LBB78_40
	s_branch .LBB78_41
.LBB78_128:                             ;   in Loop: Header=BB78_11 Depth=1
	ds_read_u16 v16, v43
	s_waitcnt lgkmcnt(0)
	global_store_short v[0:1], v16, off
	s_or_b64 exec, exec, s[36:37]
	s_and_saveexec_b64 s[18:19], s[20:21]
	s_cbranch_execz .LBB78_120
.LBB78_129:                             ;   in Loop: Header=BB78_11 Depth=1
	s_waitcnt lgkmcnt(6)
	global_store_short v[0:1], v15, off offset:128
	s_or_b64 exec, exec, s[18:19]
	s_and_saveexec_b64 s[18:19], s[22:23]
	s_cbranch_execz .LBB78_121
.LBB78_130:                             ;   in Loop: Header=BB78_11 Depth=1
	s_waitcnt lgkmcnt(5)
	global_store_short v[0:1], v7, off offset:256
	s_or_b64 exec, exec, s[18:19]
	s_and_saveexec_b64 s[18:19], s[24:25]
	s_cbranch_execz .LBB78_122
.LBB78_131:                             ;   in Loop: Header=BB78_11 Depth=1
	s_waitcnt lgkmcnt(4)
	global_store_short v[0:1], v6, off offset:384
	s_or_b64 exec, exec, s[18:19]
	s_and_saveexec_b64 s[18:19], s[26:27]
	s_cbranch_execz .LBB78_123
.LBB78_132:                             ;   in Loop: Header=BB78_11 Depth=1
	s_waitcnt lgkmcnt(3)
	global_store_short v[0:1], v5, off offset:512
	s_or_b64 exec, exec, s[18:19]
	s_and_saveexec_b64 s[18:19], s[28:29]
	s_cbranch_execz .LBB78_124
.LBB78_133:                             ;   in Loop: Header=BB78_11 Depth=1
	s_waitcnt lgkmcnt(2)
	global_store_short v[0:1], v4, off offset:640
	s_or_b64 exec, exec, s[18:19]
	s_and_saveexec_b64 s[18:19], s[30:31]
	s_cbranch_execz .LBB78_125
.LBB78_134:                             ;   in Loop: Header=BB78_11 Depth=1
	s_waitcnt lgkmcnt(1)
	global_store_short v[0:1], v3, off offset:768
	s_or_b64 exec, exec, s[18:19]
	s_and_saveexec_b64 s[18:19], s[34:35]
	s_cbranch_execz .LBB78_10
.LBB78_135:                             ;   in Loop: Header=BB78_11 Depth=1
	s_waitcnt lgkmcnt(0)
	global_store_short v[0:1], v2, off offset:896
	s_branch .LBB78_10
.LBB78_136:
	s_endpgm
.LBB78_137:
	s_mov_b64 s[68:69], 0
	s_load_dwordx2 s[4:5], s[0:1], 0x20
	s_cmp_eq_u64 s[6:7], 0
	s_cbranch_scc0 .LBB78_2
	s_branch .LBB78_3
	.section	.rodata,"a",@progbits
	.p2align	6, 0x0
	.amdhsa_kernel _Z25selective_scan_fwd_kernelI32Selective_Scan_fwd_kernel_traitsILi64ELi8ELi1ELb0ELb1ELb1ELb0ELb1EN3c104HalfEfS2_EEv13SSMParamsBase
		.amdhsa_group_segment_fixed_size 0
		.amdhsa_private_segment_fixed_size 0
		.amdhsa_kernarg_size 248
		.amdhsa_user_sgpr_count 2
		.amdhsa_user_sgpr_dispatch_ptr 0
		.amdhsa_user_sgpr_queue_ptr 0
		.amdhsa_user_sgpr_kernarg_segment_ptr 1
		.amdhsa_user_sgpr_dispatch_id 0
		.amdhsa_user_sgpr_kernarg_preload_length 0
		.amdhsa_user_sgpr_kernarg_preload_offset 0
		.amdhsa_user_sgpr_private_segment_size 0
		.amdhsa_uses_dynamic_stack 0
		.amdhsa_enable_private_segment 0
		.amdhsa_system_sgpr_workgroup_id_x 1
		.amdhsa_system_sgpr_workgroup_id_y 1
		.amdhsa_system_sgpr_workgroup_id_z 0
		.amdhsa_system_sgpr_workgroup_info 0
		.amdhsa_system_vgpr_workitem_id 0
		.amdhsa_next_free_vgpr 96
		.amdhsa_next_free_sgpr 100
		.amdhsa_accum_offset 96
		.amdhsa_reserve_vcc 1
		.amdhsa_float_round_mode_32 0
		.amdhsa_float_round_mode_16_64 0
		.amdhsa_float_denorm_mode_32 3
		.amdhsa_float_denorm_mode_16_64 3
		.amdhsa_dx10_clamp 1
		.amdhsa_ieee_mode 1
		.amdhsa_fp16_overflow 0
		.amdhsa_tg_split 0
		.amdhsa_exception_fp_ieee_invalid_op 0
		.amdhsa_exception_fp_denorm_src 0
		.amdhsa_exception_fp_ieee_div_zero 0
		.amdhsa_exception_fp_ieee_overflow 0
		.amdhsa_exception_fp_ieee_underflow 0
		.amdhsa_exception_fp_ieee_inexact 0
		.amdhsa_exception_int_div_zero 0
	.end_amdhsa_kernel
	.section	.text._Z25selective_scan_fwd_kernelI32Selective_Scan_fwd_kernel_traitsILi64ELi8ELi1ELb0ELb1ELb1ELb0ELb1EN3c104HalfEfS2_EEv13SSMParamsBase,"axG",@progbits,_Z25selective_scan_fwd_kernelI32Selective_Scan_fwd_kernel_traitsILi64ELi8ELi1ELb0ELb1ELb1ELb0ELb1EN3c104HalfEfS2_EEv13SSMParamsBase,comdat
.Lfunc_end78:
	.size	_Z25selective_scan_fwd_kernelI32Selective_Scan_fwd_kernel_traitsILi64ELi8ELi1ELb0ELb1ELb1ELb0ELb1EN3c104HalfEfS2_EEv13SSMParamsBase, .Lfunc_end78-_Z25selective_scan_fwd_kernelI32Selective_Scan_fwd_kernel_traitsILi64ELi8ELi1ELb0ELb1ELb1ELb0ELb1EN3c104HalfEfS2_EEv13SSMParamsBase
                                        ; -- End function
	.section	.AMDGPU.csdata,"",@progbits
; Kernel info:
; codeLenInByte = 10504
; NumSgprs: 106
; NumVgprs: 96
; NumAgprs: 0
; TotalNumVgprs: 96
; ScratchSize: 0
; MemoryBound: 0
; FloatMode: 240
; IeeeMode: 1
; LDSByteSize: 0 bytes/workgroup (compile time only)
; SGPRBlocks: 13
; VGPRBlocks: 11
; NumSGPRsForWavesPerEU: 106
; NumVGPRsForWavesPerEU: 96
; AccumOffset: 96
; Occupancy: 5
; WaveLimiterHint : 1
; COMPUTE_PGM_RSRC2:SCRATCH_EN: 0
; COMPUTE_PGM_RSRC2:USER_SGPR: 2
; COMPUTE_PGM_RSRC2:TRAP_HANDLER: 0
; COMPUTE_PGM_RSRC2:TGID_X_EN: 1
; COMPUTE_PGM_RSRC2:TGID_Y_EN: 1
; COMPUTE_PGM_RSRC2:TGID_Z_EN: 0
; COMPUTE_PGM_RSRC2:TIDIG_COMP_CNT: 0
; COMPUTE_PGM_RSRC3_GFX90A:ACCUM_OFFSET: 23
; COMPUTE_PGM_RSRC3_GFX90A:TG_SPLIT: 0
	.section	.text._Z25selective_scan_fwd_kernelI32Selective_Scan_fwd_kernel_traitsILi64ELi8ELi1ELb0ELb1ELb1ELb0ELb0EN3c104HalfEfS2_EEv13SSMParamsBase,"axG",@progbits,_Z25selective_scan_fwd_kernelI32Selective_Scan_fwd_kernel_traitsILi64ELi8ELi1ELb0ELb1ELb1ELb0ELb0EN3c104HalfEfS2_EEv13SSMParamsBase,comdat
	.protected	_Z25selective_scan_fwd_kernelI32Selective_Scan_fwd_kernel_traitsILi64ELi8ELi1ELb0ELb1ELb1ELb0ELb0EN3c104HalfEfS2_EEv13SSMParamsBase ; -- Begin function _Z25selective_scan_fwd_kernelI32Selective_Scan_fwd_kernel_traitsILi64ELi8ELi1ELb0ELb1ELb1ELb0ELb0EN3c104HalfEfS2_EEv13SSMParamsBase
	.globl	_Z25selective_scan_fwd_kernelI32Selective_Scan_fwd_kernel_traitsILi64ELi8ELi1ELb0ELb1ELb1ELb0ELb0EN3c104HalfEfS2_EEv13SSMParamsBase
	.p2align	8
	.type	_Z25selective_scan_fwd_kernelI32Selective_Scan_fwd_kernel_traitsILi64ELi8ELi1ELb0ELb1ELb1ELb0ELb0EN3c104HalfEfS2_EEv13SSMParamsBase,@function
_Z25selective_scan_fwd_kernelI32Selective_Scan_fwd_kernel_traitsILi64ELi8ELi1ELb0ELb1ELb1ELb0ELb0EN3c104HalfEfS2_EEv13SSMParamsBase: ; @_Z25selective_scan_fwd_kernelI32Selective_Scan_fwd_kernel_traitsILi64ELi8ELi1ELb0ELb1ELb1ELb0ELb0EN3c104HalfEfS2_EEv13SSMParamsBase
; %bb.0:
	s_load_dword s27, s[0:1], 0x18
	s_load_dwordx4 s[4:7], s[0:1], 0xe8
	s_mov_b32 s20, s3
	s_waitcnt lgkmcnt(0)
	s_abs_i32 s26, s27
	v_cvt_f32_u32_e32 v1, s26
	s_cmp_eq_u64 s[6:7], 0
	v_rcp_iflag_f32_e32 v1, v1
	s_nop 0
	v_mul_f32_e32 v1, 0x4f7ffffe, v1
	v_cvt_u32_f32_e32 v1, v1
	s_nop 0
	v_readfirstlane_b32 s22, v1
	s_cbranch_scc1 .LBB79_3
; %bb.1:
	s_ashr_i32 s3, s2, 31
	s_add_u32 s6, s6, s2
	s_addc_u32 s7, s7, s3
	v_mov_b32_e32 v1, 0
	global_load_ubyte v1, v1, s[6:7]
	s_waitcnt vmcnt(0)
	v_and_b32_e32 v1, 1, v1
	v_cmp_eq_u32_e64 s[68:69], 1, v1
	s_load_dwordx2 s[6:7], s[0:1], 0x20
	s_cmp_eq_u64 s[4:5], 0
	s_cbranch_scc1 .LBB79_4
.LBB79_2:
	s_ashr_i32 s3, s2, 31
	s_lshl_b64 s[8:9], s[2:3], 2
	s_add_u32 s4, s4, s8
	s_addc_u32 s5, s5, s9
	s_load_dword s24, s[4:5], 0x0
	s_waitcnt lgkmcnt(0)
	s_ashr_i32 s25, s24, 31
	s_cmp_eq_u64 s[6:7], s[24:25]
	s_cbranch_scc0 .LBB79_5
	s_branch .LBB79_137
.LBB79_3:
	s_mov_b64 s[68:69], 0
	s_load_dwordx2 s[6:7], s[0:1], 0x20
	s_cmp_eq_u64 s[4:5], 0
	s_cbranch_scc0 .LBB79_2
.LBB79_4:
	s_mov_b32 s24, s2
	s_ashr_i32 s25, s24, 31
	s_waitcnt lgkmcnt(0)
	s_cmp_eq_u64 s[6:7], s[24:25]
	s_cbranch_scc1 .LBB79_137
.LBB79_5:
	s_load_dwordx16 s[4:19], s[0:1], 0x88
	s_load_dwordx2 s[30:31], s[0:1], 0x8
	s_mov_b32 s33, 0
	s_mov_b32 s96, 0
	s_waitcnt lgkmcnt(0)
	s_cmp_eq_u64 s[10:11], 0
	s_cbranch_scc1 .LBB79_7
; %bb.6:
	s_ashr_i32 s21, s20, 31
	s_lshl_b64 s[28:29], s[20:21], 2
	s_add_u32 s10, s10, s28
	s_addc_u32 s11, s11, s29
	s_load_dword s96, s[10:11], 0x0
.LBB79_7:
	s_cmp_eq_u64 s[16:17], 0
	s_cbranch_scc1 .LBB79_9
; %bb.8:
	s_ashr_i32 s21, s20, 31
	s_lshl_b64 s[10:11], s[20:21], 2
	s_add_u32 s10, s16, s10
	s_addc_u32 s11, s17, s11
	s_load_dword s33, s[10:11], 0x0
.LBB79_9:
	s_cmp_lt_i32 s30, 1
	s_cbranch_scc1 .LBB79_137
; %bb.10:
	s_sub_i32 s3, 0, s26
	s_mul_i32 s3, s3, s22
	s_mul_hi_u32 s3, s22, s3
	s_abs_i32 s21, s20
	s_add_i32 s3, s22, s3
	s_load_dwordx8 s[56:63], s[0:1], 0x2c
	s_load_dwordx2 s[10:11], s[0:1], 0x5c
	s_load_dwordx4 s[64:67], s[0:1], 0x4c
	s_load_dwordx4 s[52:55], s[0:1], 0x7c
	s_load_dwordx2 s[22:23], s[0:1], 0x6c
	s_load_dwordx2 s[16:17], s[0:1], 0xc8
	s_mul_hi_u32 s3, s21, s3
	s_load_dword s25, s[0:1], 0x28
	s_ashr_i32 s0, s20, 31
	s_ashr_i32 s1, s27, 31
	s_xor_b32 s0, s0, s1
	s_mul_i32 s1, s3, s26
	s_sub_i32 s1, s21, s1
	s_add_i32 s21, s3, 1
	s_sub_i32 s27, s1, s26
	s_cmp_ge_u32 s1, s26
	s_cselect_b32 s3, s21, s3
	s_cselect_b32 s1, s27, s1
	s_add_i32 s21, s3, 1
	s_cmp_ge_u32 s1, s26
	s_cselect_b32 s1, s21, s3
	s_xor_b32 s1, s1, s0
	s_waitcnt lgkmcnt(0)
	s_mul_i32 s72, s66, s2
	s_mov_b32 s73, 0
	s_sub_i32 s3, s1, s0
	s_lshl_b64 s[0:1], s[72:73], 1
	s_add_u32 s12, s12, s0
	s_mul_i32 s72, s67, s20
	s_addc_u32 s13, s13, s1
	s_lshl_b64 s[0:1], s[72:73], 1
	s_add_u32 s66, s12, s0
	s_mul_i32 s72, s10, s2
	s_addc_u32 s67, s13, s1
	;; [unrolled: 4-line block ×10, first 2 shown]
	s_lshl_b64 s[0:1], s[72:73], 1
	s_add_u32 s61, s3, s0
	v_mbcnt_lo_u32_b32 v1, -1, 0
	s_addc_u32 s65, s4, s1
	s_add_i32 s0, s30, 0x7ff
	v_mbcnt_hi_u32_b32 v10, -1, v1
	s_lshr_b32 s3, s0, 11
	v_lshrrev_b32_e32 v1, 5, v10
	v_and_b32_e32 v1, 2, v1
	s_bitcmp1_b32 s25, 0
	v_add_u32_e32 v36, 64, v10
	v_or_b32_e32 v37, 0x80, v10
	v_add_u32_e32 v38, 0xc0, v10
	v_or_b32_e32 v39, 0x100, v10
	;; [unrolled: 2-line block ×3, first 2 shown]
	v_add_u32_e32 v42, 0x1c0, v10
	v_add_u32_e32 v1, v1, v10
	s_cselect_b64 s[76:77], -1, 0
	s_cmp_gt_i32 s31, 0
	v_lshl_add_u32 v43, v1, 1, 0
	v_lshrrev_b32_e32 v1, 5, v36
	v_lshrrev_b32_e32 v2, 5, v37
	;; [unrolled: 1-line block ×7, first 2 shown]
	s_cselect_b64 s[0:1], -1, 0
                                        ; implicit-def: $vgpr95 : SGPR spill to VGPR lane
	v_and_b32_e32 v1, 6, v1
	v_and_b32_e32 v2, 6, v2
	;; [unrolled: 1-line block ×7, first 2 shown]
	v_writelane_b32 v95, s0, 0
	v_add_lshl_u32 v1, v1, v10, 1
	v_add_lshl_u32 v2, v2, v10, 1
	;; [unrolled: 1-line block ×7, first 2 shown]
	v_writelane_b32 v95, s1, 1
	s_add_i32 s0, 0, 0x420
	v_add_u32_e32 v52, s0, v1
	v_add_u32_e32 v53, s0, v2
	v_add_u32_e32 v54, s0, v3
	v_add_u32_e32 v55, s0, v4
	v_add_u32_e32 v56, s0, v5
	v_add_u32_e32 v57, s0, v6
	v_add_u32_e32 v58, s0, v7
	v_writelane_b32 v95, s30, 2
	s_and_b32 s0, s30, 0x1ff
	s_cmp_eq_u32 s0, 0
	v_writelane_b32 v95, s31, 3
	s_cselect_b64 s[80:81], -1, 0
	v_writelane_b32 v95, s3, 4
	s_add_i32 s3, s3, -1
	s_mul_i32 s72, s22, s2
	v_writelane_b32 v95, s3, 5
	s_lshl_b64 s[2:3], s[72:73], 1
	v_add_u32_e32 v44, 0, v1
	v_lshrrev_b32_e32 v8, 2, v10
	v_and_b32_e32 v1, 15, v10
	s_add_u32 s18, s18, s2
	s_mul_i32 s72, s23, s20
	v_and_b32_e32 v8, 30, v8
	v_cmp_ne_u32_e64 s[0:1], 0, v1
	v_cmp_lt_u32_e64 s[52:53], 1, v1
	v_cmp_lt_u32_e64 s[4:5], 3, v1
	;; [unrolled: 1-line block ×3, first 2 shown]
	v_and_b32_e32 v1, 16, v10
	s_addc_u32 s19, s19, s3
	s_lshl_b64 s[2:3], s[72:73], 1
	v_add_u32_e32 v45, 0, v2
	v_lshl_add_u32 v8, v10, 3, v8
	v_cmp_ne_u32_e64 s[8:9], 0, v1
	v_add_u32_e32 v1, -1, v10
	v_and_b32_e32 v2, 64, v10
	s_add_u32 s2, s18, s2
	v_mov_b32_e32 v9, 0
	v_lshl_add_u32 v51, v8, 1, 0
	v_cmp_lt_i32_e32 vcc, v1, v2
	s_addc_u32 s3, s19, s3
	v_lshlrev_b32_e32 v8, 1, v10
	v_lshlrev_b32_e32 v11, 3, v0
	v_cndmask_b32_e32 v1, v1, v10, vcc
	v_lshl_add_u64 v[12:13], s[2:3], 0, v[8:9]
	s_add_i32 s2, 0, 0x848
	v_add_u32_e32 v46, 0, v3
	v_add_u32_e32 v47, 0, v4
	;; [unrolled: 1-line block ×5, first 2 shown]
	v_cmp_lt_u32_e64 s[10:11], 31, v10
	v_cmp_eq_u32_e64 s[12:13], 63, v0
	v_lshlrev_b32_e32 v59, 2, v1
	v_cmp_gt_u32_e64 s[14:15], 64, v0
	v_cmp_eq_u32_e64 s[16:17], 0, v0
	v_or_b32_e32 v62, 3, v11
	v_or_b32_e32 v63, 4, v11
	;; [unrolled: 1-line block ×5, first 2 shown]
	v_lshlrev_b32_e32 v8, 1, v10
	s_mov_b32 s99, 0x41a00000
	s_mov_b32 s38, 0x3fb8aa3b
	;; [unrolled: 1-line block ×6, first 2 shown]
	v_mov_b32_e32 v67, 0x3ecc95a3
	s_mov_b32 s97, 0x3f317218
	s_mov_b32 s98, 0x33800000
	v_writelane_b32 v95, s2, 6
	s_mov_b32 s70, 0xc2fc0000
	v_mov_b32_e32 v68, 0x7f800000
	v_mov_b32_e32 v14, 0x3f317218
	;; [unrolled: 1-line block ×4, first 2 shown]
	s_mov_b32 s71, 0
                                        ; implicit-def: $vgpr0
	s_branch .LBB79_12
.LBB79_11:                              ;   in Loop: Header=BB79_12 Depth=1
	s_or_b64 exec, exec, s[2:3]
	s_add_u32 s74, s74, 0x400
	s_addc_u32 s75, s75, 0
	s_add_u32 s66, s66, 0x400
	s_addc_u32 s67, s67, 0
	;; [unrolled: 2-line block ×4, first 2 shown]
	s_add_i32 s71, s71, 1
	v_readlane_b32 s2, v95, 4
	s_cmp_eq_u32 s71, s2
	s_cbranch_scc1 .LBB79_137
.LBB79_12:                              ; =>This Loop Header: Depth=1
                                        ;     Child Loop BB79_61 Depth 2
	s_lshl_b32 s82, s71, 9
	v_readlane_b32 s2, v95, 2
	s_sub_i32 s50, s2, s82
	v_readlane_b32 s3, v95, 3
	v_lshl_add_u64 v[0:1], s[66:67], 0, v[8:9]
	v_cmp_gt_u32_e64 s[18:19], s50, v10
	s_waitcnt lgkmcnt(0)
	v_mov_b32_e32 v2, 0
	s_waitcnt lgkmcnt(0)
	; wave barrier
	s_and_saveexec_b64 s[2:3], s[18:19]
	s_cbranch_execz .LBB79_14
; %bb.13:                               ;   in Loop: Header=BB79_12 Depth=1
	global_load_ushort v2, v[0:1], off
.LBB79_14:                              ;   in Loop: Header=BB79_12 Depth=1
	s_or_b64 exec, exec, s[2:3]
	v_cmp_gt_u32_e64 s[20:21], s50, v36
	v_mov_b32_e32 v3, 0
	v_mov_b32_e32 v4, 0
	s_and_saveexec_b64 s[2:3], s[20:21]
	s_cbranch_execz .LBB79_16
; %bb.15:                               ;   in Loop: Header=BB79_12 Depth=1
	global_load_ushort v4, v[0:1], off offset:128
.LBB79_16:                              ;   in Loop: Header=BB79_12 Depth=1
	s_or_b64 exec, exec, s[2:3]
	v_cmp_gt_u32_e64 s[22:23], s50, v37
	s_and_saveexec_b64 s[2:3], s[22:23]
	s_cbranch_execz .LBB79_18
; %bb.17:                               ;   in Loop: Header=BB79_12 Depth=1
	global_load_ushort v3, v[0:1], off offset:256
.LBB79_18:                              ;   in Loop: Header=BB79_12 Depth=1
	s_or_b64 exec, exec, s[2:3]
	v_cmp_gt_u32_e64 s[24:25], s50, v38
	v_mov_b32_e32 v5, 0
	v_mov_b32_e32 v7, 0
	s_and_saveexec_b64 s[2:3], s[24:25]
	s_cbranch_execz .LBB79_20
; %bb.19:                               ;   in Loop: Header=BB79_12 Depth=1
	global_load_ushort v7, v[0:1], off offset:384
.LBB79_20:                              ;   in Loop: Header=BB79_12 Depth=1
	s_or_b64 exec, exec, s[2:3]
	v_cmp_gt_u32_e64 s[26:27], s50, v39
	s_and_saveexec_b64 s[2:3], s[26:27]
	s_cbranch_execz .LBB79_22
; %bb.21:                               ;   in Loop: Header=BB79_12 Depth=1
	global_load_ushort v5, v[0:1], off offset:512
.LBB79_22:                              ;   in Loop: Header=BB79_12 Depth=1
	;; [unrolled: 16-line block ×3, first 2 shown]
	s_or_b64 exec, exec, s[2:3]
	v_cmp_gt_u32_e64 s[34:35], s50, v42
	v_mov_b32_e32 v6, 0
	v_mov_b32_e32 v17, 0
	s_and_saveexec_b64 s[2:3], s[34:35]
	s_cbranch_execz .LBB79_28
; %bb.27:                               ;   in Loop: Header=BB79_12 Depth=1
	global_load_ushort v17, v[0:1], off offset:896
.LBB79_28:                              ;   in Loop: Header=BB79_12 Depth=1
	s_or_b64 exec, exec, s[2:3]
	s_waitcnt vmcnt(0)
	ds_write_b16 v43, v2
	ds_write_b16 v44, v4 offset:128
	ds_write_b16 v45, v3 offset:256
	;; [unrolled: 1-line block ×7, first 2 shown]
	; wave barrier
	ds_read_b128 v[0:3], v51
	v_lshl_add_u64 v[4:5], s[74:75], 0, v[8:9]
	s_waitcnt lgkmcnt(0)
	; wave barrier
	s_waitcnt lgkmcnt(0)
	s_and_saveexec_b64 s[2:3], s[18:19]
	s_cbranch_execz .LBB79_30
; %bb.29:                               ;   in Loop: Header=BB79_12 Depth=1
	global_load_ushort v6, v[4:5], off
.LBB79_30:                              ;   in Loop: Header=BB79_12 Depth=1
	s_or_b64 exec, exec, s[2:3]
	v_mov_b32_e32 v7, 0
	v_mov_b32_e32 v15, 0
	s_and_saveexec_b64 s[2:3], s[20:21]
	s_cbranch_execz .LBB79_32
; %bb.31:                               ;   in Loop: Header=BB79_12 Depth=1
	global_load_ushort v15, v[4:5], off offset:128
.LBB79_32:                              ;   in Loop: Header=BB79_12 Depth=1
	s_or_b64 exec, exec, s[2:3]
	s_and_saveexec_b64 s[2:3], s[22:23]
	s_cbranch_execz .LBB79_34
; %bb.33:                               ;   in Loop: Header=BB79_12 Depth=1
	global_load_ushort v7, v[4:5], off offset:256
.LBB79_34:                              ;   in Loop: Header=BB79_12 Depth=1
	s_or_b64 exec, exec, s[2:3]
	v_mov_b32_e32 v16, 0
	v_mov_b32_e32 v17, 0
	s_and_saveexec_b64 s[2:3], s[24:25]
	s_cbranch_execz .LBB79_36
; %bb.35:                               ;   in Loop: Header=BB79_12 Depth=1
	global_load_ushort v17, v[4:5], off offset:384
.LBB79_36:                              ;   in Loop: Header=BB79_12 Depth=1
	s_or_b64 exec, exec, s[2:3]
	s_and_saveexec_b64 s[2:3], s[26:27]
	s_cbranch_execz .LBB79_38
; %bb.37:                               ;   in Loop: Header=BB79_12 Depth=1
	global_load_ushort v16, v[4:5], off offset:512
.LBB79_38:                              ;   in Loop: Header=BB79_12 Depth=1
	s_or_b64 exec, exec, s[2:3]
	v_mov_b32_e32 v18, 0
	v_mov_b32_e32 v19, 0
	s_and_saveexec_b64 s[2:3], s[28:29]
	s_cbranch_execnz .LBB79_127
; %bb.39:                               ;   in Loop: Header=BB79_12 Depth=1
	s_or_b64 exec, exec, s[2:3]
	s_and_saveexec_b64 s[2:3], s[30:31]
	s_cbranch_execnz .LBB79_128
.LBB79_40:                              ;   in Loop: Header=BB79_12 Depth=1
	s_or_b64 exec, exec, s[2:3]
	v_mov_b32_e32 v20, 0
	s_and_saveexec_b64 s[2:3], s[34:35]
	s_cbranch_execz .LBB79_42
.LBB79_41:                              ;   in Loop: Header=BB79_12 Depth=1
	global_load_ushort v20, v[4:5], off offset:896
.LBB79_42:                              ;   in Loop: Header=BB79_12 Depth=1
	s_or_b64 exec, exec, s[2:3]
	s_waitcnt vmcnt(0)
	ds_write_b16 v43, v6
	ds_write_b16 v44, v15 offset:128
	ds_write_b16 v45, v7 offset:256
	;; [unrolled: 1-line block ×7, first 2 shown]
	; wave barrier
	ds_read_b128 v[4:7], v51
	s_waitcnt lgkmcnt(0)
	v_cvt_f32_f16_e32 v15, v4
	v_add_f32_e32 v71, s33, v15
	v_cmp_ge_f32_e32 vcc, s99, v71
	s_and_b64 s[2:3], s[76:77], vcc
	s_and_saveexec_b64 s[36:37], s[2:3]
	s_cbranch_execz .LBB79_44
; %bb.43:                               ;   in Loop: Header=BB79_12 Depth=1
	v_mul_f32_e32 v15, 0x3fb8aa3b, v71
	v_rndne_f32_e32 v16, v15
	v_sub_f32_e32 v17, v15, v16
	v_fma_f32 v15, v71, s38, -v15
	v_fmac_f32_e32 v15, 0x32a5705f, v71
	v_add_f32_e32 v15, v17, v15
	v_cvt_i32_f32_e32 v16, v16
	v_exp_f32_e32 v15, v15
	v_cmp_ngt_f32_e32 vcc, s39, v71
	v_ldexp_f32 v15, v15, v16
	s_nop 0
	v_cndmask_b32_e32 v15, 0, v15, vcc
	v_cmp_nlt_f32_e32 vcc, s40, v71
	s_nop 1
	v_cndmask_b32_e32 v32, v68, v15, vcc
	v_add_f32_e32 v15, 1.0, v32
	v_add_f32_e32 v16, -1.0, v15
	v_sub_f32_e32 v17, v16, v15
	v_add_f32_e32 v17, 1.0, v17
	v_sub_f32_e32 v16, v32, v16
	v_add_f32_e32 v18, v16, v17
	v_frexp_mant_f32_e32 v19, v15
	v_cvt_f64_f32_e32 v[16:17], v15
	v_frexp_exp_i32_f64_e32 v16, v[16:17]
	v_cmp_gt_f32_e32 vcc, s79, v19
	v_cmp_gt_f32_e64 s[2:3], s98, v32
	s_nop 0
	v_subbrev_co_u32_e32 v24, vcc, 0, v16, vcc
	v_sub_u32_e32 v16, 0, v24
	v_ldexp_f32 v15, v15, v16
	v_ldexp_f32 v16, v18, v16
	v_add_f32_e32 v18, -1.0, v15
	v_add_f32_e32 v17, 1.0, v18
	v_sub_f32_e32 v17, v15, v17
	v_add_f32_e32 v19, v16, v17
	v_add_f32_e32 v17, 1.0, v15
	v_add_f32_e32 v20, -1.0, v17
	v_sub_f32_e32 v15, v15, v20
	v_add_f32_e32 v15, v16, v15
	v_add_f32_e32 v25, v17, v15
	v_rcp_f32_e32 v26, v25
	v_sub_f32_e32 v16, v17, v25
	v_add_f32_e32 v17, v18, v19
	v_add_f32_e32 v15, v15, v16
	v_mul_f32_e32 v28, v17, v26
	v_sub_f32_e32 v16, v18, v17
	v_mul_f32_e32 v18, v25, v28
	v_fma_f32 v20, v28, v25, -v18
	v_fmac_f32_e32 v20, v28, v15
	v_add_f32_e32 v27, v19, v16
	v_add_f32_e32 v16, v18, v20
	v_sub_f32_e32 v19, v17, v16
	v_pk_add_f32 v[22:23], v[16:17], v[18:19] neg_lo:[0,1] neg_hi:[0,1]
	v_mov_b32_e32 v21, v16
	v_pk_add_f32 v[16:17], v[22:23], v[20:21] neg_lo:[0,1] neg_hi:[0,1]
	v_cmp_eq_f32_e32 vcc, s41, v32
	v_add_f32_e32 v17, v27, v17
	v_add_f32_e32 v16, v16, v17
	v_add_f32_e32 v17, v19, v16
	v_mul_f32_e32 v27, v26, v17
	v_mul_f32_e32 v18, v25, v27
	v_fma_f32 v20, v27, v25, -v18
	v_fmac_f32_e32 v20, v27, v15
	v_sub_f32_e32 v15, v19, v17
	v_add_f32_e32 v15, v16, v15
	v_add_f32_e32 v16, v18, v20
	v_sub_f32_e32 v19, v17, v16
	v_pk_add_f32 v[22:23], v[16:17], v[18:19] neg_lo:[0,1] neg_hi:[0,1]
	v_mov_b32_e32 v21, v16
	v_pk_add_f32 v[16:17], v[22:23], v[20:21] neg_lo:[0,1] neg_hi:[0,1]
	s_or_b64 vcc, s[2:3], vcc
	v_add_f32_e32 v15, v15, v17
	v_add_f32_e32 v15, v16, v15
	;; [unrolled: 1-line block ×4, first 2 shown]
	v_sub_f32_e32 v16, v17, v28
	v_mul_f32_e32 v15, v26, v15
	v_sub_f32_e32 v16, v27, v16
	v_add_f32_e32 v18, v16, v15
	v_add_f32_e32 v20, v17, v18
	v_cvt_f32_i32_e32 v16, v24
	v_mul_f32_e32 v21, v20, v20
	v_sub_f32_e32 v17, v20, v17
	v_fmamk_f32 v15, v21, 0x3e9b6dac, v67
	v_sub_f32_e32 v17, v18, v17
	v_fmaak_f32 v15, v21, v15, 0x3f2aaada
	v_ldexp_f32 v22, v17, 1
	v_mul_f32_e32 v17, v20, v21
	v_ldexp_f32 v19, v20, 1
	v_pk_mul_f32 v[20:21], v[16:17], v[14:15]
	s_nop 0
	v_fma_f32 v18, v16, s97, -v20
	v_fmac_f32_e32 v18, 0xb102e308, v16
	v_pk_add_f32 v[16:17], v[20:21], v[18:19]
	s_nop 0
	v_sub_f32_e32 v15, v17, v19
	v_sub_f32_e32 v15, v21, v15
	v_add_f32_e32 v23, v22, v15
	v_mov_b32_e32 v22, v20
	v_pk_add_f32 v[20:21], v[16:17], v[20:21] neg_lo:[0,1] neg_hi:[0,1]
	v_pk_add_f32 v[24:25], v[16:17], v[22:23]
	v_mov_b32_e32 v19, v16
	v_mov_b32_e32 v21, v25
	v_pk_add_f32 v[26:27], v[18:19], v[20:21] neg_lo:[0,1] neg_hi:[0,1]
	v_pk_add_f32 v[18:19], v[18:19], v[20:21]
	v_mov_b32_e32 v22, v23
	v_mov_b32_e32 v20, v19
	v_pk_add_f32 v[28:29], v[20:21], v[16:17] neg_lo:[0,1] neg_hi:[0,1]
	v_mov_b32_e32 v18, v25
	v_mov_b32_e32 v15, v28
	v_pk_add_f32 v[30:31], v[24:25], v[14:15] neg_lo:[0,1] neg_hi:[0,1]
	v_mov_b32_e32 v24, v17
	v_mov_b32_e32 v25, v28
	;; [unrolled: 1-line block ×3, first 2 shown]
	v_pk_add_f32 v[18:19], v[18:19], v[24:25] neg_lo:[0,1] neg_hi:[0,1]
	v_mov_b32_e32 v23, v16
	v_pk_add_f32 v[16:17], v[22:23], v[18:19] neg_lo:[0,1] neg_hi:[0,1]
	v_mov_b32_e32 v30, v26
	v_pk_add_f32 v[18:19], v[30:31], v[16:17]
	s_nop 0
	v_mov_b32_e32 v22, v19
	v_pk_add_f32 v[22:23], v[18:19], v[22:23]
	s_nop 0
	v_pk_add_f32 v[20:21], v[20:21], v[22:23]
	v_mov_b32_e32 v17, v22
	v_mov_b32_e32 v19, v20
	v_pk_add_f32 v[24:25], v[18:19], v[26:27] neg_lo:[0,1] neg_hi:[0,1]
	s_nop 0
	v_sub_f32_e32 v15, v18, v24
	v_pk_add_f32 v[16:17], v[16:17], v[24:25] neg_lo:[0,1] neg_hi:[0,1]
	v_sub_f32_e32 v15, v26, v15
	v_add_f32_e32 v15, v16, v15
	v_add_f32_e32 v15, v15, v17
	;; [unrolled: 1-line block ×3, first 2 shown]
	v_cndmask_b32_e32 v71, v15, v32, vcc
.LBB79_44:                              ;   in Loop: Header=BB79_12 Depth=1
	s_or_b64 exec, exec, s[36:37]
	v_cvt_f32_f16_sdwa v4, v4 dst_sel:DWORD dst_unused:UNUSED_PAD src0_sel:WORD_1
	v_add_f32_e32 v72, s33, v4
	v_cmp_ge_f32_e32 vcc, s99, v72
	s_and_b64 s[2:3], s[76:77], vcc
	s_and_saveexec_b64 s[36:37], s[2:3]
	s_cbranch_execz .LBB79_46
; %bb.45:                               ;   in Loop: Header=BB79_12 Depth=1
	v_mul_f32_e32 v4, 0x3fb8aa3b, v72
	v_rndne_f32_e32 v15, v4
	v_sub_f32_e32 v16, v4, v15
	v_fma_f32 v4, v72, s38, -v4
	v_fmac_f32_e32 v4, 0x32a5705f, v72
	v_add_f32_e32 v4, v16, v4
	v_cvt_i32_f32_e32 v15, v15
	v_exp_f32_e32 v4, v4
	v_cmp_ngt_f32_e32 vcc, s39, v72
	v_ldexp_f32 v4, v4, v15
	s_nop 0
	v_cndmask_b32_e32 v4, 0, v4, vcc
	v_cmp_nlt_f32_e32 vcc, s40, v72
	s_nop 1
	v_cndmask_b32_e32 v30, v68, v4, vcc
	v_add_f32_e32 v4, 1.0, v30
	v_add_f32_e32 v15, -1.0, v4
	v_sub_f32_e32 v16, v15, v4
	v_add_f32_e32 v16, 1.0, v16
	v_sub_f32_e32 v15, v30, v15
	v_add_f32_e32 v15, v15, v16
	v_frexp_mant_f32_e32 v18, v4
	v_cvt_f64_f32_e32 v[16:17], v4
	v_frexp_exp_i32_f64_e32 v16, v[16:17]
	v_cmp_gt_f32_e32 vcc, s79, v18
	v_cmp_gt_f32_e64 s[2:3], s98, v30
	s_nop 0
	v_subbrev_co_u32_e32 v24, vcc, 0, v16, vcc
	v_sub_u32_e32 v16, 0, v24
	v_ldexp_f32 v4, v4, v16
	v_ldexp_f32 v15, v15, v16
	v_add_f32_e32 v16, -1.0, v4
	v_add_f32_e32 v17, 1.0, v16
	v_sub_f32_e32 v17, v4, v17
	v_add_f32_e32 v18, v15, v17
	v_add_f32_e32 v17, 1.0, v4
	v_add_f32_e32 v19, -1.0, v17
	v_sub_f32_e32 v4, v4, v19
	v_add_f32_e32 v4, v15, v4
	v_add_f32_e32 v15, v17, v4
	v_rcp_f32_e32 v25, v15
	v_sub_f32_e32 v17, v17, v15
	v_add_f32_e32 v4, v4, v17
	v_add_f32_e32 v17, v16, v18
	v_sub_f32_e32 v16, v16, v17
	v_mul_f32_e32 v27, v17, v25
	v_add_f32_e32 v26, v18, v16
	v_mul_f32_e32 v18, v15, v27
	v_fma_f32 v20, v27, v15, -v18
	v_fmac_f32_e32 v20, v27, v4
	v_add_f32_e32 v16, v18, v20
	v_sub_f32_e32 v19, v17, v16
	v_pk_add_f32 v[22:23], v[16:17], v[18:19] neg_lo:[0,1] neg_hi:[0,1]
	v_mov_b32_e32 v21, v16
	v_pk_add_f32 v[16:17], v[22:23], v[20:21] neg_lo:[0,1] neg_hi:[0,1]
	v_cmp_eq_f32_e32 vcc, s41, v30
	v_add_f32_e32 v17, v26, v17
	v_add_f32_e32 v16, v16, v17
	;; [unrolled: 1-line block ×3, first 2 shown]
	v_mul_f32_e32 v26, v25, v17
	v_mul_f32_e32 v18, v15, v26
	v_fma_f32 v20, v26, v15, -v18
	v_fmac_f32_e32 v20, v26, v4
	v_sub_f32_e32 v4, v19, v17
	v_add_f32_e32 v4, v16, v4
	v_add_f32_e32 v16, v18, v20
	v_sub_f32_e32 v19, v17, v16
	v_pk_add_f32 v[22:23], v[16:17], v[18:19] neg_lo:[0,1] neg_hi:[0,1]
	v_mov_b32_e32 v21, v16
	v_pk_add_f32 v[16:17], v[22:23], v[20:21] neg_lo:[0,1] neg_hi:[0,1]
	s_or_b64 vcc, s[2:3], vcc
	v_add_f32_e32 v4, v4, v17
	v_add_f32_e32 v4, v16, v4
	;; [unrolled: 1-line block ×4, first 2 shown]
	v_sub_f32_e32 v15, v17, v27
	v_mul_f32_e32 v4, v25, v4
	v_sub_f32_e32 v15, v26, v15
	v_add_f32_e32 v4, v15, v4
	v_add_f32_e32 v18, v17, v4
	v_cvt_f32_i32_e32 v16, v24
	v_mul_f32_e32 v20, v18, v18
	v_fmamk_f32 v15, v20, 0x3e9b6dac, v67
	v_sub_f32_e32 v17, v18, v17
	v_fmaak_f32 v15, v20, v15, 0x3f2aaada
	v_sub_f32_e32 v4, v4, v17
	v_mul_f32_e32 v17, v18, v20
	v_pk_mul_f32 v[20:21], v[16:17], v[14:15]
	v_ldexp_f32 v19, v18, 1
	v_fma_f32 v18, v16, s97, -v20
	v_fmac_f32_e32 v18, 0xb102e308, v16
	v_pk_add_f32 v[16:17], v[20:21], v[18:19]
	v_ldexp_f32 v4, v4, 1
	v_sub_f32_e32 v15, v17, v19
	v_sub_f32_e32 v15, v21, v15
	v_add_f32_e32 v23, v4, v15
	v_mov_b32_e32 v22, v20
	v_pk_add_f32 v[20:21], v[16:17], v[20:21] neg_lo:[0,1] neg_hi:[0,1]
	v_pk_add_f32 v[24:25], v[16:17], v[22:23]
	v_mov_b32_e32 v19, v16
	v_mov_b32_e32 v21, v25
	v_pk_add_f32 v[26:27], v[18:19], v[20:21] neg_lo:[0,1] neg_hi:[0,1]
	v_pk_add_f32 v[18:19], v[18:19], v[20:21]
	s_nop 0
	v_mov_b32_e32 v4, v19
	v_pk_add_f32 v[20:21], v[4:5], v[16:17] neg_lo:[0,1] neg_hi:[0,1]
	v_mov_b32_e32 v18, v25
	v_mov_b32_e32 v15, v20
	v_pk_add_f32 v[28:29], v[24:25], v[14:15] neg_lo:[0,1] neg_hi:[0,1]
	v_mov_b32_e32 v24, v17
	v_mov_b32_e32 v25, v20
	;; [unrolled: 1-line block ×3, first 2 shown]
	v_pk_add_f32 v[18:19], v[18:19], v[24:25] neg_lo:[0,1] neg_hi:[0,1]
	v_mov_b32_e32 v20, v23
	v_mov_b32_e32 v21, v16
	v_pk_add_f32 v[16:17], v[20:21], v[18:19] neg_lo:[0,1] neg_hi:[0,1]
	v_mov_b32_e32 v28, v26
	v_pk_add_f32 v[18:19], v[28:29], v[16:17]
	s_nop 0
	v_mov_b32_e32 v20, v19
	v_pk_add_f32 v[20:21], v[18:19], v[20:21]
	s_nop 0
	v_pk_add_f32 v[22:23], v[4:5], v[20:21]
	v_mov_b32_e32 v17, v20
	v_mov_b32_e32 v19, v22
	v_pk_add_f32 v[24:25], v[18:19], v[26:27] neg_lo:[0,1] neg_hi:[0,1]
	s_nop 0
	v_sub_f32_e32 v4, v18, v24
	v_pk_add_f32 v[16:17], v[16:17], v[24:25] neg_lo:[0,1] neg_hi:[0,1]
	v_sub_f32_e32 v4, v26, v4
	v_add_f32_e32 v4, v16, v4
	v_add_f32_e32 v4, v4, v17
	v_add_f32_e32 v4, v22, v4
	v_cndmask_b32_e32 v72, v4, v30, vcc
.LBB79_46:                              ;   in Loop: Header=BB79_12 Depth=1
	s_or_b64 exec, exec, s[36:37]
	v_cvt_f32_f16_e32 v4, v5
	v_add_f32_e32 v73, s33, v4
	v_cmp_ge_f32_e32 vcc, s99, v73
	s_and_b64 s[2:3], s[76:77], vcc
	s_and_saveexec_b64 s[36:37], s[2:3]
	s_cbranch_execz .LBB79_48
; %bb.47:                               ;   in Loop: Header=BB79_12 Depth=1
	v_mul_f32_e32 v4, 0x3fb8aa3b, v73
	v_rndne_f32_e32 v15, v4
	v_sub_f32_e32 v16, v4, v15
	v_fma_f32 v4, v73, s38, -v4
	v_fmac_f32_e32 v4, 0x32a5705f, v73
	v_add_f32_e32 v4, v16, v4
	v_cvt_i32_f32_e32 v15, v15
	v_exp_f32_e32 v4, v4
	v_cmp_ngt_f32_e32 vcc, s39, v73
	v_ldexp_f32 v4, v4, v15
	s_nop 0
	v_cndmask_b32_e32 v4, 0, v4, vcc
	v_cmp_nlt_f32_e32 vcc, s40, v73
	s_nop 1
	v_cndmask_b32_e32 v30, v68, v4, vcc
	v_add_f32_e32 v4, 1.0, v30
	v_add_f32_e32 v15, -1.0, v4
	v_sub_f32_e32 v16, v15, v4
	v_add_f32_e32 v16, 1.0, v16
	v_sub_f32_e32 v15, v30, v15
	v_add_f32_e32 v15, v15, v16
	v_frexp_mant_f32_e32 v18, v4
	v_cvt_f64_f32_e32 v[16:17], v4
	v_frexp_exp_i32_f64_e32 v16, v[16:17]
	v_cmp_gt_f32_e32 vcc, s79, v18
	v_cmp_gt_f32_e64 s[2:3], s98, v30
	s_nop 0
	v_subbrev_co_u32_e32 v24, vcc, 0, v16, vcc
	v_sub_u32_e32 v16, 0, v24
	v_ldexp_f32 v4, v4, v16
	v_ldexp_f32 v15, v15, v16
	v_add_f32_e32 v16, -1.0, v4
	v_add_f32_e32 v17, 1.0, v16
	v_sub_f32_e32 v17, v4, v17
	v_add_f32_e32 v18, v15, v17
	v_add_f32_e32 v17, 1.0, v4
	v_add_f32_e32 v19, -1.0, v17
	v_sub_f32_e32 v4, v4, v19
	v_add_f32_e32 v4, v15, v4
	v_add_f32_e32 v15, v17, v4
	v_rcp_f32_e32 v25, v15
	v_sub_f32_e32 v17, v17, v15
	v_add_f32_e32 v4, v4, v17
	v_add_f32_e32 v17, v16, v18
	v_sub_f32_e32 v16, v16, v17
	v_mul_f32_e32 v27, v17, v25
	v_add_f32_e32 v26, v18, v16
	v_mul_f32_e32 v18, v15, v27
	v_fma_f32 v20, v27, v15, -v18
	v_fmac_f32_e32 v20, v27, v4
	v_add_f32_e32 v16, v18, v20
	v_sub_f32_e32 v19, v17, v16
	v_pk_add_f32 v[22:23], v[16:17], v[18:19] neg_lo:[0,1] neg_hi:[0,1]
	v_mov_b32_e32 v21, v16
	v_pk_add_f32 v[16:17], v[22:23], v[20:21] neg_lo:[0,1] neg_hi:[0,1]
	v_cmp_eq_f32_e32 vcc, s41, v30
	v_add_f32_e32 v17, v26, v17
	v_add_f32_e32 v16, v16, v17
	v_add_f32_e32 v17, v19, v16
	v_mul_f32_e32 v26, v25, v17
	v_mul_f32_e32 v18, v15, v26
	v_fma_f32 v20, v26, v15, -v18
	v_fmac_f32_e32 v20, v26, v4
	v_sub_f32_e32 v4, v19, v17
	v_add_f32_e32 v4, v16, v4
	v_add_f32_e32 v16, v18, v20
	v_sub_f32_e32 v19, v17, v16
	v_pk_add_f32 v[22:23], v[16:17], v[18:19] neg_lo:[0,1] neg_hi:[0,1]
	v_mov_b32_e32 v21, v16
	v_pk_add_f32 v[16:17], v[22:23], v[20:21] neg_lo:[0,1] neg_hi:[0,1]
	s_or_b64 vcc, s[2:3], vcc
	v_add_f32_e32 v4, v4, v17
	v_add_f32_e32 v4, v16, v4
	;; [unrolled: 1-line block ×4, first 2 shown]
	v_sub_f32_e32 v15, v17, v27
	v_mul_f32_e32 v4, v25, v4
	v_sub_f32_e32 v15, v26, v15
	v_add_f32_e32 v4, v15, v4
	v_add_f32_e32 v18, v17, v4
	v_cvt_f32_i32_e32 v16, v24
	v_mul_f32_e32 v20, v18, v18
	v_fmamk_f32 v15, v20, 0x3e9b6dac, v67
	v_sub_f32_e32 v17, v18, v17
	v_fmaak_f32 v15, v20, v15, 0x3f2aaada
	v_sub_f32_e32 v4, v4, v17
	v_mul_f32_e32 v17, v18, v20
	v_pk_mul_f32 v[20:21], v[16:17], v[14:15]
	v_ldexp_f32 v19, v18, 1
	v_fma_f32 v18, v16, s97, -v20
	v_fmac_f32_e32 v18, 0xb102e308, v16
	v_pk_add_f32 v[16:17], v[20:21], v[18:19]
	v_ldexp_f32 v4, v4, 1
	v_sub_f32_e32 v15, v17, v19
	v_sub_f32_e32 v15, v21, v15
	v_add_f32_e32 v23, v4, v15
	v_mov_b32_e32 v22, v20
	v_pk_add_f32 v[20:21], v[16:17], v[20:21] neg_lo:[0,1] neg_hi:[0,1]
	v_pk_add_f32 v[24:25], v[16:17], v[22:23]
	v_mov_b32_e32 v19, v16
	v_mov_b32_e32 v21, v25
	v_pk_add_f32 v[26:27], v[18:19], v[20:21] neg_lo:[0,1] neg_hi:[0,1]
	v_pk_add_f32 v[18:19], v[18:19], v[20:21]
	s_nop 0
	v_mov_b32_e32 v4, v19
	v_pk_add_f32 v[20:21], v[4:5], v[16:17] neg_lo:[0,1] neg_hi:[0,1]
	v_mov_b32_e32 v18, v25
	v_mov_b32_e32 v15, v20
	v_pk_add_f32 v[28:29], v[24:25], v[14:15] neg_lo:[0,1] neg_hi:[0,1]
	v_mov_b32_e32 v24, v17
	v_mov_b32_e32 v25, v20
	;; [unrolled: 1-line block ×3, first 2 shown]
	v_pk_add_f32 v[18:19], v[18:19], v[24:25] neg_lo:[0,1] neg_hi:[0,1]
	v_mov_b32_e32 v20, v23
	v_mov_b32_e32 v21, v16
	v_pk_add_f32 v[16:17], v[20:21], v[18:19] neg_lo:[0,1] neg_hi:[0,1]
	v_mov_b32_e32 v28, v26
	v_pk_add_f32 v[18:19], v[28:29], v[16:17]
	s_nop 0
	v_mov_b32_e32 v20, v19
	v_pk_add_f32 v[20:21], v[18:19], v[20:21]
	s_nop 0
	v_pk_add_f32 v[22:23], v[4:5], v[20:21]
	v_mov_b32_e32 v17, v20
	v_mov_b32_e32 v19, v22
	v_pk_add_f32 v[24:25], v[18:19], v[26:27] neg_lo:[0,1] neg_hi:[0,1]
	s_nop 0
	v_sub_f32_e32 v4, v18, v24
	v_pk_add_f32 v[16:17], v[16:17], v[24:25] neg_lo:[0,1] neg_hi:[0,1]
	v_sub_f32_e32 v4, v26, v4
	v_add_f32_e32 v4, v16, v4
	v_add_f32_e32 v4, v4, v17
	;; [unrolled: 1-line block ×3, first 2 shown]
	v_cndmask_b32_e32 v73, v4, v30, vcc
.LBB79_48:                              ;   in Loop: Header=BB79_12 Depth=1
	s_or_b64 exec, exec, s[36:37]
	v_cvt_f32_f16_sdwa v4, v5 dst_sel:DWORD dst_unused:UNUSED_PAD src0_sel:WORD_1
	v_add_f32_e32 v74, s33, v4
	v_cmp_ge_f32_e32 vcc, s99, v74
	s_and_b64 s[2:3], s[76:77], vcc
	s_and_saveexec_b64 s[36:37], s[2:3]
	s_cbranch_execz .LBB79_50
; %bb.49:                               ;   in Loop: Header=BB79_12 Depth=1
	v_mul_f32_e32 v4, 0x3fb8aa3b, v74
	v_rndne_f32_e32 v5, v4
	v_sub_f32_e32 v15, v4, v5
	v_fma_f32 v4, v74, s38, -v4
	v_fmac_f32_e32 v4, 0x32a5705f, v74
	v_add_f32_e32 v4, v15, v4
	v_cvt_i32_f32_e32 v5, v5
	v_exp_f32_e32 v4, v4
	v_cmp_ngt_f32_e32 vcc, s39, v74
	v_ldexp_f32 v4, v4, v5
	s_nop 0
	v_cndmask_b32_e32 v4, 0, v4, vcc
	v_cmp_nlt_f32_e32 vcc, s40, v74
	s_nop 1
	v_cndmask_b32_e32 v30, v68, v4, vcc
	v_add_f32_e32 v15, 1.0, v30
	v_add_f32_e32 v4, -1.0, v15
	v_sub_f32_e32 v5, v4, v15
	v_add_f32_e32 v5, 1.0, v5
	v_sub_f32_e32 v4, v30, v4
	v_add_f32_e32 v16, v4, v5
	v_frexp_mant_f32_e32 v17, v15
	v_cvt_f64_f32_e32 v[4:5], v15
	v_frexp_exp_i32_f64_e32 v4, v[4:5]
	v_cmp_gt_f32_e32 vcc, s79, v17
	v_cmp_gt_f32_e64 s[2:3], s98, v30
	s_nop 0
	v_subbrev_co_u32_e32 v22, vcc, 0, v4, vcc
	v_sub_u32_e32 v4, 0, v22
	v_ldexp_f32 v5, v15, v4
	v_add_f32_e32 v15, -1.0, v5
	v_add_f32_e32 v17, 1.0, v5
	v_ldexp_f32 v4, v16, v4
	v_add_f32_e32 v16, 1.0, v15
	v_add_f32_e32 v18, -1.0, v17
	v_sub_f32_e32 v16, v5, v16
	v_sub_f32_e32 v5, v5, v18
	v_add_f32_e32 v16, v4, v16
	v_add_f32_e32 v4, v4, v5
	;; [unrolled: 1-line block ×3, first 2 shown]
	v_rcp_f32_e32 v25, v23
	v_sub_f32_e32 v5, v17, v23
	v_add_f32_e32 v24, v4, v5
	v_add_f32_e32 v5, v15, v16
	v_sub_f32_e32 v4, v15, v5
	v_mul_f32_e32 v26, v5, v25
	v_add_f32_e32 v15, v16, v4
	v_mul_f32_e32 v16, v23, v26
	v_fma_f32 v18, v26, v23, -v16
	v_fmac_f32_e32 v18, v26, v24
	v_add_f32_e32 v4, v16, v18
	v_sub_f32_e32 v17, v5, v4
	v_pk_add_f32 v[20:21], v[4:5], v[16:17] neg_lo:[0,1] neg_hi:[0,1]
	v_mov_b32_e32 v19, v4
	v_pk_add_f32 v[4:5], v[20:21], v[18:19] neg_lo:[0,1] neg_hi:[0,1]
	v_cmp_eq_f32_e32 vcc, s41, v30
	v_add_f32_e32 v5, v15, v5
	v_add_f32_e32 v4, v4, v5
	;; [unrolled: 1-line block ×3, first 2 shown]
	v_mul_f32_e32 v15, v25, v5
	v_mul_f32_e32 v16, v23, v15
	v_fma_f32 v18, v15, v23, -v16
	v_fmac_f32_e32 v18, v15, v24
	v_sub_f32_e32 v17, v17, v5
	v_add_f32_e32 v23, v4, v17
	v_add_f32_e32 v4, v16, v18
	v_sub_f32_e32 v17, v5, v4
	v_pk_add_f32 v[20:21], v[4:5], v[16:17] neg_lo:[0,1] neg_hi:[0,1]
	v_mov_b32_e32 v19, v4
	v_pk_add_f32 v[4:5], v[20:21], v[18:19] neg_lo:[0,1] neg_hi:[0,1]
	s_or_b64 vcc, s[2:3], vcc
	v_add_f32_e32 v5, v23, v5
	v_add_f32_e32 v4, v4, v5
	v_add_f32_e32 v5, v26, v15
	v_add_f32_e32 v4, v17, v4
	v_sub_f32_e32 v16, v5, v26
	v_mul_f32_e32 v4, v25, v4
	v_sub_f32_e32 v15, v15, v16
	v_add_f32_e32 v16, v15, v4
	v_add_f32_e32 v18, v5, v16
	v_mul_f32_e32 v19, v18, v18
	v_fmamk_f32 v4, v19, 0x3e9b6dac, v67
	v_fmaak_f32 v15, v19, v4, 0x3f2aaada
	v_cvt_f32_i32_e32 v4, v22
	v_sub_f32_e32 v5, v18, v5
	v_sub_f32_e32 v5, v16, v5
	v_ldexp_f32 v20, v5, 1
	v_mul_f32_e32 v5, v18, v19
	v_ldexp_f32 v17, v18, 1
	v_pk_mul_f32 v[18:19], v[4:5], v[14:15]
	s_nop 0
	v_fma_f32 v16, v4, s97, -v18
	v_fmac_f32_e32 v16, 0xb102e308, v4
	v_pk_add_f32 v[4:5], v[18:19], v[16:17]
	s_nop 0
	v_sub_f32_e32 v15, v5, v17
	v_sub_f32_e32 v15, v19, v15
	v_add_f32_e32 v21, v20, v15
	v_mov_b32_e32 v20, v18
	v_pk_add_f32 v[18:19], v[4:5], v[18:19] neg_lo:[0,1] neg_hi:[0,1]
	v_pk_add_f32 v[22:23], v[4:5], v[20:21]
	v_mov_b32_e32 v17, v4
	v_mov_b32_e32 v19, v23
	v_pk_add_f32 v[24:25], v[16:17], v[18:19] neg_lo:[0,1] neg_hi:[0,1]
	v_pk_add_f32 v[16:17], v[16:17], v[18:19]
	v_mov_b32_e32 v20, v21
	v_mov_b32_e32 v18, v17
	v_pk_add_f32 v[26:27], v[18:19], v[4:5] neg_lo:[0,1] neg_hi:[0,1]
	v_mov_b32_e32 v16, v23
	v_mov_b32_e32 v15, v26
	v_pk_add_f32 v[28:29], v[22:23], v[14:15] neg_lo:[0,1] neg_hi:[0,1]
	v_mov_b32_e32 v22, v5
	v_mov_b32_e32 v23, v26
	;; [unrolled: 1-line block ×3, first 2 shown]
	v_pk_add_f32 v[16:17], v[16:17], v[22:23] neg_lo:[0,1] neg_hi:[0,1]
	v_mov_b32_e32 v21, v4
	v_pk_add_f32 v[4:5], v[20:21], v[16:17] neg_lo:[0,1] neg_hi:[0,1]
	v_mov_b32_e32 v28, v24
	v_pk_add_f32 v[16:17], v[28:29], v[4:5]
	s_nop 0
	v_mov_b32_e32 v20, v17
	v_pk_add_f32 v[20:21], v[16:17], v[20:21]
	s_nop 0
	v_pk_add_f32 v[18:19], v[18:19], v[20:21]
	v_mov_b32_e32 v5, v20
	v_mov_b32_e32 v17, v18
	v_pk_add_f32 v[22:23], v[16:17], v[24:25] neg_lo:[0,1] neg_hi:[0,1]
	s_nop 0
	v_sub_f32_e32 v15, v16, v22
	v_pk_add_f32 v[4:5], v[4:5], v[22:23] neg_lo:[0,1] neg_hi:[0,1]
	v_sub_f32_e32 v15, v24, v15
	v_add_f32_e32 v4, v4, v15
	v_add_f32_e32 v4, v4, v5
	;; [unrolled: 1-line block ×3, first 2 shown]
	v_cndmask_b32_e32 v74, v4, v30, vcc
.LBB79_50:                              ;   in Loop: Header=BB79_12 Depth=1
	s_or_b64 exec, exec, s[36:37]
	v_cvt_f32_f16_e32 v4, v6
	v_add_f32_e32 v75, s33, v4
	v_cmp_ge_f32_e32 vcc, s99, v75
	s_and_b64 s[2:3], s[76:77], vcc
	s_and_saveexec_b64 s[36:37], s[2:3]
	s_cbranch_execz .LBB79_52
; %bb.51:                               ;   in Loop: Header=BB79_12 Depth=1
	v_mul_f32_e32 v4, 0x3fb8aa3b, v75
	v_rndne_f32_e32 v5, v4
	v_sub_f32_e32 v15, v4, v5
	v_fma_f32 v4, v75, s38, -v4
	v_fmac_f32_e32 v4, 0x32a5705f, v75
	v_add_f32_e32 v4, v15, v4
	v_cvt_i32_f32_e32 v5, v5
	v_exp_f32_e32 v4, v4
	v_cmp_ngt_f32_e32 vcc, s39, v75
	v_ldexp_f32 v4, v4, v5
	s_nop 0
	v_cndmask_b32_e32 v4, 0, v4, vcc
	v_cmp_nlt_f32_e32 vcc, s40, v75
	s_nop 1
	v_cndmask_b32_e32 v30, v68, v4, vcc
	v_add_f32_e32 v15, 1.0, v30
	v_add_f32_e32 v4, -1.0, v15
	v_sub_f32_e32 v5, v4, v15
	v_add_f32_e32 v5, 1.0, v5
	v_sub_f32_e32 v4, v30, v4
	v_add_f32_e32 v16, v4, v5
	v_frexp_mant_f32_e32 v17, v15
	v_cvt_f64_f32_e32 v[4:5], v15
	v_frexp_exp_i32_f64_e32 v4, v[4:5]
	v_cmp_gt_f32_e32 vcc, s79, v17
	v_cmp_gt_f32_e64 s[2:3], s98, v30
	s_nop 0
	v_subbrev_co_u32_e32 v22, vcc, 0, v4, vcc
	v_sub_u32_e32 v4, 0, v22
	v_ldexp_f32 v5, v15, v4
	v_add_f32_e32 v15, -1.0, v5
	v_add_f32_e32 v17, 1.0, v5
	v_ldexp_f32 v4, v16, v4
	v_add_f32_e32 v16, 1.0, v15
	v_add_f32_e32 v18, -1.0, v17
	v_sub_f32_e32 v16, v5, v16
	v_sub_f32_e32 v5, v5, v18
	v_add_f32_e32 v16, v4, v16
	v_add_f32_e32 v4, v4, v5
	;; [unrolled: 1-line block ×3, first 2 shown]
	v_rcp_f32_e32 v25, v23
	v_sub_f32_e32 v5, v17, v23
	v_add_f32_e32 v24, v4, v5
	v_add_f32_e32 v5, v15, v16
	v_sub_f32_e32 v4, v15, v5
	v_mul_f32_e32 v26, v5, v25
	v_add_f32_e32 v15, v16, v4
	v_mul_f32_e32 v16, v23, v26
	v_fma_f32 v18, v26, v23, -v16
	v_fmac_f32_e32 v18, v26, v24
	v_add_f32_e32 v4, v16, v18
	v_sub_f32_e32 v17, v5, v4
	v_pk_add_f32 v[20:21], v[4:5], v[16:17] neg_lo:[0,1] neg_hi:[0,1]
	v_mov_b32_e32 v19, v4
	v_pk_add_f32 v[4:5], v[20:21], v[18:19] neg_lo:[0,1] neg_hi:[0,1]
	v_cmp_eq_f32_e32 vcc, s41, v30
	v_add_f32_e32 v5, v15, v5
	v_add_f32_e32 v4, v4, v5
	v_add_f32_e32 v5, v17, v4
	v_mul_f32_e32 v15, v25, v5
	v_mul_f32_e32 v16, v23, v15
	v_fma_f32 v18, v15, v23, -v16
	v_fmac_f32_e32 v18, v15, v24
	v_sub_f32_e32 v17, v17, v5
	v_add_f32_e32 v23, v4, v17
	v_add_f32_e32 v4, v16, v18
	v_sub_f32_e32 v17, v5, v4
	v_pk_add_f32 v[20:21], v[4:5], v[16:17] neg_lo:[0,1] neg_hi:[0,1]
	v_mov_b32_e32 v19, v4
	v_pk_add_f32 v[4:5], v[20:21], v[18:19] neg_lo:[0,1] neg_hi:[0,1]
	s_or_b64 vcc, s[2:3], vcc
	v_add_f32_e32 v5, v23, v5
	v_add_f32_e32 v4, v4, v5
	;; [unrolled: 1-line block ×4, first 2 shown]
	v_sub_f32_e32 v16, v5, v26
	v_mul_f32_e32 v4, v25, v4
	v_sub_f32_e32 v15, v15, v16
	v_add_f32_e32 v16, v15, v4
	v_add_f32_e32 v18, v5, v16
	v_mul_f32_e32 v19, v18, v18
	v_fmamk_f32 v4, v19, 0x3e9b6dac, v67
	v_fmaak_f32 v15, v19, v4, 0x3f2aaada
	v_cvt_f32_i32_e32 v4, v22
	v_sub_f32_e32 v5, v18, v5
	v_sub_f32_e32 v5, v16, v5
	v_ldexp_f32 v20, v5, 1
	v_mul_f32_e32 v5, v18, v19
	v_ldexp_f32 v17, v18, 1
	v_pk_mul_f32 v[18:19], v[4:5], v[14:15]
	s_nop 0
	v_fma_f32 v16, v4, s97, -v18
	v_fmac_f32_e32 v16, 0xb102e308, v4
	v_pk_add_f32 v[4:5], v[18:19], v[16:17]
	s_nop 0
	v_sub_f32_e32 v15, v5, v17
	v_sub_f32_e32 v15, v19, v15
	v_add_f32_e32 v21, v20, v15
	v_mov_b32_e32 v20, v18
	v_pk_add_f32 v[18:19], v[4:5], v[18:19] neg_lo:[0,1] neg_hi:[0,1]
	v_pk_add_f32 v[22:23], v[4:5], v[20:21]
	v_mov_b32_e32 v17, v4
	v_mov_b32_e32 v19, v23
	v_pk_add_f32 v[24:25], v[16:17], v[18:19] neg_lo:[0,1] neg_hi:[0,1]
	v_pk_add_f32 v[16:17], v[16:17], v[18:19]
	v_mov_b32_e32 v20, v21
	v_mov_b32_e32 v18, v17
	v_pk_add_f32 v[26:27], v[18:19], v[4:5] neg_lo:[0,1] neg_hi:[0,1]
	v_mov_b32_e32 v16, v23
	v_mov_b32_e32 v15, v26
	v_pk_add_f32 v[28:29], v[22:23], v[14:15] neg_lo:[0,1] neg_hi:[0,1]
	v_mov_b32_e32 v22, v5
	v_mov_b32_e32 v23, v26
	;; [unrolled: 1-line block ×3, first 2 shown]
	v_pk_add_f32 v[16:17], v[16:17], v[22:23] neg_lo:[0,1] neg_hi:[0,1]
	v_mov_b32_e32 v21, v4
	v_pk_add_f32 v[4:5], v[20:21], v[16:17] neg_lo:[0,1] neg_hi:[0,1]
	v_mov_b32_e32 v28, v24
	v_pk_add_f32 v[16:17], v[28:29], v[4:5]
	s_nop 0
	v_mov_b32_e32 v20, v17
	v_pk_add_f32 v[20:21], v[16:17], v[20:21]
	s_nop 0
	v_pk_add_f32 v[18:19], v[18:19], v[20:21]
	v_mov_b32_e32 v5, v20
	v_mov_b32_e32 v17, v18
	v_pk_add_f32 v[22:23], v[16:17], v[24:25] neg_lo:[0,1] neg_hi:[0,1]
	s_nop 0
	v_sub_f32_e32 v15, v16, v22
	v_pk_add_f32 v[4:5], v[4:5], v[22:23] neg_lo:[0,1] neg_hi:[0,1]
	v_sub_f32_e32 v15, v24, v15
	v_add_f32_e32 v4, v4, v15
	v_add_f32_e32 v4, v4, v5
	;; [unrolled: 1-line block ×3, first 2 shown]
	v_cndmask_b32_e32 v75, v4, v30, vcc
.LBB79_52:                              ;   in Loop: Header=BB79_12 Depth=1
	s_or_b64 exec, exec, s[36:37]
	v_cvt_f32_f16_sdwa v4, v6 dst_sel:DWORD dst_unused:UNUSED_PAD src0_sel:WORD_1
	v_add_f32_e32 v76, s33, v4
	v_cmp_ge_f32_e32 vcc, s99, v76
	s_and_b64 s[2:3], s[76:77], vcc
	s_and_saveexec_b64 s[36:37], s[2:3]
	s_cbranch_execz .LBB79_54
; %bb.53:                               ;   in Loop: Header=BB79_12 Depth=1
	v_mul_f32_e32 v4, 0x3fb8aa3b, v76
	v_rndne_f32_e32 v5, v4
	v_sub_f32_e32 v6, v4, v5
	v_fma_f32 v4, v76, s38, -v4
	v_fmac_f32_e32 v4, 0x32a5705f, v76
	v_add_f32_e32 v4, v6, v4
	v_cvt_i32_f32_e32 v5, v5
	v_exp_f32_e32 v4, v4
	v_cmp_ngt_f32_e32 vcc, s39, v76
	v_ldexp_f32 v4, v4, v5
	s_nop 0
	v_cndmask_b32_e32 v4, 0, v4, vcc
	v_cmp_nlt_f32_e32 vcc, s40, v76
	s_nop 1
	v_cndmask_b32_e32 v28, v68, v4, vcc
	v_add_f32_e32 v6, 1.0, v28
	v_add_f32_e32 v4, -1.0, v6
	v_sub_f32_e32 v5, v4, v6
	v_add_f32_e32 v5, 1.0, v5
	v_sub_f32_e32 v4, v28, v4
	v_add_f32_e32 v15, v4, v5
	v_frexp_mant_f32_e32 v16, v6
	v_cvt_f64_f32_e32 v[4:5], v6
	v_frexp_exp_i32_f64_e32 v4, v[4:5]
	v_cmp_gt_f32_e32 vcc, s79, v16
	v_cmp_gt_f32_e64 s[2:3], s98, v28
	s_nop 0
	v_subbrev_co_u32_e32 v22, vcc, 0, v4, vcc
	v_sub_u32_e32 v4, 0, v22
	v_ldexp_f32 v5, v6, v4
	v_add_f32_e32 v6, -1.0, v5
	v_add_f32_e32 v16, 1.0, v5
	v_ldexp_f32 v4, v15, v4
	v_add_f32_e32 v15, 1.0, v6
	v_add_f32_e32 v17, -1.0, v16
	v_sub_f32_e32 v15, v5, v15
	v_sub_f32_e32 v5, v5, v17
	v_add_f32_e32 v15, v4, v15
	v_add_f32_e32 v4, v4, v5
	;; [unrolled: 1-line block ×3, first 2 shown]
	v_rcp_f32_e32 v25, v23
	v_sub_f32_e32 v5, v16, v23
	v_add_f32_e32 v24, v4, v5
	v_add_f32_e32 v5, v6, v15
	v_sub_f32_e32 v4, v6, v5
	v_add_f32_e32 v6, v15, v4
	v_mul_f32_e32 v15, v5, v25
	v_mul_f32_e32 v16, v23, v15
	v_fma_f32 v18, v15, v23, -v16
	v_fmac_f32_e32 v18, v15, v24
	v_add_f32_e32 v4, v16, v18
	v_sub_f32_e32 v17, v5, v4
	v_pk_add_f32 v[20:21], v[4:5], v[16:17] neg_lo:[0,1] neg_hi:[0,1]
	v_mov_b32_e32 v19, v4
	v_pk_add_f32 v[4:5], v[20:21], v[18:19] neg_lo:[0,1] neg_hi:[0,1]
	v_cmp_eq_f32_e32 vcc, s41, v28
	v_add_f32_e32 v5, v6, v5
	v_add_f32_e32 v4, v4, v5
	v_add_f32_e32 v5, v17, v4
	v_mul_f32_e32 v6, v25, v5
	v_mul_f32_e32 v16, v23, v6
	v_fma_f32 v18, v6, v23, -v16
	v_fmac_f32_e32 v18, v6, v24
	v_sub_f32_e32 v17, v17, v5
	v_add_f32_e32 v23, v4, v17
	v_add_f32_e32 v4, v16, v18
	v_sub_f32_e32 v17, v5, v4
	v_pk_add_f32 v[20:21], v[4:5], v[16:17] neg_lo:[0,1] neg_hi:[0,1]
	v_mov_b32_e32 v19, v4
	v_pk_add_f32 v[4:5], v[20:21], v[18:19] neg_lo:[0,1] neg_hi:[0,1]
	s_or_b64 vcc, s[2:3], vcc
	v_add_f32_e32 v5, v23, v5
	v_add_f32_e32 v4, v4, v5
	;; [unrolled: 1-line block ×4, first 2 shown]
	v_sub_f32_e32 v15, v5, v15
	v_mul_f32_e32 v4, v25, v4
	v_sub_f32_e32 v6, v6, v15
	v_add_f32_e32 v6, v6, v4
	v_add_f32_e32 v16, v5, v6
	v_mul_f32_e32 v18, v16, v16
	v_fmamk_f32 v4, v18, 0x3e9b6dac, v67
	v_fmaak_f32 v15, v18, v4, 0x3f2aaada
	v_cvt_f32_i32_e32 v4, v22
	v_sub_f32_e32 v5, v16, v5
	v_sub_f32_e32 v5, v6, v5
	v_ldexp_f32 v6, v5, 1
	v_mul_f32_e32 v5, v16, v18
	v_pk_mul_f32 v[18:19], v[4:5], v[14:15]
	v_ldexp_f32 v17, v16, 1
	v_fma_f32 v16, v4, s97, -v18
	v_fmac_f32_e32 v16, 0xb102e308, v4
	v_pk_add_f32 v[4:5], v[18:19], v[16:17]
	v_mov_b32_e32 v20, v18
	v_sub_f32_e32 v15, v5, v17
	v_sub_f32_e32 v15, v19, v15
	v_add_f32_e32 v21, v6, v15
	v_pk_add_f32 v[18:19], v[4:5], v[18:19] neg_lo:[0,1] neg_hi:[0,1]
	v_pk_add_f32 v[22:23], v[4:5], v[20:21]
	v_mov_b32_e32 v17, v4
	v_mov_b32_e32 v19, v23
	v_pk_add_f32 v[24:25], v[16:17], v[18:19] neg_lo:[0,1] neg_hi:[0,1]
	v_pk_add_f32 v[16:17], v[16:17], v[18:19]
	s_nop 0
	v_mov_b32_e32 v6, v17
	v_pk_add_f32 v[18:19], v[6:7], v[4:5] neg_lo:[0,1] neg_hi:[0,1]
	v_mov_b32_e32 v16, v23
	v_mov_b32_e32 v15, v18
	v_pk_add_f32 v[26:27], v[22:23], v[14:15] neg_lo:[0,1] neg_hi:[0,1]
	v_mov_b32_e32 v22, v5
	v_mov_b32_e32 v23, v18
	;; [unrolled: 1-line block ×3, first 2 shown]
	v_pk_add_f32 v[16:17], v[16:17], v[22:23] neg_lo:[0,1] neg_hi:[0,1]
	v_mov_b32_e32 v18, v21
	v_mov_b32_e32 v19, v4
	v_pk_add_f32 v[4:5], v[18:19], v[16:17] neg_lo:[0,1] neg_hi:[0,1]
	v_mov_b32_e32 v26, v24
	v_pk_add_f32 v[16:17], v[26:27], v[4:5]
	s_nop 0
	v_mov_b32_e32 v18, v17
	v_pk_add_f32 v[18:19], v[16:17], v[18:19]
	s_nop 0
	v_pk_add_f32 v[20:21], v[6:7], v[18:19]
	v_mov_b32_e32 v5, v18
	v_mov_b32_e32 v17, v20
	v_pk_add_f32 v[22:23], v[16:17], v[24:25] neg_lo:[0,1] neg_hi:[0,1]
	s_nop 0
	v_sub_f32_e32 v6, v16, v22
	v_pk_add_f32 v[4:5], v[4:5], v[22:23] neg_lo:[0,1] neg_hi:[0,1]
	v_sub_f32_e32 v6, v24, v6
	v_add_f32_e32 v4, v4, v6
	v_add_f32_e32 v4, v4, v5
	;; [unrolled: 1-line block ×3, first 2 shown]
	v_cndmask_b32_e32 v76, v4, v28, vcc
.LBB79_54:                              ;   in Loop: Header=BB79_12 Depth=1
	s_or_b64 exec, exec, s[36:37]
	v_cvt_f32_f16_e32 v4, v7
	v_add_f32_e32 v77, s33, v4
	v_cmp_ge_f32_e32 vcc, s99, v77
	s_and_b64 s[2:3], s[76:77], vcc
	s_and_saveexec_b64 s[36:37], s[2:3]
	s_cbranch_execz .LBB79_56
; %bb.55:                               ;   in Loop: Header=BB79_12 Depth=1
	v_mul_f32_e32 v4, 0x3fb8aa3b, v77
	v_rndne_f32_e32 v5, v4
	v_sub_f32_e32 v6, v4, v5
	v_fma_f32 v4, v77, s38, -v4
	v_fmac_f32_e32 v4, 0x32a5705f, v77
	v_add_f32_e32 v4, v6, v4
	v_cvt_i32_f32_e32 v5, v5
	v_exp_f32_e32 v4, v4
	v_cmp_ngt_f32_e32 vcc, s39, v77
	v_ldexp_f32 v4, v4, v5
	s_nop 0
	v_cndmask_b32_e32 v4, 0, v4, vcc
	v_cmp_nlt_f32_e32 vcc, s40, v77
	s_nop 1
	v_cndmask_b32_e32 v28, v68, v4, vcc
	v_add_f32_e32 v6, 1.0, v28
	v_add_f32_e32 v4, -1.0, v6
	v_sub_f32_e32 v5, v4, v6
	v_add_f32_e32 v5, 1.0, v5
	v_sub_f32_e32 v4, v28, v4
	v_add_f32_e32 v15, v4, v5
	v_frexp_mant_f32_e32 v16, v6
	v_cvt_f64_f32_e32 v[4:5], v6
	v_frexp_exp_i32_f64_e32 v4, v[4:5]
	v_cmp_gt_f32_e32 vcc, s79, v16
	v_cmp_gt_f32_e64 s[2:3], s98, v28
	s_nop 0
	v_subbrev_co_u32_e32 v22, vcc, 0, v4, vcc
	v_sub_u32_e32 v4, 0, v22
	v_ldexp_f32 v5, v6, v4
	v_add_f32_e32 v6, -1.0, v5
	v_add_f32_e32 v16, 1.0, v5
	v_ldexp_f32 v4, v15, v4
	v_add_f32_e32 v15, 1.0, v6
	v_add_f32_e32 v17, -1.0, v16
	v_sub_f32_e32 v15, v5, v15
	v_sub_f32_e32 v5, v5, v17
	v_add_f32_e32 v15, v4, v15
	v_add_f32_e32 v4, v4, v5
	;; [unrolled: 1-line block ×3, first 2 shown]
	v_rcp_f32_e32 v25, v23
	v_sub_f32_e32 v5, v16, v23
	v_add_f32_e32 v24, v4, v5
	v_add_f32_e32 v5, v6, v15
	v_sub_f32_e32 v4, v6, v5
	v_add_f32_e32 v6, v15, v4
	v_mul_f32_e32 v15, v5, v25
	v_mul_f32_e32 v16, v23, v15
	v_fma_f32 v18, v15, v23, -v16
	v_fmac_f32_e32 v18, v15, v24
	v_add_f32_e32 v4, v16, v18
	v_sub_f32_e32 v17, v5, v4
	v_pk_add_f32 v[20:21], v[4:5], v[16:17] neg_lo:[0,1] neg_hi:[0,1]
	v_mov_b32_e32 v19, v4
	v_pk_add_f32 v[4:5], v[20:21], v[18:19] neg_lo:[0,1] neg_hi:[0,1]
	v_cmp_eq_f32_e32 vcc, s41, v28
	v_add_f32_e32 v5, v6, v5
	v_add_f32_e32 v4, v4, v5
	;; [unrolled: 1-line block ×3, first 2 shown]
	v_mul_f32_e32 v6, v25, v5
	v_mul_f32_e32 v16, v23, v6
	v_fma_f32 v18, v6, v23, -v16
	v_fmac_f32_e32 v18, v6, v24
	v_sub_f32_e32 v17, v17, v5
	v_add_f32_e32 v23, v4, v17
	v_add_f32_e32 v4, v16, v18
	v_sub_f32_e32 v17, v5, v4
	v_pk_add_f32 v[20:21], v[4:5], v[16:17] neg_lo:[0,1] neg_hi:[0,1]
	v_mov_b32_e32 v19, v4
	v_pk_add_f32 v[4:5], v[20:21], v[18:19] neg_lo:[0,1] neg_hi:[0,1]
	s_or_b64 vcc, s[2:3], vcc
	v_add_f32_e32 v5, v23, v5
	v_add_f32_e32 v4, v4, v5
	v_add_f32_e32 v5, v15, v6
	v_add_f32_e32 v4, v17, v4
	v_sub_f32_e32 v15, v5, v15
	v_mul_f32_e32 v4, v25, v4
	v_sub_f32_e32 v6, v6, v15
	v_add_f32_e32 v6, v6, v4
	v_add_f32_e32 v16, v5, v6
	v_mul_f32_e32 v18, v16, v16
	v_fmamk_f32 v4, v18, 0x3e9b6dac, v67
	v_fmaak_f32 v15, v18, v4, 0x3f2aaada
	v_cvt_f32_i32_e32 v4, v22
	v_sub_f32_e32 v5, v16, v5
	v_sub_f32_e32 v5, v6, v5
	v_ldexp_f32 v6, v5, 1
	v_mul_f32_e32 v5, v16, v18
	v_pk_mul_f32 v[18:19], v[4:5], v[14:15]
	v_ldexp_f32 v17, v16, 1
	v_fma_f32 v16, v4, s97, -v18
	v_fmac_f32_e32 v16, 0xb102e308, v4
	v_pk_add_f32 v[4:5], v[18:19], v[16:17]
	v_mov_b32_e32 v20, v18
	v_sub_f32_e32 v15, v5, v17
	v_sub_f32_e32 v15, v19, v15
	v_add_f32_e32 v21, v6, v15
	v_pk_add_f32 v[18:19], v[4:5], v[18:19] neg_lo:[0,1] neg_hi:[0,1]
	v_pk_add_f32 v[22:23], v[4:5], v[20:21]
	v_mov_b32_e32 v17, v4
	v_mov_b32_e32 v19, v23
	v_pk_add_f32 v[24:25], v[16:17], v[18:19] neg_lo:[0,1] neg_hi:[0,1]
	v_pk_add_f32 v[16:17], v[16:17], v[18:19]
	s_nop 0
	v_mov_b32_e32 v6, v17
	v_pk_add_f32 v[18:19], v[6:7], v[4:5] neg_lo:[0,1] neg_hi:[0,1]
	v_mov_b32_e32 v16, v23
	v_mov_b32_e32 v15, v18
	v_pk_add_f32 v[26:27], v[22:23], v[14:15] neg_lo:[0,1] neg_hi:[0,1]
	v_mov_b32_e32 v22, v5
	v_mov_b32_e32 v23, v18
	;; [unrolled: 1-line block ×3, first 2 shown]
	v_pk_add_f32 v[16:17], v[16:17], v[22:23] neg_lo:[0,1] neg_hi:[0,1]
	v_mov_b32_e32 v18, v21
	v_mov_b32_e32 v19, v4
	v_pk_add_f32 v[4:5], v[18:19], v[16:17] neg_lo:[0,1] neg_hi:[0,1]
	v_mov_b32_e32 v26, v24
	v_pk_add_f32 v[16:17], v[26:27], v[4:5]
	s_nop 0
	v_mov_b32_e32 v18, v17
	v_pk_add_f32 v[18:19], v[16:17], v[18:19]
	s_nop 0
	v_pk_add_f32 v[20:21], v[6:7], v[18:19]
	v_mov_b32_e32 v5, v18
	v_mov_b32_e32 v17, v20
	v_pk_add_f32 v[22:23], v[16:17], v[24:25] neg_lo:[0,1] neg_hi:[0,1]
	s_nop 0
	v_sub_f32_e32 v6, v16, v22
	v_pk_add_f32 v[4:5], v[4:5], v[22:23] neg_lo:[0,1] neg_hi:[0,1]
	v_sub_f32_e32 v6, v24, v6
	v_add_f32_e32 v4, v4, v6
	v_add_f32_e32 v4, v4, v5
	;; [unrolled: 1-line block ×3, first 2 shown]
	v_cndmask_b32_e32 v77, v4, v28, vcc
.LBB79_56:                              ;   in Loop: Header=BB79_12 Depth=1
	s_or_b64 exec, exec, s[36:37]
	v_cvt_f32_f16_sdwa v4, v7 dst_sel:DWORD dst_unused:UNUSED_PAD src0_sel:WORD_1
	v_add_f32_e32 v15, s33, v4
	v_cmp_ge_f32_e32 vcc, s99, v15
	s_and_b64 s[2:3], s[76:77], vcc
	s_and_saveexec_b64 s[36:37], s[2:3]
	s_cbranch_execz .LBB79_58
; %bb.57:                               ;   in Loop: Header=BB79_12 Depth=1
	v_mul_f32_e32 v4, 0x3fb8aa3b, v15
	v_rndne_f32_e32 v5, v4
	v_sub_f32_e32 v6, v4, v5
	v_fma_f32 v4, v15, s38, -v4
	v_fmac_f32_e32 v4, 0x32a5705f, v15
	v_add_f32_e32 v4, v6, v4
	v_cvt_i32_f32_e32 v5, v5
	v_exp_f32_e32 v4, v4
	v_cmp_ngt_f32_e32 vcc, s39, v15
	v_ldexp_f32 v4, v4, v5
	s_nop 0
	v_cndmask_b32_e32 v4, 0, v4, vcc
	v_cmp_nlt_f32_e32 vcc, s40, v15
	s_nop 1
	v_cndmask_b32_e32 v28, v68, v4, vcc
	v_add_f32_e32 v6, 1.0, v28
	v_add_f32_e32 v4, -1.0, v6
	v_sub_f32_e32 v5, v4, v6
	v_add_f32_e32 v5, 1.0, v5
	v_sub_f32_e32 v4, v28, v4
	v_add_f32_e32 v7, v4, v5
	v_frexp_mant_f32_e32 v15, v6
	v_cvt_f64_f32_e32 v[4:5], v6
	v_frexp_exp_i32_f64_e32 v4, v[4:5]
	v_cmp_gt_f32_e32 vcc, s79, v15
	v_cmp_gt_f32_e64 s[2:3], s98, v28
	s_nop 0
	v_subbrev_co_u32_e32 v20, vcc, 0, v4, vcc
	v_sub_u32_e32 v4, 0, v20
	v_ldexp_f32 v5, v6, v4
	v_add_f32_e32 v6, -1.0, v5
	v_add_f32_e32 v15, 1.0, v5
	v_ldexp_f32 v4, v7, v4
	v_add_f32_e32 v7, 1.0, v6
	v_add_f32_e32 v16, -1.0, v15
	v_sub_f32_e32 v7, v5, v7
	v_sub_f32_e32 v5, v5, v16
	v_add_f32_e32 v7, v4, v7
	v_add_f32_e32 v4, v4, v5
	;; [unrolled: 1-line block ×3, first 2 shown]
	v_rcp_f32_e32 v22, v21
	v_sub_f32_e32 v5, v15, v21
	v_add_f32_e32 v15, v4, v5
	v_add_f32_e32 v5, v6, v7
	v_mul_f32_e32 v24, v5, v22
	v_sub_f32_e32 v4, v6, v5
	v_mul_f32_e32 v6, v21, v24
	v_fma_f32 v16, v24, v21, -v6
	v_fmac_f32_e32 v16, v24, v15
	v_add_f32_e32 v23, v7, v4
	v_add_f32_e32 v4, v6, v16
	v_sub_f32_e32 v7, v5, v4
	v_pk_add_f32 v[18:19], v[4:5], v[6:7] neg_lo:[0,1] neg_hi:[0,1]
	v_mov_b32_e32 v17, v4
	v_pk_add_f32 v[4:5], v[18:19], v[16:17] neg_lo:[0,1] neg_hi:[0,1]
	v_cmp_eq_f32_e32 vcc, s41, v28
	v_add_f32_e32 v5, v23, v5
	v_add_f32_e32 v4, v4, v5
	;; [unrolled: 1-line block ×3, first 2 shown]
	v_mul_f32_e32 v23, v22, v5
	v_mul_f32_e32 v6, v21, v23
	v_fma_f32 v16, v23, v21, -v6
	v_fmac_f32_e32 v16, v23, v15
	v_sub_f32_e32 v7, v7, v5
	v_add_f32_e32 v15, v4, v7
	v_add_f32_e32 v4, v6, v16
	v_sub_f32_e32 v7, v5, v4
	v_pk_add_f32 v[18:19], v[4:5], v[6:7] neg_lo:[0,1] neg_hi:[0,1]
	v_mov_b32_e32 v17, v4
	v_pk_add_f32 v[4:5], v[18:19], v[16:17] neg_lo:[0,1] neg_hi:[0,1]
	s_or_b64 vcc, s[2:3], vcc
	v_add_f32_e32 v5, v15, v5
	v_add_f32_e32 v4, v4, v5
	;; [unrolled: 1-line block ×4, first 2 shown]
	v_sub_f32_e32 v6, v5, v24
	v_mul_f32_e32 v4, v22, v4
	v_sub_f32_e32 v6, v23, v6
	v_add_f32_e32 v6, v6, v4
	v_add_f32_e32 v16, v5, v6
	v_mul_f32_e32 v17, v16, v16
	v_fmamk_f32 v4, v17, 0x3e9b6dac, v67
	v_fmaak_f32 v15, v17, v4, 0x3f2aaada
	v_cvt_f32_i32_e32 v4, v20
	v_sub_f32_e32 v5, v16, v5
	v_sub_f32_e32 v5, v6, v5
	v_ldexp_f32 v18, v5, 1
	v_mul_f32_e32 v5, v16, v17
	v_ldexp_f32 v7, v16, 1
	v_pk_mul_f32 v[16:17], v[4:5], v[14:15]
	s_nop 0
	v_fma_f32 v6, v4, s97, -v16
	v_fmac_f32_e32 v6, 0xb102e308, v4
	v_pk_add_f32 v[4:5], v[16:17], v[6:7]
	s_nop 0
	v_sub_f32_e32 v7, v5, v7
	v_sub_f32_e32 v7, v17, v7
	v_add_f32_e32 v19, v18, v7
	v_mov_b32_e32 v18, v16
	v_pk_add_f32 v[16:17], v[4:5], v[16:17] neg_lo:[0,1] neg_hi:[0,1]
	v_pk_add_f32 v[20:21], v[4:5], v[18:19]
	v_mov_b32_e32 v7, v4
	v_mov_b32_e32 v17, v21
	v_pk_add_f32 v[22:23], v[6:7], v[16:17] neg_lo:[0,1] neg_hi:[0,1]
	v_pk_add_f32 v[6:7], v[6:7], v[16:17]
	v_mov_b32_e32 v18, v19
	v_mov_b32_e32 v16, v7
	v_pk_add_f32 v[24:25], v[16:17], v[4:5] neg_lo:[0,1] neg_hi:[0,1]
	v_mov_b32_e32 v6, v21
	v_mov_b32_e32 v15, v24
	v_pk_add_f32 v[26:27], v[20:21], v[14:15] neg_lo:[0,1] neg_hi:[0,1]
	v_mov_b32_e32 v20, v5
	v_mov_b32_e32 v21, v24
	;; [unrolled: 1-line block ×3, first 2 shown]
	v_pk_add_f32 v[6:7], v[6:7], v[20:21] neg_lo:[0,1] neg_hi:[0,1]
	v_mov_b32_e32 v19, v4
	v_pk_add_f32 v[4:5], v[18:19], v[6:7] neg_lo:[0,1] neg_hi:[0,1]
	v_mov_b32_e32 v26, v22
	v_pk_add_f32 v[6:7], v[26:27], v[4:5]
	s_nop 0
	v_mov_b32_e32 v18, v7
	v_pk_add_f32 v[18:19], v[6:7], v[18:19]
	s_nop 0
	v_pk_add_f32 v[16:17], v[16:17], v[18:19]
	v_mov_b32_e32 v5, v18
	v_mov_b32_e32 v7, v16
	v_pk_add_f32 v[20:21], v[6:7], v[22:23] neg_lo:[0,1] neg_hi:[0,1]
	s_nop 0
	v_sub_f32_e32 v6, v6, v20
	v_pk_add_f32 v[4:5], v[4:5], v[20:21] neg_lo:[0,1] neg_hi:[0,1]
	v_sub_f32_e32 v6, v22, v6
	v_add_f32_e32 v4, v4, v6
	v_add_f32_e32 v4, v4, v5
	;; [unrolled: 1-line block ×3, first 2 shown]
	v_cndmask_b32_e32 v15, v4, v28, vcc
.LBB79_58:                              ;   in Loop: Header=BB79_12 Depth=1
	s_or_b64 exec, exec, s[36:37]
	v_cvt_f32_f16_e32 v4, v3
	v_cvt_f32_f16_sdwa v5, v2 dst_sel:DWORD dst_unused:UNUSED_PAD src0_sel:WORD_1
	v_cvt_f32_f16_e32 v2, v2
	v_cvt_f32_f16_sdwa v7, v3 dst_sel:DWORD dst_unused:UNUSED_PAD src0_sel:WORD_1
	v_cvt_f32_f16_sdwa v3, v1 dst_sel:DWORD dst_unused:UNUSED_PAD src0_sel:WORD_1
	v_cvt_f32_f16_e32 v1, v1
	v_cvt_f32_f16_sdwa v6, v0 dst_sel:DWORD dst_unused:UNUSED_PAD src0_sel:WORD_1
	v_cvt_f32_f16_e32 v0, v0
	v_readlane_b32 s2, v95, 0
	v_readlane_b32 s3, v95, 1
	v_mul_f32_e32 v18, s96, v4
	v_mul_f32_e32 v17, s96, v5
	v_mul_f32_e32 v16, s96, v2
	v_mul_f32_e32 v21, s96, v3
	v_mul_f32_e32 v20, s96, v1
	v_mul_f32_e32 v23, s96, v6
	v_mul_f32_e32 v22, s96, v0
	v_mul_f32_e32 v19, s96, v7
	s_and_b64 vcc, exec, s[2:3]
	s_waitcnt lgkmcnt(0)
	; wave barrier
	s_cbranch_vccz .LBB79_119
; %bb.59:                               ;   in Loop: Header=BB79_12 Depth=1
	s_cmp_lg_u32 s71, 0
	v_readlane_b32 s36, v95, 5
	v_mul_f32_e32 v85, v71, v0
	s_cselect_b64 s[2:3], -1, 0
	s_cmp_eq_u32 s71, s36
	v_cmp_gt_u32_e32 vcc, s50, v11
	v_or_b32_e32 v0, 1, v11
	s_cselect_b64 s[84:85], -1, 0
	s_or_b64 s[36:37], s[80:81], vcc
	v_cmp_gt_u32_e32 vcc, s50, v0
	v_or_b32_e32 v0, 2, v11
	s_or_b64 s[38:39], s[80:81], vcc
	v_cmp_gt_u32_e32 vcc, s50, v0
	s_or_b64 s[40:41], s[80:81], vcc
	v_cmp_gt_u32_e32 vcc, s50, v62
	;; [unrolled: 2-line block ×5, first 2 shown]
	v_readlane_b32 s92, v95, 2
	s_mov_b32 s72, 0
	s_or_b64 s[48:49], s[80:81], vcc
	v_cmp_gt_u32_e32 vcc, s50, v66
	v_readlane_b32 s93, v95, 3
	v_mul_f32_e32 v78, v15, v7
	v_lshl_add_u64 v[24:25], s[58:59], 0, v[8:9]
	v_lshl_add_u64 v[26:27], s[62:63], 0, v[8:9]
	v_mul_f32_e32 v79, v77, v4
	v_mul_f32_e32 v80, v76, v5
	;; [unrolled: 1-line block ×6, first 2 shown]
	s_or_b64 s[50:51], s[80:81], vcc
	s_mov_b32 s86, s72
	s_mov_b32 s88, s72
	;; [unrolled: 1-line block ×4, first 2 shown]
	v_readlane_b32 s78, v95, 6
	s_branch .LBB79_61
.LBB79_60:                              ;   in Loop: Header=BB79_61 Depth=2
	s_or_b64 exec, exec, s[92:93]
	v_mul_f32_e32 v28, v86, v94
	v_fma_f32 v29, v86, v60, v4
	v_cndmask_b32_e64 v4, v29, v4, s[16:17]
	v_cndmask_b32_e64 v28, v28, v86, s[16:17]
	s_waitcnt lgkmcnt(0)
	v_fmac_f32_e32 v4, v34, v28
	v_fmac_f32_e32 v5, v4, v87
	;; [unrolled: 1-line block ×5, first 2 shown]
	v_cvt_f32_f16_sdwa v29, v0 dst_sel:DWORD dst_unused:UNUSED_PAD src0_sel:WORD_1
	v_cvt_f32_f16_sdwa v35, v1 dst_sel:DWORD dst_unused:UNUSED_PAD src0_sel:WORD_1
	v_cvt_f32_f16_e32 v28, v0
	v_cvt_f32_f16_e32 v34, v1
	v_cvt_f32_f16_sdwa v1, v2 dst_sel:DWORD dst_unused:UNUSED_PAD src0_sel:WORD_1
	v_cvt_f32_f16_sdwa v87, v3 dst_sel:DWORD dst_unused:UNUSED_PAD src0_sel:WORD_1
	v_cvt_f32_f16_e32 v86, v3
	v_cvt_f32_f16_e32 v0, v2
	v_fmac_f32_e32 v7, v6, v91
	v_fmac_f32_e32 v32, v7, v92
	;; [unrolled: 1-line block ×3, first 2 shown]
	s_add_i32 s78, s78, 8
	s_add_i32 s83, s83, -1
	s_add_i32 s90, s90, s54
	s_add_i32 s88, s88, s64
	;; [unrolled: 1-line block ×4, first 2 shown]
	v_pk_fma_f32 v[20:21], v[30:31], v[34:35], v[20:21]
	v_pk_fma_f32 v[22:23], v[4:5], v[28:29], v[22:23]
	;; [unrolled: 1-line block ×3, first 2 shown]
	s_cmp_eq_u32 s83, 0
	v_pk_fma_f32 v[16:17], v[6:7], v[0:1], v[16:17]
	s_cbranch_scc1 .LBB79_118
.LBB79_61:                              ;   Parent Loop BB79_12 Depth=1
                                        ; =>  This Inner Loop Header: Depth=2
	s_lshl_b64 s[92:93], s[72:73], 2
	s_add_u32 s92, s55, s92
	s_addc_u32 s93, s56, s93
	global_load_dword v30, v9, s[92:93]
	s_mov_b32 s87, s73
	v_lshl_add_u64 v[0:1], s[86:87], 1, v[24:25]
	v_mov_b32_e32 v2, 0
	v_mov_b32_e32 v3, 0
	s_and_saveexec_b64 s[92:93], s[18:19]
	s_cbranch_execnz .LBB79_81
; %bb.62:                               ;   in Loop: Header=BB79_61 Depth=2
	s_or_b64 exec, exec, s[92:93]
	s_and_saveexec_b64 s[92:93], s[20:21]
	s_cbranch_execnz .LBB79_82
.LBB79_63:                              ;   in Loop: Header=BB79_61 Depth=2
	s_or_b64 exec, exec, s[92:93]
	v_mov_b32_e32 v4, 0
	s_and_saveexec_b64 s[92:93], s[22:23]
	s_cbranch_execnz .LBB79_83
.LBB79_64:                              ;   in Loop: Header=BB79_61 Depth=2
	s_or_b64 exec, exec, s[92:93]
	s_and_saveexec_b64 s[92:93], s[24:25]
	s_cbranch_execnz .LBB79_84
.LBB79_65:                              ;   in Loop: Header=BB79_61 Depth=2
	s_or_b64 exec, exec, s[92:93]
	v_mov_b32_e32 v5, 0
	s_and_saveexec_b64 s[92:93], s[26:27]
	s_cbranch_execnz .LBB79_85
.LBB79_66:                              ;   in Loop: Header=BB79_61 Depth=2
	s_or_b64 exec, exec, s[92:93]
	s_and_saveexec_b64 s[92:93], s[28:29]
	s_cbranch_execnz .LBB79_86
.LBB79_67:                              ;   in Loop: Header=BB79_61 Depth=2
	s_or_b64 exec, exec, s[92:93]
	v_mov_b32_e32 v6, 0
	s_and_saveexec_b64 s[92:93], s[30:31]
	s_cbranch_execnz .LBB79_87
.LBB79_68:                              ;   in Loop: Header=BB79_61 Depth=2
	s_or_b64 exec, exec, s[92:93]
	s_and_saveexec_b64 s[92:93], s[34:35]
	s_cbranch_execz .LBB79_70
.LBB79_69:                              ;   in Loop: Header=BB79_61 Depth=2
	global_load_ushort v0, v[0:1], off offset:896
	s_waitcnt vmcnt(0)
	v_lshl_or_b32 v6, v0, 16, v6
.LBB79_70:                              ;   in Loop: Header=BB79_61 Depth=2
	s_or_b64 exec, exec, s[92:93]
	s_waitcnt vmcnt(0)
	ds_write_b16 v43, v3
	ds_write_b16 v44, v2 offset:128
	ds_write_b16 v45, v4 offset:256
	ds_write_b16_d16_hi v46, v4 offset:384
	ds_write_b16 v47, v5 offset:512
	ds_write_b16_d16_hi v48, v5 offset:640
	;; [unrolled: 2-line block ×3, first 2 shown]
	; wave barrier
	ds_read_b128 v[4:7], v51
	s_mov_b32 s89, s73
	v_lshl_add_u64 v[0:1], s[88:89], 1, v[26:27]
	v_mov_b32_e32 v2, 0
	v_mov_b32_e32 v3, 0
	s_and_saveexec_b64 s[92:93], s[18:19]
	s_cbranch_execnz .LBB79_88
; %bb.71:                               ;   in Loop: Header=BB79_61 Depth=2
	s_or_b64 exec, exec, s[92:93]
	s_and_saveexec_b64 s[92:93], s[20:21]
	s_cbranch_execnz .LBB79_89
.LBB79_72:                              ;   in Loop: Header=BB79_61 Depth=2
	s_or_b64 exec, exec, s[92:93]
	v_mov_b32_e32 v28, 0
	s_and_saveexec_b64 s[92:93], s[22:23]
	s_cbranch_execnz .LBB79_90
.LBB79_73:                              ;   in Loop: Header=BB79_61 Depth=2
	s_or_b64 exec, exec, s[92:93]
	s_and_saveexec_b64 s[92:93], s[24:25]
	s_cbranch_execnz .LBB79_91
.LBB79_74:                              ;   in Loop: Header=BB79_61 Depth=2
	s_or_b64 exec, exec, s[92:93]
	v_mov_b32_e32 v29, 0
	s_and_saveexec_b64 s[92:93], s[26:27]
	s_cbranch_execnz .LBB79_92
.LBB79_75:                              ;   in Loop: Header=BB79_61 Depth=2
	s_or_b64 exec, exec, s[92:93]
	s_and_saveexec_b64 s[92:93], s[28:29]
	s_cbranch_execnz .LBB79_93
.LBB79_76:                              ;   in Loop: Header=BB79_61 Depth=2
	s_or_b64 exec, exec, s[92:93]
	v_mov_b32_e32 v31, 0
	s_and_saveexec_b64 s[92:93], s[30:31]
	s_cbranch_execnz .LBB79_94
.LBB79_77:                              ;   in Loop: Header=BB79_61 Depth=2
	s_or_b64 exec, exec, s[92:93]
	s_and_saveexec_b64 s[92:93], s[34:35]
	s_cbranch_execz .LBB79_79
.LBB79_78:                              ;   in Loop: Header=BB79_61 Depth=2
	global_load_ushort v0, v[0:1], off offset:896
	s_waitcnt vmcnt(0)
	v_lshl_or_b32 v31, v0, 16, v31
.LBB79_79:                              ;   in Loop: Header=BB79_61 Depth=2
	s_or_b64 exec, exec, s[92:93]
	s_waitcnt vmcnt(0)
	ds_write_b16 v43, v3 offset:1056
	ds_write_b16 v52, v2 offset:128
	;; [unrolled: 1-line block ×3, first 2 shown]
	ds_write_b16_d16_hi v54, v28 offset:384
	ds_write_b16 v55, v29 offset:512
	ds_write_b16_d16_hi v56, v29 offset:640
	ds_write_b16 v57, v31 offset:768
	ds_write_b16_d16_hi v58, v31 offset:896
	; wave barrier
	ds_read_b128 v[0:3], v51 offset:1056
	s_andn2_b64 vcc, exec, s[2:3]
	s_cbranch_vccnz .LBB79_95
; %bb.80:                               ;   in Loop: Header=BB79_61 Depth=2
	v_mov_b32_e32 v28, s78
	ds_read_b64 v[28:29], v28
	s_cbranch_execz .LBB79_96
	s_branch .LBB79_99
.LBB79_81:                              ;   in Loop: Header=BB79_61 Depth=2
	global_load_ushort v3, v[0:1], off
	s_or_b64 exec, exec, s[92:93]
	s_and_saveexec_b64 s[92:93], s[20:21]
	s_cbranch_execz .LBB79_63
.LBB79_82:                              ;   in Loop: Header=BB79_61 Depth=2
	global_load_ushort v2, v[0:1], off offset:128
	s_or_b64 exec, exec, s[92:93]
	v_mov_b32_e32 v4, 0
	s_and_saveexec_b64 s[92:93], s[22:23]
	s_cbranch_execz .LBB79_64
.LBB79_83:                              ;   in Loop: Header=BB79_61 Depth=2
	global_load_ushort v4, v[0:1], off offset:256
	s_or_b64 exec, exec, s[92:93]
	s_and_saveexec_b64 s[92:93], s[24:25]
	s_cbranch_execz .LBB79_65
.LBB79_84:                              ;   in Loop: Header=BB79_61 Depth=2
	global_load_ushort v5, v[0:1], off offset:384
	s_waitcnt vmcnt(0)
	v_lshl_or_b32 v4, v5, 16, v4
	s_or_b64 exec, exec, s[92:93]
	v_mov_b32_e32 v5, 0
	s_and_saveexec_b64 s[92:93], s[26:27]
	s_cbranch_execz .LBB79_66
.LBB79_85:                              ;   in Loop: Header=BB79_61 Depth=2
	global_load_ushort v5, v[0:1], off offset:512
	s_or_b64 exec, exec, s[92:93]
	s_and_saveexec_b64 s[92:93], s[28:29]
	s_cbranch_execz .LBB79_67
.LBB79_86:                              ;   in Loop: Header=BB79_61 Depth=2
	global_load_ushort v6, v[0:1], off offset:640
	s_waitcnt vmcnt(0)
	v_lshl_or_b32 v5, v6, 16, v5
	s_or_b64 exec, exec, s[92:93]
	v_mov_b32_e32 v6, 0
	s_and_saveexec_b64 s[92:93], s[30:31]
	s_cbranch_execz .LBB79_68
.LBB79_87:                              ;   in Loop: Header=BB79_61 Depth=2
	global_load_ushort v6, v[0:1], off offset:768
	s_or_b64 exec, exec, s[92:93]
	s_and_saveexec_b64 s[92:93], s[34:35]
	s_cbranch_execnz .LBB79_69
	s_branch .LBB79_70
.LBB79_88:                              ;   in Loop: Header=BB79_61 Depth=2
	global_load_ushort v3, v[0:1], off
	s_or_b64 exec, exec, s[92:93]
	s_and_saveexec_b64 s[92:93], s[20:21]
	s_cbranch_execz .LBB79_72
.LBB79_89:                              ;   in Loop: Header=BB79_61 Depth=2
	global_load_ushort v2, v[0:1], off offset:128
	s_or_b64 exec, exec, s[92:93]
	v_mov_b32_e32 v28, 0
	s_and_saveexec_b64 s[92:93], s[22:23]
	s_cbranch_execz .LBB79_73
.LBB79_90:                              ;   in Loop: Header=BB79_61 Depth=2
	global_load_ushort v28, v[0:1], off offset:256
	s_or_b64 exec, exec, s[92:93]
	s_and_saveexec_b64 s[92:93], s[24:25]
	s_cbranch_execz .LBB79_74
.LBB79_91:                              ;   in Loop: Header=BB79_61 Depth=2
	global_load_ushort v29, v[0:1], off offset:384
	s_waitcnt vmcnt(0)
	v_lshl_or_b32 v28, v29, 16, v28
	s_or_b64 exec, exec, s[92:93]
	v_mov_b32_e32 v29, 0
	s_and_saveexec_b64 s[92:93], s[26:27]
	s_cbranch_execz .LBB79_75
.LBB79_92:                              ;   in Loop: Header=BB79_61 Depth=2
	global_load_ushort v29, v[0:1], off offset:512
	s_or_b64 exec, exec, s[92:93]
	s_and_saveexec_b64 s[92:93], s[28:29]
	s_cbranch_execz .LBB79_76
.LBB79_93:                              ;   in Loop: Header=BB79_61 Depth=2
	global_load_ushort v31, v[0:1], off offset:640
	s_waitcnt vmcnt(0)
	v_lshl_or_b32 v29, v31, 16, v29
	s_or_b64 exec, exec, s[92:93]
	v_mov_b32_e32 v31, 0
	s_and_saveexec_b64 s[92:93], s[30:31]
	s_cbranch_execz .LBB79_77
.LBB79_94:                              ;   in Loop: Header=BB79_61 Depth=2
	global_load_ushort v31, v[0:1], off offset:768
	s_or_b64 exec, exec, s[92:93]
	s_and_saveexec_b64 s[92:93], s[34:35]
	s_cbranch_execnz .LBB79_78
	s_branch .LBB79_79
.LBB79_95:                              ;   in Loop: Header=BB79_61 Depth=2
                                        ; implicit-def: $vgpr29
.LBB79_96:                              ;   in Loop: Header=BB79_61 Depth=2
	s_andn2_b64 vcc, exec, s[68:69]
	s_waitcnt lgkmcnt(0)
	v_mov_b32_e32 v29, 0
	s_cbranch_vccnz .LBB79_98
; %bb.97:                               ;   in Loop: Header=BB79_61 Depth=2
	s_mov_b32 s91, s73
	s_lshl_b64 s[92:93], s[90:91], 1
	s_add_u32 s92, s61, s92
	s_addc_u32 s93, s65, s93
	global_load_ushort v28, v9, s[92:93]
	s_waitcnt vmcnt(0)
	v_cvt_f32_f16_e32 v29, v28
.LBB79_98:                              ;   in Loop: Header=BB79_61 Depth=2
	v_mov_b32_e32 v28, 1.0
.LBB79_99:                              ;   in Loop: Header=BB79_61 Depth=2
	v_mul_f32_e32 v92, 0x3fb8aa3b, v30
	s_waitcnt lgkmcnt(9)
	v_cvt_f32_f16_e32 v31, v4
	v_cvt_f32_f16_sdwa v32, v4 dst_sel:DWORD dst_unused:UNUSED_PAD src0_sel:WORD_1
	v_mul_f32_e32 v4, v92, v71
	v_cmp_gt_f32_e32 vcc, s70, v4
	v_cvt_f32_f16_e32 v35, v6
	v_cvt_f32_f16_sdwa v60, v6 dst_sel:DWORD dst_unused:UNUSED_PAD src0_sel:WORD_1
	v_cndmask_b32_e32 v4, 0, v69, vcc
	v_mul_f32_e32 v6, v92, v72
	v_cvt_f32_f16_e32 v33, v5
	v_cvt_f32_f16_sdwa v34, v5 dst_sel:DWORD dst_unused:UNUSED_PAD src0_sel:WORD_1
	v_fmac_f32_e32 v4, v92, v71
	v_cndmask_b32_e32 v5, 1.0, v70, vcc
	v_cmp_gt_f32_e32 vcc, s70, v6
	v_exp_f32_e32 v4, v4
	v_cvt_f32_f16_e32 v93, v7
	v_cndmask_b32_e32 v6, 0, v69, vcc
	v_fmac_f32_e32 v6, v92, v72
	v_exp_f32_e32 v6, v6
	v_cvt_f32_f16_sdwa v94, v7 dst_sel:DWORD dst_unused:UNUSED_PAD src0_sel:WORD_1
	v_mul_f32_e32 v5, v4, v5
	v_mul_f32_e32 v7, v92, v73
	v_cndmask_b32_e64 v86, 1.0, v5, s[36:37]
	v_cndmask_b32_e32 v5, 1.0, v70, vcc
	v_cmp_gt_f32_e32 vcc, s70, v7
	v_mul_f32_e32 v6, v6, v5
	v_mul_f32_e32 v30, v92, v74
	v_cndmask_b32_e32 v7, 0, v69, vcc
	v_fmac_f32_e32 v7, v92, v73
	v_cndmask_b32_e64 v87, 1.0, v6, s[38:39]
	v_cndmask_b32_e32 v6, 1.0, v70, vcc
	v_cmp_gt_f32_e32 vcc, s70, v30
	v_exp_f32_e32 v7, v7
	v_mul_f32_e32 v4, v85, v31
	v_cndmask_b32_e32 v30, 0, v69, vcc
	v_fmac_f32_e32 v30, v92, v74
	v_exp_f32_e32 v31, v30
	v_mul_f32_e32 v6, v7, v6
	v_cndmask_b32_e64 v88, 1.0, v6, s[40:41]
	v_cndmask_b32_e32 v6, 1.0, v70, vcc
	v_mul_f32_e32 v6, v31, v6
	v_mul_f32_e32 v31, v92, v75
	v_cmp_gt_f32_e32 vcc, s70, v31
	v_mul_f32_e32 v5, v84, v32
	v_mul_f32_e32 v7, v83, v33
	v_cndmask_b32_e32 v31, 0, v69, vcc
	v_fmac_f32_e32 v31, v92, v75
	v_exp_f32_e32 v32, v31
	v_cndmask_b32_e64 v30, 0, v7, s[40:41]
	v_mul_f32_e32 v7, v82, v34
	v_cndmask_b32_e64 v89, 1.0, v6, s[42:43]
	v_cndmask_b32_e32 v6, 1.0, v70, vcc
	v_cndmask_b32_e64 v31, 0, v7, s[42:43]
	v_mul_f32_e32 v7, v32, v6
	v_mul_f32_e32 v32, v92, v76
	v_cmp_gt_f32_e32 vcc, s70, v32
	v_mul_f32_e32 v33, v92, v77
	v_cndmask_b32_e64 v90, 1.0, v7, s[44:45]
	v_cndmask_b32_e32 v32, 0, v69, vcc
	v_fmac_f32_e32 v32, v92, v76
	v_exp_f32_e32 v32, v32
	v_cndmask_b32_e32 v7, 1.0, v70, vcc
	v_cmp_gt_f32_e32 vcc, s70, v33
	v_mul_f32_e32 v34, v92, v15
	v_mul_f32_e32 v32, v32, v7
	v_cndmask_b32_e32 v33, 0, v69, vcc
	v_fmac_f32_e32 v33, v92, v77
	v_cndmask_b32_e64 v91, 1.0, v32, s[46:47]
	v_cndmask_b32_e32 v32, 1.0, v70, vcc
	v_cmp_gt_f32_e32 vcc, s70, v34
	v_exp_f32_e32 v33, v33
	v_cndmask_b32_e64 v4, 0, v4, s[36:37]
	v_cndmask_b32_e32 v34, 0, v69, vcc
	v_fmac_f32_e32 v34, v92, v15
	v_exp_f32_e32 v34, v34
	v_mul_f32_e32 v33, v33, v32
	v_cndmask_b32_e64 v92, 1.0, v33, s[48:49]
	v_cndmask_b32_e32 v33, 1.0, v70, vcc
	v_cndmask_b32_e64 v5, 0, v5, s[38:39]
	v_mul_f32_e32 v34, v34, v33
	v_mul_f32_e32 v6, v81, v35
	v_mul_f32_e32 v32, v79, v93
	v_cndmask_b32_e64 v93, 1.0, v34, s[50:51]
	v_mul_f32_e32 v34, v87, v86
	v_fma_f32 v35, v87, v4, v5
	v_mul_f32_e32 v34, v34, v88
	v_fma_f32 v35, v35, v88, v30
	v_cndmask_b32_e64 v6, 0, v6, s[44:45]
	v_mul_f32_e32 v7, v80, v60
	v_mul_f32_e32 v34, v34, v89
	v_fma_f32 v35, v35, v89, v31
	v_cndmask_b32_e64 v7, 0, v7, s[46:47]
	v_mul_f32_e32 v34, v34, v90
	v_fma_f32 v35, v35, v90, v6
	v_cndmask_b32_e64 v32, 0, v32, s[48:49]
	v_mul_f32_e32 v33, v78, v94
	v_mul_f32_e32 v34, v34, v91
	v_fma_f32 v35, v35, v91, v7
	v_cndmask_b32_e64 v33, 0, v33, s[50:51]
	v_mul_f32_e32 v34, v34, v92
	v_fma_f32 v35, v35, v92, v32
	v_mul_f32_e32 v34, v34, v93
	v_fma_f32 v61, v35, v93, v33
	s_nop 0
	v_mov_b32_dpp v94, v34 row_shr:1 row_mask:0xf bank_mask:0xf
	v_mov_b32_dpp v60, v61 row_shr:1 row_mask:0xf bank_mask:0xf
	s_and_saveexec_b64 s[92:93], s[0:1]
; %bb.100:                              ;   in Loop: Header=BB79_61 Depth=2
	v_mul_f32_e32 v94, v34, v94
	v_fmac_f32_e32 v61, v34, v60
	v_mov_b32_e32 v34, v94
; %bb.101:                              ;   in Loop: Header=BB79_61 Depth=2
	s_or_b64 exec, exec, s[92:93]
	s_nop 0
	v_mov_b32_dpp v60, v34 row_shr:2 row_mask:0xf bank_mask:0xf
	v_mov_b32_dpp v94, v61 row_shr:2 row_mask:0xf bank_mask:0xf
	s_and_saveexec_b64 s[92:93], s[52:53]
; %bb.102:                              ;   in Loop: Header=BB79_61 Depth=2
	v_fmac_f32_e32 v61, v34, v94
	v_mul_f32_e32 v34, v34, v60
; %bb.103:                              ;   in Loop: Header=BB79_61 Depth=2
	s_or_b64 exec, exec, s[92:93]
	s_nop 0
	v_mov_b32_dpp v60, v34 row_shr:4 row_mask:0xf bank_mask:0xf
	v_mov_b32_dpp v94, v61 row_shr:4 row_mask:0xf bank_mask:0xf
	s_and_saveexec_b64 s[92:93], s[4:5]
; %bb.104:                              ;   in Loop: Header=BB79_61 Depth=2
	v_fmac_f32_e32 v61, v34, v94
	v_mul_f32_e32 v34, v34, v60
	;; [unrolled: 9-line block ×3, first 2 shown]
; %bb.107:                              ;   in Loop: Header=BB79_61 Depth=2
	s_or_b64 exec, exec, s[92:93]
	s_nop 0
	v_mov_b32_dpp v60, v34 row_bcast:15 row_mask:0xf bank_mask:0xf
	v_mov_b32_dpp v94, v61 row_bcast:15 row_mask:0xf bank_mask:0xf
	s_and_saveexec_b64 s[92:93], s[8:9]
; %bb.108:                              ;   in Loop: Header=BB79_61 Depth=2
	v_fmac_f32_e32 v61, v34, v94
	v_mul_f32_e32 v34, v34, v60
; %bb.109:                              ;   in Loop: Header=BB79_61 Depth=2
	s_or_b64 exec, exec, s[92:93]
	s_nop 0
	v_mov_b32_dpp v60, v34 row_bcast:31 row_mask:0xf bank_mask:0xf
	v_mov_b32_dpp v94, v61 row_bcast:31 row_mask:0xf bank_mask:0xf
	v_mov_b32_e32 v35, v61
	v_mul_f32_e32 v60, v34, v60
	v_fmac_f32_e32 v35, v34, v94
	v_cndmask_b32_e64 v34, v34, v60, s[10:11]
	v_cndmask_b32_e64 v35, v61, v35, s[10:11]
	s_and_saveexec_b64 s[92:93], s[12:13]
	s_cbranch_execz .LBB79_111
; %bb.110:                              ;   in Loop: Header=BB79_61 Depth=2
	ds_write_b64 v9, v[34:35] offset:2112
.LBB79_111:                             ;   in Loop: Header=BB79_61 Depth=2
	s_or_b64 exec, exec, s[92:93]
	ds_bpermute_b32 v94, v59, v34
	ds_bpermute_b32 v60, v59, v35
	s_waitcnt lgkmcnt(2)
	v_mov_b32_e32 v35, v29
	s_waitcnt lgkmcnt(0)
	; wave barrier
	s_waitcnt lgkmcnt(0)
	s_and_saveexec_b64 s[92:93], s[14:15]
	s_cbranch_execz .LBB79_115
; %bb.112:                              ;   in Loop: Header=BB79_61 Depth=2
	ds_read_b64 v[34:35], v9 offset:2112
	s_and_saveexec_b64 s[94:95], s[16:17]
	s_cbranch_execz .LBB79_114
; %bb.113:                              ;   in Loop: Header=BB79_61 Depth=2
	ds_write_b64 v9, v[28:29] offset:2112
.LBB79_114:                             ;   in Loop: Header=BB79_61 Depth=2
	s_or_b64 exec, exec, s[94:95]
	s_waitcnt lgkmcnt(0)
	v_fmac_f32_e32 v35, v29, v34
	v_mul_f32_e32 v28, v28, v34
	v_mov_b32_e32 v29, v35
.LBB79_115:                             ;   in Loop: Header=BB79_61 Depth=2
	s_or_b64 exec, exec, s[92:93]
	s_waitcnt lgkmcnt(0)
	; wave barrier
	ds_read_b32 v34, v9 offset:2116
	s_and_saveexec_b64 s[92:93], s[16:17]
	s_cbranch_execz .LBB79_60
; %bb.116:                              ;   in Loop: Header=BB79_61 Depth=2
	v_mov_b32_e32 v61, s78
	s_andn2_b64 vcc, exec, s[84:85]
	ds_write_b64 v61, v[28:29]
	s_cbranch_vccnz .LBB79_60
; %bb.117:                              ;   in Loop: Header=BB79_61 Depth=2
	s_mov_b32 s91, s73
	v_cvt_f16_f32_e32 v28, v35
	s_lshl_b64 s[94:95], s[90:91], 1
	s_add_u32 s94, s61, s94
	s_addc_u32 s95, s65, s95
	global_store_short v9, v28, s[94:95]
	s_branch .LBB79_60
.LBB79_118:                             ;   in Loop: Header=BB79_12 Depth=1
	s_mov_b32 s38, 0x3fb8aa3b
	s_mov_b32 s39, 0xc2ce8ed0
	;; [unrolled: 1-line block ×4, first 2 shown]
.LBB79_119:                             ;   in Loop: Header=BB79_12 Depth=1
	v_cvt_f16_f32_e32 v0, v23
	v_cvt_f16_f32_e32 v1, v21
	;; [unrolled: 1-line block ×8, first 2 shown]
	v_pack_b32_f16 v3, v4, v3
	v_pack_b32_f16 v2, v5, v2
	;; [unrolled: 1-line block ×4, first 2 shown]
	s_waitcnt lgkmcnt(0)
	; wave barrier
	ds_write_b128 v51, v[0:3]
	; wave barrier
	ds_read_u16 v15, v44 offset:128
	ds_read_u16 v7, v45 offset:256
	ds_read_u16 v6, v46 offset:384
	ds_read_u16 v5, v47 offset:512
	ds_read_u16 v4, v48 offset:640
	ds_read_u16 v3, v49 offset:768
	ds_read_u16 v2, v50 offset:896
	s_mov_b32 s83, s73
	v_lshl_add_u64 v[0:1], s[82:83], 1, v[12:13]
	s_and_saveexec_b64 s[2:3], s[18:19]
	s_cbranch_execnz .LBB79_129
; %bb.120:                              ;   in Loop: Header=BB79_12 Depth=1
	s_or_b64 exec, exec, s[2:3]
	s_and_saveexec_b64 s[2:3], s[20:21]
	s_cbranch_execnz .LBB79_130
.LBB79_121:                             ;   in Loop: Header=BB79_12 Depth=1
	s_or_b64 exec, exec, s[2:3]
	s_and_saveexec_b64 s[2:3], s[22:23]
	s_cbranch_execnz .LBB79_131
.LBB79_122:                             ;   in Loop: Header=BB79_12 Depth=1
	s_or_b64 exec, exec, s[2:3]
	s_and_saveexec_b64 s[2:3], s[24:25]
	s_cbranch_execnz .LBB79_132
.LBB79_123:                             ;   in Loop: Header=BB79_12 Depth=1
	s_or_b64 exec, exec, s[2:3]
	s_and_saveexec_b64 s[2:3], s[26:27]
	s_cbranch_execnz .LBB79_133
.LBB79_124:                             ;   in Loop: Header=BB79_12 Depth=1
	s_or_b64 exec, exec, s[2:3]
	s_and_saveexec_b64 s[2:3], s[28:29]
	s_cbranch_execnz .LBB79_134
.LBB79_125:                             ;   in Loop: Header=BB79_12 Depth=1
	s_or_b64 exec, exec, s[2:3]
	s_and_saveexec_b64 s[2:3], s[30:31]
	s_cbranch_execnz .LBB79_135
.LBB79_126:                             ;   in Loop: Header=BB79_12 Depth=1
	s_or_b64 exec, exec, s[2:3]
	s_and_saveexec_b64 s[2:3], s[34:35]
	s_cbranch_execz .LBB79_11
	s_branch .LBB79_136
.LBB79_127:                             ;   in Loop: Header=BB79_12 Depth=1
	global_load_ushort v19, v[4:5], off offset:640
	s_or_b64 exec, exec, s[2:3]
	s_and_saveexec_b64 s[2:3], s[30:31]
	s_cbranch_execz .LBB79_40
.LBB79_128:                             ;   in Loop: Header=BB79_12 Depth=1
	global_load_ushort v18, v[4:5], off offset:768
	s_or_b64 exec, exec, s[2:3]
	v_mov_b32_e32 v20, 0
	s_and_saveexec_b64 s[2:3], s[34:35]
	s_cbranch_execnz .LBB79_41
	s_branch .LBB79_42
.LBB79_129:                             ;   in Loop: Header=BB79_12 Depth=1
	ds_read_u16 v16, v43
	s_waitcnt lgkmcnt(0)
	global_store_short v[0:1], v16, off
	s_or_b64 exec, exec, s[2:3]
	s_and_saveexec_b64 s[2:3], s[20:21]
	s_cbranch_execz .LBB79_121
.LBB79_130:                             ;   in Loop: Header=BB79_12 Depth=1
	s_waitcnt lgkmcnt(6)
	global_store_short v[0:1], v15, off offset:128
	s_or_b64 exec, exec, s[2:3]
	s_and_saveexec_b64 s[2:3], s[22:23]
	s_cbranch_execz .LBB79_122
.LBB79_131:                             ;   in Loop: Header=BB79_12 Depth=1
	s_waitcnt lgkmcnt(5)
	global_store_short v[0:1], v7, off offset:256
	s_or_b64 exec, exec, s[2:3]
	s_and_saveexec_b64 s[2:3], s[24:25]
	s_cbranch_execz .LBB79_123
.LBB79_132:                             ;   in Loop: Header=BB79_12 Depth=1
	s_waitcnt lgkmcnt(4)
	global_store_short v[0:1], v6, off offset:384
	s_or_b64 exec, exec, s[2:3]
	s_and_saveexec_b64 s[2:3], s[26:27]
	s_cbranch_execz .LBB79_124
.LBB79_133:                             ;   in Loop: Header=BB79_12 Depth=1
	s_waitcnt lgkmcnt(3)
	global_store_short v[0:1], v5, off offset:512
	s_or_b64 exec, exec, s[2:3]
	s_and_saveexec_b64 s[2:3], s[28:29]
	s_cbranch_execz .LBB79_125
.LBB79_134:                             ;   in Loop: Header=BB79_12 Depth=1
	s_waitcnt lgkmcnt(2)
	global_store_short v[0:1], v4, off offset:640
	s_or_b64 exec, exec, s[2:3]
	s_and_saveexec_b64 s[2:3], s[30:31]
	s_cbranch_execz .LBB79_126
.LBB79_135:                             ;   in Loop: Header=BB79_12 Depth=1
	s_waitcnt lgkmcnt(1)
	global_store_short v[0:1], v3, off offset:768
	s_or_b64 exec, exec, s[2:3]
	s_and_saveexec_b64 s[2:3], s[34:35]
	s_cbranch_execz .LBB79_11
.LBB79_136:                             ;   in Loop: Header=BB79_12 Depth=1
	s_waitcnt lgkmcnt(0)
	global_store_short v[0:1], v2, off offset:896
	s_branch .LBB79_11
.LBB79_137:
	s_endpgm
	.section	.rodata,"a",@progbits
	.p2align	6, 0x0
	.amdhsa_kernel _Z25selective_scan_fwd_kernelI32Selective_Scan_fwd_kernel_traitsILi64ELi8ELi1ELb0ELb1ELb1ELb0ELb0EN3c104HalfEfS2_EEv13SSMParamsBase
		.amdhsa_group_segment_fixed_size 0
		.amdhsa_private_segment_fixed_size 0
		.amdhsa_kernarg_size 248
		.amdhsa_user_sgpr_count 2
		.amdhsa_user_sgpr_dispatch_ptr 0
		.amdhsa_user_sgpr_queue_ptr 0
		.amdhsa_user_sgpr_kernarg_segment_ptr 1
		.amdhsa_user_sgpr_dispatch_id 0
		.amdhsa_user_sgpr_kernarg_preload_length 0
		.amdhsa_user_sgpr_kernarg_preload_offset 0
		.amdhsa_user_sgpr_private_segment_size 0
		.amdhsa_uses_dynamic_stack 0
		.amdhsa_enable_private_segment 0
		.amdhsa_system_sgpr_workgroup_id_x 1
		.amdhsa_system_sgpr_workgroup_id_y 1
		.amdhsa_system_sgpr_workgroup_id_z 0
		.amdhsa_system_sgpr_workgroup_info 0
		.amdhsa_system_vgpr_workitem_id 0
		.amdhsa_next_free_vgpr 96
		.amdhsa_next_free_sgpr 100
		.amdhsa_accum_offset 96
		.amdhsa_reserve_vcc 1
		.amdhsa_float_round_mode_32 0
		.amdhsa_float_round_mode_16_64 0
		.amdhsa_float_denorm_mode_32 3
		.amdhsa_float_denorm_mode_16_64 3
		.amdhsa_dx10_clamp 1
		.amdhsa_ieee_mode 1
		.amdhsa_fp16_overflow 0
		.amdhsa_tg_split 0
		.amdhsa_exception_fp_ieee_invalid_op 0
		.amdhsa_exception_fp_denorm_src 0
		.amdhsa_exception_fp_ieee_div_zero 0
		.amdhsa_exception_fp_ieee_overflow 0
		.amdhsa_exception_fp_ieee_underflow 0
		.amdhsa_exception_fp_ieee_inexact 0
		.amdhsa_exception_int_div_zero 0
	.end_amdhsa_kernel
	.section	.text._Z25selective_scan_fwd_kernelI32Selective_Scan_fwd_kernel_traitsILi64ELi8ELi1ELb0ELb1ELb1ELb0ELb0EN3c104HalfEfS2_EEv13SSMParamsBase,"axG",@progbits,_Z25selective_scan_fwd_kernelI32Selective_Scan_fwd_kernel_traitsILi64ELi8ELi1ELb0ELb1ELb1ELb0ELb0EN3c104HalfEfS2_EEv13SSMParamsBase,comdat
.Lfunc_end79:
	.size	_Z25selective_scan_fwd_kernelI32Selective_Scan_fwd_kernel_traitsILi64ELi8ELi1ELb0ELb1ELb1ELb0ELb0EN3c104HalfEfS2_EEv13SSMParamsBase, .Lfunc_end79-_Z25selective_scan_fwd_kernelI32Selective_Scan_fwd_kernel_traitsILi64ELi8ELi1ELb0ELb1ELb1ELb0ELb0EN3c104HalfEfS2_EEv13SSMParamsBase
                                        ; -- End function
	.section	.AMDGPU.csdata,"",@progbits
; Kernel info:
; codeLenInByte = 10520
; NumSgprs: 106
; NumVgprs: 96
; NumAgprs: 0
; TotalNumVgprs: 96
; ScratchSize: 0
; MemoryBound: 0
; FloatMode: 240
; IeeeMode: 1
; LDSByteSize: 0 bytes/workgroup (compile time only)
; SGPRBlocks: 13
; VGPRBlocks: 11
; NumSGPRsForWavesPerEU: 106
; NumVGPRsForWavesPerEU: 96
; AccumOffset: 96
; Occupancy: 5
; WaveLimiterHint : 0
; COMPUTE_PGM_RSRC2:SCRATCH_EN: 0
; COMPUTE_PGM_RSRC2:USER_SGPR: 2
; COMPUTE_PGM_RSRC2:TRAP_HANDLER: 0
; COMPUTE_PGM_RSRC2:TGID_X_EN: 1
; COMPUTE_PGM_RSRC2:TGID_Y_EN: 1
; COMPUTE_PGM_RSRC2:TGID_Z_EN: 0
; COMPUTE_PGM_RSRC2:TIDIG_COMP_CNT: 0
; COMPUTE_PGM_RSRC3_GFX90A:ACCUM_OFFSET: 23
; COMPUTE_PGM_RSRC3_GFX90A:TG_SPLIT: 0
	.section	.text._Z25selective_scan_fwd_kernelI32Selective_Scan_fwd_kernel_traitsILi64ELi16ELi1ELb1ELb1ELb1ELb1ELb1EN3c104HalfEfS2_EEv13SSMParamsBase,"axG",@progbits,_Z25selective_scan_fwd_kernelI32Selective_Scan_fwd_kernel_traitsILi64ELi16ELi1ELb1ELb1ELb1ELb1ELb1EN3c104HalfEfS2_EEv13SSMParamsBase,comdat
	.protected	_Z25selective_scan_fwd_kernelI32Selective_Scan_fwd_kernel_traitsILi64ELi16ELi1ELb1ELb1ELb1ELb1ELb1EN3c104HalfEfS2_EEv13SSMParamsBase ; -- Begin function _Z25selective_scan_fwd_kernelI32Selective_Scan_fwd_kernel_traitsILi64ELi16ELi1ELb1ELb1ELb1ELb1ELb1EN3c104HalfEfS2_EEv13SSMParamsBase
	.globl	_Z25selective_scan_fwd_kernelI32Selective_Scan_fwd_kernel_traitsILi64ELi16ELi1ELb1ELb1ELb1ELb1ELb1EN3c104HalfEfS2_EEv13SSMParamsBase
	.p2align	8
	.type	_Z25selective_scan_fwd_kernelI32Selective_Scan_fwd_kernel_traitsILi64ELi16ELi1ELb1ELb1ELb1ELb1ELb1EN3c104HalfEfS2_EEv13SSMParamsBase,@function
_Z25selective_scan_fwd_kernelI32Selective_Scan_fwd_kernel_traitsILi64ELi16ELi1ELb1ELb1ELb1ELb1ELb1EN3c104HalfEfS2_EEv13SSMParamsBase: ; @_Z25selective_scan_fwd_kernelI32Selective_Scan_fwd_kernel_traitsILi64ELi16ELi1ELb1ELb1ELb1ELb1ELb1EN3c104HalfEfS2_EEv13SSMParamsBase
; %bb.0:
	s_load_dword s36, s[0:1], 0x18
	s_load_dwordx4 s[4:7], s[0:1], 0xe8
	s_load_dwordx8 s[20:27], s[0:1], 0xc8
	s_mov_b32 s34, s3
	s_ashr_i32 s3, s2, 31
	s_lshl_b64 s[8:9], s[2:3], 2
	s_waitcnt lgkmcnt(0)
	s_abs_i32 s33, s36
	v_cvt_f32_u32_e32 v1, s33
	s_add_u32 s28, s26, s8
	s_addc_u32 s29, s27, s9
	s_cmp_eq_u64 s[6:7], 0
	v_rcp_iflag_f32_e32 v1, v1
                                        ; implicit-def: $vgpr95 : SGPR spill to VGPR lane
	s_nop 0
	v_mul_f32_e32 v1, 0x4f7ffffe, v1
	v_cvt_u32_f32_e32 v1, v1
	s_nop 0
	v_readfirstlane_b32 s37, v1
	s_cbranch_scc1 .LBB80_2
; %bb.1:
	s_add_u32 s6, s6, s2
	s_addc_u32 s7, s7, s3
	v_mov_b32_e32 v1, 0
	global_load_ubyte v1, v1, s[6:7]
	s_waitcnt vmcnt(0)
	v_and_b32_e32 v1, 1, v1
	v_cmp_eq_u32_e64 s[6:7], 1, v1
	s_branch .LBB80_3
.LBB80_2:
	s_mov_b64 s[6:7], 0
.LBB80_3:
	s_nop 0
	v_writelane_b32 v95, s6, 0
	s_cmp_eq_u64 s[4:5], 0
	s_nop 0
	v_writelane_b32 v95, s7, 1
	s_load_dwordx2 s[6:7], s[0:1], 0x20
	s_cbranch_scc1 .LBB80_5
; %bb.4:
	s_add_u32 s2, s4, s8
	s_addc_u32 s3, s5, s9
	s_load_dword s2, s[2:3], 0x0
	s_waitcnt lgkmcnt(0)
	s_ashr_i32 s3, s2, 31
.LBB80_5:
	s_waitcnt lgkmcnt(0)
	s_cmp_eq_u64 s[6:7], s[2:3]
	s_cbranch_scc1 .LBB80_298
; %bb.6:
	s_load_dwordx16 s[4:19], s[0:1], 0x88
	s_load_dwordx2 s[26:27], s[28:29], 0x0
	s_mov_b32 s3, 0
	v_writelane_b32 v95, s3, 2
	v_writelane_b32 v95, s3, 3
	s_waitcnt lgkmcnt(0)
	s_cmp_eq_u64 s[10:11], 0
	s_cbranch_scc1 .LBB80_8
; %bb.7:
	s_ashr_i32 s35, s34, 31
	s_lshl_b64 s[28:29], s[34:35], 2
	s_add_u32 s10, s10, s28
	s_addc_u32 s11, s11, s29
	s_load_dword s3, s[10:11], 0x0
	s_waitcnt lgkmcnt(0)
	v_writelane_b32 v95, s3, 3
.LBB80_8:
	s_cmp_eq_u64 s[16:17], 0
	s_cbranch_scc1 .LBB80_10
; %bb.9:
	s_ashr_i32 s35, s34, 31
	s_lshl_b64 s[10:11], s[34:35], 2
	s_add_u32 s10, s16, s10
	s_addc_u32 s11, s17, s11
	s_load_dword s3, s[10:11], 0x0
	s_waitcnt lgkmcnt(0)
	v_writelane_b32 v95, s3, 2
.LBB80_10:
	s_sub_i32 s35, s27, s26
	s_cmp_lt_i32 s35, 1
	s_cbranch_scc1 .LBB80_298
; %bb.11:
	v_mbcnt_lo_u32_b32 v1, -1, 0
	v_mbcnt_hi_u32_b32 v20, -1, v1
	s_sub_i32 s3, 0, s33
	v_lshrrev_b32_e32 v1, 5, v20
	s_mul_i32 s3, s3, s37
	v_and_b32_e32 v1, 2, v1
	s_mul_hi_u32 s3, s37, s3
	v_add_u32_e32 v1, v1, v20
	s_abs_i32 s16, s34
	s_add_i32 s37, s37, s3
	v_add_u32_e32 v2, 64, v20
	v_lshl_add_u32 v1, v1, 1, 0
	s_load_dwordx8 s[40:47], s[0:1], 0x2c
	s_load_dwordx2 s[10:11], s[0:1], 0x7c
	s_load_dwordx4 s[28:31], s[0:1], 0x6c
	s_load_dwordx8 s[48:55], s[0:1], 0x4c
	s_mul_hi_u32 s3, s16, s37
	s_load_dword s37, s[0:1], 0xc
	s_load_dword s17, s[0:1], 0x28
	scratch_store_dword off, v1, off        ; 4-byte Folded Spill
	scratch_store_dword off, v2, off offset:180 ; 4-byte Folded Spill
	v_lshrrev_b32_e32 v1, 5, v2
	v_and_b32_e32 v1, 6, v1
	v_add_lshl_u32 v1, v1, v20, 1
	v_or_b32_e32 v3, 0x80, v20
	v_add_u32_e32 v2, 0, v1
	scratch_store_dword off, v2, off offset:8 ; 4-byte Folded Spill
	scratch_store_dword off, v3, off offset:184 ; 4-byte Folded Spill
	v_lshrrev_b32_e32 v2, 5, v3
	v_and_b32_e32 v2, 6, v2
	s_load_dword s97, s[0:1], 0x84
	s_ashr_i32 s0, s34, 31
	s_ashr_i32 s1, s36, 31
	v_add_lshl_u32 v2, v2, v20, 1
	s_xor_b32 s0, s0, s1
	s_mul_i32 s1, s3, s33
	v_add_u32_e32 v4, 0xc0, v20
	v_add_u32_e32 v3, 0, v2
	s_sub_i32 s1, s16, s1
	scratch_store_dword off, v3, off offset:12 ; 4-byte Folded Spill
	scratch_store_dword off, v4, off offset:188 ; 4-byte Folded Spill
	v_lshrrev_b32_e32 v3, 5, v4
	s_add_i32 s16, s3, 1
	s_sub_i32 s27, s1, s33
	v_and_b32_e32 v3, 14, v3
	s_cmp_ge_u32 s1, s33
	v_add_lshl_u32 v3, v3, v20, 1
	s_cselect_b32 s3, s16, s3
	v_or_b32_e32 v5, 0x100, v20
	v_add_u32_e32 v4, 0, v3
	s_cselect_b32 s1, s27, s1
	s_add_i32 s16, s3, 1
	scratch_store_dword off, v4, off offset:16 ; 4-byte Folded Spill
	scratch_store_dword off, v5, off offset:192 ; 4-byte Folded Spill
	v_lshrrev_b32_e32 v4, 5, v5
	s_cmp_ge_u32 s1, s33
	v_and_b32_e32 v4, 10, v4
	s_cselect_b32 s1, s16, s3
	v_add_lshl_u32 v4, v4, v20, 1
	s_xor_b32 s1, s1, s0
	s_waitcnt lgkmcnt(0)
	s_mul_i32 s98, s26, s50
	s_mov_b32 s99, 0
	v_add_u32_e32 v6, 0x140, v20
	v_add_u32_e32 v5, 0, v4
	s_sub_i32 s3, s1, s0
	s_lshl_b64 s[0:1], s[98:99], 1
	scratch_store_dword off, v5, off offset:20 ; 4-byte Folded Spill
	scratch_store_dword off, v6, off offset:196 ; 4-byte Folded Spill
	v_lshrrev_b32_e32 v5, 5, v6
	s_add_u32 s12, s12, s0
	s_mul_i32 s98, s51, s34
	v_and_b32_e32 v5, 14, v5
	s_addc_u32 s13, s13, s1
	s_lshl_b64 s[0:1], s[98:99], 1
	v_add_lshl_u32 v5, v5, v20, 1
	s_add_u32 s38, s12, s0
	s_mul_i32 s98, s26, s52
	v_or_b32_e32 v7, 0x180, v20
	v_add_u32_e32 v6, 0, v5
	s_addc_u32 s39, s13, s1
	s_lshl_b64 s[0:1], s[98:99], 1
	scratch_store_dword off, v6, off offset:24 ; 4-byte Folded Spill
	scratch_store_dword off, v7, off offset:200 ; 4-byte Folded Spill
	v_lshrrev_b32_e32 v6, 5, v7
	s_add_u32 s12, s14, s0
	s_mul_i32 s98, s53, s34
	v_and_b32_e32 v6, 14, v6
	s_addc_u32 s13, s15, s1
	s_lshl_b64 s[0:1], s[98:99], 1
	v_add_lshl_u32 v6, v6, v20, 1
	s_add_u32 s0, s12, s0
	v_add_u32_e32 v8, 0x1c0, v20
	v_add_u32_e32 v7, 0, v6
	s_addc_u32 s1, s13, s1
	scratch_store_dword off, v7, off offset:28 ; 4-byte Folded Spill
	scratch_store_dword off, v8, off offset:204 ; 4-byte Folded Spill
	v_lshrrev_b32_e32 v7, 5, v8
	v_writelane_b32 v95, s0, 4
	s_mul_i32 s98, s40, s34
	v_and_b32_e32 v7, 30, v7
	v_writelane_b32 v95, s1, 5
	s_lshl_b64 s[0:1], s[98:99], 2
	v_add_lshl_u32 v7, v7, v20, 1
	s_add_u32 s0, s4, s0
	v_or_b32_e32 v9, 0x200, v20
	v_add_u32_e32 v8, 0, v7
	v_writelane_b32 v95, s0, 6
	s_addc_u32 s0, s5, s1
	s_mul_i32 s98, s26, s42
	scratch_store_dword off, v8, off offset:32 ; 4-byte Folded Spill
	scratch_store_dword off, v9, off offset:208 ; 4-byte Folded Spill
	v_lshrrev_b32_e32 v8, 5, v9
	v_writelane_b32 v95, s0, 7
	s_lshl_b64 s[0:1], s[98:99], 1
	v_and_b32_e32 v8, 18, v8
	s_add_u32 s4, s6, s0
	s_mul_i32 s98, s3, s45
	v_add_lshl_u32 v8, v8, v20, 1
	s_addc_u32 s5, s7, s1
	s_lshl_b64 s[0:1], s[98:99], 1
	v_add_u32_e32 v10, 0x240, v20
	v_add_u32_e32 v9, 0, v8
	s_add_u32 s0, s4, s0
	scratch_store_dword off, v9, off offset:36 ; 4-byte Folded Spill
	scratch_store_dword off, v10, off offset:212 ; 4-byte Folded Spill
	v_lshrrev_b32_e32 v9, 5, v10
	s_addc_u32 s1, s5, s1
	v_and_b32_e32 v9, 22, v9
	v_writelane_b32 v95, s0, 8
	v_add_lshl_u32 v9, v9, v20, 1
	v_or_b32_e32 v11, 0x280, v20
	v_writelane_b32 v95, s1, 9
	v_add_u32_e32 v10, 0, v9
	v_writelane_b32 v95, s40, 10
	scratch_store_dword off, v10, off offset:40 ; 4-byte Folded Spill
	scratch_store_dword off, v11, off offset:216 ; 4-byte Folded Spill
	v_lshrrev_b32_e32 v10, 5, v11
	v_writelane_b32 v95, s41, 11
	v_and_b32_e32 v10, 22, v10
	v_writelane_b32 v95, s42, 12
	s_mul_i32 s98, s26, s46
	v_add_lshl_u32 v10, v10, v20, 1
	v_writelane_b32 v95, s43, 13
	s_lshl_b64 s[0:1], s[98:99], 1
	v_add_u32_e32 v12, 0x2c0, v20
	v_add_u32_e32 v11, 0, v10
	v_writelane_b32 v95, s44, 14
	s_add_u32 s4, s8, s0
	s_mul_i32 s98, s3, s49
	scratch_store_dword off, v11, off offset:44 ; 4-byte Folded Spill
	scratch_store_dword off, v12, off offset:220 ; 4-byte Folded Spill
	v_lshrrev_b32_e32 v11, 5, v12
	v_writelane_b32 v95, s45, 15
	s_addc_u32 s5, s9, s1
	s_lshl_b64 s[0:1], s[98:99], 1
	v_and_b32_e32 v11, 30, v11
	v_writelane_b32 v95, s46, 16
	s_add_u32 s0, s4, s0
	v_add_lshl_u32 v11, v11, v20, 1
	v_writelane_b32 v95, s47, 17
	s_addc_u32 s1, s5, s1
	v_or_b32_e32 v13, 0x300, v20
	v_add_u32_e32 v12, 0, v11
	v_writelane_b32 v95, s0, 18
	s_mul_i32 s98, s2, s10
	scratch_store_dword off, v12, off offset:48 ; 4-byte Folded Spill
	scratch_store_dword off, v13, off offset:224 ; 4-byte Folded Spill
	v_lshrrev_b32_e32 v12, 5, v13
	v_writelane_b32 v95, s1, 19
	s_lshl_b64 s[0:1], s[98:99], 1
	v_and_b32_e32 v12, 26, v12
	s_add_u32 s2, s20, s0
	s_mul_i32 s98, s11, s34
	v_add_lshl_u32 v12, v12, v20, 1
	s_addc_u32 s3, s21, s1
	s_lshl_b64 s[0:1], s[98:99], 1
	v_add_u32_e32 v14, 0x340, v20
	v_add_u32_e32 v13, 0, v12
	s_add_u32 s0, s2, s0
	scratch_store_dword off, v13, off offset:52 ; 4-byte Folded Spill
	scratch_store_dword off, v14, off offset:228 ; 4-byte Folded Spill
	v_lshrrev_b32_e32 v13, 5, v14
	v_writelane_b32 v95, s0, 20
	s_addc_u32 s0, s3, s1
	v_and_b32_e32 v13, 30, v13
	v_writelane_b32 v95, s0, 21
	s_add_i32 s0, s35, 0x7ff
	v_add_lshl_u32 v13, v13, v20, 1
	s_lshr_b32 s1, s0, 11
	v_or_b32_e32 v15, 0x380, v20
	v_add_u32_e32 v14, 0, v13
	scratch_store_dword off, v14, off offset:56 ; 4-byte Folded Spill
	scratch_store_dword off, v15, off offset:232 ; 4-byte Folded Spill
	v_lshrrev_b32_e32 v14, 5, v15
	s_bitcmp1_b32 s17, 0
	v_and_b32_e32 v14, 30, v14
	s_cselect_b64 s[6:7], -1, 0
	s_cmp_gt_i32 s37, 0
	v_add_lshl_u32 v14, v14, v20, 1
	s_cselect_b64 s[2:3], -1, 0
	s_add_i32 s0, 0, 0x840
	v_add_u32_e32 v15, 0, v14
	v_add_u32_e32 v1, s0, v1
	;; [unrolled: 1-line block ×3, first 2 shown]
	scratch_store_dword off, v15, off offset:60 ; 4-byte Folded Spill
	scratch_store_dword off, v16, off offset:236 ; 4-byte Folded Spill
	;; [unrolled: 1-line block ×3, first 2 shown]
	v_add_u32_e32 v1, s0, v2
	scratch_store_dword off, v1, off offset:100 ; 4-byte Folded Spill
	v_add_u32_e32 v1, s0, v3
	scratch_store_dword off, v1, off offset:104 ; 4-byte Folded Spill
	;; [unrolled: 2-line block ×7, first 2 shown]
	v_add_u32_e32 v1, s0, v9
	v_lshrrev_b32_e32 v15, 5, v16
	scratch_store_dword off, v1, off offset:128 ; 4-byte Folded Spill
	v_add_u32_e32 v1, s0, v10
	v_and_b32_e32 v15, 62, v15
	scratch_store_dword off, v1, off offset:132 ; 4-byte Folded Spill
	v_add_u32_e32 v1, s0, v11
	v_add_lshl_u32 v15, v15, v20, 1
	scratch_store_dword off, v1, off offset:136 ; 4-byte Folded Spill
	v_add_u32_e32 v1, s0, v12
	v_add_u32_e32 v16, 0, v15
	v_lshrrev_b32_e32 v18, 1, v20
	scratch_store_dword off, v1, off offset:140 ; 4-byte Folded Spill
	v_add_u32_e32 v1, s0, v13
	scratch_store_dword off, v16, off offset:64 ; 4-byte Folded Spill
	v_lshlrev_b32_e32 v16, 4, v20
	v_and_b32_e32 v18, 62, v18
	scratch_store_dword off, v1, off offset:144 ; 4-byte Folded Spill
	v_add_u32_e32 v1, s0, v14
	v_add_lshl_u32 v16, v18, v16, 1
	v_writelane_b32 v95, s37, 22
	scratch_store_dword off, v1, off offset:148 ; 4-byte Folded Spill
	v_add_u32_e32 v1, s0, v15
	v_writelane_b32 v95, s2, 23
	scratch_store_dword off, v1, off offset:152 ; 4-byte Folded Spill
	v_add_u32_e32 v1, s0, v16
	s_and_b32 s0, s35, 0x3ff
	v_writelane_b32 v95, s3, 24
	s_cmp_eq_u32 s0, 0
	v_writelane_b32 v95, s35, 25
	s_cselect_b64 s[2:3], -1, 0
	v_writelane_b32 v95, s2, 26
	s_add_i32 s0, s1, -1
	s_mul_i32 s98, s26, s28
	v_writelane_b32 v95, s3, 27
	v_writelane_b32 v95, s1, 28
	;; [unrolled: 1-line block ×3, first 2 shown]
	s_lshl_b64 s[0:1], s[98:99], 1
	scratch_store_dword off, v1, off offset:156 ; 4-byte Folded Spill
	v_and_b32_e32 v1, 15, v20
	s_add_u32 s4, s18, s0
	s_addc_u32 s5, s19, s1
	v_cmp_ne_u32_e64 s[0:1], 0, v1
	v_cmp_lt_u32_e64 s[2:3], 3, v1
	s_mul_i32 s98, s29, s34
	v_writelane_b32 v95, s0, 30
	v_and_b32_e32 v2, 64, v20
	v_lshlrev_b32_e32 v19, 4, v0
	v_writelane_b32 v95, s1, 31
	v_cmp_lt_u32_e64 s[0:1], 1, v1
	v_cmp_eq_u32_e64 s[16:17], 0, v0
	v_add_u32_e32 v18, 0, v16
	v_writelane_b32 v95, s0, 32
	v_mov_b32_e32 v17, 0
	scratch_store_dword off, v18, off offset:4 ; 4-byte Folded Spill
	v_writelane_b32 v95, s1, 33
	v_cmp_lt_u32_e64 s[0:1], 7, v1
	v_and_b32_e32 v1, 16, v20
	v_lshlrev_b32_e32 v16, 1, v20
	v_writelane_b32 v95, s0, 34
	v_cmp_lt_u32_e64 s[12:13], 31, v20
	s_mov_b32 s8, 0xc2ce8ed0
	v_writelane_b32 v95, s1, 35
	v_cmp_ne_u32_e64 s[0:1], 0, v1
	v_add_u32_e32 v1, -1, v20
	v_cmp_lt_i32_e32 vcc, v1, v2
	v_writelane_b32 v95, s0, 36
	s_mov_b32 s9, 0x42b17218
	v_cndmask_b32_e32 v1, v1, v20, vcc
	v_writelane_b32 v95, s1, 37
	s_lshl_b64 s[0:1], s[98:99], 1
	s_add_u32 s0, s4, s0
	s_mul_i32 s98, s26, s54
	s_addc_u32 s1, s5, s1
	s_lshl_b64 s[4:5], s[98:99], 1
	s_add_u32 s14, s22, s4
	v_writelane_b32 v95, s48, 38
	s_mul_i32 s98, s55, s34
	s_addc_u32 s15, s23, s5
	s_lshl_b64 s[4:5], s[98:99], 1
	s_add_u32 s18, s14, s4
	s_mul_i32 s98, s26, s30
	s_addc_u32 s19, s15, s5
	s_lshl_b64 s[14:15], s[98:99], 1
	s_add_u32 s22, s24, s14
	v_cmp_eq_u32_e64 s[4:5], 63, v0
	v_lshlrev_b32_e32 v1, 2, v1
	s_addc_u32 s23, s25, s15
	v_cmp_gt_u32_e64 s[14:15], 64, v0
	v_mov_b32_e32 v0, v20
	scratch_store_dwordx2 off, v[0:1], off offset:172 ; 8-byte Folded Spill
	v_or_b32_e32 v0, 1, v19
	scratch_store_dword off, v0, off offset:268 ; 4-byte Folded Spill
	v_or_b32_e32 v0, 2, v19
	scratch_store_dword off, v0, off offset:272 ; 4-byte Folded Spill
	;; [unrolled: 2-line block ×6, first 2 shown]
                                        ; implicit-def: $vgpr0
	v_writelane_b32 v95, s49, 39
	v_or_b32_e32 v0, 7, v19
	v_writelane_b32 v95, s50, 40
	scratch_store_dword off, v0, off offset:292 ; 4-byte Folded Spill
	v_or_b32_e32 v0, 8, v19
	v_writelane_b32 v95, s51, 41
	scratch_store_dword off, v0, off offset:296 ; 4-byte Folded Spill
	;; [unrolled: 3-line block ×4, first 2 shown]
	v_or_b32_e32 v0, 11, v19
	v_writelane_b32 v95, s54, 44
	s_mul_i32 s98, s31, s34
	scratch_store_dword off, v0, off offset:308 ; 4-byte Folded Spill
	v_or_b32_e32 v0, 12, v19
	v_writelane_b32 v95, s55, 45
	s_lshl_b64 s[20:21], s[98:99], 1
	scratch_store_dword off, v0, off offset:312 ; 4-byte Folded Spill
	v_or_b32_e32 v0, 13, v19
	v_writelane_b32 v95, s4, 46
	s_add_u32 s20, s22, s20
	scratch_store_dword off, v0, off offset:316 ; 4-byte Folded Spill
	v_or_b32_e32 v0, 14, v19
	v_writelane_b32 v95, s5, 47
	scratch_store_dword off, v1, off offset:160 ; 4-byte Folded Spill
	s_addc_u32 s21, s23, s21
	s_add_i32 s22, 0, 0x1088
	scratch_store_dword off, v0, off offset:320 ; 4-byte Folded Spill
	scratch_store_dword off, v19, off offset:264 ; 4-byte Folded Spill
	v_or_b32_e32 v0, 15, v19
	v_writelane_b32 v95, s22, 48
	scratch_store_dword off, v0, off offset:324 ; 4-byte Folded Spill
	v_lshl_add_u64 v[0:1], s[0:1], 0, v[16:17]
	scratch_store_dwordx2 off, v[0:1], off offset:240 ; 8-byte Folded Spill
	v_lshl_add_u64 v[0:1], s[18:19], 0, v[16:17]
	v_writelane_b32 v95, s97, 49
	scratch_store_dwordx2 off, v[0:1], off offset:248 ; 8-byte Folded Spill
	v_lshl_add_u64 v[0:1], s[20:21], 0, v[16:17]
	v_writelane_b32 v95, s6, 50
	s_mov_b32 s4, 0x41a00000
	s_mov_b32 s5, 0x3fb8aa3b
	;; [unrolled: 1-line block ×7, first 2 shown]
	v_mov_b32_e32 v39, 0x7f800000
	v_mov_b32_e32 v20, 0x42800000
	;; [unrolled: 1-line block ×3, first 2 shown]
	s_mov_b32 s1, 0
	scratch_store_dwordx2 off, v[0:1], off offset:256 ; 8-byte Folded Spill
	v_mov_b32_e32 v0, 0x3f317218
	v_writelane_b32 v95, s7, 51
	scratch_store_dwordx2 off, v[0:1], off offset:164 ; 8-byte Folded Spill
	s_branch .LBB80_13
.LBB80_12:                              ;   in Loop: Header=BB80_13 Depth=1
	s_or_b64 exec, exec, s[18:19]
	v_readlane_b32 s0, v95, 4
	v_readlane_b32 s1, v95, 5
	s_add_u32 s0, s0, 0x800
	s_addc_u32 s1, s1, 0
	v_writelane_b32 v95, s0, 4
	s_nop 1
	v_writelane_b32 v95, s1, 5
	s_nop 0
	v_readlane_b32 s38, v95, 55
	v_readlane_b32 s39, v95, 56
	s_add_u32 s38, s38, 0x800
	s_addc_u32 s39, s39, 0
	v_readlane_b32 s0, v95, 8
	v_readlane_b32 s1, v95, 9
	s_add_u32 s0, s0, 0x800
	s_addc_u32 s1, s1, 0
	v_writelane_b32 v95, s0, 8
	s_nop 1
	v_writelane_b32 v95, s1, 9
	s_nop 0
	v_readlane_b32 s0, v95, 18
	v_readlane_b32 s1, v95, 19
	s_add_u32 s0, s0, 0x800
	s_addc_u32 s1, s1, 0
	v_writelane_b32 v95, s0, 18
	s_nop 1
	v_writelane_b32 v95, s1, 19
	s_nop 0
	v_readlane_b32 s1, v95, 52
	s_add_i32 s1, s1, 1
	v_readlane_b32 s0, v95, 28
	s_cmp_lg_u32 s1, s0
	s_cbranch_scc0 .LBB80_298
.LBB80_13:                              ; =>This Loop Header: Depth=1
                                        ;     Child Loop BB80_110 Depth 2
	s_waitcnt lgkmcnt(0)
	; wave barrier
	s_waitcnt vmcnt(63) expcnt(7) lgkmcnt(15)
	scratch_load_dwordx2 v[0:1], off, off offset:172 ; 8-byte Folded Reload
	s_lshl_b32 s20, s1, 10
	v_writelane_b32 v95, s1, 52
	s_mov_b32 s18, s20
	v_readlane_b32 s0, v95, 25
	v_writelane_b32 v95, s18, 53
	s_sub_i32 s82, s0, s20
	s_waitcnt vmcnt(0) lgkmcnt(0)
	v_mov_b32_e32 v2, v0
	v_writelane_b32 v95, s19, 54
	v_lshlrev_b32_e32 v16, 1, v2
	v_writelane_b32 v95, s38, 55
	v_cmp_gt_u32_e64 s[18:19], s82, v2
	v_mov_b32_e32 v2, 0
	v_writelane_b32 v95, s39, 56
	v_lshl_add_u64 v[0:1], s[38:39], 0, v[16:17]
	s_and_saveexec_b64 s[20:21], s[18:19]
	s_cbranch_execz .LBB80_15
; %bb.14:                               ;   in Loop: Header=BB80_13 Depth=1
	global_load_ushort v2, v[0:1], off
.LBB80_15:                              ;   in Loop: Header=BB80_13 Depth=1
	s_or_b64 exec, exec, s[20:21]
	scratch_load_dword v3, off, off offset:180 ; 4-byte Folded Reload
	v_mov_b32_e32 v4, 0
	s_waitcnt vmcnt(0)
	v_cmp_gt_u32_e64 s[20:21], s82, v3
	v_mov_b32_e32 v3, 0
	s_and_saveexec_b64 s[22:23], s[20:21]
	s_cbranch_execz .LBB80_17
; %bb.16:                               ;   in Loop: Header=BB80_13 Depth=1
	global_load_ushort v4, v[0:1], off offset:128
.LBB80_17:                              ;   in Loop: Header=BB80_13 Depth=1
	s_or_b64 exec, exec, s[22:23]
	scratch_load_dword v5, off, off offset:184 ; 4-byte Folded Reload
	s_waitcnt vmcnt(0)
	v_cmp_gt_u32_e64 s[22:23], s82, v5
	s_and_saveexec_b64 s[24:25], s[22:23]
	s_cbranch_execz .LBB80_19
; %bb.18:                               ;   in Loop: Header=BB80_13 Depth=1
	global_load_ushort v3, v[0:1], off offset:256
.LBB80_19:                              ;   in Loop: Header=BB80_13 Depth=1
	s_or_b64 exec, exec, s[24:25]
	scratch_load_dword v5, off, off offset:188 ; 4-byte Folded Reload
	v_mov_b32_e32 v6, 0
	s_waitcnt vmcnt(0)
	v_cmp_gt_u32_e64 s[24:25], s82, v5
	v_mov_b32_e32 v5, 0
	s_and_saveexec_b64 s[26:27], s[24:25]
	s_cbranch_execz .LBB80_21
; %bb.20:                               ;   in Loop: Header=BB80_13 Depth=1
	global_load_ushort v6, v[0:1], off offset:384
.LBB80_21:                              ;   in Loop: Header=BB80_13 Depth=1
	s_or_b64 exec, exec, s[26:27]
	scratch_load_dword v7, off, off offset:192 ; 4-byte Folded Reload
	s_waitcnt vmcnt(0)
	v_cmp_gt_u32_e64 s[26:27], s82, v7
	s_and_saveexec_b64 s[28:29], s[26:27]
	s_cbranch_execz .LBB80_23
; %bb.22:                               ;   in Loop: Header=BB80_13 Depth=1
	global_load_ushort v5, v[0:1], off offset:512
.LBB80_23:                              ;   in Loop: Header=BB80_13 Depth=1
	;; [unrolled: 20-line block ×4, first 2 shown]
	s_or_b64 exec, exec, s[38:39]
	scratch_load_dword v10, off, off offset:212 ; 4-byte Folded Reload
	v_mov_b32_e32 v12, 0
	v_mov_b32_e32 v13, 0
	s_waitcnt vmcnt(0)
	v_cmp_gt_u32_e64 s[38:39], s82, v10
	s_and_saveexec_b64 s[40:41], s[38:39]
	s_cbranch_execz .LBB80_33
; %bb.32:                               ;   in Loop: Header=BB80_13 Depth=1
	global_load_ushort v13, v[0:1], off offset:1152
.LBB80_33:                              ;   in Loop: Header=BB80_13 Depth=1
	s_or_b64 exec, exec, s[40:41]
	scratch_load_dword v10, off, off offset:216 ; 4-byte Folded Reload
	s_waitcnt vmcnt(0)
	v_cmp_gt_u32_e64 s[40:41], s82, v10
	s_and_saveexec_b64 s[42:43], s[40:41]
	s_cbranch_execz .LBB80_35
; %bb.34:                               ;   in Loop: Header=BB80_13 Depth=1
	global_load_ushort v12, v[0:1], off offset:1280
.LBB80_35:                              ;   in Loop: Header=BB80_13 Depth=1
	s_or_b64 exec, exec, s[42:43]
	scratch_load_dword v10, off, off offset:220 ; 4-byte Folded Reload
	v_mov_b32_e32 v14, 0
	v_mov_b32_e32 v15, 0
	s_waitcnt vmcnt(0)
	v_cmp_gt_u32_e64 s[42:43], s82, v10
	s_and_saveexec_b64 s[44:45], s[42:43]
	s_cbranch_execz .LBB80_37
; %bb.36:                               ;   in Loop: Header=BB80_13 Depth=1
	global_load_ushort v15, v[0:1], off offset:1408
.LBB80_37:                              ;   in Loop: Header=BB80_13 Depth=1
	s_or_b64 exec, exec, s[44:45]
	scratch_load_dword v10, off, off offset:224 ; 4-byte Folded Reload
	s_waitcnt vmcnt(0)
	v_cmp_gt_u32_e64 s[44:45], s82, v10
	s_and_saveexec_b64 s[46:47], s[44:45]
	s_cbranch_execz .LBB80_39
; %bb.38:                               ;   in Loop: Header=BB80_13 Depth=1
	global_load_ushort v14, v[0:1], off offset:1536
.LBB80_39:                              ;   in Loop: Header=BB80_13 Depth=1
	;; [unrolled: 20-line block ×3, first 2 shown]
	s_or_b64 exec, exec, s[50:51]
	scratch_load_dword v10, off, off offset:236 ; 4-byte Folded Reload
	v_mov_b32_e32 v22, 0
	s_waitcnt vmcnt(0)
	v_cmp_gt_u32_e64 s[50:51], s82, v10
	v_mov_b32_e32 v10, 0
	s_and_saveexec_b64 s[52:53], s[50:51]
	s_cbranch_execz .LBB80_45
; %bb.44:                               ;   in Loop: Header=BB80_13 Depth=1
	global_load_ushort v22, v[0:1], off offset:1920
.LBB80_45:                              ;   in Loop: Header=BB80_13 Depth=1
	s_or_b64 exec, exec, s[52:53]
	scratch_load_dword v0, off, off         ; 4-byte Folded Reload
	v_readlane_b32 s0, v95, 4
	v_readlane_b32 s1, v95, 5
	s_waitcnt vmcnt(0)
	ds_write_b16 v0, v2
	scratch_load_dword v0, off, off offset:8 ; 4-byte Folded Reload
	s_waitcnt vmcnt(0)
	ds_write_b16 v0, v4 offset:128
	scratch_load_dword v0, off, off offset:12 ; 4-byte Folded Reload
	s_waitcnt vmcnt(0)
	ds_write_b16 v0, v3 offset:256
	;; [unrolled: 3-line block ×8, first 2 shown]
	scratch_load_dword v0, off, off offset:40 ; 4-byte Folded Reload
	v_lshl_add_u64 v[8:9], s[0:1], 0, v[16:17]
	s_waitcnt vmcnt(0)
	ds_write_b16 v0, v13 offset:1152
	scratch_load_dword v0, off, off offset:44 ; 4-byte Folded Reload
	s_waitcnt vmcnt(0)
	ds_write_b16 v0, v12 offset:1280
	scratch_load_dword v0, off, off offset:48 ; 4-byte Folded Reload
	;; [unrolled: 3-line block ×6, first 2 shown]
	s_waitcnt vmcnt(0)
	ds_write_b16 v0, v22 offset:1920
	; wave barrier
	scratch_load_dword v4, off, off offset:4 ; 4-byte Folded Reload
	s_waitcnt vmcnt(0)
	ds_read_b128 v[0:3], v4
	ds_read_b128 v[4:7], v4 offset:16
	s_waitcnt lgkmcnt(0)
	; wave barrier
	s_waitcnt lgkmcnt(0)
	s_and_saveexec_b64 s[52:53], s[18:19]
	s_cbranch_execz .LBB80_47
; %bb.46:                               ;   in Loop: Header=BB80_13 Depth=1
	global_load_ushort v10, v[8:9], off
.LBB80_47:                              ;   in Loop: Header=BB80_13 Depth=1
	s_or_b64 exec, exec, s[52:53]
	v_mov_b32_e32 v11, 0
	v_mov_b32_e32 v12, 0
	s_and_saveexec_b64 s[52:53], s[20:21]
	s_cbranch_execz .LBB80_49
; %bb.48:                               ;   in Loop: Header=BB80_13 Depth=1
	global_load_ushort v12, v[8:9], off offset:128
.LBB80_49:                              ;   in Loop: Header=BB80_13 Depth=1
	s_or_b64 exec, exec, s[52:53]
	s_and_saveexec_b64 s[52:53], s[22:23]
	s_cbranch_execz .LBB80_51
; %bb.50:                               ;   in Loop: Header=BB80_13 Depth=1
	global_load_ushort v11, v[8:9], off offset:256
.LBB80_51:                              ;   in Loop: Header=BB80_13 Depth=1
	s_or_b64 exec, exec, s[52:53]
	v_mov_b32_e32 v13, 0
	v_mov_b32_e32 v14, 0
	s_and_saveexec_b64 s[52:53], s[24:25]
	s_cbranch_execz .LBB80_53
; %bb.52:                               ;   in Loop: Header=BB80_13 Depth=1
	global_load_ushort v14, v[8:9], off offset:384
.LBB80_53:                              ;   in Loop: Header=BB80_13 Depth=1
	s_or_b64 exec, exec, s[52:53]
	s_and_saveexec_b64 s[52:53], s[26:27]
	s_cbranch_execz .LBB80_55
; %bb.54:                               ;   in Loop: Header=BB80_13 Depth=1
	global_load_ushort v13, v[8:9], off offset:512
.LBB80_55:                              ;   in Loop: Header=BB80_13 Depth=1
	;; [unrolled: 14-line block ×6, first 2 shown]
	s_or_b64 exec, exec, s[52:53]
	v_mov_b32_e32 v27, 0
	v_mov_b32_e32 v28, 0
	s_and_saveexec_b64 s[52:53], s[46:47]
	s_cbranch_execnz .LBB80_267
; %bb.72:                               ;   in Loop: Header=BB80_13 Depth=1
	s_or_b64 exec, exec, s[52:53]
	s_and_saveexec_b64 s[52:53], s[48:49]
	s_cbranch_execnz .LBB80_268
.LBB80_73:                              ;   in Loop: Header=BB80_13 Depth=1
	s_or_b64 exec, exec, s[52:53]
	v_mov_b32_e32 v29, 0
	s_and_saveexec_b64 s[52:53], s[50:51]
	s_cbranch_execz .LBB80_75
.LBB80_74:                              ;   in Loop: Header=BB80_13 Depth=1
	global_load_ushort v29, v[8:9], off offset:1920
.LBB80_75:                              ;   in Loop: Header=BB80_13 Depth=1
	s_or_b64 exec, exec, s[52:53]
	scratch_load_dword v8, off, off         ; 4-byte Folded Reload
	v_readlane_b32 s0, v95, 2
	s_waitcnt vmcnt(0)
	ds_write_b16 v8, v10
	scratch_load_dword v8, off, off offset:8 ; 4-byte Folded Reload
	s_waitcnt vmcnt(0)
	ds_write_b16 v8, v12 offset:128
	scratch_load_dword v8, off, off offset:12 ; 4-byte Folded Reload
	s_waitcnt vmcnt(0)
	ds_write_b16 v8, v11 offset:256
	scratch_load_dword v8, off, off offset:16 ; 4-byte Folded Reload
	s_waitcnt vmcnt(0)
	ds_write_b16 v8, v14 offset:384
	scratch_load_dword v8, off, off offset:20 ; 4-byte Folded Reload
	s_waitcnt vmcnt(0)
	ds_write_b16 v8, v13 offset:512
	scratch_load_dword v8, off, off offset:24 ; 4-byte Folded Reload
	s_waitcnt vmcnt(0)
	ds_write_b16 v8, v18 offset:640
	scratch_load_dword v8, off, off offset:28 ; 4-byte Folded Reload
	s_waitcnt vmcnt(0)
	ds_write_b16 v8, v15 offset:768
	scratch_load_dword v8, off, off offset:32 ; 4-byte Folded Reload
	s_waitcnt vmcnt(0)
	ds_write_b16 v8, v22 offset:896
	scratch_load_dword v8, off, off offset:36 ; 4-byte Folded Reload
	s_waitcnt vmcnt(0)
	ds_write_b16 v8, v19 offset:1024
	scratch_load_dword v8, off, off offset:40 ; 4-byte Folded Reload
	s_waitcnt vmcnt(0)
	ds_write_b16 v8, v24 offset:1152
	scratch_load_dword v8, off, off offset:44 ; 4-byte Folded Reload
	s_waitcnt vmcnt(0)
	ds_write_b16 v8, v23 offset:1280
	scratch_load_dword v8, off, off offset:48 ; 4-byte Folded Reload
	s_waitcnt vmcnt(0)
	ds_write_b16 v8, v26 offset:1408
	scratch_load_dword v8, off, off offset:52 ; 4-byte Folded Reload
	s_waitcnt vmcnt(0)
	ds_write_b16 v8, v25 offset:1536
	scratch_load_dword v8, off, off offset:56 ; 4-byte Folded Reload
	s_waitcnt vmcnt(0)
	ds_write_b16 v8, v28 offset:1664
	scratch_load_dword v8, off, off offset:60 ; 4-byte Folded Reload
	s_waitcnt vmcnt(0)
	ds_write_b16 v8, v27 offset:1792
	scratch_load_dword v8, off, off offset:64 ; 4-byte Folded Reload
	s_waitcnt vmcnt(0)
	ds_write_b16 v8, v29 offset:1920
	; wave barrier
	scratch_load_dword v8, off, off offset:4 ; 4-byte Folded Reload
	s_waitcnt vmcnt(0)
	ds_read_b128 v[12:15], v8
	ds_read_b128 v[8:11], v8 offset:16
	s_waitcnt lgkmcnt(1)
	v_cvt_f32_f16_e32 v18, v12
	v_add_f32_e32 v22, s0, v18
	v_cmp_ge_f32_e32 vcc, s4, v22
	s_and_b64 s[0:1], s[6:7], vcc
	s_and_saveexec_b64 s[54:55], s[0:1]
	s_cbranch_execz .LBB80_77
; %bb.76:                               ;   in Loop: Header=BB80_13 Depth=1
	v_mul_f32_e32 v18, 0x3fb8aa3b, v22
	v_rndne_f32_e32 v19, v18
	v_sub_f32_e32 v23, v18, v19
	v_fma_f32 v18, v22, s5, -v18
	v_fmac_f32_e32 v18, 0x32a5705f, v22
	v_add_f32_e32 v18, v23, v18
	v_cvt_i32_f32_e32 v19, v19
	v_exp_f32_e32 v18, v18
	v_cmp_ngt_f32_e32 vcc, s8, v22
	v_ldexp_f32 v18, v18, v19
	s_nop 0
	v_cndmask_b32_e32 v18, 0, v18, vcc
	v_cmp_nlt_f32_e32 vcc, s9, v22
	s_nop 1
	v_cndmask_b32_e32 v36, v39, v18, vcc
	v_add_f32_e32 v22, 1.0, v36
	v_add_f32_e32 v18, -1.0, v22
	v_sub_f32_e32 v19, v18, v22
	v_add_f32_e32 v19, 1.0, v19
	v_sub_f32_e32 v18, v36, v18
	v_add_f32_e32 v23, v18, v19
	v_frexp_mant_f32_e32 v24, v22
	v_cvt_f64_f32_e32 v[18:19], v22
	v_frexp_exp_i32_f64_e32 v18, v[18:19]
	v_cmp_gt_f32_e32 vcc, s11, v24
	v_cmp_gt_f32_e64 s[52:53], s57, v36
	s_nop 0
	v_subbrev_co_u32_e32 v28, vcc, 0, v18, vcc
	v_sub_u32_e32 v18, 0, v28
	v_ldexp_f32 v19, v22, v18
	v_add_f32_e32 v22, -1.0, v19
	v_add_f32_e32 v24, 1.0, v19
	v_ldexp_f32 v18, v23, v18
	v_add_f32_e32 v23, 1.0, v22
	v_add_f32_e32 v25, -1.0, v24
	v_sub_f32_e32 v23, v19, v23
	v_sub_f32_e32 v19, v19, v25
	v_add_f32_e32 v23, v18, v23
	v_add_f32_e32 v18, v18, v19
	;; [unrolled: 1-line block ×3, first 2 shown]
	v_rcp_f32_e32 v31, v29
	v_sub_f32_e32 v19, v24, v29
	v_add_f32_e32 v30, v18, v19
	v_add_f32_e32 v19, v22, v23
	v_mul_f32_e32 v33, v19, v31
	v_sub_f32_e32 v18, v22, v19
	v_mul_f32_e32 v22, v29, v33
	v_fma_f32 v24, v33, v29, -v22
	v_fmac_f32_e32 v24, v33, v30
	v_add_f32_e32 v32, v23, v18
	v_add_f32_e32 v18, v22, v24
	v_sub_f32_e32 v23, v19, v18
	v_pk_add_f32 v[26:27], v[18:19], v[22:23] neg_lo:[0,1] neg_hi:[0,1]
	v_mov_b32_e32 v25, v18
	v_pk_add_f32 v[18:19], v[26:27], v[24:25] neg_lo:[0,1] neg_hi:[0,1]
	v_cmp_eq_f32_e32 vcc, s10, v36
	v_add_f32_e32 v19, v32, v19
	v_add_f32_e32 v18, v18, v19
	;; [unrolled: 1-line block ×3, first 2 shown]
	v_mul_f32_e32 v32, v31, v19
	v_mul_f32_e32 v22, v29, v32
	v_fma_f32 v24, v32, v29, -v22
	v_fmac_f32_e32 v24, v32, v30
	v_sub_f32_e32 v23, v23, v19
	v_add_f32_e32 v29, v18, v23
	v_add_f32_e32 v18, v22, v24
	v_sub_f32_e32 v23, v19, v18
	v_pk_add_f32 v[26:27], v[18:19], v[22:23] neg_lo:[0,1] neg_hi:[0,1]
	v_mov_b32_e32 v25, v18
	v_pk_add_f32 v[18:19], v[26:27], v[24:25] neg_lo:[0,1] neg_hi:[0,1]
	scratch_load_dwordx2 v[26:27], off, off offset:164 ; 8-byte Folded Reload
	v_add_f32_e32 v19, v29, v19
	v_add_f32_e32 v18, v18, v19
	;; [unrolled: 1-line block ×4, first 2 shown]
	v_sub_f32_e32 v22, v19, v33
	v_mul_f32_e32 v18, v31, v18
	v_sub_f32_e32 v22, v32, v22
	v_add_f32_e32 v22, v22, v18
	v_add_f32_e32 v24, v19, v22
	v_mul_f32_e32 v25, v24, v24
	v_mov_b32_e32 v18, 0x3ecc95a3
	v_fmamk_f32 v18, v25, 0x3e9b6dac, v18
	v_fmaak_f32 v31, v25, v18, 0x3f2aaada
	v_cvt_f32_i32_e32 v18, v28
	v_sub_f32_e32 v19, v24, v19
	v_sub_f32_e32 v19, v22, v19
	v_ldexp_f32 v23, v24, 1
	s_or_b64 vcc, s[52:53], vcc
	s_waitcnt vmcnt(0)
	v_mov_b32_e32 v30, v26
	v_ldexp_f32 v26, v19, 1
	v_mul_f32_e32 v19, v24, v25
	v_mov_b32_e32 v22, v30
	v_pk_mul_f32 v[24:25], v[18:19], v[30:31]
	scratch_store_dwordx2 off, v[22:23], off offset:164 ; 8-byte Folded Spill
	v_fma_f32 v22, v18, s56, -v24
	v_fmac_f32_e32 v22, 0xb102e308, v18
	v_pk_add_f32 v[18:19], v[24:25], v[22:23]
	s_nop 0
	v_sub_f32_e32 v23, v19, v23
	v_sub_f32_e32 v23, v25, v23
	v_add_f32_e32 v27, v26, v23
	v_mov_b32_e32 v26, v24
	v_pk_add_f32 v[24:25], v[18:19], v[24:25] neg_lo:[0,1] neg_hi:[0,1]
	v_pk_add_f32 v[28:29], v[18:19], v[26:27]
	v_mov_b32_e32 v23, v18
	v_mov_b32_e32 v25, v29
	v_pk_add_f32 v[30:31], v[22:23], v[24:25] neg_lo:[0,1] neg_hi:[0,1]
	v_pk_add_f32 v[22:23], v[22:23], v[24:25]
	v_mov_b32_e32 v26, v27
	v_mov_b32_e32 v24, v23
	v_pk_add_f32 v[32:33], v[24:25], v[18:19] neg_lo:[0,1] neg_hi:[0,1]
	v_mov_b32_e32 v22, v29
	v_mov_b32_e32 v25, v32
	v_pk_add_f32 v[34:35], v[28:29], v[24:25] neg_lo:[0,1] neg_hi:[0,1]
	v_mov_b32_e32 v28, v19
	v_mov_b32_e32 v29, v32
	;; [unrolled: 1-line block ×3, first 2 shown]
	v_pk_add_f32 v[22:23], v[22:23], v[28:29] neg_lo:[0,1] neg_hi:[0,1]
	v_mov_b32_e32 v27, v18
	v_pk_add_f32 v[18:19], v[26:27], v[22:23] neg_lo:[0,1] neg_hi:[0,1]
	v_mov_b32_e32 v34, v30
	v_pk_add_f32 v[22:23], v[34:35], v[18:19]
	s_nop 0
	v_mov_b32_e32 v26, v23
	v_pk_add_f32 v[26:27], v[22:23], v[26:27]
	s_nop 0
	v_pk_add_f32 v[24:25], v[24:25], v[26:27]
	v_mov_b32_e32 v19, v26
	v_mov_b32_e32 v23, v24
	v_pk_add_f32 v[28:29], v[22:23], v[30:31] neg_lo:[0,1] neg_hi:[0,1]
	s_nop 0
	v_sub_f32_e32 v22, v22, v28
	v_pk_add_f32 v[18:19], v[18:19], v[28:29] neg_lo:[0,1] neg_hi:[0,1]
	v_sub_f32_e32 v22, v30, v22
	v_add_f32_e32 v18, v18, v22
	v_add_f32_e32 v18, v18, v19
	v_add_f32_e32 v18, v24, v18
	v_cndmask_b32_e32 v22, v18, v36, vcc
.LBB80_77:                              ;   in Loop: Header=BB80_13 Depth=1
	s_or_b64 exec, exec, s[54:55]
	v_cvt_f32_f16_sdwa v12, v12 dst_sel:DWORD dst_unused:UNUSED_PAD src0_sel:WORD_1
	v_readlane_b32 s0, v95, 2
	s_nop 1
	v_add_f32_e32 v23, s0, v12
	v_cmp_ge_f32_e32 vcc, s4, v23
	s_and_b64 s[0:1], s[6:7], vcc
	s_and_saveexec_b64 s[54:55], s[0:1]
	s_cbranch_execz .LBB80_79
; %bb.78:                               ;   in Loop: Header=BB80_13 Depth=1
	v_mul_f32_e32 v12, 0x3fb8aa3b, v23
	v_rndne_f32_e32 v18, v12
	v_sub_f32_e32 v19, v12, v18
	v_fma_f32 v12, v23, s5, -v12
	v_fmac_f32_e32 v12, 0x32a5705f, v23
	v_add_f32_e32 v12, v19, v12
	v_cvt_i32_f32_e32 v18, v18
	v_exp_f32_e32 v12, v12
	v_cmp_ngt_f32_e32 vcc, s8, v23
	v_ldexp_f32 v12, v12, v18
	s_nop 0
	v_cndmask_b32_e32 v12, 0, v12, vcc
	v_cmp_nlt_f32_e32 vcc, s9, v23
	s_nop 1
	v_cndmask_b32_e32 v36, v39, v12, vcc
	v_add_f32_e32 v12, 1.0, v36
	v_add_f32_e32 v18, -1.0, v12
	v_sub_f32_e32 v19, v18, v12
	v_add_f32_e32 v19, 1.0, v19
	v_sub_f32_e32 v18, v36, v18
	v_add_f32_e32 v23, v18, v19
	v_frexp_mant_f32_e32 v24, v12
	v_cvt_f64_f32_e32 v[18:19], v12
	v_frexp_exp_i32_f64_e32 v18, v[18:19]
	v_cmp_gt_f32_e32 vcc, s11, v24
	v_cmp_gt_f32_e64 s[52:53], s57, v36
	s_nop 0
	v_subbrev_co_u32_e32 v30, vcc, 0, v18, vcc
	v_sub_u32_e32 v18, 0, v30
	v_ldexp_f32 v12, v12, v18
	v_ldexp_f32 v18, v23, v18
	v_add_f32_e32 v23, -1.0, v12
	v_add_f32_e32 v19, 1.0, v23
	v_sub_f32_e32 v19, v12, v19
	v_add_f32_e32 v24, v18, v19
	v_add_f32_e32 v19, 1.0, v12
	v_add_f32_e32 v25, -1.0, v19
	v_sub_f32_e32 v12, v12, v25
	v_add_f32_e32 v12, v18, v12
	v_add_f32_e32 v31, v19, v12
	v_rcp_f32_e32 v32, v31
	v_sub_f32_e32 v18, v19, v31
	v_add_f32_e32 v19, v23, v24
	v_add_f32_e32 v12, v12, v18
	v_sub_f32_e32 v18, v23, v19
	v_mul_f32_e32 v33, v19, v32
	v_add_f32_e32 v23, v24, v18
	v_mul_f32_e32 v24, v31, v33
	v_fma_f32 v26, v33, v31, -v24
	v_fmac_f32_e32 v26, v33, v12
	v_add_f32_e32 v18, v24, v26
	v_sub_f32_e32 v25, v19, v18
	v_pk_add_f32 v[28:29], v[18:19], v[24:25] neg_lo:[0,1] neg_hi:[0,1]
	v_mov_b32_e32 v27, v18
	v_pk_add_f32 v[18:19], v[28:29], v[26:27] neg_lo:[0,1] neg_hi:[0,1]
	v_cmp_eq_f32_e32 vcc, s10, v36
	v_add_f32_e32 v19, v23, v19
	v_add_f32_e32 v18, v18, v19
	;; [unrolled: 1-line block ×3, first 2 shown]
	v_mul_f32_e32 v23, v32, v19
	v_mul_f32_e32 v24, v31, v23
	v_fma_f32 v26, v23, v31, -v24
	v_fmac_f32_e32 v26, v23, v12
	v_sub_f32_e32 v12, v25, v19
	v_add_f32_e32 v12, v18, v12
	v_add_f32_e32 v18, v24, v26
	v_sub_f32_e32 v25, v19, v18
	v_pk_add_f32 v[28:29], v[18:19], v[24:25] neg_lo:[0,1] neg_hi:[0,1]
	v_mov_b32_e32 v27, v18
	v_pk_add_f32 v[18:19], v[28:29], v[26:27] neg_lo:[0,1] neg_hi:[0,1]
	scratch_load_dwordx2 v[26:27], off, off offset:164 ; 8-byte Folded Reload
	v_add_f32_e32 v12, v12, v19
	v_add_f32_e32 v12, v18, v12
	;; [unrolled: 1-line block ×4, first 2 shown]
	v_sub_f32_e32 v18, v19, v33
	v_mul_f32_e32 v12, v32, v12
	v_sub_f32_e32 v18, v23, v18
	v_add_f32_e32 v12, v18, v12
	v_add_f32_e32 v23, v19, v12
	v_mul_f32_e32 v24, v23, v23
	v_mov_b32_e32 v18, 0x3ecc95a3
	v_fmamk_f32 v18, v24, 0x3e9b6dac, v18
	s_waitcnt vmcnt(0)
	v_fmaak_f32 v27, v24, v18, 0x3f2aaada
	v_cvt_f32_i32_e32 v18, v30
	v_sub_f32_e32 v19, v23, v19
	v_sub_f32_e32 v12, v12, v19
	v_mul_f32_e32 v19, v23, v24
	v_ldexp_f32 v25, v23, 1
	v_ldexp_f32 v12, v12, 1
	s_or_b64 vcc, s[52:53], vcc
	v_mov_b32_e32 v24, v26
	v_pk_mul_f32 v[26:27], v[18:19], v[26:27]
	scratch_store_dwordx2 off, v[24:25], off offset:164 ; 8-byte Folded Spill
	v_fma_f32 v24, v18, s56, -v26
	v_fmac_f32_e32 v24, 0xb102e308, v18
	v_pk_add_f32 v[18:19], v[26:27], v[24:25]
	v_mov_b32_e32 v28, v26
	v_sub_f32_e32 v23, v19, v25
	v_sub_f32_e32 v23, v27, v23
	v_add_f32_e32 v29, v12, v23
	v_pk_add_f32 v[26:27], v[18:19], v[26:27] neg_lo:[0,1] neg_hi:[0,1]
	v_pk_add_f32 v[30:31], v[18:19], v[28:29]
	v_mov_b32_e32 v25, v18
	v_mov_b32_e32 v27, v31
	v_pk_add_f32 v[32:33], v[24:25], v[26:27] neg_lo:[0,1] neg_hi:[0,1]
	v_pk_add_f32 v[24:25], v[24:25], v[26:27]
	s_nop 0
	v_mov_b32_e32 v12, v25
	v_pk_add_f32 v[26:27], v[12:13], v[18:19] neg_lo:[0,1] neg_hi:[0,1]
	v_mov_b32_e32 v24, v31
	v_mov_b32_e32 v23, v26
	v_pk_add_f32 v[34:35], v[30:31], v[22:23] neg_lo:[0,1] neg_hi:[0,1]
	v_mov_b32_e32 v30, v19
	v_mov_b32_e32 v31, v26
	;; [unrolled: 1-line block ×3, first 2 shown]
	v_pk_add_f32 v[24:25], v[24:25], v[30:31] neg_lo:[0,1] neg_hi:[0,1]
	v_mov_b32_e32 v26, v29
	v_mov_b32_e32 v27, v18
	v_pk_add_f32 v[18:19], v[26:27], v[24:25] neg_lo:[0,1] neg_hi:[0,1]
	v_mov_b32_e32 v34, v32
	v_pk_add_f32 v[24:25], v[34:35], v[18:19]
	s_nop 0
	v_mov_b32_e32 v26, v25
	v_pk_add_f32 v[26:27], v[24:25], v[26:27]
	s_nop 0
	v_pk_add_f32 v[28:29], v[12:13], v[26:27]
	v_mov_b32_e32 v19, v26
	v_mov_b32_e32 v25, v28
	v_pk_add_f32 v[30:31], v[24:25], v[32:33] neg_lo:[0,1] neg_hi:[0,1]
	s_nop 0
	v_sub_f32_e32 v12, v24, v30
	v_pk_add_f32 v[18:19], v[18:19], v[30:31] neg_lo:[0,1] neg_hi:[0,1]
	v_sub_f32_e32 v12, v32, v12
	v_add_f32_e32 v12, v18, v12
	v_add_f32_e32 v12, v12, v19
	;; [unrolled: 1-line block ×3, first 2 shown]
	v_cndmask_b32_e32 v23, v12, v36, vcc
.LBB80_79:                              ;   in Loop: Header=BB80_13 Depth=1
	s_or_b64 exec, exec, s[54:55]
	v_cvt_f32_f16_e32 v12, v13
	v_readlane_b32 s0, v95, 2
	s_nop 1
	v_add_f32_e32 v24, s0, v12
	v_cmp_ge_f32_e32 vcc, s4, v24
	s_and_b64 s[0:1], s[6:7], vcc
	s_and_saveexec_b64 s[54:55], s[0:1]
	s_cbranch_execz .LBB80_81
; %bb.80:                               ;   in Loop: Header=BB80_13 Depth=1
	v_mul_f32_e32 v12, 0x3fb8aa3b, v24
	v_rndne_f32_e32 v18, v12
	v_sub_f32_e32 v19, v12, v18
	v_fma_f32 v12, v24, s5, -v12
	v_fmac_f32_e32 v12, 0x32a5705f, v24
	v_add_f32_e32 v12, v19, v12
	v_cvt_i32_f32_e32 v18, v18
	v_exp_f32_e32 v12, v12
	v_cmp_ngt_f32_e32 vcc, s8, v24
	v_ldexp_f32 v12, v12, v18
	s_nop 0
	v_cndmask_b32_e32 v12, 0, v12, vcc
	v_cmp_nlt_f32_e32 vcc, s9, v24
	s_nop 1
	v_cndmask_b32_e32 v36, v39, v12, vcc
	v_add_f32_e32 v12, 1.0, v36
	v_add_f32_e32 v18, -1.0, v12
	v_sub_f32_e32 v19, v18, v12
	v_add_f32_e32 v19, 1.0, v19
	v_sub_f32_e32 v18, v36, v18
	v_add_f32_e32 v24, v18, v19
	v_frexp_mant_f32_e32 v25, v12
	v_cvt_f64_f32_e32 v[18:19], v12
	v_frexp_exp_i32_f64_e32 v18, v[18:19]
	v_cmp_gt_f32_e32 vcc, s11, v25
	v_cmp_gt_f32_e64 s[52:53], s57, v36
	s_nop 0
	v_subbrev_co_u32_e32 v30, vcc, 0, v18, vcc
	v_sub_u32_e32 v18, 0, v30
	v_ldexp_f32 v12, v12, v18
	v_ldexp_f32 v18, v24, v18
	v_add_f32_e32 v24, -1.0, v12
	v_add_f32_e32 v19, 1.0, v24
	v_sub_f32_e32 v19, v12, v19
	v_add_f32_e32 v25, v18, v19
	v_add_f32_e32 v19, 1.0, v12
	v_add_f32_e32 v26, -1.0, v19
	v_sub_f32_e32 v12, v12, v26
	v_add_f32_e32 v12, v18, v12
	v_add_f32_e32 v31, v19, v12
	v_rcp_f32_e32 v32, v31
	v_sub_f32_e32 v18, v19, v31
	v_add_f32_e32 v19, v24, v25
	v_add_f32_e32 v12, v12, v18
	v_mul_f32_e32 v34, v19, v32
	v_sub_f32_e32 v18, v24, v19
	v_mul_f32_e32 v24, v31, v34
	v_fma_f32 v26, v34, v31, -v24
	v_fmac_f32_e32 v26, v34, v12
	v_add_f32_e32 v33, v25, v18
	v_add_f32_e32 v18, v24, v26
	v_sub_f32_e32 v25, v19, v18
	v_pk_add_f32 v[28:29], v[18:19], v[24:25] neg_lo:[0,1] neg_hi:[0,1]
	v_mov_b32_e32 v27, v18
	v_pk_add_f32 v[18:19], v[28:29], v[26:27] neg_lo:[0,1] neg_hi:[0,1]
	v_cmp_eq_f32_e32 vcc, s10, v36
	v_add_f32_e32 v19, v33, v19
	v_add_f32_e32 v18, v18, v19
	;; [unrolled: 1-line block ×3, first 2 shown]
	v_mul_f32_e32 v33, v32, v19
	v_mul_f32_e32 v24, v31, v33
	v_fma_f32 v26, v33, v31, -v24
	v_fmac_f32_e32 v26, v33, v12
	v_sub_f32_e32 v12, v25, v19
	v_add_f32_e32 v12, v18, v12
	v_add_f32_e32 v18, v24, v26
	v_sub_f32_e32 v25, v19, v18
	v_pk_add_f32 v[28:29], v[18:19], v[24:25] neg_lo:[0,1] neg_hi:[0,1]
	v_mov_b32_e32 v27, v18
	v_pk_add_f32 v[18:19], v[28:29], v[26:27] neg_lo:[0,1] neg_hi:[0,1]
	scratch_load_dwordx2 v[28:29], off, off offset:164 ; 8-byte Folded Reload
	v_add_f32_e32 v12, v12, v19
	v_add_f32_e32 v12, v18, v12
	;; [unrolled: 1-line block ×4, first 2 shown]
	v_sub_f32_e32 v18, v19, v34
	v_mul_f32_e32 v12, v32, v12
	v_sub_f32_e32 v18, v33, v18
	v_add_f32_e32 v12, v18, v12
	v_add_f32_e32 v24, v19, v12
	v_mul_f32_e32 v26, v24, v24
	v_mov_b32_e32 v18, 0x3ecc95a3
	v_fmamk_f32 v18, v26, 0x3e9b6dac, v18
	s_waitcnt vmcnt(0)
	v_fmaak_f32 v29, v26, v18, 0x3f2aaada
	v_cvt_f32_i32_e32 v18, v30
	v_sub_f32_e32 v19, v24, v19
	v_sub_f32_e32 v12, v12, v19
	v_mul_f32_e32 v19, v24, v26
	v_ldexp_f32 v25, v24, 1
	v_ldexp_f32 v12, v12, 1
	s_or_b64 vcc, s[52:53], vcc
	v_mov_b32_e32 v24, v28
	v_pk_mul_f32 v[26:27], v[18:19], v[28:29]
	scratch_store_dwordx2 off, v[24:25], off offset:164 ; 8-byte Folded Spill
	v_fma_f32 v24, v18, s56, -v26
	v_fmac_f32_e32 v24, 0xb102e308, v18
	v_pk_add_f32 v[18:19], v[26:27], v[24:25]
	v_mov_b32_e32 v28, v26
	v_sub_f32_e32 v25, v19, v25
	v_sub_f32_e32 v25, v27, v25
	v_add_f32_e32 v29, v12, v25
	v_pk_add_f32 v[26:27], v[18:19], v[26:27] neg_lo:[0,1] neg_hi:[0,1]
	v_pk_add_f32 v[30:31], v[18:19], v[28:29]
	v_mov_b32_e32 v25, v18
	v_mov_b32_e32 v27, v31
	v_pk_add_f32 v[32:33], v[24:25], v[26:27] neg_lo:[0,1] neg_hi:[0,1]
	v_pk_add_f32 v[24:25], v[24:25], v[26:27]
	s_nop 0
	v_mov_b32_e32 v12, v25
	v_pk_add_f32 v[26:27], v[12:13], v[18:19] neg_lo:[0,1] neg_hi:[0,1]
	v_mov_b32_e32 v24, v31
	v_mov_b32_e32 v27, v26
	v_pk_add_f32 v[34:35], v[30:31], v[26:27] neg_lo:[0,1] neg_hi:[0,1]
	v_mov_b32_e32 v30, v19
	v_mov_b32_e32 v31, v26
	;; [unrolled: 1-line block ×3, first 2 shown]
	v_pk_add_f32 v[24:25], v[24:25], v[30:31] neg_lo:[0,1] neg_hi:[0,1]
	v_mov_b32_e32 v26, v29
	v_mov_b32_e32 v27, v18
	v_pk_add_f32 v[18:19], v[26:27], v[24:25] neg_lo:[0,1] neg_hi:[0,1]
	v_mov_b32_e32 v34, v32
	v_pk_add_f32 v[24:25], v[34:35], v[18:19]
	s_nop 0
	v_mov_b32_e32 v26, v25
	v_pk_add_f32 v[26:27], v[24:25], v[26:27]
	s_nop 0
	v_pk_add_f32 v[28:29], v[12:13], v[26:27]
	v_mov_b32_e32 v19, v26
	v_mov_b32_e32 v25, v28
	v_pk_add_f32 v[30:31], v[24:25], v[32:33] neg_lo:[0,1] neg_hi:[0,1]
	s_nop 0
	v_sub_f32_e32 v12, v24, v30
	v_pk_add_f32 v[18:19], v[18:19], v[30:31] neg_lo:[0,1] neg_hi:[0,1]
	v_sub_f32_e32 v12, v32, v12
	v_add_f32_e32 v12, v18, v12
	v_add_f32_e32 v12, v12, v19
	;; [unrolled: 1-line block ×3, first 2 shown]
	v_cndmask_b32_e32 v24, v12, v36, vcc
.LBB80_81:                              ;   in Loop: Header=BB80_13 Depth=1
	s_or_b64 exec, exec, s[54:55]
	v_cvt_f32_f16_sdwa v12, v13 dst_sel:DWORD dst_unused:UNUSED_PAD src0_sel:WORD_1
	v_readlane_b32 s0, v95, 2
	s_nop 1
	v_add_f32_e32 v25, s0, v12
	v_cmp_ge_f32_e32 vcc, s4, v25
	s_and_b64 s[0:1], s[6:7], vcc
	s_and_saveexec_b64 s[54:55], s[0:1]
	s_cbranch_execz .LBB80_83
; %bb.82:                               ;   in Loop: Header=BB80_13 Depth=1
	v_mul_f32_e32 v12, 0x3fb8aa3b, v25
	v_rndne_f32_e32 v13, v12
	v_sub_f32_e32 v18, v12, v13
	v_fma_f32 v12, v25, s5, -v12
	v_fmac_f32_e32 v12, 0x32a5705f, v25
	v_add_f32_e32 v12, v18, v12
	v_cvt_i32_f32_e32 v13, v13
	v_exp_f32_e32 v12, v12
	v_cmp_ngt_f32_e32 vcc, s8, v25
	v_ldexp_f32 v12, v12, v13
	s_nop 0
	v_cndmask_b32_e32 v12, 0, v12, vcc
	v_cmp_nlt_f32_e32 vcc, s9, v25
	s_nop 1
	v_cndmask_b32_e32 v38, v39, v12, vcc
	v_add_f32_e32 v18, 1.0, v38
	v_add_f32_e32 v12, -1.0, v18
	v_sub_f32_e32 v13, v12, v18
	v_add_f32_e32 v13, 1.0, v13
	v_sub_f32_e32 v12, v38, v12
	v_add_f32_e32 v19, v12, v13
	v_frexp_mant_f32_e32 v25, v18
	v_cvt_f64_f32_e32 v[12:13], v18
	v_frexp_exp_i32_f64_e32 v12, v[12:13]
	v_cmp_gt_f32_e32 vcc, s11, v25
	v_cmp_gt_f32_e64 s[52:53], s57, v38
	s_nop 0
	v_subbrev_co_u32_e32 v25, vcc, 0, v12, vcc
	v_sub_u32_e32 v12, 0, v25
	v_ldexp_f32 v13, v18, v12
	v_add_f32_e32 v18, -1.0, v13
	v_add_f32_e32 v26, 1.0, v13
	v_ldexp_f32 v12, v19, v12
	v_add_f32_e32 v19, 1.0, v18
	v_add_f32_e32 v27, -1.0, v26
	v_sub_f32_e32 v19, v13, v19
	v_sub_f32_e32 v13, v13, v27
	v_add_f32_e32 v19, v12, v19
	v_add_f32_e32 v12, v12, v13
	;; [unrolled: 1-line block ×3, first 2 shown]
	v_rcp_f32_e32 v32, v30
	v_sub_f32_e32 v13, v26, v30
	v_add_f32_e32 v31, v12, v13
	v_add_f32_e32 v13, v18, v19
	v_mul_f32_e32 v34, v13, v32
	v_sub_f32_e32 v12, v18, v13
	v_mul_f32_e32 v18, v30, v34
	v_fma_f32 v26, v34, v30, -v18
	v_fmac_f32_e32 v26, v34, v31
	v_add_f32_e32 v33, v19, v12
	v_add_f32_e32 v12, v18, v26
	v_sub_f32_e32 v19, v13, v12
	v_pk_add_f32 v[28:29], v[12:13], v[18:19] neg_lo:[0,1] neg_hi:[0,1]
	v_mov_b32_e32 v27, v12
	v_pk_add_f32 v[12:13], v[28:29], v[26:27] neg_lo:[0,1] neg_hi:[0,1]
	v_cmp_eq_f32_e32 vcc, s10, v38
	v_add_f32_e32 v13, v33, v13
	v_add_f32_e32 v12, v12, v13
	v_add_f32_e32 v13, v19, v12
	v_mul_f32_e32 v33, v32, v13
	v_mul_f32_e32 v18, v30, v33
	v_fma_f32 v26, v33, v30, -v18
	v_fmac_f32_e32 v26, v33, v31
	v_sub_f32_e32 v19, v19, v13
	v_add_f32_e32 v30, v12, v19
	v_add_f32_e32 v12, v18, v26
	v_sub_f32_e32 v19, v13, v12
	v_pk_add_f32 v[28:29], v[12:13], v[18:19] neg_lo:[0,1] neg_hi:[0,1]
	v_mov_b32_e32 v27, v12
	v_pk_add_f32 v[12:13], v[28:29], v[26:27] neg_lo:[0,1] neg_hi:[0,1]
	scratch_load_dwordx2 v[28:29], off, off offset:164 ; 8-byte Folded Reload
	v_add_f32_e32 v13, v30, v13
	v_add_f32_e32 v12, v12, v13
	;; [unrolled: 1-line block ×4, first 2 shown]
	v_sub_f32_e32 v18, v13, v34
	v_mul_f32_e32 v12, v32, v12
	v_sub_f32_e32 v18, v33, v18
	v_add_f32_e32 v18, v18, v12
	v_add_f32_e32 v26, v13, v18
	v_mul_f32_e32 v27, v26, v26
	v_mov_b32_e32 v12, 0x3ecc95a3
	v_fmamk_f32 v12, v27, 0x3e9b6dac, v12
	s_waitcnt vmcnt(0)
	v_fmaak_f32 v29, v27, v12, 0x3f2aaada
	v_cvt_f32_i32_e32 v12, v25
	v_sub_f32_e32 v13, v26, v13
	v_sub_f32_e32 v13, v18, v13
	v_ldexp_f32 v25, v13, 1
	v_mul_f32_e32 v13, v26, v27
	v_ldexp_f32 v19, v26, 1
	s_or_b64 vcc, s[52:53], vcc
	v_mov_b32_e32 v18, v28
	v_pk_mul_f32 v[26:27], v[12:13], v[28:29]
	scratch_store_dwordx2 off, v[18:19], off offset:164 ; 8-byte Folded Spill
	v_fma_f32 v18, v12, s56, -v26
	v_fmac_f32_e32 v18, 0xb102e308, v12
	v_pk_add_f32 v[12:13], v[26:27], v[18:19]
	v_mov_b32_e32 v28, v26
	v_sub_f32_e32 v19, v13, v19
	v_sub_f32_e32 v19, v27, v19
	v_add_f32_e32 v29, v25, v19
	v_pk_add_f32 v[26:27], v[12:13], v[26:27] neg_lo:[0,1] neg_hi:[0,1]
	v_pk_add_f32 v[30:31], v[12:13], v[28:29]
	v_mov_b32_e32 v19, v12
	v_mov_b32_e32 v27, v31
	v_pk_add_f32 v[32:33], v[18:19], v[26:27] neg_lo:[0,1] neg_hi:[0,1]
	v_pk_add_f32 v[18:19], v[18:19], v[26:27]
	v_mov_b32_e32 v28, v29
	v_mov_b32_e32 v26, v19
	v_pk_add_f32 v[34:35], v[26:27], v[12:13] neg_lo:[0,1] neg_hi:[0,1]
	v_mov_b32_e32 v18, v31
	v_mov_b32_e32 v25, v34
	v_pk_add_f32 v[36:37], v[30:31], v[24:25] neg_lo:[0,1] neg_hi:[0,1]
	v_mov_b32_e32 v30, v13
	v_mov_b32_e32 v31, v34
	;; [unrolled: 1-line block ×3, first 2 shown]
	v_pk_add_f32 v[18:19], v[18:19], v[30:31] neg_lo:[0,1] neg_hi:[0,1]
	v_mov_b32_e32 v29, v12
	v_pk_add_f32 v[12:13], v[28:29], v[18:19] neg_lo:[0,1] neg_hi:[0,1]
	v_mov_b32_e32 v36, v32
	v_pk_add_f32 v[18:19], v[36:37], v[12:13]
	s_nop 0
	v_mov_b32_e32 v28, v19
	v_pk_add_f32 v[28:29], v[18:19], v[28:29]
	s_nop 0
	v_pk_add_f32 v[26:27], v[26:27], v[28:29]
	v_mov_b32_e32 v13, v28
	v_mov_b32_e32 v19, v26
	v_pk_add_f32 v[30:31], v[18:19], v[32:33] neg_lo:[0,1] neg_hi:[0,1]
	s_nop 0
	v_sub_f32_e32 v18, v18, v30
	v_pk_add_f32 v[12:13], v[12:13], v[30:31] neg_lo:[0,1] neg_hi:[0,1]
	v_sub_f32_e32 v18, v32, v18
	v_add_f32_e32 v12, v12, v18
	v_add_f32_e32 v12, v12, v13
	;; [unrolled: 1-line block ×3, first 2 shown]
	v_cndmask_b32_e32 v25, v12, v38, vcc
.LBB80_83:                              ;   in Loop: Header=BB80_13 Depth=1
	s_or_b64 exec, exec, s[54:55]
	v_cvt_f32_f16_e32 v12, v14
	v_readlane_b32 s0, v95, 2
	s_nop 1
	v_add_f32_e32 v18, s0, v12
	v_cmp_ge_f32_e32 vcc, s4, v18
	s_and_b64 s[0:1], s[6:7], vcc
	s_and_saveexec_b64 s[54:55], s[0:1]
	s_cbranch_execz .LBB80_85
; %bb.84:                               ;   in Loop: Header=BB80_13 Depth=1
	v_mul_f32_e32 v12, 0x3fb8aa3b, v18
	v_rndne_f32_e32 v13, v12
	v_sub_f32_e32 v19, v12, v13
	v_fma_f32 v12, v18, s5, -v12
	v_fmac_f32_e32 v12, 0x32a5705f, v18
	v_add_f32_e32 v12, v19, v12
	v_cvt_i32_f32_e32 v13, v13
	v_exp_f32_e32 v12, v12
	v_cmp_ngt_f32_e32 vcc, s8, v18
	v_ldexp_f32 v12, v12, v13
	s_nop 0
	v_cndmask_b32_e32 v12, 0, v12, vcc
	v_cmp_nlt_f32_e32 vcc, s9, v18
	s_nop 1
	v_cndmask_b32_e32 v38, v39, v12, vcc
	v_add_f32_e32 v18, 1.0, v38
	v_add_f32_e32 v12, -1.0, v18
	v_sub_f32_e32 v13, v12, v18
	v_add_f32_e32 v13, 1.0, v13
	v_sub_f32_e32 v12, v38, v12
	v_add_f32_e32 v19, v12, v13
	v_frexp_mant_f32_e32 v26, v18
	v_cvt_f64_f32_e32 v[12:13], v18
	v_frexp_exp_i32_f64_e32 v12, v[12:13]
	v_cmp_gt_f32_e32 vcc, s11, v26
	v_cmp_gt_f32_e64 s[52:53], s57, v38
	s_nop 0
	v_subbrev_co_u32_e32 v30, vcc, 0, v12, vcc
	v_sub_u32_e32 v12, 0, v30
	v_ldexp_f32 v13, v18, v12
	v_add_f32_e32 v18, -1.0, v13
	v_add_f32_e32 v26, 1.0, v13
	v_ldexp_f32 v12, v19, v12
	v_add_f32_e32 v19, 1.0, v18
	v_add_f32_e32 v27, -1.0, v26
	v_sub_f32_e32 v19, v13, v19
	v_sub_f32_e32 v13, v13, v27
	v_add_f32_e32 v19, v12, v19
	v_add_f32_e32 v12, v12, v13
	;; [unrolled: 1-line block ×3, first 2 shown]
	v_rcp_f32_e32 v33, v31
	v_sub_f32_e32 v13, v26, v31
	v_add_f32_e32 v32, v12, v13
	v_add_f32_e32 v13, v18, v19
	v_mul_f32_e32 v35, v13, v33
	v_sub_f32_e32 v12, v18, v13
	v_mul_f32_e32 v18, v31, v35
	v_fma_f32 v26, v35, v31, -v18
	v_fmac_f32_e32 v26, v35, v32
	v_add_f32_e32 v34, v19, v12
	v_add_f32_e32 v12, v18, v26
	v_sub_f32_e32 v19, v13, v12
	v_pk_add_f32 v[28:29], v[12:13], v[18:19] neg_lo:[0,1] neg_hi:[0,1]
	v_mov_b32_e32 v27, v12
	v_pk_add_f32 v[12:13], v[28:29], v[26:27] neg_lo:[0,1] neg_hi:[0,1]
	v_cmp_eq_f32_e32 vcc, s10, v38
	v_add_f32_e32 v13, v34, v13
	v_add_f32_e32 v12, v12, v13
	;; [unrolled: 1-line block ×3, first 2 shown]
	v_mul_f32_e32 v34, v33, v13
	v_mul_f32_e32 v18, v31, v34
	v_fma_f32 v26, v34, v31, -v18
	v_fmac_f32_e32 v26, v34, v32
	v_sub_f32_e32 v19, v19, v13
	v_add_f32_e32 v31, v12, v19
	v_add_f32_e32 v12, v18, v26
	v_sub_f32_e32 v19, v13, v12
	v_pk_add_f32 v[28:29], v[12:13], v[18:19] neg_lo:[0,1] neg_hi:[0,1]
	v_mov_b32_e32 v27, v12
	v_pk_add_f32 v[12:13], v[28:29], v[26:27] neg_lo:[0,1] neg_hi:[0,1]
	scratch_load_dwordx2 v[28:29], off, off offset:164 ; 8-byte Folded Reload
	v_add_f32_e32 v13, v31, v13
	v_add_f32_e32 v12, v12, v13
	;; [unrolled: 1-line block ×4, first 2 shown]
	v_sub_f32_e32 v18, v13, v35
	v_mul_f32_e32 v12, v33, v12
	v_sub_f32_e32 v18, v34, v18
	v_add_f32_e32 v18, v18, v12
	v_add_f32_e32 v26, v13, v18
	v_mul_f32_e32 v27, v26, v26
	v_mov_b32_e32 v12, 0x3ecc95a3
	v_fmamk_f32 v12, v27, 0x3e9b6dac, v12
	v_fmaak_f32 v33, v27, v12, 0x3f2aaada
	v_cvt_f32_i32_e32 v12, v30
	v_sub_f32_e32 v13, v26, v13
	v_sub_f32_e32 v13, v18, v13
	v_ldexp_f32 v19, v26, 1
	s_or_b64 vcc, s[52:53], vcc
	s_waitcnt vmcnt(0)
	v_mov_b32_e32 v32, v28
	v_ldexp_f32 v28, v13, 1
	v_mul_f32_e32 v13, v26, v27
	v_mov_b32_e32 v18, v32
	v_pk_mul_f32 v[26:27], v[12:13], v[32:33]
	scratch_store_dwordx2 off, v[18:19], off offset:164 ; 8-byte Folded Spill
	v_fma_f32 v18, v12, s56, -v26
	v_fmac_f32_e32 v18, 0xb102e308, v12
	v_pk_add_f32 v[12:13], v[26:27], v[18:19]
	s_nop 0
	v_sub_f32_e32 v19, v13, v19
	v_sub_f32_e32 v19, v27, v19
	v_add_f32_e32 v29, v28, v19
	v_mov_b32_e32 v28, v26
	v_pk_add_f32 v[26:27], v[12:13], v[26:27] neg_lo:[0,1] neg_hi:[0,1]
	v_pk_add_f32 v[30:31], v[12:13], v[28:29]
	v_mov_b32_e32 v19, v12
	v_mov_b32_e32 v27, v31
	v_pk_add_f32 v[32:33], v[18:19], v[26:27] neg_lo:[0,1] neg_hi:[0,1]
	v_pk_add_f32 v[18:19], v[18:19], v[26:27]
	v_mov_b32_e32 v28, v29
	v_mov_b32_e32 v26, v19
	v_pk_add_f32 v[34:35], v[26:27], v[12:13] neg_lo:[0,1] neg_hi:[0,1]
	v_mov_b32_e32 v18, v31
	v_mov_b32_e32 v27, v34
	v_pk_add_f32 v[36:37], v[30:31], v[26:27] neg_lo:[0,1] neg_hi:[0,1]
	v_mov_b32_e32 v30, v13
	v_mov_b32_e32 v31, v34
	;; [unrolled: 1-line block ×3, first 2 shown]
	v_pk_add_f32 v[18:19], v[18:19], v[30:31] neg_lo:[0,1] neg_hi:[0,1]
	v_mov_b32_e32 v29, v12
	v_pk_add_f32 v[12:13], v[28:29], v[18:19] neg_lo:[0,1] neg_hi:[0,1]
	v_mov_b32_e32 v36, v32
	v_pk_add_f32 v[18:19], v[36:37], v[12:13]
	s_nop 0
	v_mov_b32_e32 v28, v19
	v_pk_add_f32 v[28:29], v[18:19], v[28:29]
	s_nop 0
	v_pk_add_f32 v[26:27], v[26:27], v[28:29]
	v_mov_b32_e32 v13, v28
	v_mov_b32_e32 v19, v26
	v_pk_add_f32 v[30:31], v[18:19], v[32:33] neg_lo:[0,1] neg_hi:[0,1]
	s_nop 0
	v_sub_f32_e32 v18, v18, v30
	v_pk_add_f32 v[12:13], v[12:13], v[30:31] neg_lo:[0,1] neg_hi:[0,1]
	v_sub_f32_e32 v18, v32, v18
	v_add_f32_e32 v12, v12, v18
	v_add_f32_e32 v12, v12, v13
	;; [unrolled: 1-line block ×3, first 2 shown]
	v_cndmask_b32_e32 v18, v12, v38, vcc
.LBB80_85:                              ;   in Loop: Header=BB80_13 Depth=1
	s_or_b64 exec, exec, s[54:55]
	v_cvt_f32_f16_sdwa v12, v14 dst_sel:DWORD dst_unused:UNUSED_PAD src0_sel:WORD_1
	v_readlane_b32 s0, v95, 2
	s_nop 1
	v_add_f32_e32 v74, s0, v12
	v_cmp_ge_f32_e32 vcc, s4, v74
	s_and_b64 s[0:1], s[6:7], vcc
	s_and_saveexec_b64 s[54:55], s[0:1]
	s_cbranch_execz .LBB80_87
; %bb.86:                               ;   in Loop: Header=BB80_13 Depth=1
	v_mul_f32_e32 v12, 0x3fb8aa3b, v74
	v_rndne_f32_e32 v13, v12
	v_sub_f32_e32 v14, v12, v13
	v_fma_f32 v12, v74, s5, -v12
	v_fmac_f32_e32 v12, 0x32a5705f, v74
	v_add_f32_e32 v12, v14, v12
	v_cvt_i32_f32_e32 v13, v13
	v_exp_f32_e32 v12, v12
	v_cmp_ngt_f32_e32 vcc, s8, v74
	v_ldexp_f32 v12, v12, v13
	s_nop 0
	v_cndmask_b32_e32 v12, 0, v12, vcc
	v_cmp_nlt_f32_e32 vcc, s9, v74
	s_nop 1
	v_cndmask_b32_e32 v38, v39, v12, vcc
	v_add_f32_e32 v14, 1.0, v38
	v_add_f32_e32 v12, -1.0, v14
	v_sub_f32_e32 v13, v12, v14
	v_add_f32_e32 v13, 1.0, v13
	v_sub_f32_e32 v12, v38, v12
	v_add_f32_e32 v19, v12, v13
	v_frexp_mant_f32_e32 v26, v14
	v_cvt_f64_f32_e32 v[12:13], v14
	v_frexp_exp_i32_f64_e32 v12, v[12:13]
	v_cmp_gt_f32_e32 vcc, s11, v26
	v_cmp_gt_f32_e64 s[52:53], s57, v38
	s_nop 0
	v_subbrev_co_u32_e32 v32, vcc, 0, v12, vcc
	v_sub_u32_e32 v12, 0, v32
	v_ldexp_f32 v13, v14, v12
	v_add_f32_e32 v14, -1.0, v13
	v_add_f32_e32 v26, 1.0, v13
	v_ldexp_f32 v12, v19, v12
	v_add_f32_e32 v19, 1.0, v14
	v_add_f32_e32 v27, -1.0, v26
	v_sub_f32_e32 v19, v13, v19
	v_sub_f32_e32 v13, v13, v27
	v_add_f32_e32 v19, v12, v19
	v_add_f32_e32 v12, v12, v13
	;; [unrolled: 1-line block ×3, first 2 shown]
	v_rcp_f32_e32 v35, v33
	v_sub_f32_e32 v13, v26, v33
	v_add_f32_e32 v34, v12, v13
	v_add_f32_e32 v13, v14, v19
	v_sub_f32_e32 v12, v14, v13
	v_add_f32_e32 v14, v19, v12
	v_mul_f32_e32 v19, v13, v35
	v_mul_f32_e32 v26, v33, v19
	v_fma_f32 v28, v19, v33, -v26
	v_fmac_f32_e32 v28, v19, v34
	v_add_f32_e32 v12, v26, v28
	v_sub_f32_e32 v27, v13, v12
	v_pk_add_f32 v[30:31], v[12:13], v[26:27] neg_lo:[0,1] neg_hi:[0,1]
	v_mov_b32_e32 v29, v12
	v_pk_add_f32 v[12:13], v[30:31], v[28:29] neg_lo:[0,1] neg_hi:[0,1]
	v_cmp_eq_f32_e32 vcc, s10, v38
	v_add_f32_e32 v13, v14, v13
	v_add_f32_e32 v12, v12, v13
	;; [unrolled: 1-line block ×3, first 2 shown]
	v_mul_f32_e32 v14, v35, v13
	v_mul_f32_e32 v26, v33, v14
	v_fma_f32 v28, v14, v33, -v26
	v_fmac_f32_e32 v28, v14, v34
	v_sub_f32_e32 v27, v27, v13
	v_add_f32_e32 v33, v12, v27
	v_add_f32_e32 v12, v26, v28
	v_sub_f32_e32 v27, v13, v12
	v_pk_add_f32 v[30:31], v[12:13], v[26:27] neg_lo:[0,1] neg_hi:[0,1]
	v_mov_b32_e32 v29, v12
	v_pk_add_f32 v[12:13], v[30:31], v[28:29] neg_lo:[0,1] neg_hi:[0,1]
	scratch_load_dwordx2 v[28:29], off, off offset:164 ; 8-byte Folded Reload
	v_add_f32_e32 v13, v33, v13
	v_add_f32_e32 v12, v12, v13
	;; [unrolled: 1-line block ×4, first 2 shown]
	v_sub_f32_e32 v19, v13, v19
	v_mul_f32_e32 v12, v35, v12
	v_sub_f32_e32 v14, v14, v19
	v_add_f32_e32 v14, v14, v12
	v_add_f32_e32 v19, v13, v14
	v_mul_f32_e32 v26, v19, v19
	v_mov_b32_e32 v12, 0x3ecc95a3
	v_fmamk_f32 v12, v26, 0x3e9b6dac, v12
	s_waitcnt vmcnt(0)
	v_fmaak_f32 v29, v26, v12, 0x3f2aaada
	v_cvt_f32_i32_e32 v12, v32
	v_sub_f32_e32 v13, v19, v13
	v_sub_f32_e32 v13, v14, v13
	v_ldexp_f32 v14, v13, 1
	v_mul_f32_e32 v13, v19, v26
	v_ldexp_f32 v27, v19, 1
	s_or_b64 vcc, s[52:53], vcc
	v_mov_b32_e32 v26, v28
	v_pk_mul_f32 v[28:29], v[12:13], v[28:29]
	scratch_store_dwordx2 off, v[26:27], off offset:164 ; 8-byte Folded Spill
	v_fma_f32 v26, v12, s56, -v28
	v_fmac_f32_e32 v26, 0xb102e308, v12
	v_pk_add_f32 v[12:13], v[28:29], v[26:27]
	v_mov_b32_e32 v30, v28
	v_sub_f32_e32 v19, v13, v27
	v_sub_f32_e32 v19, v29, v19
	v_add_f32_e32 v31, v14, v19
	v_pk_add_f32 v[28:29], v[12:13], v[28:29] neg_lo:[0,1] neg_hi:[0,1]
	v_pk_add_f32 v[32:33], v[12:13], v[30:31]
	v_mov_b32_e32 v27, v12
	v_mov_b32_e32 v29, v33
	v_pk_add_f32 v[34:35], v[26:27], v[28:29] neg_lo:[0,1] neg_hi:[0,1]
	v_pk_add_f32 v[26:27], v[26:27], v[28:29]
	s_nop 0
	v_mov_b32_e32 v14, v27
	v_pk_add_f32 v[28:29], v[14:15], v[12:13] neg_lo:[0,1] neg_hi:[0,1]
	v_mov_b32_e32 v26, v33
	v_mov_b32_e32 v19, v28
	v_pk_add_f32 v[36:37], v[32:33], v[18:19] neg_lo:[0,1] neg_hi:[0,1]
	v_mov_b32_e32 v32, v13
	v_mov_b32_e32 v33, v28
	;; [unrolled: 1-line block ×3, first 2 shown]
	v_pk_add_f32 v[26:27], v[26:27], v[32:33] neg_lo:[0,1] neg_hi:[0,1]
	v_mov_b32_e32 v28, v31
	v_mov_b32_e32 v29, v12
	v_pk_add_f32 v[12:13], v[28:29], v[26:27] neg_lo:[0,1] neg_hi:[0,1]
	v_mov_b32_e32 v36, v34
	v_pk_add_f32 v[26:27], v[36:37], v[12:13]
	s_nop 0
	v_mov_b32_e32 v28, v27
	v_pk_add_f32 v[28:29], v[26:27], v[28:29]
	s_nop 0
	v_pk_add_f32 v[30:31], v[14:15], v[28:29]
	v_mov_b32_e32 v13, v28
	v_mov_b32_e32 v27, v30
	v_pk_add_f32 v[32:33], v[26:27], v[34:35] neg_lo:[0,1] neg_hi:[0,1]
	s_nop 0
	v_sub_f32_e32 v14, v26, v32
	v_pk_add_f32 v[12:13], v[12:13], v[32:33] neg_lo:[0,1] neg_hi:[0,1]
	v_sub_f32_e32 v14, v34, v14
	v_add_f32_e32 v12, v12, v14
	v_add_f32_e32 v12, v12, v13
	;; [unrolled: 1-line block ×3, first 2 shown]
	v_cndmask_b32_e32 v74, v12, v38, vcc
.LBB80_87:                              ;   in Loop: Header=BB80_13 Depth=1
	s_or_b64 exec, exec, s[54:55]
	v_cvt_f32_f16_e32 v12, v15
	v_readlane_b32 s0, v95, 2
	s_nop 1
	v_add_f32_e32 v92, s0, v12
	v_cmp_ge_f32_e32 vcc, s4, v92
	s_and_b64 s[0:1], s[6:7], vcc
	s_and_saveexec_b64 s[54:55], s[0:1]
	s_cbranch_execz .LBB80_89
; %bb.88:                               ;   in Loop: Header=BB80_13 Depth=1
	v_mul_f32_e32 v12, 0x3fb8aa3b, v92
	v_rndne_f32_e32 v13, v12
	v_sub_f32_e32 v14, v12, v13
	v_fma_f32 v12, v92, s5, -v12
	v_fmac_f32_e32 v12, 0x32a5705f, v92
	v_add_f32_e32 v12, v14, v12
	v_cvt_i32_f32_e32 v13, v13
	v_exp_f32_e32 v12, v12
	v_cmp_ngt_f32_e32 vcc, s8, v92
	v_ldexp_f32 v12, v12, v13
	s_nop 0
	v_cndmask_b32_e32 v12, 0, v12, vcc
	v_cmp_nlt_f32_e32 vcc, s9, v92
	s_nop 1
	v_cndmask_b32_e32 v38, v39, v12, vcc
	v_add_f32_e32 v14, 1.0, v38
	v_add_f32_e32 v12, -1.0, v14
	v_sub_f32_e32 v13, v12, v14
	v_add_f32_e32 v13, 1.0, v13
	v_sub_f32_e32 v12, v38, v12
	v_add_f32_e32 v19, v12, v13
	v_frexp_mant_f32_e32 v26, v14
	v_cvt_f64_f32_e32 v[12:13], v14
	v_frexp_exp_i32_f64_e32 v12, v[12:13]
	v_cmp_gt_f32_e32 vcc, s11, v26
	v_cmp_gt_f32_e64 s[52:53], s57, v38
	s_nop 0
	v_subbrev_co_u32_e32 v32, vcc, 0, v12, vcc
	v_sub_u32_e32 v12, 0, v32
	v_ldexp_f32 v13, v14, v12
	v_add_f32_e32 v14, -1.0, v13
	v_add_f32_e32 v26, 1.0, v13
	v_ldexp_f32 v12, v19, v12
	v_add_f32_e32 v19, 1.0, v14
	v_add_f32_e32 v27, -1.0, v26
	v_sub_f32_e32 v19, v13, v19
	v_sub_f32_e32 v13, v13, v27
	v_add_f32_e32 v19, v12, v19
	v_add_f32_e32 v12, v12, v13
	;; [unrolled: 1-line block ×3, first 2 shown]
	v_rcp_f32_e32 v35, v33
	v_sub_f32_e32 v13, v26, v33
	v_add_f32_e32 v34, v12, v13
	v_add_f32_e32 v13, v14, v19
	v_sub_f32_e32 v12, v14, v13
	v_add_f32_e32 v14, v19, v12
	v_mul_f32_e32 v19, v13, v35
	v_mul_f32_e32 v26, v33, v19
	v_fma_f32 v28, v19, v33, -v26
	v_fmac_f32_e32 v28, v19, v34
	v_add_f32_e32 v12, v26, v28
	v_sub_f32_e32 v27, v13, v12
	v_pk_add_f32 v[30:31], v[12:13], v[26:27] neg_lo:[0,1] neg_hi:[0,1]
	v_mov_b32_e32 v29, v12
	v_pk_add_f32 v[12:13], v[30:31], v[28:29] neg_lo:[0,1] neg_hi:[0,1]
	v_cmp_eq_f32_e32 vcc, s10, v38
	v_add_f32_e32 v13, v14, v13
	v_add_f32_e32 v12, v12, v13
	;; [unrolled: 1-line block ×3, first 2 shown]
	v_mul_f32_e32 v14, v35, v13
	v_mul_f32_e32 v26, v33, v14
	v_fma_f32 v28, v14, v33, -v26
	v_fmac_f32_e32 v28, v14, v34
	v_sub_f32_e32 v27, v27, v13
	v_add_f32_e32 v33, v12, v27
	v_add_f32_e32 v12, v26, v28
	v_sub_f32_e32 v27, v13, v12
	v_pk_add_f32 v[30:31], v[12:13], v[26:27] neg_lo:[0,1] neg_hi:[0,1]
	v_mov_b32_e32 v29, v12
	v_pk_add_f32 v[12:13], v[30:31], v[28:29] neg_lo:[0,1] neg_hi:[0,1]
	scratch_load_dwordx2 v[28:29], off, off offset:164 ; 8-byte Folded Reload
	v_add_f32_e32 v13, v33, v13
	v_add_f32_e32 v12, v12, v13
	;; [unrolled: 1-line block ×4, first 2 shown]
	v_sub_f32_e32 v19, v13, v19
	v_mul_f32_e32 v12, v35, v12
	v_sub_f32_e32 v14, v14, v19
	v_add_f32_e32 v14, v14, v12
	v_add_f32_e32 v19, v13, v14
	v_mul_f32_e32 v26, v19, v19
	v_mov_b32_e32 v12, 0x3ecc95a3
	v_fmamk_f32 v12, v26, 0x3e9b6dac, v12
	s_waitcnt vmcnt(0)
	v_fmaak_f32 v29, v26, v12, 0x3f2aaada
	v_cvt_f32_i32_e32 v12, v32
	v_sub_f32_e32 v13, v19, v13
	v_sub_f32_e32 v13, v14, v13
	v_ldexp_f32 v14, v13, 1
	v_mul_f32_e32 v13, v19, v26
	v_ldexp_f32 v27, v19, 1
	s_or_b64 vcc, s[52:53], vcc
	v_mov_b32_e32 v26, v28
	v_pk_mul_f32 v[28:29], v[12:13], v[28:29]
	scratch_store_dwordx2 off, v[26:27], off offset:164 ; 8-byte Folded Spill
	v_fma_f32 v26, v12, s56, -v28
	v_fmac_f32_e32 v26, 0xb102e308, v12
	v_pk_add_f32 v[12:13], v[28:29], v[26:27]
	v_mov_b32_e32 v30, v28
	v_sub_f32_e32 v19, v13, v27
	v_sub_f32_e32 v19, v29, v19
	v_add_f32_e32 v31, v14, v19
	v_pk_add_f32 v[28:29], v[12:13], v[28:29] neg_lo:[0,1] neg_hi:[0,1]
	v_pk_add_f32 v[32:33], v[12:13], v[30:31]
	v_mov_b32_e32 v27, v12
	v_mov_b32_e32 v29, v33
	v_pk_add_f32 v[34:35], v[26:27], v[28:29] neg_lo:[0,1] neg_hi:[0,1]
	v_pk_add_f32 v[26:27], v[26:27], v[28:29]
	s_nop 0
	v_mov_b32_e32 v14, v27
	v_pk_add_f32 v[28:29], v[14:15], v[12:13] neg_lo:[0,1] neg_hi:[0,1]
	v_mov_b32_e32 v26, v33
	v_mov_b32_e32 v19, v28
	v_pk_add_f32 v[36:37], v[32:33], v[18:19] neg_lo:[0,1] neg_hi:[0,1]
	v_mov_b32_e32 v32, v13
	v_mov_b32_e32 v33, v28
	;; [unrolled: 1-line block ×3, first 2 shown]
	v_pk_add_f32 v[26:27], v[26:27], v[32:33] neg_lo:[0,1] neg_hi:[0,1]
	v_mov_b32_e32 v28, v31
	v_mov_b32_e32 v29, v12
	v_pk_add_f32 v[12:13], v[28:29], v[26:27] neg_lo:[0,1] neg_hi:[0,1]
	v_mov_b32_e32 v36, v34
	v_pk_add_f32 v[26:27], v[36:37], v[12:13]
	s_nop 0
	v_mov_b32_e32 v28, v27
	v_pk_add_f32 v[28:29], v[26:27], v[28:29]
	s_nop 0
	v_pk_add_f32 v[30:31], v[14:15], v[28:29]
	v_mov_b32_e32 v13, v28
	v_mov_b32_e32 v27, v30
	v_pk_add_f32 v[32:33], v[26:27], v[34:35] neg_lo:[0,1] neg_hi:[0,1]
	s_nop 0
	v_sub_f32_e32 v14, v26, v32
	v_pk_add_f32 v[12:13], v[12:13], v[32:33] neg_lo:[0,1] neg_hi:[0,1]
	v_sub_f32_e32 v14, v34, v14
	v_add_f32_e32 v12, v12, v14
	v_add_f32_e32 v12, v12, v13
	;; [unrolled: 1-line block ×3, first 2 shown]
	v_cndmask_b32_e32 v92, v12, v38, vcc
.LBB80_89:                              ;   in Loop: Header=BB80_13 Depth=1
	s_or_b64 exec, exec, s[54:55]
	v_cvt_f32_f16_sdwa v12, v15 dst_sel:DWORD dst_unused:UNUSED_PAD src0_sel:WORD_1
	v_readlane_b32 s0, v95, 2
	s_nop 1
	v_add_f32_e32 v93, s0, v12
	v_cmp_ge_f32_e32 vcc, s4, v93
	s_and_b64 s[0:1], s[6:7], vcc
	s_and_saveexec_b64 s[54:55], s[0:1]
	s_cbranch_execz .LBB80_91
; %bb.90:                               ;   in Loop: Header=BB80_13 Depth=1
	v_mul_f32_e32 v12, 0x3fb8aa3b, v93
	v_rndne_f32_e32 v13, v12
	v_sub_f32_e32 v14, v12, v13
	v_fma_f32 v12, v93, s5, -v12
	v_fmac_f32_e32 v12, 0x32a5705f, v93
	v_add_f32_e32 v12, v14, v12
	v_cvt_i32_f32_e32 v13, v13
	v_exp_f32_e32 v12, v12
	v_cmp_ngt_f32_e32 vcc, s8, v93
	v_ldexp_f32 v12, v12, v13
	s_nop 0
	v_cndmask_b32_e32 v12, 0, v12, vcc
	v_cmp_nlt_f32_e32 vcc, s9, v93
	s_nop 1
	v_cndmask_b32_e32 v38, v39, v12, vcc
	v_add_f32_e32 v14, 1.0, v38
	v_add_f32_e32 v12, -1.0, v14
	v_sub_f32_e32 v13, v12, v14
	v_add_f32_e32 v13, 1.0, v13
	v_sub_f32_e32 v12, v38, v12
	v_add_f32_e32 v15, v12, v13
	v_frexp_mant_f32_e32 v19, v14
	v_cvt_f64_f32_e32 v[12:13], v14
	v_frexp_exp_i32_f64_e32 v12, v[12:13]
	v_cmp_gt_f32_e32 vcc, s11, v19
	v_cmp_gt_f32_e64 s[52:53], s57, v38
	s_nop 0
	v_subbrev_co_u32_e32 v19, vcc, 0, v12, vcc
	v_sub_u32_e32 v12, 0, v19
	v_ldexp_f32 v13, v14, v12
	v_add_f32_e32 v14, -1.0, v13
	v_add_f32_e32 v26, 1.0, v13
	v_ldexp_f32 v12, v15, v12
	v_add_f32_e32 v15, 1.0, v14
	v_add_f32_e32 v27, -1.0, v26
	v_sub_f32_e32 v15, v13, v15
	v_sub_f32_e32 v13, v13, v27
	v_add_f32_e32 v15, v12, v15
	v_add_f32_e32 v12, v12, v13
	;; [unrolled: 1-line block ×3, first 2 shown]
	v_rcp_f32_e32 v32, v30
	v_sub_f32_e32 v13, v26, v30
	v_add_f32_e32 v31, v12, v13
	v_add_f32_e32 v13, v14, v15
	v_mul_f32_e32 v34, v13, v32
	v_sub_f32_e32 v12, v14, v13
	v_mul_f32_e32 v14, v30, v34
	v_fma_f32 v26, v34, v30, -v14
	v_fmac_f32_e32 v26, v34, v31
	v_add_f32_e32 v33, v15, v12
	v_add_f32_e32 v12, v14, v26
	v_sub_f32_e32 v15, v13, v12
	v_pk_add_f32 v[28:29], v[12:13], v[14:15] neg_lo:[0,1] neg_hi:[0,1]
	v_mov_b32_e32 v27, v12
	v_pk_add_f32 v[12:13], v[28:29], v[26:27] neg_lo:[0,1] neg_hi:[0,1]
	v_cmp_eq_f32_e32 vcc, s10, v38
	v_add_f32_e32 v13, v33, v13
	v_add_f32_e32 v12, v12, v13
	;; [unrolled: 1-line block ×3, first 2 shown]
	v_mul_f32_e32 v33, v32, v13
	v_mul_f32_e32 v14, v30, v33
	v_fma_f32 v26, v33, v30, -v14
	v_fmac_f32_e32 v26, v33, v31
	v_sub_f32_e32 v15, v15, v13
	v_add_f32_e32 v30, v12, v15
	v_add_f32_e32 v12, v14, v26
	v_sub_f32_e32 v15, v13, v12
	v_pk_add_f32 v[28:29], v[12:13], v[14:15] neg_lo:[0,1] neg_hi:[0,1]
	v_mov_b32_e32 v27, v12
	v_pk_add_f32 v[12:13], v[28:29], v[26:27] neg_lo:[0,1] neg_hi:[0,1]
	scratch_load_dwordx2 v[28:29], off, off offset:164 ; 8-byte Folded Reload
	v_add_f32_e32 v13, v30, v13
	v_add_f32_e32 v12, v12, v13
	;; [unrolled: 1-line block ×4, first 2 shown]
	v_sub_f32_e32 v14, v13, v34
	v_mul_f32_e32 v12, v32, v12
	v_sub_f32_e32 v14, v33, v14
	v_add_f32_e32 v14, v14, v12
	v_add_f32_e32 v26, v13, v14
	v_mul_f32_e32 v27, v26, v26
	v_mov_b32_e32 v12, 0x3ecc95a3
	v_fmamk_f32 v12, v27, 0x3e9b6dac, v12
	s_waitcnt vmcnt(0)
	v_fmaak_f32 v29, v27, v12, 0x3f2aaada
	v_cvt_f32_i32_e32 v12, v19
	v_sub_f32_e32 v13, v26, v13
	v_sub_f32_e32 v13, v14, v13
	v_ldexp_f32 v19, v13, 1
	v_mul_f32_e32 v13, v26, v27
	v_ldexp_f32 v15, v26, 1
	s_or_b64 vcc, s[52:53], vcc
	v_mov_b32_e32 v14, v28
	v_pk_mul_f32 v[26:27], v[12:13], v[28:29]
	scratch_store_dwordx2 off, v[14:15], off offset:164 ; 8-byte Folded Spill
	v_fma_f32 v14, v12, s56, -v26
	v_fmac_f32_e32 v14, 0xb102e308, v12
	v_pk_add_f32 v[12:13], v[26:27], v[14:15]
	v_mov_b32_e32 v28, v26
	v_sub_f32_e32 v15, v13, v15
	v_sub_f32_e32 v15, v27, v15
	v_add_f32_e32 v29, v19, v15
	v_pk_add_f32 v[26:27], v[12:13], v[26:27] neg_lo:[0,1] neg_hi:[0,1]
	v_pk_add_f32 v[30:31], v[12:13], v[28:29]
	v_mov_b32_e32 v15, v12
	v_mov_b32_e32 v27, v31
	v_pk_add_f32 v[32:33], v[14:15], v[26:27] neg_lo:[0,1] neg_hi:[0,1]
	v_pk_add_f32 v[14:15], v[14:15], v[26:27]
	v_mov_b32_e32 v28, v29
	v_mov_b32_e32 v26, v15
	v_pk_add_f32 v[34:35], v[26:27], v[12:13] neg_lo:[0,1] neg_hi:[0,1]
	v_mov_b32_e32 v14, v31
	v_mov_b32_e32 v19, v34
	v_pk_add_f32 v[36:37], v[30:31], v[18:19] neg_lo:[0,1] neg_hi:[0,1]
	v_mov_b32_e32 v30, v13
	v_mov_b32_e32 v31, v34
	;; [unrolled: 1-line block ×3, first 2 shown]
	v_pk_add_f32 v[14:15], v[14:15], v[30:31] neg_lo:[0,1] neg_hi:[0,1]
	v_mov_b32_e32 v29, v12
	v_pk_add_f32 v[12:13], v[28:29], v[14:15] neg_lo:[0,1] neg_hi:[0,1]
	v_mov_b32_e32 v36, v32
	v_pk_add_f32 v[14:15], v[36:37], v[12:13]
	s_nop 0
	v_mov_b32_e32 v28, v15
	v_pk_add_f32 v[28:29], v[14:15], v[28:29]
	s_nop 0
	v_pk_add_f32 v[26:27], v[26:27], v[28:29]
	v_mov_b32_e32 v13, v28
	v_mov_b32_e32 v15, v26
	v_pk_add_f32 v[30:31], v[14:15], v[32:33] neg_lo:[0,1] neg_hi:[0,1]
	s_nop 0
	v_sub_f32_e32 v14, v14, v30
	v_pk_add_f32 v[12:13], v[12:13], v[30:31] neg_lo:[0,1] neg_hi:[0,1]
	v_sub_f32_e32 v14, v32, v14
	v_add_f32_e32 v12, v12, v14
	v_add_f32_e32 v12, v12, v13
	;; [unrolled: 1-line block ×3, first 2 shown]
	v_cndmask_b32_e32 v93, v12, v38, vcc
.LBB80_91:                              ;   in Loop: Header=BB80_13 Depth=1
	s_or_b64 exec, exec, s[54:55]
	s_waitcnt lgkmcnt(0)
	v_cvt_f32_f16_e32 v12, v8
	v_readlane_b32 s0, v95, 2
	s_nop 1
	v_add_f32_e32 v94, s0, v12
	v_cmp_ge_f32_e32 vcc, s4, v94
	s_and_b64 s[0:1], s[6:7], vcc
	s_and_saveexec_b64 s[54:55], s[0:1]
	s_cbranch_execz .LBB80_93
; %bb.92:                               ;   in Loop: Header=BB80_13 Depth=1
	v_mul_f32_e32 v12, 0x3fb8aa3b, v94
	v_rndne_f32_e32 v13, v12
	v_sub_f32_e32 v14, v12, v13
	v_fma_f32 v12, v94, s5, -v12
	v_fmac_f32_e32 v12, 0x32a5705f, v94
	v_add_f32_e32 v12, v14, v12
	v_cvt_i32_f32_e32 v13, v13
	v_exp_f32_e32 v12, v12
	v_cmp_ngt_f32_e32 vcc, s8, v94
	v_ldexp_f32 v12, v12, v13
	s_nop 0
	v_cndmask_b32_e32 v12, 0, v12, vcc
	v_cmp_nlt_f32_e32 vcc, s9, v94
	s_nop 1
	v_cndmask_b32_e32 v38, v39, v12, vcc
	v_add_f32_e32 v14, 1.0, v38
	v_add_f32_e32 v12, -1.0, v14
	v_sub_f32_e32 v13, v12, v14
	v_add_f32_e32 v13, 1.0, v13
	v_sub_f32_e32 v12, v38, v12
	v_add_f32_e32 v15, v12, v13
	v_frexp_mant_f32_e32 v19, v14
	v_cvt_f64_f32_e32 v[12:13], v14
	v_frexp_exp_i32_f64_e32 v12, v[12:13]
	v_cmp_gt_f32_e32 vcc, s11, v19
	v_cmp_gt_f32_e64 s[52:53], s57, v38
	s_nop 0
	v_subbrev_co_u32_e32 v19, vcc, 0, v12, vcc
	v_sub_u32_e32 v12, 0, v19
	v_ldexp_f32 v13, v14, v12
	v_add_f32_e32 v14, -1.0, v13
	v_add_f32_e32 v26, 1.0, v13
	v_ldexp_f32 v12, v15, v12
	v_add_f32_e32 v15, 1.0, v14
	v_add_f32_e32 v27, -1.0, v26
	v_sub_f32_e32 v15, v13, v15
	v_sub_f32_e32 v13, v13, v27
	v_add_f32_e32 v15, v12, v15
	v_add_f32_e32 v12, v12, v13
	;; [unrolled: 1-line block ×3, first 2 shown]
	v_rcp_f32_e32 v32, v30
	v_sub_f32_e32 v13, v26, v30
	v_add_f32_e32 v31, v12, v13
	v_add_f32_e32 v13, v14, v15
	v_mul_f32_e32 v34, v13, v32
	v_sub_f32_e32 v12, v14, v13
	v_mul_f32_e32 v14, v30, v34
	v_fma_f32 v26, v34, v30, -v14
	v_fmac_f32_e32 v26, v34, v31
	v_add_f32_e32 v33, v15, v12
	v_add_f32_e32 v12, v14, v26
	v_sub_f32_e32 v15, v13, v12
	v_pk_add_f32 v[28:29], v[12:13], v[14:15] neg_lo:[0,1] neg_hi:[0,1]
	v_mov_b32_e32 v27, v12
	v_pk_add_f32 v[12:13], v[28:29], v[26:27] neg_lo:[0,1] neg_hi:[0,1]
	v_cmp_eq_f32_e32 vcc, s10, v38
	v_add_f32_e32 v13, v33, v13
	v_add_f32_e32 v12, v12, v13
	;; [unrolled: 1-line block ×3, first 2 shown]
	v_mul_f32_e32 v33, v32, v13
	v_mul_f32_e32 v14, v30, v33
	v_fma_f32 v26, v33, v30, -v14
	v_fmac_f32_e32 v26, v33, v31
	v_sub_f32_e32 v15, v15, v13
	v_add_f32_e32 v30, v12, v15
	v_add_f32_e32 v12, v14, v26
	v_sub_f32_e32 v15, v13, v12
	v_pk_add_f32 v[28:29], v[12:13], v[14:15] neg_lo:[0,1] neg_hi:[0,1]
	v_mov_b32_e32 v27, v12
	v_pk_add_f32 v[12:13], v[28:29], v[26:27] neg_lo:[0,1] neg_hi:[0,1]
	scratch_load_dwordx2 v[28:29], off, off offset:164 ; 8-byte Folded Reload
	v_add_f32_e32 v13, v30, v13
	v_add_f32_e32 v12, v12, v13
	;; [unrolled: 1-line block ×4, first 2 shown]
	v_sub_f32_e32 v14, v13, v34
	v_mul_f32_e32 v12, v32, v12
	v_sub_f32_e32 v14, v33, v14
	v_add_f32_e32 v14, v14, v12
	v_add_f32_e32 v26, v13, v14
	v_mul_f32_e32 v27, v26, v26
	v_mov_b32_e32 v12, 0x3ecc95a3
	v_fmamk_f32 v12, v27, 0x3e9b6dac, v12
	s_waitcnt vmcnt(0)
	v_fmaak_f32 v29, v27, v12, 0x3f2aaada
	v_cvt_f32_i32_e32 v12, v19
	v_sub_f32_e32 v13, v26, v13
	v_sub_f32_e32 v13, v14, v13
	v_ldexp_f32 v19, v13, 1
	v_mul_f32_e32 v13, v26, v27
	v_ldexp_f32 v15, v26, 1
	s_or_b64 vcc, s[52:53], vcc
	v_mov_b32_e32 v14, v28
	v_pk_mul_f32 v[26:27], v[12:13], v[28:29]
	scratch_store_dwordx2 off, v[14:15], off offset:164 ; 8-byte Folded Spill
	v_fma_f32 v14, v12, s56, -v26
	v_fmac_f32_e32 v14, 0xb102e308, v12
	v_pk_add_f32 v[12:13], v[26:27], v[14:15]
	v_mov_b32_e32 v28, v26
	v_sub_f32_e32 v15, v13, v15
	v_sub_f32_e32 v15, v27, v15
	v_add_f32_e32 v29, v19, v15
	v_pk_add_f32 v[26:27], v[12:13], v[26:27] neg_lo:[0,1] neg_hi:[0,1]
	v_pk_add_f32 v[30:31], v[12:13], v[28:29]
	v_mov_b32_e32 v15, v12
	v_mov_b32_e32 v27, v31
	v_pk_add_f32 v[32:33], v[14:15], v[26:27] neg_lo:[0,1] neg_hi:[0,1]
	v_pk_add_f32 v[14:15], v[14:15], v[26:27]
	v_mov_b32_e32 v28, v29
	v_mov_b32_e32 v26, v15
	v_pk_add_f32 v[34:35], v[26:27], v[12:13] neg_lo:[0,1] neg_hi:[0,1]
	v_mov_b32_e32 v14, v31
	v_mov_b32_e32 v19, v34
	v_pk_add_f32 v[36:37], v[30:31], v[18:19] neg_lo:[0,1] neg_hi:[0,1]
	v_mov_b32_e32 v30, v13
	v_mov_b32_e32 v31, v34
	;; [unrolled: 1-line block ×3, first 2 shown]
	v_pk_add_f32 v[14:15], v[14:15], v[30:31] neg_lo:[0,1] neg_hi:[0,1]
	v_mov_b32_e32 v29, v12
	v_pk_add_f32 v[12:13], v[28:29], v[14:15] neg_lo:[0,1] neg_hi:[0,1]
	v_mov_b32_e32 v36, v32
	v_pk_add_f32 v[14:15], v[36:37], v[12:13]
	s_nop 0
	v_mov_b32_e32 v28, v15
	v_pk_add_f32 v[28:29], v[14:15], v[28:29]
	s_nop 0
	v_pk_add_f32 v[26:27], v[26:27], v[28:29]
	v_mov_b32_e32 v13, v28
	v_mov_b32_e32 v15, v26
	v_pk_add_f32 v[30:31], v[14:15], v[32:33] neg_lo:[0,1] neg_hi:[0,1]
	s_nop 0
	v_sub_f32_e32 v14, v14, v30
	v_pk_add_f32 v[12:13], v[12:13], v[30:31] neg_lo:[0,1] neg_hi:[0,1]
	v_sub_f32_e32 v14, v32, v14
	v_add_f32_e32 v12, v12, v14
	v_add_f32_e32 v12, v12, v13
	;; [unrolled: 1-line block ×3, first 2 shown]
	v_cndmask_b32_e32 v94, v12, v38, vcc
.LBB80_93:                              ;   in Loop: Header=BB80_13 Depth=1
	s_or_b64 exec, exec, s[54:55]
	v_cvt_f32_f16_sdwa v8, v8 dst_sel:DWORD dst_unused:UNUSED_PAD src0_sel:WORD_1
	v_readlane_b32 s0, v95, 2
	s_nop 1
	v_add_f32_e32 v60, s0, v8
	v_cmp_ge_f32_e32 vcc, s4, v60
	s_and_b64 s[0:1], s[6:7], vcc
	s_and_saveexec_b64 s[54:55], s[0:1]
	s_cbranch_execz .LBB80_95
; %bb.94:                               ;   in Loop: Header=BB80_13 Depth=1
	v_mul_f32_e32 v8, 0x3fb8aa3b, v60
	v_rndne_f32_e32 v12, v8
	v_sub_f32_e32 v13, v8, v12
	v_fma_f32 v8, v60, s5, -v8
	v_fmac_f32_e32 v8, 0x32a5705f, v60
	v_add_f32_e32 v8, v13, v8
	v_cvt_i32_f32_e32 v12, v12
	v_exp_f32_e32 v8, v8
	v_cmp_ngt_f32_e32 vcc, s8, v60
	v_ldexp_f32 v8, v8, v12
	s_nop 0
	v_cndmask_b32_e32 v8, 0, v8, vcc
	v_cmp_nlt_f32_e32 vcc, s9, v60
	s_nop 1
	v_cndmask_b32_e32 v36, v39, v8, vcc
	v_add_f32_e32 v8, 1.0, v36
	v_add_f32_e32 v12, -1.0, v8
	v_sub_f32_e32 v13, v12, v8
	v_add_f32_e32 v13, 1.0, v13
	v_sub_f32_e32 v12, v36, v12
	v_add_f32_e32 v14, v12, v13
	v_frexp_mant_f32_e32 v15, v8
	v_cvt_f64_f32_e32 v[12:13], v8
	v_frexp_exp_i32_f64_e32 v12, v[12:13]
	v_cmp_gt_f32_e32 vcc, s11, v15
	v_cmp_gt_f32_e64 s[52:53], s57, v36
	s_nop 0
	v_subbrev_co_u32_e32 v19, vcc, 0, v12, vcc
	v_sub_u32_e32 v12, 0, v19
	v_ldexp_f32 v8, v8, v12
	v_ldexp_f32 v12, v14, v12
	v_add_f32_e32 v14, -1.0, v8
	v_add_f32_e32 v13, 1.0, v14
	v_sub_f32_e32 v13, v8, v13
	v_add_f32_e32 v15, v12, v13
	v_add_f32_e32 v13, 1.0, v8
	v_add_f32_e32 v26, -1.0, v13
	v_sub_f32_e32 v8, v8, v26
	v_add_f32_e32 v8, v12, v8
	v_add_f32_e32 v30, v13, v8
	v_rcp_f32_e32 v31, v30
	v_sub_f32_e32 v12, v13, v30
	v_add_f32_e32 v13, v14, v15
	v_add_f32_e32 v8, v8, v12
	v_mul_f32_e32 v33, v13, v31
	v_sub_f32_e32 v12, v14, v13
	v_mul_f32_e32 v14, v30, v33
	v_fma_f32 v26, v33, v30, -v14
	v_fmac_f32_e32 v26, v33, v8
	v_add_f32_e32 v32, v15, v12
	v_add_f32_e32 v12, v14, v26
	v_sub_f32_e32 v15, v13, v12
	v_pk_add_f32 v[28:29], v[12:13], v[14:15] neg_lo:[0,1] neg_hi:[0,1]
	v_mov_b32_e32 v27, v12
	v_pk_add_f32 v[12:13], v[28:29], v[26:27] neg_lo:[0,1] neg_hi:[0,1]
	v_cmp_eq_f32_e32 vcc, s10, v36
	v_add_f32_e32 v13, v32, v13
	v_add_f32_e32 v12, v12, v13
	;; [unrolled: 1-line block ×3, first 2 shown]
	v_mul_f32_e32 v32, v31, v13
	v_mul_f32_e32 v14, v30, v32
	v_fma_f32 v26, v32, v30, -v14
	v_fmac_f32_e32 v26, v32, v8
	v_sub_f32_e32 v8, v15, v13
	v_add_f32_e32 v8, v12, v8
	v_add_f32_e32 v12, v14, v26
	v_sub_f32_e32 v15, v13, v12
	v_pk_add_f32 v[28:29], v[12:13], v[14:15] neg_lo:[0,1] neg_hi:[0,1]
	v_mov_b32_e32 v27, v12
	v_pk_add_f32 v[12:13], v[28:29], v[26:27] neg_lo:[0,1] neg_hi:[0,1]
	scratch_load_dwordx2 v[28:29], off, off offset:164 ; 8-byte Folded Reload
	v_add_f32_e32 v8, v8, v13
	v_add_f32_e32 v8, v12, v8
	;; [unrolled: 1-line block ×4, first 2 shown]
	v_sub_f32_e32 v12, v13, v33
	v_mul_f32_e32 v8, v31, v8
	v_sub_f32_e32 v12, v32, v12
	v_add_f32_e32 v8, v12, v8
	v_add_f32_e32 v14, v13, v8
	v_mul_f32_e32 v26, v14, v14
	v_mov_b32_e32 v12, 0x3ecc95a3
	v_fmamk_f32 v12, v26, 0x3e9b6dac, v12
	s_waitcnt vmcnt(0)
	v_fmaak_f32 v29, v26, v12, 0x3f2aaada
	v_cvt_f32_i32_e32 v12, v19
	v_sub_f32_e32 v13, v14, v13
	v_sub_f32_e32 v8, v8, v13
	v_mul_f32_e32 v13, v14, v26
	v_ldexp_f32 v15, v14, 1
	v_ldexp_f32 v8, v8, 1
	s_or_b64 vcc, s[52:53], vcc
	v_mov_b32_e32 v14, v28
	v_pk_mul_f32 v[26:27], v[12:13], v[28:29]
	scratch_store_dwordx2 off, v[14:15], off offset:164 ; 8-byte Folded Spill
	v_fma_f32 v14, v12, s56, -v26
	v_fmac_f32_e32 v14, 0xb102e308, v12
	v_pk_add_f32 v[12:13], v[26:27], v[14:15]
	v_mov_b32_e32 v28, v26
	v_sub_f32_e32 v15, v13, v15
	v_sub_f32_e32 v15, v27, v15
	v_add_f32_e32 v29, v8, v15
	v_pk_add_f32 v[26:27], v[12:13], v[26:27] neg_lo:[0,1] neg_hi:[0,1]
	v_pk_add_f32 v[30:31], v[12:13], v[28:29]
	v_mov_b32_e32 v15, v12
	v_mov_b32_e32 v27, v31
	v_pk_add_f32 v[32:33], v[14:15], v[26:27] neg_lo:[0,1] neg_hi:[0,1]
	v_pk_add_f32 v[14:15], v[14:15], v[26:27]
	s_nop 0
	v_mov_b32_e32 v8, v15
	v_pk_add_f32 v[26:27], v[8:9], v[12:13] neg_lo:[0,1] neg_hi:[0,1]
	v_mov_b32_e32 v14, v31
	v_mov_b32_e32 v19, v26
	v_pk_add_f32 v[34:35], v[30:31], v[18:19] neg_lo:[0,1] neg_hi:[0,1]
	v_mov_b32_e32 v30, v13
	v_mov_b32_e32 v31, v26
	;; [unrolled: 1-line block ×3, first 2 shown]
	v_pk_add_f32 v[14:15], v[14:15], v[30:31] neg_lo:[0,1] neg_hi:[0,1]
	v_mov_b32_e32 v26, v29
	v_mov_b32_e32 v27, v12
	v_pk_add_f32 v[12:13], v[26:27], v[14:15] neg_lo:[0,1] neg_hi:[0,1]
	v_mov_b32_e32 v34, v32
	v_pk_add_f32 v[14:15], v[34:35], v[12:13]
	s_nop 0
	v_mov_b32_e32 v26, v15
	v_pk_add_f32 v[26:27], v[14:15], v[26:27]
	s_nop 0
	v_pk_add_f32 v[28:29], v[8:9], v[26:27]
	v_mov_b32_e32 v13, v26
	v_mov_b32_e32 v15, v28
	v_pk_add_f32 v[30:31], v[14:15], v[32:33] neg_lo:[0,1] neg_hi:[0,1]
	s_nop 0
	v_sub_f32_e32 v8, v14, v30
	v_pk_add_f32 v[12:13], v[12:13], v[30:31] neg_lo:[0,1] neg_hi:[0,1]
	v_sub_f32_e32 v8, v32, v8
	v_add_f32_e32 v8, v12, v8
	v_add_f32_e32 v8, v8, v13
	v_add_f32_e32 v8, v28, v8
	v_cndmask_b32_e32 v60, v8, v36, vcc
.LBB80_95:                              ;   in Loop: Header=BB80_13 Depth=1
	s_or_b64 exec, exec, s[54:55]
	v_cvt_f32_f16_e32 v8, v9
	v_readlane_b32 s0, v95, 2
	s_nop 1
	v_add_f32_e32 v61, s0, v8
	v_cmp_ge_f32_e32 vcc, s4, v61
	s_and_b64 s[0:1], s[6:7], vcc
	s_and_saveexec_b64 s[54:55], s[0:1]
	s_cbranch_execz .LBB80_97
; %bb.96:                               ;   in Loop: Header=BB80_13 Depth=1
	v_mul_f32_e32 v8, 0x3fb8aa3b, v61
	v_rndne_f32_e32 v12, v8
	v_sub_f32_e32 v13, v8, v12
	v_fma_f32 v8, v61, s5, -v8
	v_fmac_f32_e32 v8, 0x32a5705f, v61
	v_add_f32_e32 v8, v13, v8
	v_cvt_i32_f32_e32 v12, v12
	v_exp_f32_e32 v8, v8
	v_cmp_ngt_f32_e32 vcc, s8, v61
	v_ldexp_f32 v8, v8, v12
	s_nop 0
	v_cndmask_b32_e32 v8, 0, v8, vcc
	v_cmp_nlt_f32_e32 vcc, s9, v61
	s_nop 1
	v_cndmask_b32_e32 v36, v39, v8, vcc
	v_add_f32_e32 v8, 1.0, v36
	v_add_f32_e32 v12, -1.0, v8
	v_sub_f32_e32 v13, v12, v8
	v_add_f32_e32 v13, 1.0, v13
	v_sub_f32_e32 v12, v36, v12
	v_add_f32_e32 v14, v12, v13
	v_frexp_mant_f32_e32 v15, v8
	v_cvt_f64_f32_e32 v[12:13], v8
	v_frexp_exp_i32_f64_e32 v12, v[12:13]
	v_cmp_gt_f32_e32 vcc, s11, v15
	v_cmp_gt_f32_e64 s[52:53], s57, v36
	s_nop 0
	v_subbrev_co_u32_e32 v19, vcc, 0, v12, vcc
	v_sub_u32_e32 v12, 0, v19
	v_ldexp_f32 v8, v8, v12
	v_ldexp_f32 v12, v14, v12
	v_add_f32_e32 v14, -1.0, v8
	v_add_f32_e32 v13, 1.0, v14
	v_sub_f32_e32 v13, v8, v13
	v_add_f32_e32 v15, v12, v13
	v_add_f32_e32 v13, 1.0, v8
	v_add_f32_e32 v26, -1.0, v13
	v_sub_f32_e32 v8, v8, v26
	v_add_f32_e32 v8, v12, v8
	v_add_f32_e32 v30, v13, v8
	v_rcp_f32_e32 v31, v30
	v_sub_f32_e32 v12, v13, v30
	v_add_f32_e32 v13, v14, v15
	v_add_f32_e32 v8, v8, v12
	v_mul_f32_e32 v33, v13, v31
	v_sub_f32_e32 v12, v14, v13
	v_mul_f32_e32 v14, v30, v33
	v_fma_f32 v26, v33, v30, -v14
	v_fmac_f32_e32 v26, v33, v8
	v_add_f32_e32 v32, v15, v12
	v_add_f32_e32 v12, v14, v26
	v_sub_f32_e32 v15, v13, v12
	v_pk_add_f32 v[28:29], v[12:13], v[14:15] neg_lo:[0,1] neg_hi:[0,1]
	v_mov_b32_e32 v27, v12
	v_pk_add_f32 v[12:13], v[28:29], v[26:27] neg_lo:[0,1] neg_hi:[0,1]
	v_cmp_eq_f32_e32 vcc, s10, v36
	v_add_f32_e32 v13, v32, v13
	v_add_f32_e32 v12, v12, v13
	;; [unrolled: 1-line block ×3, first 2 shown]
	v_mul_f32_e32 v32, v31, v13
	v_mul_f32_e32 v14, v30, v32
	v_fma_f32 v26, v32, v30, -v14
	v_fmac_f32_e32 v26, v32, v8
	v_sub_f32_e32 v8, v15, v13
	v_add_f32_e32 v8, v12, v8
	v_add_f32_e32 v12, v14, v26
	v_sub_f32_e32 v15, v13, v12
	v_pk_add_f32 v[28:29], v[12:13], v[14:15] neg_lo:[0,1] neg_hi:[0,1]
	v_mov_b32_e32 v27, v12
	v_pk_add_f32 v[12:13], v[28:29], v[26:27] neg_lo:[0,1] neg_hi:[0,1]
	scratch_load_dwordx2 v[28:29], off, off offset:164 ; 8-byte Folded Reload
	v_add_f32_e32 v8, v8, v13
	v_add_f32_e32 v8, v12, v8
	;; [unrolled: 1-line block ×4, first 2 shown]
	v_sub_f32_e32 v12, v13, v33
	v_mul_f32_e32 v8, v31, v8
	v_sub_f32_e32 v12, v32, v12
	v_add_f32_e32 v8, v12, v8
	v_add_f32_e32 v14, v13, v8
	v_mul_f32_e32 v26, v14, v14
	v_mov_b32_e32 v12, 0x3ecc95a3
	v_fmamk_f32 v12, v26, 0x3e9b6dac, v12
	s_waitcnt vmcnt(0)
	v_fmaak_f32 v29, v26, v12, 0x3f2aaada
	v_cvt_f32_i32_e32 v12, v19
	v_sub_f32_e32 v13, v14, v13
	v_sub_f32_e32 v8, v8, v13
	v_mul_f32_e32 v13, v14, v26
	v_ldexp_f32 v15, v14, 1
	v_ldexp_f32 v8, v8, 1
	s_or_b64 vcc, s[52:53], vcc
	v_mov_b32_e32 v14, v28
	v_pk_mul_f32 v[26:27], v[12:13], v[28:29]
	scratch_store_dwordx2 off, v[14:15], off offset:164 ; 8-byte Folded Spill
	v_fma_f32 v14, v12, s56, -v26
	v_fmac_f32_e32 v14, 0xb102e308, v12
	v_pk_add_f32 v[12:13], v[26:27], v[14:15]
	v_mov_b32_e32 v28, v26
	v_sub_f32_e32 v15, v13, v15
	v_sub_f32_e32 v15, v27, v15
	v_add_f32_e32 v29, v8, v15
	v_pk_add_f32 v[26:27], v[12:13], v[26:27] neg_lo:[0,1] neg_hi:[0,1]
	v_pk_add_f32 v[30:31], v[12:13], v[28:29]
	v_mov_b32_e32 v15, v12
	v_mov_b32_e32 v27, v31
	v_pk_add_f32 v[32:33], v[14:15], v[26:27] neg_lo:[0,1] neg_hi:[0,1]
	v_pk_add_f32 v[14:15], v[14:15], v[26:27]
	s_nop 0
	v_mov_b32_e32 v8, v15
	v_pk_add_f32 v[26:27], v[8:9], v[12:13] neg_lo:[0,1] neg_hi:[0,1]
	v_mov_b32_e32 v14, v31
	v_mov_b32_e32 v19, v26
	v_pk_add_f32 v[34:35], v[30:31], v[18:19] neg_lo:[0,1] neg_hi:[0,1]
	v_mov_b32_e32 v30, v13
	v_mov_b32_e32 v31, v26
	v_mov_b32_e32 v33, v15
	v_pk_add_f32 v[14:15], v[14:15], v[30:31] neg_lo:[0,1] neg_hi:[0,1]
	v_mov_b32_e32 v26, v29
	v_mov_b32_e32 v27, v12
	v_pk_add_f32 v[12:13], v[26:27], v[14:15] neg_lo:[0,1] neg_hi:[0,1]
	v_mov_b32_e32 v34, v32
	v_pk_add_f32 v[14:15], v[34:35], v[12:13]
	s_nop 0
	v_mov_b32_e32 v26, v15
	v_pk_add_f32 v[26:27], v[14:15], v[26:27]
	s_nop 0
	v_pk_add_f32 v[28:29], v[8:9], v[26:27]
	v_mov_b32_e32 v13, v26
	v_mov_b32_e32 v15, v28
	v_pk_add_f32 v[30:31], v[14:15], v[32:33] neg_lo:[0,1] neg_hi:[0,1]
	s_nop 0
	v_sub_f32_e32 v8, v14, v30
	v_pk_add_f32 v[12:13], v[12:13], v[30:31] neg_lo:[0,1] neg_hi:[0,1]
	v_sub_f32_e32 v8, v32, v8
	v_add_f32_e32 v8, v12, v8
	v_add_f32_e32 v8, v8, v13
	;; [unrolled: 1-line block ×3, first 2 shown]
	v_cndmask_b32_e32 v61, v8, v36, vcc
.LBB80_97:                              ;   in Loop: Header=BB80_13 Depth=1
	s_or_b64 exec, exec, s[54:55]
	v_cvt_f32_f16_sdwa v8, v9 dst_sel:DWORD dst_unused:UNUSED_PAD src0_sel:WORD_1
	v_readlane_b32 s0, v95, 2
	s_nop 1
	v_add_f32_e32 v62, s0, v8
	v_cmp_ge_f32_e32 vcc, s4, v62
	s_and_b64 s[0:1], s[6:7], vcc
	s_and_saveexec_b64 s[54:55], s[0:1]
	s_cbranch_execz .LBB80_99
; %bb.98:                               ;   in Loop: Header=BB80_13 Depth=1
	v_mul_f32_e32 v8, 0x3fb8aa3b, v62
	v_rndne_f32_e32 v9, v8
	v_sub_f32_e32 v12, v8, v9
	v_fma_f32 v8, v62, s5, -v8
	v_fmac_f32_e32 v8, 0x32a5705f, v62
	v_add_f32_e32 v8, v12, v8
	v_cvt_i32_f32_e32 v9, v9
	v_exp_f32_e32 v8, v8
	v_cmp_ngt_f32_e32 vcc, s8, v62
	v_ldexp_f32 v8, v8, v9
	s_nop 0
	v_cndmask_b32_e32 v8, 0, v8, vcc
	v_cmp_nlt_f32_e32 vcc, s9, v62
	s_nop 1
	v_cndmask_b32_e32 v19, v39, v8, vcc
	v_add_f32_e32 v12, 1.0, v19
	v_add_f32_e32 v8, -1.0, v12
	v_sub_f32_e32 v9, v8, v12
	v_add_f32_e32 v9, 1.0, v9
	v_sub_f32_e32 v8, v19, v8
	v_add_f32_e32 v13, v8, v9
	v_frexp_mant_f32_e32 v14, v12
	v_cvt_f64_f32_e32 v[8:9], v12
	v_frexp_exp_i32_f64_e32 v8, v[8:9]
	v_cmp_gt_f32_e32 vcc, s11, v14
	v_cmp_gt_f32_e64 s[52:53], s57, v19
	s_nop 0
	v_subbrev_co_u32_e32 v28, vcc, 0, v8, vcc
	v_sub_u32_e32 v8, 0, v28
	v_ldexp_f32 v9, v12, v8
	v_add_f32_e32 v12, -1.0, v9
	v_add_f32_e32 v14, 1.0, v9
	v_ldexp_f32 v8, v13, v8
	v_add_f32_e32 v13, 1.0, v12
	v_add_f32_e32 v15, -1.0, v14
	v_sub_f32_e32 v13, v9, v13
	v_sub_f32_e32 v9, v9, v15
	v_add_f32_e32 v13, v8, v13
	v_add_f32_e32 v8, v8, v9
	;; [unrolled: 1-line block ×3, first 2 shown]
	v_rcp_f32_e32 v31, v29
	v_sub_f32_e32 v9, v14, v29
	v_add_f32_e32 v30, v8, v9
	v_add_f32_e32 v9, v12, v13
	v_mul_f32_e32 v33, v9, v31
	v_sub_f32_e32 v8, v12, v9
	v_mul_f32_e32 v12, v29, v33
	v_fma_f32 v14, v33, v29, -v12
	v_fmac_f32_e32 v14, v33, v30
	v_add_f32_e32 v32, v13, v8
	v_add_f32_e32 v8, v12, v14
	v_sub_f32_e32 v13, v9, v8
	v_pk_add_f32 v[26:27], v[8:9], v[12:13] neg_lo:[0,1] neg_hi:[0,1]
	v_mov_b32_e32 v15, v8
	v_pk_add_f32 v[8:9], v[26:27], v[14:15] neg_lo:[0,1] neg_hi:[0,1]
	v_cmp_eq_f32_e32 vcc, s10, v19
	v_add_f32_e32 v9, v32, v9
	v_add_f32_e32 v8, v8, v9
	;; [unrolled: 1-line block ×3, first 2 shown]
	v_mul_f32_e32 v32, v31, v9
	v_mul_f32_e32 v12, v29, v32
	v_fma_f32 v14, v32, v29, -v12
	v_fmac_f32_e32 v14, v32, v30
	v_sub_f32_e32 v13, v13, v9
	v_add_f32_e32 v29, v8, v13
	v_add_f32_e32 v8, v12, v14
	v_sub_f32_e32 v13, v9, v8
	v_pk_add_f32 v[26:27], v[8:9], v[12:13] neg_lo:[0,1] neg_hi:[0,1]
	v_mov_b32_e32 v15, v8
	v_pk_add_f32 v[8:9], v[26:27], v[14:15] neg_lo:[0,1] neg_hi:[0,1]
	scratch_load_dwordx2 v[26:27], off, off offset:164 ; 8-byte Folded Reload
	v_add_f32_e32 v9, v29, v9
	v_add_f32_e32 v8, v8, v9
	;; [unrolled: 1-line block ×4, first 2 shown]
	v_sub_f32_e32 v12, v9, v33
	v_mul_f32_e32 v8, v31, v8
	v_sub_f32_e32 v12, v32, v12
	v_add_f32_e32 v12, v12, v8
	v_add_f32_e32 v14, v9, v12
	v_mul_f32_e32 v15, v14, v14
	v_mov_b32_e32 v8, 0x3ecc95a3
	v_fmamk_f32 v8, v15, 0x3e9b6dac, v8
	v_fmaak_f32 v31, v15, v8, 0x3f2aaada
	v_cvt_f32_i32_e32 v8, v28
	v_sub_f32_e32 v9, v14, v9
	v_sub_f32_e32 v9, v12, v9
	v_ldexp_f32 v13, v14, 1
	s_or_b64 vcc, s[52:53], vcc
	s_waitcnt vmcnt(0)
	v_mov_b32_e32 v30, v26
	v_ldexp_f32 v26, v9, 1
	v_mul_f32_e32 v9, v14, v15
	v_mov_b32_e32 v12, v30
	v_pk_mul_f32 v[14:15], v[8:9], v[30:31]
	scratch_store_dwordx2 off, v[12:13], off offset:164 ; 8-byte Folded Spill
	v_fma_f32 v12, v8, s56, -v14
	v_fmac_f32_e32 v12, 0xb102e308, v8
	v_pk_add_f32 v[8:9], v[14:15], v[12:13]
	s_nop 0
	v_sub_f32_e32 v13, v9, v13
	v_sub_f32_e32 v13, v15, v13
	v_add_f32_e32 v27, v26, v13
	v_mov_b32_e32 v26, v14
	v_pk_add_f32 v[14:15], v[8:9], v[14:15] neg_lo:[0,1] neg_hi:[0,1]
	v_pk_add_f32 v[28:29], v[8:9], v[26:27]
	v_mov_b32_e32 v13, v8
	v_mov_b32_e32 v15, v29
	v_pk_add_f32 v[30:31], v[12:13], v[14:15] neg_lo:[0,1] neg_hi:[0,1]
	v_pk_add_f32 v[12:13], v[12:13], v[14:15]
	v_mov_b32_e32 v26, v27
	v_mov_b32_e32 v14, v13
	v_pk_add_f32 v[32:33], v[14:15], v[8:9] neg_lo:[0,1] neg_hi:[0,1]
	v_mov_b32_e32 v12, v29
	v_mov_b32_e32 v15, v32
	v_pk_add_f32 v[34:35], v[28:29], v[14:15] neg_lo:[0,1] neg_hi:[0,1]
	v_mov_b32_e32 v28, v9
	v_mov_b32_e32 v29, v32
	v_mov_b32_e32 v31, v13
	v_pk_add_f32 v[12:13], v[12:13], v[28:29] neg_lo:[0,1] neg_hi:[0,1]
	v_mov_b32_e32 v27, v8
	v_pk_add_f32 v[8:9], v[26:27], v[12:13] neg_lo:[0,1] neg_hi:[0,1]
	v_mov_b32_e32 v34, v30
	v_pk_add_f32 v[12:13], v[34:35], v[8:9]
	s_nop 0
	v_mov_b32_e32 v26, v13
	v_pk_add_f32 v[26:27], v[12:13], v[26:27]
	s_nop 0
	v_pk_add_f32 v[14:15], v[14:15], v[26:27]
	v_mov_b32_e32 v9, v26
	v_mov_b32_e32 v13, v14
	v_pk_add_f32 v[28:29], v[12:13], v[30:31] neg_lo:[0,1] neg_hi:[0,1]
	s_nop 0
	v_sub_f32_e32 v12, v12, v28
	v_pk_add_f32 v[8:9], v[8:9], v[28:29] neg_lo:[0,1] neg_hi:[0,1]
	v_sub_f32_e32 v12, v30, v12
	v_add_f32_e32 v8, v8, v12
	v_add_f32_e32 v8, v8, v9
	;; [unrolled: 1-line block ×3, first 2 shown]
	v_cndmask_b32_e32 v62, v8, v19, vcc
.LBB80_99:                              ;   in Loop: Header=BB80_13 Depth=1
	s_or_b64 exec, exec, s[54:55]
	v_cvt_f32_f16_e32 v8, v10
	v_readlane_b32 s0, v95, 2
	s_nop 1
	v_add_f32_e32 v63, s0, v8
	v_cmp_ge_f32_e32 vcc, s4, v63
	s_and_b64 s[0:1], s[6:7], vcc
	s_and_saveexec_b64 s[54:55], s[0:1]
	s_cbranch_execz .LBB80_101
; %bb.100:                              ;   in Loop: Header=BB80_13 Depth=1
	v_mul_f32_e32 v8, 0x3fb8aa3b, v63
	v_rndne_f32_e32 v9, v8
	v_sub_f32_e32 v12, v8, v9
	v_fma_f32 v8, v63, s5, -v8
	v_fmac_f32_e32 v8, 0x32a5705f, v63
	v_add_f32_e32 v8, v12, v8
	v_cvt_i32_f32_e32 v9, v9
	v_exp_f32_e32 v8, v8
	v_cmp_ngt_f32_e32 vcc, s8, v63
	v_ldexp_f32 v8, v8, v9
	s_nop 0
	v_cndmask_b32_e32 v8, 0, v8, vcc
	v_cmp_nlt_f32_e32 vcc, s9, v63
	s_nop 1
	v_cndmask_b32_e32 v19, v39, v8, vcc
	v_add_f32_e32 v12, 1.0, v19
	v_add_f32_e32 v8, -1.0, v12
	v_sub_f32_e32 v9, v8, v12
	v_add_f32_e32 v9, 1.0, v9
	v_sub_f32_e32 v8, v19, v8
	v_add_f32_e32 v13, v8, v9
	v_frexp_mant_f32_e32 v14, v12
	v_cvt_f64_f32_e32 v[8:9], v12
	v_frexp_exp_i32_f64_e32 v8, v[8:9]
	v_cmp_gt_f32_e32 vcc, s11, v14
	v_cmp_gt_f32_e64 s[52:53], s57, v19
	s_nop 0
	v_subbrev_co_u32_e32 v28, vcc, 0, v8, vcc
	v_sub_u32_e32 v8, 0, v28
	v_ldexp_f32 v9, v12, v8
	v_add_f32_e32 v12, -1.0, v9
	v_add_f32_e32 v14, 1.0, v9
	v_ldexp_f32 v8, v13, v8
	v_add_f32_e32 v13, 1.0, v12
	v_add_f32_e32 v15, -1.0, v14
	v_sub_f32_e32 v13, v9, v13
	v_sub_f32_e32 v9, v9, v15
	v_add_f32_e32 v13, v8, v13
	v_add_f32_e32 v8, v8, v9
	v_add_f32_e32 v29, v14, v8
	v_rcp_f32_e32 v31, v29
	v_sub_f32_e32 v9, v14, v29
	v_add_f32_e32 v30, v8, v9
	v_add_f32_e32 v9, v12, v13
	v_mul_f32_e32 v33, v9, v31
	v_sub_f32_e32 v8, v12, v9
	v_mul_f32_e32 v12, v29, v33
	v_fma_f32 v14, v33, v29, -v12
	v_fmac_f32_e32 v14, v33, v30
	v_add_f32_e32 v32, v13, v8
	v_add_f32_e32 v8, v12, v14
	v_sub_f32_e32 v13, v9, v8
	v_pk_add_f32 v[26:27], v[8:9], v[12:13] neg_lo:[0,1] neg_hi:[0,1]
	v_mov_b32_e32 v15, v8
	v_pk_add_f32 v[8:9], v[26:27], v[14:15] neg_lo:[0,1] neg_hi:[0,1]
	v_cmp_eq_f32_e32 vcc, s10, v19
	v_add_f32_e32 v9, v32, v9
	v_add_f32_e32 v8, v8, v9
	;; [unrolled: 1-line block ×3, first 2 shown]
	v_mul_f32_e32 v32, v31, v9
	v_mul_f32_e32 v12, v29, v32
	v_fma_f32 v14, v32, v29, -v12
	v_fmac_f32_e32 v14, v32, v30
	v_sub_f32_e32 v13, v13, v9
	v_add_f32_e32 v29, v8, v13
	v_add_f32_e32 v8, v12, v14
	v_sub_f32_e32 v13, v9, v8
	v_pk_add_f32 v[26:27], v[8:9], v[12:13] neg_lo:[0,1] neg_hi:[0,1]
	v_mov_b32_e32 v15, v8
	v_pk_add_f32 v[8:9], v[26:27], v[14:15] neg_lo:[0,1] neg_hi:[0,1]
	scratch_load_dwordx2 v[26:27], off, off offset:164 ; 8-byte Folded Reload
	v_add_f32_e32 v9, v29, v9
	v_add_f32_e32 v8, v8, v9
	;; [unrolled: 1-line block ×4, first 2 shown]
	v_sub_f32_e32 v12, v9, v33
	v_mul_f32_e32 v8, v31, v8
	v_sub_f32_e32 v12, v32, v12
	v_add_f32_e32 v12, v12, v8
	v_add_f32_e32 v14, v9, v12
	v_mul_f32_e32 v15, v14, v14
	v_mov_b32_e32 v8, 0x3ecc95a3
	v_fmamk_f32 v8, v15, 0x3e9b6dac, v8
	v_fmaak_f32 v31, v15, v8, 0x3f2aaada
	v_cvt_f32_i32_e32 v8, v28
	v_sub_f32_e32 v9, v14, v9
	v_sub_f32_e32 v9, v12, v9
	v_ldexp_f32 v13, v14, 1
	s_or_b64 vcc, s[52:53], vcc
	s_waitcnt vmcnt(0)
	v_mov_b32_e32 v30, v26
	v_ldexp_f32 v26, v9, 1
	v_mul_f32_e32 v9, v14, v15
	v_mov_b32_e32 v12, v30
	v_pk_mul_f32 v[14:15], v[8:9], v[30:31]
	scratch_store_dwordx2 off, v[12:13], off offset:164 ; 8-byte Folded Spill
	v_fma_f32 v12, v8, s56, -v14
	v_fmac_f32_e32 v12, 0xb102e308, v8
	v_pk_add_f32 v[8:9], v[14:15], v[12:13]
	s_nop 0
	v_sub_f32_e32 v13, v9, v13
	v_sub_f32_e32 v13, v15, v13
	v_add_f32_e32 v27, v26, v13
	v_mov_b32_e32 v26, v14
	v_pk_add_f32 v[14:15], v[8:9], v[14:15] neg_lo:[0,1] neg_hi:[0,1]
	v_pk_add_f32 v[28:29], v[8:9], v[26:27]
	v_mov_b32_e32 v13, v8
	v_mov_b32_e32 v15, v29
	v_pk_add_f32 v[30:31], v[12:13], v[14:15] neg_lo:[0,1] neg_hi:[0,1]
	v_pk_add_f32 v[12:13], v[12:13], v[14:15]
	v_mov_b32_e32 v26, v27
	v_mov_b32_e32 v14, v13
	v_pk_add_f32 v[32:33], v[14:15], v[8:9] neg_lo:[0,1] neg_hi:[0,1]
	v_mov_b32_e32 v12, v29
	v_mov_b32_e32 v15, v32
	v_pk_add_f32 v[34:35], v[28:29], v[14:15] neg_lo:[0,1] neg_hi:[0,1]
	v_mov_b32_e32 v28, v9
	v_mov_b32_e32 v29, v32
	;; [unrolled: 1-line block ×3, first 2 shown]
	v_pk_add_f32 v[12:13], v[12:13], v[28:29] neg_lo:[0,1] neg_hi:[0,1]
	v_mov_b32_e32 v27, v8
	v_pk_add_f32 v[8:9], v[26:27], v[12:13] neg_lo:[0,1] neg_hi:[0,1]
	v_mov_b32_e32 v34, v30
	v_pk_add_f32 v[12:13], v[34:35], v[8:9]
	s_nop 0
	v_mov_b32_e32 v26, v13
	v_pk_add_f32 v[26:27], v[12:13], v[26:27]
	s_nop 0
	v_pk_add_f32 v[14:15], v[14:15], v[26:27]
	v_mov_b32_e32 v9, v26
	v_mov_b32_e32 v13, v14
	v_pk_add_f32 v[28:29], v[12:13], v[30:31] neg_lo:[0,1] neg_hi:[0,1]
	s_nop 0
	v_sub_f32_e32 v12, v12, v28
	v_pk_add_f32 v[8:9], v[8:9], v[28:29] neg_lo:[0,1] neg_hi:[0,1]
	v_sub_f32_e32 v12, v30, v12
	v_add_f32_e32 v8, v8, v12
	v_add_f32_e32 v8, v8, v9
	;; [unrolled: 1-line block ×3, first 2 shown]
	v_cndmask_b32_e32 v63, v8, v19, vcc
.LBB80_101:                             ;   in Loop: Header=BB80_13 Depth=1
	s_or_b64 exec, exec, s[54:55]
	v_cvt_f32_f16_sdwa v8, v10 dst_sel:DWORD dst_unused:UNUSED_PAD src0_sel:WORD_1
	v_readlane_b32 s0, v95, 2
	s_nop 1
	v_add_f32_e32 v64, s0, v8
	v_cmp_ge_f32_e32 vcc, s4, v64
	s_and_b64 s[0:1], s[6:7], vcc
	s_and_saveexec_b64 s[54:55], s[0:1]
	s_cbranch_execz .LBB80_103
; %bb.102:                              ;   in Loop: Header=BB80_13 Depth=1
	v_mul_f32_e32 v8, 0x3fb8aa3b, v64
	v_rndne_f32_e32 v9, v8
	v_sub_f32_e32 v10, v8, v9
	v_fma_f32 v8, v64, s5, -v8
	v_fmac_f32_e32 v8, 0x32a5705f, v64
	v_add_f32_e32 v8, v10, v8
	v_cvt_i32_f32_e32 v9, v9
	v_exp_f32_e32 v8, v8
	v_cmp_ngt_f32_e32 vcc, s8, v64
	v_ldexp_f32 v8, v8, v9
	s_nop 0
	v_cndmask_b32_e32 v8, 0, v8, vcc
	v_cmp_nlt_f32_e32 vcc, s9, v64
	s_nop 1
	v_cndmask_b32_e32 v19, v39, v8, vcc
	v_add_f32_e32 v10, 1.0, v19
	v_add_f32_e32 v8, -1.0, v10
	v_sub_f32_e32 v9, v8, v10
	v_add_f32_e32 v9, 1.0, v9
	v_sub_f32_e32 v8, v19, v8
	v_add_f32_e32 v12, v8, v9
	v_frexp_mant_f32_e32 v13, v10
	v_cvt_f64_f32_e32 v[8:9], v10
	v_frexp_exp_i32_f64_e32 v8, v[8:9]
	v_cmp_gt_f32_e32 vcc, s11, v13
	v_cmp_gt_f32_e64 s[52:53], s57, v19
	s_nop 0
	v_subbrev_co_u32_e32 v28, vcc, 0, v8, vcc
	v_sub_u32_e32 v8, 0, v28
	v_ldexp_f32 v9, v10, v8
	v_add_f32_e32 v10, -1.0, v9
	v_add_f32_e32 v13, 1.0, v9
	v_ldexp_f32 v8, v12, v8
	v_add_f32_e32 v12, 1.0, v10
	v_add_f32_e32 v14, -1.0, v13
	v_sub_f32_e32 v12, v9, v12
	v_sub_f32_e32 v9, v9, v14
	v_add_f32_e32 v12, v8, v12
	v_add_f32_e32 v8, v8, v9
	;; [unrolled: 1-line block ×3, first 2 shown]
	v_rcp_f32_e32 v31, v29
	v_sub_f32_e32 v9, v13, v29
	v_add_f32_e32 v30, v8, v9
	v_add_f32_e32 v9, v10, v12
	v_sub_f32_e32 v8, v10, v9
	v_mul_f32_e32 v32, v9, v31
	v_add_f32_e32 v10, v12, v8
	v_mul_f32_e32 v12, v29, v32
	v_fma_f32 v14, v32, v29, -v12
	v_fmac_f32_e32 v14, v32, v30
	v_add_f32_e32 v8, v12, v14
	v_sub_f32_e32 v13, v9, v8
	v_pk_add_f32 v[26:27], v[8:9], v[12:13] neg_lo:[0,1] neg_hi:[0,1]
	v_mov_b32_e32 v15, v8
	v_pk_add_f32 v[8:9], v[26:27], v[14:15] neg_lo:[0,1] neg_hi:[0,1]
	v_cmp_eq_f32_e32 vcc, s10, v19
	v_add_f32_e32 v9, v10, v9
	v_add_f32_e32 v8, v8, v9
	;; [unrolled: 1-line block ×3, first 2 shown]
	v_mul_f32_e32 v10, v31, v9
	v_mul_f32_e32 v12, v29, v10
	v_fma_f32 v14, v10, v29, -v12
	v_fmac_f32_e32 v14, v10, v30
	v_sub_f32_e32 v13, v13, v9
	v_add_f32_e32 v29, v8, v13
	v_add_f32_e32 v8, v12, v14
	v_sub_f32_e32 v13, v9, v8
	v_pk_add_f32 v[26:27], v[8:9], v[12:13] neg_lo:[0,1] neg_hi:[0,1]
	v_mov_b32_e32 v15, v8
	v_pk_add_f32 v[8:9], v[26:27], v[14:15] neg_lo:[0,1] neg_hi:[0,1]
	scratch_load_dwordx2 v[26:27], off, off offset:164 ; 8-byte Folded Reload
	v_add_f32_e32 v9, v29, v9
	v_add_f32_e32 v8, v8, v9
	;; [unrolled: 1-line block ×4, first 2 shown]
	v_sub_f32_e32 v12, v9, v32
	v_mul_f32_e32 v8, v31, v8
	v_sub_f32_e32 v10, v10, v12
	v_add_f32_e32 v10, v10, v8
	v_add_f32_e32 v12, v9, v10
	v_mul_f32_e32 v14, v12, v12
	v_mov_b32_e32 v8, 0x3ecc95a3
	v_fmamk_f32 v8, v14, 0x3e9b6dac, v8
	s_waitcnt vmcnt(0)
	v_fmaak_f32 v27, v14, v8, 0x3f2aaada
	v_cvt_f32_i32_e32 v8, v28
	v_sub_f32_e32 v9, v12, v9
	v_sub_f32_e32 v9, v10, v9
	v_ldexp_f32 v10, v9, 1
	v_mul_f32_e32 v9, v12, v14
	v_ldexp_f32 v13, v12, 1
	s_or_b64 vcc, s[52:53], vcc
	v_mov_b32_e32 v12, v26
	v_pk_mul_f32 v[14:15], v[8:9], v[26:27]
	scratch_store_dwordx2 off, v[12:13], off offset:164 ; 8-byte Folded Spill
	v_fma_f32 v12, v8, s56, -v14
	v_fmac_f32_e32 v12, 0xb102e308, v8
	v_pk_add_f32 v[8:9], v[14:15], v[12:13]
	v_mov_b32_e32 v26, v14
	v_sub_f32_e32 v13, v9, v13
	v_sub_f32_e32 v13, v15, v13
	v_add_f32_e32 v27, v10, v13
	v_pk_add_f32 v[14:15], v[8:9], v[14:15] neg_lo:[0,1] neg_hi:[0,1]
	v_pk_add_f32 v[28:29], v[8:9], v[26:27]
	v_mov_b32_e32 v13, v8
	v_mov_b32_e32 v15, v29
	v_pk_add_f32 v[30:31], v[12:13], v[14:15] neg_lo:[0,1] neg_hi:[0,1]
	v_pk_add_f32 v[12:13], v[12:13], v[14:15]
	s_nop 0
	v_mov_b32_e32 v10, v13
	v_pk_add_f32 v[14:15], v[10:11], v[8:9] neg_lo:[0,1] neg_hi:[0,1]
	v_mov_b32_e32 v12, v29
	v_mov_b32_e32 v15, v14
	v_pk_add_f32 v[32:33], v[28:29], v[14:15] neg_lo:[0,1] neg_hi:[0,1]
	v_mov_b32_e32 v28, v9
	v_mov_b32_e32 v29, v14
	;; [unrolled: 1-line block ×3, first 2 shown]
	v_pk_add_f32 v[12:13], v[12:13], v[28:29] neg_lo:[0,1] neg_hi:[0,1]
	v_mov_b32_e32 v14, v27
	v_mov_b32_e32 v15, v8
	v_pk_add_f32 v[8:9], v[14:15], v[12:13] neg_lo:[0,1] neg_hi:[0,1]
	v_mov_b32_e32 v32, v30
	v_pk_add_f32 v[12:13], v[32:33], v[8:9]
	s_nop 0
	v_mov_b32_e32 v14, v13
	v_pk_add_f32 v[14:15], v[12:13], v[14:15]
	s_nop 0
	v_pk_add_f32 v[26:27], v[10:11], v[14:15]
	v_mov_b32_e32 v9, v14
	v_mov_b32_e32 v13, v26
	v_pk_add_f32 v[28:29], v[12:13], v[30:31] neg_lo:[0,1] neg_hi:[0,1]
	s_nop 0
	v_sub_f32_e32 v10, v12, v28
	v_pk_add_f32 v[8:9], v[8:9], v[28:29] neg_lo:[0,1] neg_hi:[0,1]
	v_sub_f32_e32 v10, v30, v10
	v_add_f32_e32 v8, v8, v10
	v_add_f32_e32 v8, v8, v9
	;; [unrolled: 1-line block ×3, first 2 shown]
	v_cndmask_b32_e32 v64, v8, v19, vcc
.LBB80_103:                             ;   in Loop: Header=BB80_13 Depth=1
	s_or_b64 exec, exec, s[54:55]
	v_cvt_f32_f16_e32 v8, v11
	v_readlane_b32 s0, v95, 2
	s_nop 1
	v_add_f32_e32 v65, s0, v8
	v_cmp_ge_f32_e32 vcc, s4, v65
	s_and_b64 s[0:1], s[6:7], vcc
	s_and_saveexec_b64 s[54:55], s[0:1]
	s_cbranch_execz .LBB80_105
; %bb.104:                              ;   in Loop: Header=BB80_13 Depth=1
	v_mul_f32_e32 v8, 0x3fb8aa3b, v65
	v_rndne_f32_e32 v9, v8
	v_sub_f32_e32 v10, v8, v9
	v_fma_f32 v8, v65, s5, -v8
	v_fmac_f32_e32 v8, 0x32a5705f, v65
	v_add_f32_e32 v8, v10, v8
	v_cvt_i32_f32_e32 v9, v9
	v_exp_f32_e32 v8, v8
	v_cmp_ngt_f32_e32 vcc, s8, v65
	v_ldexp_f32 v8, v8, v9
	s_nop 0
	v_cndmask_b32_e32 v8, 0, v8, vcc
	v_cmp_nlt_f32_e32 vcc, s9, v65
	s_nop 1
	v_cndmask_b32_e32 v19, v39, v8, vcc
	v_add_f32_e32 v10, 1.0, v19
	v_add_f32_e32 v8, -1.0, v10
	v_sub_f32_e32 v9, v8, v10
	v_add_f32_e32 v9, 1.0, v9
	v_sub_f32_e32 v8, v19, v8
	v_add_f32_e32 v12, v8, v9
	v_frexp_mant_f32_e32 v13, v10
	v_cvt_f64_f32_e32 v[8:9], v10
	v_frexp_exp_i32_f64_e32 v8, v[8:9]
	v_cmp_gt_f32_e32 vcc, s11, v13
	v_cmp_gt_f32_e64 s[52:53], s57, v19
	s_nop 0
	v_subbrev_co_u32_e32 v28, vcc, 0, v8, vcc
	v_sub_u32_e32 v8, 0, v28
	v_ldexp_f32 v9, v10, v8
	v_add_f32_e32 v10, -1.0, v9
	v_add_f32_e32 v13, 1.0, v9
	v_ldexp_f32 v8, v12, v8
	v_add_f32_e32 v12, 1.0, v10
	v_add_f32_e32 v14, -1.0, v13
	v_sub_f32_e32 v12, v9, v12
	v_sub_f32_e32 v9, v9, v14
	v_add_f32_e32 v12, v8, v12
	v_add_f32_e32 v8, v8, v9
	;; [unrolled: 1-line block ×3, first 2 shown]
	v_rcp_f32_e32 v31, v29
	v_sub_f32_e32 v9, v13, v29
	v_add_f32_e32 v30, v8, v9
	v_add_f32_e32 v9, v10, v12
	v_sub_f32_e32 v8, v10, v9
	v_mul_f32_e32 v32, v9, v31
	v_add_f32_e32 v10, v12, v8
	v_mul_f32_e32 v12, v29, v32
	v_fma_f32 v14, v32, v29, -v12
	v_fmac_f32_e32 v14, v32, v30
	v_add_f32_e32 v8, v12, v14
	v_sub_f32_e32 v13, v9, v8
	v_pk_add_f32 v[26:27], v[8:9], v[12:13] neg_lo:[0,1] neg_hi:[0,1]
	v_mov_b32_e32 v15, v8
	v_pk_add_f32 v[8:9], v[26:27], v[14:15] neg_lo:[0,1] neg_hi:[0,1]
	v_cmp_eq_f32_e32 vcc, s10, v19
	v_add_f32_e32 v9, v10, v9
	v_add_f32_e32 v8, v8, v9
	;; [unrolled: 1-line block ×3, first 2 shown]
	v_mul_f32_e32 v10, v31, v9
	v_mul_f32_e32 v12, v29, v10
	v_fma_f32 v14, v10, v29, -v12
	v_fmac_f32_e32 v14, v10, v30
	v_sub_f32_e32 v13, v13, v9
	v_add_f32_e32 v29, v8, v13
	v_add_f32_e32 v8, v12, v14
	v_sub_f32_e32 v13, v9, v8
	v_pk_add_f32 v[26:27], v[8:9], v[12:13] neg_lo:[0,1] neg_hi:[0,1]
	v_mov_b32_e32 v15, v8
	v_pk_add_f32 v[8:9], v[26:27], v[14:15] neg_lo:[0,1] neg_hi:[0,1]
	scratch_load_dwordx2 v[26:27], off, off offset:164 ; 8-byte Folded Reload
	v_add_f32_e32 v9, v29, v9
	v_add_f32_e32 v8, v8, v9
	;; [unrolled: 1-line block ×4, first 2 shown]
	v_sub_f32_e32 v12, v9, v32
	v_mul_f32_e32 v8, v31, v8
	v_sub_f32_e32 v10, v10, v12
	v_add_f32_e32 v10, v10, v8
	v_add_f32_e32 v12, v9, v10
	v_mul_f32_e32 v14, v12, v12
	v_mov_b32_e32 v8, 0x3ecc95a3
	v_fmamk_f32 v8, v14, 0x3e9b6dac, v8
	s_waitcnt vmcnt(0)
	v_fmaak_f32 v27, v14, v8, 0x3f2aaada
	v_cvt_f32_i32_e32 v8, v28
	v_sub_f32_e32 v9, v12, v9
	v_sub_f32_e32 v9, v10, v9
	v_ldexp_f32 v10, v9, 1
	v_mul_f32_e32 v9, v12, v14
	v_ldexp_f32 v13, v12, 1
	s_or_b64 vcc, s[52:53], vcc
	v_mov_b32_e32 v12, v26
	v_pk_mul_f32 v[14:15], v[8:9], v[26:27]
	scratch_store_dwordx2 off, v[12:13], off offset:164 ; 8-byte Folded Spill
	v_fma_f32 v12, v8, s56, -v14
	v_fmac_f32_e32 v12, 0xb102e308, v8
	v_pk_add_f32 v[8:9], v[14:15], v[12:13]
	v_mov_b32_e32 v26, v14
	v_sub_f32_e32 v13, v9, v13
	v_sub_f32_e32 v13, v15, v13
	v_add_f32_e32 v27, v10, v13
	v_pk_add_f32 v[14:15], v[8:9], v[14:15] neg_lo:[0,1] neg_hi:[0,1]
	v_pk_add_f32 v[28:29], v[8:9], v[26:27]
	v_mov_b32_e32 v13, v8
	v_mov_b32_e32 v15, v29
	v_pk_add_f32 v[30:31], v[12:13], v[14:15] neg_lo:[0,1] neg_hi:[0,1]
	v_pk_add_f32 v[12:13], v[12:13], v[14:15]
	s_nop 0
	v_mov_b32_e32 v10, v13
	v_pk_add_f32 v[14:15], v[10:11], v[8:9] neg_lo:[0,1] neg_hi:[0,1]
	v_mov_b32_e32 v12, v29
	v_mov_b32_e32 v15, v14
	v_pk_add_f32 v[32:33], v[28:29], v[14:15] neg_lo:[0,1] neg_hi:[0,1]
	v_mov_b32_e32 v28, v9
	v_mov_b32_e32 v29, v14
	;; [unrolled: 1-line block ×3, first 2 shown]
	v_pk_add_f32 v[12:13], v[12:13], v[28:29] neg_lo:[0,1] neg_hi:[0,1]
	v_mov_b32_e32 v14, v27
	v_mov_b32_e32 v15, v8
	v_pk_add_f32 v[8:9], v[14:15], v[12:13] neg_lo:[0,1] neg_hi:[0,1]
	v_mov_b32_e32 v32, v30
	v_pk_add_f32 v[12:13], v[32:33], v[8:9]
	s_nop 0
	v_mov_b32_e32 v14, v13
	v_pk_add_f32 v[14:15], v[12:13], v[14:15]
	s_nop 0
	v_pk_add_f32 v[26:27], v[10:11], v[14:15]
	v_mov_b32_e32 v9, v14
	v_mov_b32_e32 v13, v26
	v_pk_add_f32 v[28:29], v[12:13], v[30:31] neg_lo:[0,1] neg_hi:[0,1]
	s_nop 0
	v_sub_f32_e32 v10, v12, v28
	v_pk_add_f32 v[8:9], v[8:9], v[28:29] neg_lo:[0,1] neg_hi:[0,1]
	v_sub_f32_e32 v10, v30, v10
	v_add_f32_e32 v8, v8, v10
	v_add_f32_e32 v8, v8, v9
	;; [unrolled: 1-line block ×3, first 2 shown]
	v_cndmask_b32_e32 v65, v8, v19, vcc
.LBB80_105:                             ;   in Loop: Header=BB80_13 Depth=1
	s_or_b64 exec, exec, s[54:55]
	v_cvt_f32_f16_sdwa v8, v11 dst_sel:DWORD dst_unused:UNUSED_PAD src0_sel:WORD_1
	v_readlane_b32 s0, v95, 2
	s_nop 1
	v_add_f32_e32 v27, s0, v8
	v_cmp_ge_f32_e32 vcc, s4, v27
	s_and_b64 s[0:1], s[6:7], vcc
	s_and_saveexec_b64 s[54:55], s[0:1]
	s_cbranch_execz .LBB80_107
; %bb.106:                              ;   in Loop: Header=BB80_13 Depth=1
	v_mul_f32_e32 v8, 0x3fb8aa3b, v27
	v_rndne_f32_e32 v9, v8
	v_sub_f32_e32 v10, v8, v9
	v_fma_f32 v8, v27, s5, -v8
	v_fmac_f32_e32 v8, 0x32a5705f, v27
	v_add_f32_e32 v8, v10, v8
	v_cvt_i32_f32_e32 v9, v9
	v_exp_f32_e32 v8, v8
	v_cmp_ngt_f32_e32 vcc, s8, v27
	v_ldexp_f32 v8, v8, v9
	s_nop 0
	v_cndmask_b32_e32 v8, 0, v8, vcc
	v_cmp_nlt_f32_e32 vcc, s9, v27
	s_nop 1
	v_cndmask_b32_e32 v19, v39, v8, vcc
	v_add_f32_e32 v10, 1.0, v19
	v_add_f32_e32 v8, -1.0, v10
	v_sub_f32_e32 v9, v8, v10
	v_add_f32_e32 v9, 1.0, v9
	v_sub_f32_e32 v8, v19, v8
	v_add_f32_e32 v11, v8, v9
	v_frexp_mant_f32_e32 v12, v10
	v_cvt_f64_f32_e32 v[8:9], v10
	v_frexp_exp_i32_f64_e32 v8, v[8:9]
	v_cmp_gt_f32_e32 vcc, s11, v12
	v_cmp_gt_f32_e64 s[52:53], s57, v19
	s_nop 0
	v_subbrev_co_u32_e32 v26, vcc, 0, v8, vcc
	v_sub_u32_e32 v8, 0, v26
	v_ldexp_f32 v9, v10, v8
	v_add_f32_e32 v10, -1.0, v9
	v_add_f32_e32 v12, 1.0, v9
	v_ldexp_f32 v8, v11, v8
	v_add_f32_e32 v11, 1.0, v10
	v_add_f32_e32 v13, -1.0, v12
	v_sub_f32_e32 v11, v9, v11
	v_sub_f32_e32 v9, v9, v13
	v_add_f32_e32 v11, v8, v11
	v_add_f32_e32 v8, v8, v9
	;; [unrolled: 1-line block ×3, first 2 shown]
	v_rcp_f32_e32 v29, v27
	v_sub_f32_e32 v9, v12, v27
	v_add_f32_e32 v28, v8, v9
	v_add_f32_e32 v9, v10, v11
	v_mul_f32_e32 v31, v9, v29
	v_sub_f32_e32 v8, v10, v9
	v_mul_f32_e32 v10, v27, v31
	v_fma_f32 v12, v31, v27, -v10
	v_fmac_f32_e32 v12, v31, v28
	v_add_f32_e32 v30, v11, v8
	v_add_f32_e32 v8, v10, v12
	v_sub_f32_e32 v11, v9, v8
	v_pk_add_f32 v[14:15], v[8:9], v[10:11] neg_lo:[0,1] neg_hi:[0,1]
	v_mov_b32_e32 v13, v8
	v_pk_add_f32 v[8:9], v[14:15], v[12:13] neg_lo:[0,1] neg_hi:[0,1]
	v_cmp_eq_f32_e32 vcc, s10, v19
	v_add_f32_e32 v9, v30, v9
	v_add_f32_e32 v8, v8, v9
	;; [unrolled: 1-line block ×3, first 2 shown]
	v_mul_f32_e32 v30, v29, v9
	v_mul_f32_e32 v10, v27, v30
	v_fma_f32 v12, v30, v27, -v10
	v_fmac_f32_e32 v12, v30, v28
	v_sub_f32_e32 v11, v11, v9
	v_add_f32_e32 v27, v8, v11
	v_add_f32_e32 v8, v10, v12
	v_sub_f32_e32 v11, v9, v8
	v_pk_add_f32 v[14:15], v[8:9], v[10:11] neg_lo:[0,1] neg_hi:[0,1]
	v_mov_b32_e32 v13, v8
	v_pk_add_f32 v[8:9], v[14:15], v[12:13] neg_lo:[0,1] neg_hi:[0,1]
	scratch_load_dwordx2 v[14:15], off, off offset:164 ; 8-byte Folded Reload
	v_add_f32_e32 v9, v27, v9
	v_add_f32_e32 v8, v8, v9
	;; [unrolled: 1-line block ×4, first 2 shown]
	v_sub_f32_e32 v10, v9, v31
	v_mul_f32_e32 v8, v29, v8
	v_sub_f32_e32 v10, v30, v10
	v_add_f32_e32 v10, v10, v8
	v_add_f32_e32 v12, v9, v10
	v_mul_f32_e32 v13, v12, v12
	v_mov_b32_e32 v8, 0x3ecc95a3
	v_fmamk_f32 v8, v13, 0x3e9b6dac, v8
	v_fmaak_f32 v29, v13, v8, 0x3f2aaada
	v_cvt_f32_i32_e32 v8, v26
	v_sub_f32_e32 v9, v12, v9
	v_sub_f32_e32 v9, v10, v9
	v_ldexp_f32 v11, v12, 1
	s_or_b64 vcc, s[52:53], vcc
	s_waitcnt vmcnt(0)
	v_mov_b32_e32 v28, v14
	v_ldexp_f32 v14, v9, 1
	v_mul_f32_e32 v9, v12, v13
	v_mov_b32_e32 v10, v28
	v_pk_mul_f32 v[12:13], v[8:9], v[28:29]
	scratch_store_dwordx2 off, v[10:11], off offset:164 ; 8-byte Folded Spill
	v_fma_f32 v10, v8, s56, -v12
	v_fmac_f32_e32 v10, 0xb102e308, v8
	v_pk_add_f32 v[8:9], v[12:13], v[10:11]
	s_nop 0
	v_sub_f32_e32 v11, v9, v11
	v_sub_f32_e32 v11, v13, v11
	v_add_f32_e32 v15, v14, v11
	v_mov_b32_e32 v14, v12
	v_pk_add_f32 v[12:13], v[8:9], v[12:13] neg_lo:[0,1] neg_hi:[0,1]
	v_pk_add_f32 v[26:27], v[8:9], v[14:15]
	v_mov_b32_e32 v11, v8
	v_mov_b32_e32 v13, v27
	v_pk_add_f32 v[28:29], v[10:11], v[12:13] neg_lo:[0,1] neg_hi:[0,1]
	v_pk_add_f32 v[10:11], v[10:11], v[12:13]
	v_mov_b32_e32 v14, v15
	v_mov_b32_e32 v12, v11
	v_pk_add_f32 v[30:31], v[12:13], v[8:9] neg_lo:[0,1] neg_hi:[0,1]
	v_mov_b32_e32 v10, v27
	v_mov_b32_e32 v13, v30
	v_pk_add_f32 v[32:33], v[26:27], v[12:13] neg_lo:[0,1] neg_hi:[0,1]
	v_mov_b32_e32 v26, v9
	v_mov_b32_e32 v27, v30
	;; [unrolled: 1-line block ×3, first 2 shown]
	v_pk_add_f32 v[10:11], v[10:11], v[26:27] neg_lo:[0,1] neg_hi:[0,1]
	v_mov_b32_e32 v15, v8
	v_pk_add_f32 v[8:9], v[14:15], v[10:11] neg_lo:[0,1] neg_hi:[0,1]
	v_mov_b32_e32 v32, v28
	v_pk_add_f32 v[10:11], v[32:33], v[8:9]
	s_nop 0
	v_mov_b32_e32 v14, v11
	v_pk_add_f32 v[14:15], v[10:11], v[14:15]
	s_nop 0
	v_pk_add_f32 v[12:13], v[12:13], v[14:15]
	v_mov_b32_e32 v9, v14
	v_mov_b32_e32 v11, v12
	v_pk_add_f32 v[26:27], v[10:11], v[28:29] neg_lo:[0,1] neg_hi:[0,1]
	s_nop 0
	v_sub_f32_e32 v10, v10, v26
	v_pk_add_f32 v[8:9], v[8:9], v[26:27] neg_lo:[0,1] neg_hi:[0,1]
	v_sub_f32_e32 v10, v28, v10
	v_add_f32_e32 v8, v8, v10
	v_add_f32_e32 v8, v8, v9
	;; [unrolled: 1-line block ×3, first 2 shown]
	v_cndmask_b32_e32 v27, v8, v19, vcc
.LBB80_107:                             ;   in Loop: Header=BB80_13 Depth=1
	s_or_b64 exec, exec, s[54:55]
	v_cvt_f32_f16_e32 v8, v7
	v_cvt_f32_f16_sdwa v9, v6 dst_sel:DWORD dst_unused:UNUSED_PAD src0_sel:WORD_1
	v_cvt_f32_f16_e32 v6, v6
	v_cvt_f32_f16_sdwa v11, v7 dst_sel:DWORD dst_unused:UNUSED_PAD src0_sel:WORD_1
	v_cvt_f32_f16_sdwa v7, v5 dst_sel:DWORD dst_unused:UNUSED_PAD src0_sel:WORD_1
	v_cvt_f32_f16_e32 v5, v5
	v_cvt_f32_f16_sdwa v10, v4 dst_sel:DWORD dst_unused:UNUSED_PAD src0_sel:WORD_1
	v_cvt_f32_f16_e32 v4, v4
	;; [unrolled: 2-line block ×6, first 2 shown]
	v_readlane_b32 s0, v95, 3
	s_waitcnt lgkmcnt(0)
	; wave barrier
	s_nop 0
	v_mul_f32_e32 v30, s0, v8
	v_mul_f32_e32 v29, s0, v9
	;; [unrolled: 1-line block ×16, first 2 shown]
	v_readlane_b32 s0, v95, 23
	v_readlane_b32 s1, v95, 24
	s_and_b64 vcc, exec, s[0:1]
	s_cbranch_vccz .LBB80_200
; %bb.108:                              ;   in Loop: Header=BB80_13 Depth=1
	v_mul_f32_e32 v82, v22, v0
	scratch_load_dword v0, off, off offset:264 ; 4-byte Folded Reload
	v_readlane_b32 s0, v95, 8
	v_readlane_b32 s1, v95, 9
	v_mul_f32_e32 v8, v65, v8
	v_mul_f32_e32 v6, v63, v6
	v_lshl_add_u64 v[44:45], s[0:1], 0, v[16:17]
	v_readlane_b32 s0, v95, 18
	v_readlane_b32 s1, v95, 19
	v_mul_f32_e32 v5, v61, v5
	s_mov_b32 s98, 0
	v_lshl_add_u64 v[46:47], s[0:1], 0, v[16:17]
	v_readlane_b32 s1, v95, 52
	s_cmp_lg_u32 s1, 0
	v_readlane_b32 s0, v95, 29
	s_cselect_b64 s[86:87], -1, 0
	s_cmp_eq_u32 s1, s0
	v_readlane_b32 s0, v95, 26
	v_readlane_b32 s1, v95, 27
	s_cselect_b64 s[90:91], -1, 0
	v_mul_f32_e32 v11, v27, v11
	scratch_store_dword off, v8, off offset:72 ; 4-byte Folded Spill
	v_mul_f32_e32 v8, v64, v9
	scratch_store_dword off, v6, off offset:80 ; 4-byte Folded Spill
	;; [unrolled: 2-line block ×3, first 2 shown]
	v_mul_f32_e32 v5, v60, v10
	v_mul_f32_e32 v72, v94, v4
	;; [unrolled: 1-line block ×9, first 2 shown]
	s_mov_b32 s92, s98
	s_mov_b32 s94, s98
	;; [unrolled: 1-line block ×3, first 2 shown]
	scratch_store_dword off, v11, off offset:68 ; 4-byte Folded Spill
	scratch_store_dword off, v8, off offset:76 ; 4-byte Folded Spill
	;; [unrolled: 1-line block ×4, first 2 shown]
	s_waitcnt vmcnt(7)
	v_cmp_gt_u32_e32 vcc, s82, v0
	scratch_load_dword v0, off, off offset:268 ; 4-byte Folded Reload
	s_or_b64 s[52:53], s[0:1], vcc
	s_waitcnt vmcnt(0)
	v_cmp_gt_u32_e32 vcc, s82, v0
	scratch_load_dword v0, off, off offset:272 ; 4-byte Folded Reload
	s_or_b64 s[54:55], s[0:1], vcc
	;; [unrolled: 4-line block ×15, first 2 shown]
	s_waitcnt vmcnt(0)
	v_cmp_gt_u32_e32 vcc, s82, v0
	s_or_b64 s[82:83], s[0:1], vcc
	v_readlane_b32 s0, v95, 22
	v_readlane_b32 s1, v95, 48
	s_branch .LBB80_110
.LBB80_109:                             ;   in Loop: Header=BB80_110 Depth=2
	s_or_b64 exec, exec, s[84:85]
	v_mul_f32_e32 v48, v83, v69
	v_fma_f32 v49, v83, v70, v8
	v_cndmask_b32_e64 v8, v49, v8, s[16:17]
	v_cndmask_b32_e64 v48, v48, v83, s[16:17]
	s_waitcnt lgkmcnt(0)
	v_fmac_f32_e32 v8, v58, v48
	v_fmac_f32_e32 v9, v8, v84
	;; [unrolled: 1-line block ×15, first 2 shown]
	v_readlane_b32 s4, v95, 38
	v_fmac_f32_e32 v57, v56, v68
	v_cvt_f32_f16_sdwa v49, v4 dst_sel:DWORD dst_unused:UNUSED_PAD src0_sel:WORD_1
	v_cvt_f32_f16_sdwa v59, v5 dst_sel:DWORD dst_unused:UNUSED_PAD src0_sel:WORD_1
	v_cvt_f32_f16_e32 v48, v4
	v_cvt_f32_f16_e32 v58, v5
	v_cvt_f32_f16_sdwa v5, v6 dst_sel:DWORD dst_unused:UNUSED_PAD src0_sel:WORD_1
	v_cvt_f32_f16_sdwa v67, v7 dst_sel:DWORD dst_unused:UNUSED_PAD src0_sel:WORD_1
	v_cvt_f32_f16_e32 v4, v6
	v_cvt_f32_f16_e32 v66, v7
	v_cvt_f32_f16_sdwa v7, v0 dst_sel:DWORD dst_unused:UNUSED_PAD src0_sel:WORD_1
	v_cvt_f32_f16_sdwa v69, v1 dst_sel:DWORD dst_unused:UNUSED_PAD src0_sel:WORD_1
	v_cvt_f32_f16_e32 v6, v0
	v_cvt_f32_f16_e32 v68, v1
	v_cvt_f32_f16_sdwa v1, v2 dst_sel:DWORD dst_unused:UNUSED_PAD src0_sel:WORD_1
	v_cvt_f32_f16_sdwa v85, v3 dst_sel:DWORD dst_unused:UNUSED_PAD src0_sel:WORD_1
	v_cvt_f32_f16_e32 v0, v2
	v_cvt_f32_f16_e32 v84, v3
	v_readlane_b32 s5, v95, 39
	v_readlane_b32 s6, v95, 40
	;; [unrolled: 1-line block ×7, first 2 shown]
	s_add_i32 s94, s94, s4
	v_readlane_b32 s4, v95, 10
	v_readlane_b32 s5, v95, 11
	;; [unrolled: 1-line block ×3, first 2 shown]
	s_add_i32 s1, s1, 8
	s_add_i32 s0, s0, -1
	s_add_i32 s96, s96, s97
	s_add_i32 s92, s92, s8
	;; [unrolled: 1-line block ×3, first 2 shown]
	v_pk_fma_f32 v[42:43], v[10:11], v[58:59], v[42:43]
	v_pk_fma_f32 v[40:41], v[8:9], v[48:49], v[40:41]
	;; [unrolled: 1-line block ×7, first 2 shown]
	s_cmp_eq_u32 s0, 0
	v_pk_fma_f32 v[28:29], v[50:51], v[0:1], v[28:29]
	v_readlane_b32 s6, v95, 12
	v_readlane_b32 s7, v95, 13
	;; [unrolled: 1-line block ×5, first 2 shown]
	s_cbranch_scc1 .LBB80_199
.LBB80_110:                             ;   Parent Loop BB80_13 Depth=1
                                        ; =>  This Inner Loop Header: Depth=2
	s_lshl_b64 s[84:85], s[98:99], 2
	v_readlane_b32 s4, v95, 6
	s_add_u32 s84, s4, s84
	v_readlane_b32 s4, v95, 7
	s_addc_u32 s85, s4, s85
	global_load_dword v50, v17, s[84:85]
	s_mov_b32 s93, s99
	v_lshl_add_u64 v[0:1], s[92:93], 1, v[44:45]
	v_mov_b32_e32 v2, 0
	v_mov_b32_e32 v3, 0
	s_and_saveexec_b64 s[84:85], s[18:19]
	s_cbranch_execnz .LBB80_146
; %bb.111:                              ;   in Loop: Header=BB80_110 Depth=2
	s_or_b64 exec, exec, s[84:85]
	s_and_saveexec_b64 s[84:85], s[20:21]
	s_cbranch_execnz .LBB80_147
.LBB80_112:                             ;   in Loop: Header=BB80_110 Depth=2
	s_or_b64 exec, exec, s[84:85]
	v_mov_b32_e32 v4, 0
	s_and_saveexec_b64 s[84:85], s[22:23]
	s_cbranch_execnz .LBB80_148
.LBB80_113:                             ;   in Loop: Header=BB80_110 Depth=2
	s_or_b64 exec, exec, s[84:85]
	s_and_saveexec_b64 s[84:85], s[24:25]
	s_cbranch_execnz .LBB80_149
.LBB80_114:                             ;   in Loop: Header=BB80_110 Depth=2
	s_or_b64 exec, exec, s[84:85]
	v_mov_b32_e32 v5, 0
	s_and_saveexec_b64 s[84:85], s[26:27]
	s_cbranch_execnz .LBB80_150
.LBB80_115:                             ;   in Loop: Header=BB80_110 Depth=2
	s_or_b64 exec, exec, s[84:85]
	s_and_saveexec_b64 s[84:85], s[28:29]
	s_cbranch_execnz .LBB80_151
.LBB80_116:                             ;   in Loop: Header=BB80_110 Depth=2
	s_or_b64 exec, exec, s[84:85]
	v_mov_b32_e32 v6, 0
	s_and_saveexec_b64 s[84:85], s[30:31]
	s_cbranch_execnz .LBB80_152
.LBB80_117:                             ;   in Loop: Header=BB80_110 Depth=2
	s_or_b64 exec, exec, s[84:85]
	s_and_saveexec_b64 s[84:85], s[34:35]
	s_cbranch_execnz .LBB80_153
.LBB80_118:                             ;   in Loop: Header=BB80_110 Depth=2
	s_or_b64 exec, exec, s[84:85]
	v_mov_b32_e32 v7, 0
	s_and_saveexec_b64 s[84:85], s[36:37]
	s_cbranch_execnz .LBB80_154
.LBB80_119:                             ;   in Loop: Header=BB80_110 Depth=2
	s_or_b64 exec, exec, s[84:85]
	s_and_saveexec_b64 s[84:85], s[38:39]
	s_cbranch_execnz .LBB80_155
.LBB80_120:                             ;   in Loop: Header=BB80_110 Depth=2
	s_or_b64 exec, exec, s[84:85]
	v_mov_b32_e32 v8, 0
	s_and_saveexec_b64 s[84:85], s[40:41]
	s_cbranch_execnz .LBB80_156
.LBB80_121:                             ;   in Loop: Header=BB80_110 Depth=2
	s_or_b64 exec, exec, s[84:85]
	s_and_saveexec_b64 s[84:85], s[42:43]
	s_cbranch_execnz .LBB80_157
.LBB80_122:                             ;   in Loop: Header=BB80_110 Depth=2
	s_or_b64 exec, exec, s[84:85]
	v_mov_b32_e32 v9, 0
	s_and_saveexec_b64 s[84:85], s[44:45]
	s_cbranch_execnz .LBB80_158
.LBB80_123:                             ;   in Loop: Header=BB80_110 Depth=2
	s_or_b64 exec, exec, s[84:85]
	s_and_saveexec_b64 s[84:85], s[46:47]
	s_cbranch_execnz .LBB80_159
.LBB80_124:                             ;   in Loop: Header=BB80_110 Depth=2
	s_or_b64 exec, exec, s[84:85]
	v_mov_b32_e32 v10, 0
	s_and_saveexec_b64 s[84:85], s[48:49]
	s_cbranch_execnz .LBB80_160
.LBB80_125:                             ;   in Loop: Header=BB80_110 Depth=2
	s_or_b64 exec, exec, s[84:85]
	s_and_saveexec_b64 s[84:85], s[50:51]
	s_cbranch_execz .LBB80_127
.LBB80_126:                             ;   in Loop: Header=BB80_110 Depth=2
	global_load_ushort v0, v[0:1], off offset:1920
	s_waitcnt vmcnt(0)
	v_lshl_or_b32 v10, v0, 16, v10
.LBB80_127:                             ;   in Loop: Header=BB80_110 Depth=2
	s_or_b64 exec, exec, s[84:85]
	scratch_load_dword v0, off, off         ; 4-byte Folded Reload
	s_mov_b32 s95, s99
	s_waitcnt vmcnt(0)
	ds_write_b16 v0, v3
	scratch_load_dword v0, off, off offset:8 ; 4-byte Folded Reload
	v_mov_b32_e32 v3, 0
	s_waitcnt vmcnt(0)
	ds_write_b16 v0, v2 offset:128
	scratch_load_dword v0, off, off offset:12 ; 4-byte Folded Reload
	v_mov_b32_e32 v2, 0
	s_waitcnt vmcnt(0)
	ds_write_b16 v0, v4 offset:256
	scratch_load_dword v0, off, off offset:16 ; 4-byte Folded Reload
	s_waitcnt vmcnt(0)
	ds_write_b16_d16_hi v0, v4 offset:384
	scratch_load_dword v0, off, off offset:20 ; 4-byte Folded Reload
	s_waitcnt vmcnt(0)
	ds_write_b16 v0, v5 offset:512
	scratch_load_dword v0, off, off offset:24 ; 4-byte Folded Reload
	s_waitcnt vmcnt(0)
	ds_write_b16_d16_hi v0, v5 offset:640
	scratch_load_dword v0, off, off offset:28 ; 4-byte Folded Reload
	;; [unrolled: 6-line block ×6, first 2 shown]
	s_waitcnt vmcnt(0)
	ds_write_b16 v0, v10 offset:1792
	scratch_load_dword v0, off, off offset:64 ; 4-byte Folded Reload
	s_waitcnt vmcnt(0)
	ds_write_b16_d16_hi v0, v10 offset:1920
	; wave barrier
	scratch_load_dword v0, off, off offset:4 ; 4-byte Folded Reload
	s_waitcnt vmcnt(0)
	ds_read_b128 v[12:15], v0
	ds_read_b128 v[8:11], v0 offset:16
	v_lshl_add_u64 v[0:1], s[94:95], 1, v[46:47]
	s_and_saveexec_b64 s[84:85], s[18:19]
	s_cbranch_execnz .LBB80_161
; %bb.128:                              ;   in Loop: Header=BB80_110 Depth=2
	s_or_b64 exec, exec, s[84:85]
	s_and_saveexec_b64 s[84:85], s[20:21]
	s_cbranch_execnz .LBB80_162
.LBB80_129:                             ;   in Loop: Header=BB80_110 Depth=2
	s_or_b64 exec, exec, s[84:85]
	v_mov_b32_e32 v4, 0
	s_and_saveexec_b64 s[84:85], s[22:23]
	s_cbranch_execnz .LBB80_163
.LBB80_130:                             ;   in Loop: Header=BB80_110 Depth=2
	s_or_b64 exec, exec, s[84:85]
	s_and_saveexec_b64 s[84:85], s[24:25]
	s_cbranch_execnz .LBB80_164
.LBB80_131:                             ;   in Loop: Header=BB80_110 Depth=2
	s_or_b64 exec, exec, s[84:85]
	v_mov_b32_e32 v5, 0
	s_and_saveexec_b64 s[84:85], s[26:27]
	s_cbranch_execnz .LBB80_165
.LBB80_132:                             ;   in Loop: Header=BB80_110 Depth=2
	s_or_b64 exec, exec, s[84:85]
	s_and_saveexec_b64 s[84:85], s[28:29]
	s_cbranch_execnz .LBB80_166
.LBB80_133:                             ;   in Loop: Header=BB80_110 Depth=2
	s_or_b64 exec, exec, s[84:85]
	v_mov_b32_e32 v6, 0
	s_and_saveexec_b64 s[84:85], s[30:31]
	s_cbranch_execnz .LBB80_167
.LBB80_134:                             ;   in Loop: Header=BB80_110 Depth=2
	s_or_b64 exec, exec, s[84:85]
	s_and_saveexec_b64 s[84:85], s[34:35]
	s_cbranch_execnz .LBB80_168
.LBB80_135:                             ;   in Loop: Header=BB80_110 Depth=2
	s_or_b64 exec, exec, s[84:85]
	v_mov_b32_e32 v7, 0
	s_and_saveexec_b64 s[84:85], s[36:37]
	s_cbranch_execnz .LBB80_169
.LBB80_136:                             ;   in Loop: Header=BB80_110 Depth=2
	s_or_b64 exec, exec, s[84:85]
	s_and_saveexec_b64 s[84:85], s[38:39]
	s_cbranch_execnz .LBB80_170
.LBB80_137:                             ;   in Loop: Header=BB80_110 Depth=2
	s_or_b64 exec, exec, s[84:85]
	v_mov_b32_e32 v16, 0
	s_and_saveexec_b64 s[84:85], s[40:41]
	s_cbranch_execnz .LBB80_171
.LBB80_138:                             ;   in Loop: Header=BB80_110 Depth=2
	s_or_b64 exec, exec, s[84:85]
	s_and_saveexec_b64 s[84:85], s[42:43]
	s_cbranch_execnz .LBB80_172
.LBB80_139:                             ;   in Loop: Header=BB80_110 Depth=2
	s_or_b64 exec, exec, s[84:85]
	v_mov_b32_e32 v26, 0
	s_and_saveexec_b64 s[84:85], s[44:45]
	s_cbranch_execnz .LBB80_173
.LBB80_140:                             ;   in Loop: Header=BB80_110 Depth=2
	s_or_b64 exec, exec, s[84:85]
	s_and_saveexec_b64 s[84:85], s[46:47]
	s_cbranch_execnz .LBB80_174
.LBB80_141:                             ;   in Loop: Header=BB80_110 Depth=2
	s_or_b64 exec, exec, s[84:85]
	v_mov_b32_e32 v48, 0
	s_and_saveexec_b64 s[84:85], s[48:49]
	s_cbranch_execnz .LBB80_175
.LBB80_142:                             ;   in Loop: Header=BB80_110 Depth=2
	s_or_b64 exec, exec, s[84:85]
	s_and_saveexec_b64 s[84:85], s[50:51]
	s_cbranch_execz .LBB80_144
.LBB80_143:                             ;   in Loop: Header=BB80_110 Depth=2
	global_load_ushort v0, v[0:1], off offset:1920
	s_waitcnt vmcnt(0)
	v_lshl_or_b32 v48, v0, 16, v48
.LBB80_144:                             ;   in Loop: Header=BB80_110 Depth=2
	s_or_b64 exec, exec, s[84:85]
	scratch_load_dword v0, off, off         ; 4-byte Folded Reload
	s_andn2_b64 vcc, exec, s[86:87]
	s_waitcnt vmcnt(0)
	ds_write_b16 v0, v3 offset:2112
	scratch_load_dword v0, off, off offset:96 ; 4-byte Folded Reload
	s_waitcnt vmcnt(0)
	ds_write_b16 v0, v2 offset:128
	scratch_load_dword v0, off, off offset:100 ; 4-byte Folded Reload
	s_waitcnt vmcnt(0)
	ds_write_b16 v0, v4 offset:256
	scratch_load_dword v0, off, off offset:104 ; 4-byte Folded Reload
	s_waitcnt vmcnt(0)
	ds_write_b16_d16_hi v0, v4 offset:384
	scratch_load_dword v0, off, off offset:108 ; 4-byte Folded Reload
	s_waitcnt vmcnt(0)
	ds_write_b16 v0, v5 offset:512
	scratch_load_dword v0, off, off offset:112 ; 4-byte Folded Reload
	s_waitcnt vmcnt(0)
	ds_write_b16_d16_hi v0, v5 offset:640
	scratch_load_dword v0, off, off offset:116 ; 4-byte Folded Reload
	s_waitcnt vmcnt(0)
	ds_write_b16 v0, v6 offset:768
	scratch_load_dword v0, off, off offset:120 ; 4-byte Folded Reload
	;; [unrolled: 6-line block ×6, first 2 shown]
	s_waitcnt vmcnt(0)
	ds_write_b16_d16_hi v0, v48 offset:1920
	; wave barrier
	scratch_load_dword v0, off, off offset:4 ; 4-byte Folded Reload
	s_waitcnt vmcnt(0)
	ds_read_b128 v[4:7], v0 offset:2112
	scratch_load_dword v0, off, off offset:156 ; 4-byte Folded Reload
	s_waitcnt vmcnt(0)
	ds_read_b128 v[0:3], v0 offset:16
	s_cbranch_vccnz .LBB80_176
; %bb.145:                              ;   in Loop: Header=BB80_110 Depth=2
	v_mov_b32_e32 v16, s1
	ds_read_b64 v[48:49], v16
	s_cbranch_execz .LBB80_177
	s_branch .LBB80_180
.LBB80_146:                             ;   in Loop: Header=BB80_110 Depth=2
	global_load_ushort v3, v[0:1], off
	s_or_b64 exec, exec, s[84:85]
	s_and_saveexec_b64 s[84:85], s[20:21]
	s_cbranch_execz .LBB80_112
.LBB80_147:                             ;   in Loop: Header=BB80_110 Depth=2
	global_load_ushort v2, v[0:1], off offset:128
	s_or_b64 exec, exec, s[84:85]
	v_mov_b32_e32 v4, 0
	s_and_saveexec_b64 s[84:85], s[22:23]
	s_cbranch_execz .LBB80_113
.LBB80_148:                             ;   in Loop: Header=BB80_110 Depth=2
	global_load_ushort v4, v[0:1], off offset:256
	s_or_b64 exec, exec, s[84:85]
	s_and_saveexec_b64 s[84:85], s[24:25]
	s_cbranch_execz .LBB80_114
.LBB80_149:                             ;   in Loop: Header=BB80_110 Depth=2
	global_load_ushort v5, v[0:1], off offset:384
	s_waitcnt vmcnt(0)
	v_lshl_or_b32 v4, v5, 16, v4
	s_or_b64 exec, exec, s[84:85]
	v_mov_b32_e32 v5, 0
	s_and_saveexec_b64 s[84:85], s[26:27]
	s_cbranch_execz .LBB80_115
.LBB80_150:                             ;   in Loop: Header=BB80_110 Depth=2
	global_load_ushort v5, v[0:1], off offset:512
	s_or_b64 exec, exec, s[84:85]
	s_and_saveexec_b64 s[84:85], s[28:29]
	s_cbranch_execz .LBB80_116
.LBB80_151:                             ;   in Loop: Header=BB80_110 Depth=2
	global_load_ushort v6, v[0:1], off offset:640
	s_waitcnt vmcnt(0)
	v_lshl_or_b32 v5, v6, 16, v5
	s_or_b64 exec, exec, s[84:85]
	v_mov_b32_e32 v6, 0
	s_and_saveexec_b64 s[84:85], s[30:31]
	s_cbranch_execz .LBB80_117
.LBB80_152:                             ;   in Loop: Header=BB80_110 Depth=2
	global_load_ushort v6, v[0:1], off offset:768
	s_or_b64 exec, exec, s[84:85]
	s_and_saveexec_b64 s[84:85], s[34:35]
	s_cbranch_execz .LBB80_118
.LBB80_153:                             ;   in Loop: Header=BB80_110 Depth=2
	global_load_ushort v7, v[0:1], off offset:896
	s_waitcnt vmcnt(0)
	v_lshl_or_b32 v6, v7, 16, v6
	s_or_b64 exec, exec, s[84:85]
	v_mov_b32_e32 v7, 0
	s_and_saveexec_b64 s[84:85], s[36:37]
	s_cbranch_execz .LBB80_119
.LBB80_154:                             ;   in Loop: Header=BB80_110 Depth=2
	global_load_ushort v7, v[0:1], off offset:1024
	s_or_b64 exec, exec, s[84:85]
	s_and_saveexec_b64 s[84:85], s[38:39]
	s_cbranch_execz .LBB80_120
.LBB80_155:                             ;   in Loop: Header=BB80_110 Depth=2
	global_load_ushort v8, v[0:1], off offset:1152
	s_waitcnt vmcnt(0)
	v_lshl_or_b32 v7, v8, 16, v7
	s_or_b64 exec, exec, s[84:85]
	v_mov_b32_e32 v8, 0
	s_and_saveexec_b64 s[84:85], s[40:41]
	s_cbranch_execz .LBB80_121
.LBB80_156:                             ;   in Loop: Header=BB80_110 Depth=2
	global_load_ushort v8, v[0:1], off offset:1280
	s_or_b64 exec, exec, s[84:85]
	s_and_saveexec_b64 s[84:85], s[42:43]
	s_cbranch_execz .LBB80_122
.LBB80_157:                             ;   in Loop: Header=BB80_110 Depth=2
	global_load_ushort v9, v[0:1], off offset:1408
	s_waitcnt vmcnt(0)
	v_lshl_or_b32 v8, v9, 16, v8
	s_or_b64 exec, exec, s[84:85]
	v_mov_b32_e32 v9, 0
	s_and_saveexec_b64 s[84:85], s[44:45]
	s_cbranch_execz .LBB80_123
.LBB80_158:                             ;   in Loop: Header=BB80_110 Depth=2
	global_load_ushort v9, v[0:1], off offset:1536
	s_or_b64 exec, exec, s[84:85]
	s_and_saveexec_b64 s[84:85], s[46:47]
	s_cbranch_execz .LBB80_124
.LBB80_159:                             ;   in Loop: Header=BB80_110 Depth=2
	global_load_ushort v10, v[0:1], off offset:1664
	s_waitcnt vmcnt(0)
	v_lshl_or_b32 v9, v10, 16, v9
	s_or_b64 exec, exec, s[84:85]
	v_mov_b32_e32 v10, 0
	s_and_saveexec_b64 s[84:85], s[48:49]
	s_cbranch_execz .LBB80_125
.LBB80_160:                             ;   in Loop: Header=BB80_110 Depth=2
	global_load_ushort v10, v[0:1], off offset:1792
	s_or_b64 exec, exec, s[84:85]
	s_and_saveexec_b64 s[84:85], s[50:51]
	s_cbranch_execnz .LBB80_126
	s_branch .LBB80_127
.LBB80_161:                             ;   in Loop: Header=BB80_110 Depth=2
	global_load_ushort v3, v[0:1], off
	s_or_b64 exec, exec, s[84:85]
	s_and_saveexec_b64 s[84:85], s[20:21]
	s_cbranch_execz .LBB80_129
.LBB80_162:                             ;   in Loop: Header=BB80_110 Depth=2
	global_load_ushort v2, v[0:1], off offset:128
	s_or_b64 exec, exec, s[84:85]
	v_mov_b32_e32 v4, 0
	s_and_saveexec_b64 s[84:85], s[22:23]
	s_cbranch_execz .LBB80_130
.LBB80_163:                             ;   in Loop: Header=BB80_110 Depth=2
	global_load_ushort v4, v[0:1], off offset:256
	s_or_b64 exec, exec, s[84:85]
	s_and_saveexec_b64 s[84:85], s[24:25]
	s_cbranch_execz .LBB80_131
.LBB80_164:                             ;   in Loop: Header=BB80_110 Depth=2
	global_load_ushort v5, v[0:1], off offset:384
	s_waitcnt vmcnt(0)
	v_lshl_or_b32 v4, v5, 16, v4
	s_or_b64 exec, exec, s[84:85]
	v_mov_b32_e32 v5, 0
	s_and_saveexec_b64 s[84:85], s[26:27]
	s_cbranch_execz .LBB80_132
.LBB80_165:                             ;   in Loop: Header=BB80_110 Depth=2
	global_load_ushort v5, v[0:1], off offset:512
	s_or_b64 exec, exec, s[84:85]
	s_and_saveexec_b64 s[84:85], s[28:29]
	s_cbranch_execz .LBB80_133
.LBB80_166:                             ;   in Loop: Header=BB80_110 Depth=2
	global_load_ushort v6, v[0:1], off offset:640
	s_waitcnt vmcnt(0)
	v_lshl_or_b32 v5, v6, 16, v5
	s_or_b64 exec, exec, s[84:85]
	v_mov_b32_e32 v6, 0
	s_and_saveexec_b64 s[84:85], s[30:31]
	s_cbranch_execz .LBB80_134
.LBB80_167:                             ;   in Loop: Header=BB80_110 Depth=2
	global_load_ushort v6, v[0:1], off offset:768
	s_or_b64 exec, exec, s[84:85]
	s_and_saveexec_b64 s[84:85], s[34:35]
	s_cbranch_execz .LBB80_135
.LBB80_168:                             ;   in Loop: Header=BB80_110 Depth=2
	global_load_ushort v7, v[0:1], off offset:896
	s_waitcnt vmcnt(0)
	v_lshl_or_b32 v6, v7, 16, v6
	s_or_b64 exec, exec, s[84:85]
	v_mov_b32_e32 v7, 0
	s_and_saveexec_b64 s[84:85], s[36:37]
	s_cbranch_execz .LBB80_136
.LBB80_169:                             ;   in Loop: Header=BB80_110 Depth=2
	global_load_ushort v7, v[0:1], off offset:1024
	s_or_b64 exec, exec, s[84:85]
	s_and_saveexec_b64 s[84:85], s[38:39]
	s_cbranch_execz .LBB80_137
.LBB80_170:                             ;   in Loop: Header=BB80_110 Depth=2
	global_load_ushort v16, v[0:1], off offset:1152
	s_waitcnt vmcnt(0)
	v_lshl_or_b32 v7, v16, 16, v7
	s_or_b64 exec, exec, s[84:85]
	v_mov_b32_e32 v16, 0
	s_and_saveexec_b64 s[84:85], s[40:41]
	s_cbranch_execz .LBB80_138
.LBB80_171:                             ;   in Loop: Header=BB80_110 Depth=2
	global_load_ushort v16, v[0:1], off offset:1280
	s_or_b64 exec, exec, s[84:85]
	s_and_saveexec_b64 s[84:85], s[42:43]
	s_cbranch_execz .LBB80_139
.LBB80_172:                             ;   in Loop: Header=BB80_110 Depth=2
	global_load_ushort v26, v[0:1], off offset:1408
	s_waitcnt vmcnt(0)
	v_lshl_or_b32 v16, v26, 16, v16
	s_or_b64 exec, exec, s[84:85]
	v_mov_b32_e32 v26, 0
	s_and_saveexec_b64 s[84:85], s[44:45]
	s_cbranch_execz .LBB80_140
.LBB80_173:                             ;   in Loop: Header=BB80_110 Depth=2
	global_load_ushort v26, v[0:1], off offset:1536
	s_or_b64 exec, exec, s[84:85]
	s_and_saveexec_b64 s[84:85], s[46:47]
	s_cbranch_execz .LBB80_141
.LBB80_174:                             ;   in Loop: Header=BB80_110 Depth=2
	global_load_ushort v48, v[0:1], off offset:1664
	s_waitcnt vmcnt(0)
	v_lshl_or_b32 v26, v48, 16, v26
	s_or_b64 exec, exec, s[84:85]
	v_mov_b32_e32 v48, 0
	s_and_saveexec_b64 s[84:85], s[48:49]
	s_cbranch_execz .LBB80_142
.LBB80_175:                             ;   in Loop: Header=BB80_110 Depth=2
	global_load_ushort v48, v[0:1], off offset:1792
	s_or_b64 exec, exec, s[84:85]
	s_and_saveexec_b64 s[84:85], s[50:51]
	s_cbranch_execnz .LBB80_143
	s_branch .LBB80_144
.LBB80_176:                             ;   in Loop: Header=BB80_110 Depth=2
                                        ; implicit-def: $vgpr49
.LBB80_177:                             ;   in Loop: Header=BB80_110 Depth=2
	v_readlane_b32 s84, v95, 0
	v_readlane_b32 s85, v95, 1
	s_andn2_b64 vcc, exec, s[84:85]
	s_waitcnt lgkmcnt(0)
	v_mov_b32_e32 v49, 0
	s_cbranch_vccnz .LBB80_179
; %bb.178:                              ;   in Loop: Header=BB80_110 Depth=2
	s_mov_b32 s97, s99
	s_lshl_b64 s[84:85], s[96:97], 1
	v_readlane_b32 s4, v95, 20
	s_add_u32 s84, s4, s84
	v_readlane_b32 s4, v95, 21
	s_addc_u32 s85, s4, s85
	global_load_ushort v16, v17, s[84:85]
	v_readlane_b32 s97, v95, 49
	s_waitcnt vmcnt(0)
	v_cvt_f32_f16_e32 v49, v16
.LBB80_179:                             ;   in Loop: Header=BB80_110 Depth=2
	v_mov_b32_e32 v48, 1.0
.LBB80_180:                             ;   in Loop: Header=BB80_110 Depth=2
	v_mul_f32_e32 v56, 0x3fb8aa3b, v50
	s_waitcnt lgkmcnt(14)
	v_cvt_f32_f16_e32 v53, v8
	v_cvt_f32_f16_sdwa v54, v8 dst_sel:DWORD dst_unused:UNUSED_PAD src0_sel:WORD_1
	v_mul_f32_e32 v8, v56, v22
	v_cmp_gt_f32_e32 vcc, s33, v8
	v_cvt_f32_f16_e32 v59, v10
	v_cvt_f32_f16_sdwa v67, v10 dst_sel:DWORD dst_unused:UNUSED_PAD src0_sel:WORD_1
	v_cndmask_b32_e32 v8, 0, v20, vcc
	v_mul_f32_e32 v10, v56, v23
	v_cvt_f32_f16_e32 v55, v9
	v_cvt_f32_f16_sdwa v58, v9 dst_sel:DWORD dst_unused:UNUSED_PAD src0_sel:WORD_1
	v_fmac_f32_e32 v8, v56, v22
	v_cndmask_b32_e32 v9, 1.0, v21, vcc
	v_cmp_gt_f32_e32 vcc, s33, v10
	v_exp_f32_e32 v8, v8
	v_cvt_f32_f16_e32 v16, v12
	v_cndmask_b32_e32 v10, 0, v20, vcc
	v_fmac_f32_e32 v10, v56, v23
	v_cvt_f32_f16_sdwa v12, v12 dst_sel:DWORD dst_unused:UNUSED_PAD src0_sel:WORD_1
	v_exp_f32_e32 v10, v10
	v_cvt_f32_f16_e32 v68, v11
	v_cvt_f32_f16_sdwa v57, v11 dst_sel:DWORD dst_unused:UNUSED_PAD src0_sel:WORD_1
	v_mul_f32_e32 v9, v8, v9
	v_mul_f32_e32 v11, v56, v24
	v_cndmask_b32_e64 v83, 1.0, v9, s[52:53]
	v_cndmask_b32_e32 v9, 1.0, v21, vcc
	v_cmp_gt_f32_e32 vcc, s33, v11
	v_mul_f32_e32 v10, v10, v9
	v_mul_f32_e32 v9, v81, v12
	v_cndmask_b32_e32 v11, 0, v20, vcc
	v_mul_f32_e32 v12, v56, v25
	v_fmac_f32_e32 v11, v56, v24
	v_cndmask_b32_e64 v84, 1.0, v10, s[54:55]
	v_cndmask_b32_e32 v10, 1.0, v21, vcc
	v_cmp_gt_f32_e32 vcc, s33, v12
	v_exp_f32_e32 v11, v11
	v_cvt_f32_f16_e32 v26, v13
	v_cndmask_b32_e32 v12, 0, v20, vcc
	v_fmac_f32_e32 v12, v56, v25
	v_cvt_f32_f16_sdwa v13, v13 dst_sel:DWORD dst_unused:UNUSED_PAD src0_sel:WORD_1
	v_exp_f32_e32 v12, v12
	v_mul_f32_e32 v11, v11, v10
	v_cndmask_b32_e64 v85, 1.0, v11, s[56:57]
	v_cndmask_b32_e32 v11, 1.0, v21, vcc
	v_mul_f32_e32 v12, v12, v11
	v_mul_f32_e32 v11, v79, v13
	;; [unrolled: 1-line block ×3, first 2 shown]
	v_cmp_gt_f32_e32 vcc, s33, v13
	v_mul_f32_e32 v8, v82, v16
	v_mul_f32_e32 v16, v56, v74
	v_cndmask_b32_e32 v13, 0, v20, vcc
	v_fmac_f32_e32 v13, v56, v18
	v_cndmask_b32_e64 v86, 1.0, v12, s[58:59]
	v_cndmask_b32_e32 v12, 1.0, v21, vcc
	v_cmp_gt_f32_e32 vcc, s33, v16
	v_exp_f32_e32 v13, v13
	v_cvt_f32_f16_e32 v51, v14
	v_cndmask_b32_e32 v16, 0, v20, vcc
	v_fmac_f32_e32 v16, v56, v74
	v_cvt_f32_f16_sdwa v14, v14 dst_sel:DWORD dst_unused:UNUSED_PAD src0_sel:WORD_1
	v_exp_f32_e32 v16, v16
	v_mul_f32_e32 v13, v13, v12
	v_cndmask_b32_e64 v87, 1.0, v13, s[60:61]
	v_cndmask_b32_e32 v13, 1.0, v21, vcc
	v_mul_f32_e32 v16, v16, v13
	v_mul_f32_e32 v13, v77, v14
	;; [unrolled: 1-line block ×3, first 2 shown]
	v_cmp_gt_f32_e32 vcc, s33, v14
	v_mul_f32_e32 v10, v80, v26
	v_mul_f32_e32 v26, v56, v93
	v_cndmask_b32_e32 v14, 0, v20, vcc
	v_fmac_f32_e32 v14, v56, v92
	v_cndmask_b32_e64 v88, 1.0, v16, s[62:63]
	v_cndmask_b32_e32 v16, 1.0, v21, vcc
	v_cmp_gt_f32_e32 vcc, s33, v26
	v_exp_f32_e32 v14, v14
	v_cvt_f32_f16_e32 v52, v15
	v_cndmask_b32_e32 v26, 0, v20, vcc
	v_fmac_f32_e32 v26, v56, v93
	v_exp_f32_e32 v26, v26
	v_mul_f32_e32 v16, v14, v16
	v_cndmask_b32_e64 v89, 1.0, v16, s[64:65]
	v_cndmask_b32_e32 v16, 1.0, v21, vcc
	v_mul_f32_e32 v16, v26, v16
	v_mul_f32_e32 v26, v56, v94
	v_cmp_gt_f32_e32 vcc, s33, v26
	v_cndmask_b32_e64 v90, 1.0, v16, s[66:67]
	v_mul_f32_e32 v14, v76, v52
	v_cndmask_b32_e32 v26, 0, v20, vcc
	v_fmac_f32_e32 v26, v56, v94
	v_exp_f32_e32 v26, v26
	v_cndmask_b32_e32 v16, 1.0, v21, vcc
	v_mul_f32_e32 v50, v56, v60
	v_cmp_gt_f32_e32 vcc, s33, v50
	v_mul_f32_e32 v16, v26, v16
	v_mul_f32_e32 v26, v72, v53
	v_cndmask_b32_e64 v52, 0, v26, s[68:69]
	scratch_load_dword v26, off, off offset:92 ; 4-byte Folded Reload
	v_cndmask_b32_e32 v50, 0, v20, vcc
	v_fmac_f32_e32 v50, v56, v60
	v_exp_f32_e32 v50, v50
	v_cndmask_b32_e64 v73, 1.0, v16, s[68:69]
	v_cndmask_b32_e32 v16, 1.0, v21, vcc
	v_mul_f32_e32 v12, v78, v51
	v_mul_f32_e32 v16, v50, v16
	v_mul_f32_e32 v50, v56, v61
	v_cmp_gt_f32_e32 vcc, s33, v50
	v_cndmask_b32_e64 v75, 1.0, v16, s[70:71]
	v_mul_f32_e32 v51, v56, v63
	v_cndmask_b32_e32 v50, 0, v20, vcc
	v_fmac_f32_e32 v50, v56, v61
	v_exp_f32_e32 v50, v50
	v_cndmask_b32_e32 v16, 1.0, v21, vcc
	v_cndmask_b32_e64 v8, 0, v8, s[52:53]
	v_cndmask_b32_e64 v9, 0, v9, s[54:55]
	v_mul_f32_e32 v16, v50, v16
	v_mul_f32_e32 v50, v56, v62
	v_cmp_gt_f32_e32 vcc, s33, v50
	v_cvt_f32_f16_sdwa v15, v15 dst_sel:DWORD dst_unused:UNUSED_PAD src0_sel:WORD_1
	v_cndmask_b32_e64 v10, 0, v10, s[56:57]
	v_cndmask_b32_e32 v50, 0, v20, vcc
	v_fmac_f32_e32 v50, v56, v62
	v_exp_f32_e32 v50, v50
	v_cndmask_b32_e64 v11, 0, v11, s[58:59]
	v_cndmask_b32_e64 v12, 0, v12, s[60:61]
	;; [unrolled: 1-line block ×4, first 2 shown]
	v_mul_f32_e32 v15, v19, v15
	v_cndmask_b32_e64 v15, 0, v15, s[66:67]
	v_readlane_b32 s4, v95, 30
	v_readlane_b32 s5, v95, 31
	s_waitcnt vmcnt(0)
	v_mul_f32_e32 v26, v26, v54
	v_cndmask_b32_e64 v53, 0, v26, s[70:71]
	scratch_load_dword v26, off, off offset:88 ; 4-byte Folded Reload
	s_waitcnt vmcnt(0)
	v_mul_f32_e32 v26, v26, v55
	v_cndmask_b32_e64 v54, 0, v26, s[72:73]
	v_cndmask_b32_e64 v26, 1.0, v16, s[72:73]
	v_cndmask_b32_e32 v16, 1.0, v21, vcc
	v_mul_f32_e32 v16, v50, v16
	scratch_load_dword v50, off, off offset:84 ; 4-byte Folded Reload
	v_cmp_gt_f32_e32 vcc, s33, v51
	v_cndmask_b32_e64 v91, 1.0, v16, s[74:75]
	s_waitcnt vmcnt(0)
	v_mul_f32_e32 v50, v50, v58
	v_cndmask_b32_e64 v55, 0, v50, s[74:75]
	scratch_load_dword v50, off, off offset:80 ; 4-byte Folded Reload
	v_cndmask_b32_e32 v51, 0, v20, vcc
	v_fmac_f32_e32 v51, v56, v63
	v_exp_f32_e32 v51, v51
	v_cndmask_b32_e32 v16, 1.0, v21, vcc
	v_mul_f32_e32 v58, v56, v65
	v_mul_f32_e32 v16, v51, v16
	;; [unrolled: 1-line block ×3, first 2 shown]
	v_cmp_gt_f32_e32 vcc, s33, v51
	v_cndmask_b32_e64 v66, 1.0, v16, s[76:77]
	s_nop 0
	v_cndmask_b32_e32 v51, 0, v20, vcc
	v_fmac_f32_e32 v51, v56, v64
	v_cndmask_b32_e32 v16, 1.0, v21, vcc
	v_cmp_gt_f32_e32 vcc, s33, v58
	v_exp_f32_e32 v51, v51
	s_nop 0
	v_cndmask_b32_e32 v58, 0, v20, vcc
	v_fmac_f32_e32 v58, v56, v65
	v_exp_f32_e32 v58, v58
	v_mul_f32_e32 v16, v51, v16
	scratch_load_dword v51, off, off offset:76 ; 4-byte Folded Reload
	v_cndmask_b32_e64 v16, 1.0, v16, s[78:79]
	s_waitcnt vmcnt(1)
	v_mul_f32_e32 v50, v50, v59
	v_cndmask_b32_e32 v59, 1.0, v21, vcc
	v_mul_f32_e32 v58, v58, v59
	scratch_load_dword v59, off, off offset:72 ; 4-byte Folded Reload
	v_cndmask_b32_e64 v50, 0, v50, s[76:77]
	s_waitcnt vmcnt(1)
	v_mul_f32_e32 v51, v51, v67
	v_mul_f32_e32 v67, v56, v27
	v_cmp_gt_f32_e32 vcc, s33, v67
	v_cndmask_b32_e64 v51, 0, v51, s[78:79]
	s_waitcnt vmcnt(0)
	v_mul_f32_e32 v59, v59, v68
	v_cndmask_b32_e32 v67, 0, v20, vcc
	v_fmac_f32_e32 v67, v56, v27
	v_cndmask_b32_e64 v56, 0, v59, s[80:81]
	scratch_load_dword v59, off, off offset:68 ; 4-byte Folded Reload
	v_exp_f32_e32 v68, v67
	v_cndmask_b32_e64 v67, 1.0, v58, s[80:81]
	v_cndmask_b32_e32 v58, 1.0, v21, vcc
	v_mul_f32_e32 v58, v68, v58
	v_cndmask_b32_e64 v68, 1.0, v58, s[82:83]
	v_mul_f32_e32 v58, v84, v83
	v_mul_f32_e32 v58, v58, v85
	;; [unrolled: 1-line block ×15, first 2 shown]
	s_waitcnt vmcnt(0)
	v_mul_f32_e32 v57, v59, v57
	v_fma_f32 v59, v84, v8, v9
	v_fma_f32 v59, v59, v85, v10
	;; [unrolled: 1-line block ×13, first 2 shown]
	v_cndmask_b32_e64 v57, 0, v57, s[82:83]
	v_fma_f32 v59, v59, v67, v56
	v_fma_f32 v71, v59, v68, v57
	v_mov_b32_dpp v70, v58 row_shr:1 row_mask:0xf bank_mask:0xf
	s_nop 0
	v_mov_b32_dpp v69, v71 row_shr:1 row_mask:0xf bank_mask:0xf
	s_and_saveexec_b64 s[84:85], s[4:5]
; %bb.181:                              ;   in Loop: Header=BB80_110 Depth=2
	v_mul_f32_e32 v70, v58, v70
	v_fmac_f32_e32 v71, v58, v69
	v_mov_b32_e32 v58, v70
; %bb.182:                              ;   in Loop: Header=BB80_110 Depth=2
	s_or_b64 exec, exec, s[84:85]
	v_readlane_b32 s4, v95, 32
	v_mov_b32_dpp v69, v58 row_shr:2 row_mask:0xf bank_mask:0xf
	v_mov_b32_dpp v70, v71 row_shr:2 row_mask:0xf bank_mask:0xf
	v_readlane_b32 s5, v95, 33
	s_and_saveexec_b64 s[84:85], s[4:5]
; %bb.183:                              ;   in Loop: Header=BB80_110 Depth=2
	v_fmac_f32_e32 v71, v58, v70
	v_mul_f32_e32 v58, v58, v69
; %bb.184:                              ;   in Loop: Header=BB80_110 Depth=2
	s_or_b64 exec, exec, s[84:85]
	s_nop 0
	v_mov_b32_dpp v69, v58 row_shr:4 row_mask:0xf bank_mask:0xf
	v_mov_b32_dpp v70, v71 row_shr:4 row_mask:0xf bank_mask:0xf
	s_and_saveexec_b64 s[84:85], s[2:3]
; %bb.185:                              ;   in Loop: Header=BB80_110 Depth=2
	v_fmac_f32_e32 v71, v58, v70
	v_mul_f32_e32 v58, v58, v69
; %bb.186:                              ;   in Loop: Header=BB80_110 Depth=2
	s_or_b64 exec, exec, s[84:85]
	v_readlane_b32 s4, v95, 34
	v_mov_b32_dpp v69, v58 row_shr:8 row_mask:0xf bank_mask:0xf
	v_mov_b32_dpp v70, v71 row_shr:8 row_mask:0xf bank_mask:0xf
	v_readlane_b32 s5, v95, 35
	s_and_saveexec_b64 s[84:85], s[4:5]
; %bb.187:                              ;   in Loop: Header=BB80_110 Depth=2
	v_fmac_f32_e32 v71, v58, v70
	v_mul_f32_e32 v58, v58, v69
; %bb.188:                              ;   in Loop: Header=BB80_110 Depth=2
	s_or_b64 exec, exec, s[84:85]
	v_readlane_b32 s4, v95, 36
	v_mov_b32_dpp v69, v58 row_bcast:15 row_mask:0xf bank_mask:0xf
	v_mov_b32_dpp v70, v71 row_bcast:15 row_mask:0xf bank_mask:0xf
	v_readlane_b32 s5, v95, 37
	s_and_saveexec_b64 s[84:85], s[4:5]
; %bb.189:                              ;   in Loop: Header=BB80_110 Depth=2
	v_fmac_f32_e32 v71, v58, v70
	v_mul_f32_e32 v58, v58, v69
; %bb.190:                              ;   in Loop: Header=BB80_110 Depth=2
	s_or_b64 exec, exec, s[84:85]
	s_nop 0
	v_mov_b32_dpp v69, v58 row_bcast:31 row_mask:0xf bank_mask:0xf
	v_mov_b32_dpp v70, v71 row_bcast:31 row_mask:0xf bank_mask:0xf
	v_mov_b32_e32 v59, v71
	v_mul_f32_e32 v69, v58, v69
	v_fmac_f32_e32 v59, v58, v70
	v_readlane_b32 s4, v95, 46
	v_cndmask_b32_e64 v58, v58, v69, s[12:13]
	v_cndmask_b32_e64 v59, v71, v59, s[12:13]
	v_readlane_b32 s5, v95, 47
	s_and_saveexec_b64 s[84:85], s[4:5]
	s_cbranch_execz .LBB80_192
; %bb.191:                              ;   in Loop: Header=BB80_110 Depth=2
	ds_write_b64 v17, v[58:59] offset:4224
.LBB80_192:                             ;   in Loop: Header=BB80_110 Depth=2
	s_or_b64 exec, exec, s[84:85]
	scratch_load_dword v70, off, off offset:160 ; 4-byte Folded Reload
	s_waitcnt lgkmcnt(0)
	; wave barrier
	s_waitcnt vmcnt(0) lgkmcnt(0)
	ds_bpermute_b32 v69, v70, v58
	ds_bpermute_b32 v70, v70, v59
	v_mov_b32_e32 v59, v49
	s_and_saveexec_b64 s[84:85], s[14:15]
	s_cbranch_execz .LBB80_196
; %bb.193:                              ;   in Loop: Header=BB80_110 Depth=2
	ds_read_b64 v[58:59], v17 offset:4224
	s_and_saveexec_b64 s[88:89], s[16:17]
	s_cbranch_execz .LBB80_195
; %bb.194:                              ;   in Loop: Header=BB80_110 Depth=2
	ds_write_b64 v17, v[48:49] offset:4224
.LBB80_195:                             ;   in Loop: Header=BB80_110 Depth=2
	s_or_b64 exec, exec, s[88:89]
	s_waitcnt lgkmcnt(0)
	v_fmac_f32_e32 v59, v49, v58
	v_mul_f32_e32 v48, v48, v58
	v_mov_b32_e32 v49, v59
.LBB80_196:                             ;   in Loop: Header=BB80_110 Depth=2
	s_or_b64 exec, exec, s[84:85]
	s_waitcnt lgkmcnt(0)
	; wave barrier
	s_waitcnt lgkmcnt(0)
	ds_read_b32 v58, v17 offset:4228
	s_and_saveexec_b64 s[84:85], s[16:17]
	s_cbranch_execz .LBB80_109
; %bb.197:                              ;   in Loop: Header=BB80_110 Depth=2
	v_mov_b32_e32 v71, s1
	s_andn2_b64 vcc, exec, s[90:91]
	ds_write_b64 v71, v[48:49]
	s_cbranch_vccnz .LBB80_109
; %bb.198:                              ;   in Loop: Header=BB80_110 Depth=2
	s_mov_b32 s97, s99
	v_cvt_f16_f32_e32 v48, v59
	s_lshl_b64 s[88:89], s[96:97], 1
	v_readlane_b32 s4, v95, 20
	s_add_u32 s88, s4, s88
	v_readlane_b32 s4, v95, 21
	v_readlane_b32 s97, v95, 49
	s_addc_u32 s89, s4, s89
	global_store_short v17, v48, s[88:89]
	s_branch .LBB80_109
.LBB80_199:                             ;   in Loop: Header=BB80_13 Depth=1
	v_readlane_b32 s6, v95, 50
	v_readlane_b32 s7, v95, 51
	s_mov_b32 s4, 0x41a00000
	s_mov_b32 s5, 0x3fb8aa3b
	;; [unrolled: 1-line block ×8, first 2 shown]
.LBB80_200:                             ;   in Loop: Header=BB80_13 Depth=1
	v_cvt_f16_f32_e32 v0, v40
	v_cvt_f16_f32_e32 v4, v41
	s_waitcnt lgkmcnt(0)
	; wave barrier
	v_cvt_f16_f32_e32 v1, v42
	v_pack_b32_f16 v0, v0, v4
	scratch_load_dword v4, off, off offset:4 ; 4-byte Folded Reload
	v_cvt_f16_f32_e32 v5, v43
	v_cvt_f16_f32_e32 v2, v36
	;; [unrolled: 1-line block ×13, first 2 shown]
	v_pack_b32_f16 v3, v3, v7
	v_pack_b32_f16 v2, v2, v6
	v_pack_b32_f16 v1, v1, v5
	v_readlane_b32 s0, v95, 53
	v_readlane_b32 s1, v95, 54
	s_mov_b32 s1, s99
	s_mov_b64 s[58:59], s[0:1]
	s_waitcnt vmcnt(0)
	ds_write_b128 v4, v[0:3]
	v_pack_b32_f16 v3, v14, v15
	v_pack_b32_f16 v2, v12, v13
	;; [unrolled: 1-line block ×4, first 2 shown]
	ds_write_b128 v4, v[0:3] offset:16
	; wave barrier
	scratch_load_dword v0, off, off offset:8 ; 4-byte Folded Reload
	s_waitcnt vmcnt(0)
	ds_read_u16 v16, v0 offset:128
	scratch_load_dword v0, off, off offset:12 ; 4-byte Folded Reload
	s_waitcnt vmcnt(0)
	ds_read_u16 v15, v0 offset:256
	;; [unrolled: 3-line block ×15, first 2 shown]
	scratch_load_dwordx2 v[0:1], off, off offset:240 ; 8-byte Folded Reload
	s_waitcnt vmcnt(0)
	v_lshl_add_u64 v[0:1], s[0:1], 1, v[0:1]
	s_and_saveexec_b64 s[52:53], s[18:19]
	s_cbranch_execnz .LBB80_269
; %bb.201:                              ;   in Loop: Header=BB80_13 Depth=1
	s_or_b64 exec, exec, s[52:53]
	s_and_saveexec_b64 s[52:53], s[20:21]
	s_cbranch_execnz .LBB80_270
.LBB80_202:                             ;   in Loop: Header=BB80_13 Depth=1
	s_or_b64 exec, exec, s[52:53]
	s_and_saveexec_b64 s[52:53], s[22:23]
	s_cbranch_execnz .LBB80_271
.LBB80_203:                             ;   in Loop: Header=BB80_13 Depth=1
	s_or_b64 exec, exec, s[52:53]
	s_and_saveexec_b64 s[52:53], s[24:25]
	s_cbranch_execnz .LBB80_272
.LBB80_204:                             ;   in Loop: Header=BB80_13 Depth=1
	s_or_b64 exec, exec, s[52:53]
	s_and_saveexec_b64 s[52:53], s[26:27]
	s_cbranch_execnz .LBB80_273
.LBB80_205:                             ;   in Loop: Header=BB80_13 Depth=1
	s_or_b64 exec, exec, s[52:53]
	s_and_saveexec_b64 s[52:53], s[28:29]
	s_cbranch_execnz .LBB80_274
.LBB80_206:                             ;   in Loop: Header=BB80_13 Depth=1
	s_or_b64 exec, exec, s[52:53]
	s_and_saveexec_b64 s[52:53], s[30:31]
	s_cbranch_execnz .LBB80_275
.LBB80_207:                             ;   in Loop: Header=BB80_13 Depth=1
	s_or_b64 exec, exec, s[52:53]
	s_and_saveexec_b64 s[52:53], s[34:35]
	s_cbranch_execnz .LBB80_276
.LBB80_208:                             ;   in Loop: Header=BB80_13 Depth=1
	s_or_b64 exec, exec, s[52:53]
	s_and_saveexec_b64 s[52:53], s[36:37]
	s_cbranch_execnz .LBB80_277
.LBB80_209:                             ;   in Loop: Header=BB80_13 Depth=1
	s_or_b64 exec, exec, s[52:53]
	s_and_saveexec_b64 s[52:53], s[38:39]
	s_cbranch_execnz .LBB80_278
.LBB80_210:                             ;   in Loop: Header=BB80_13 Depth=1
	s_or_b64 exec, exec, s[52:53]
	s_and_saveexec_b64 s[52:53], s[40:41]
	s_cbranch_execnz .LBB80_279
.LBB80_211:                             ;   in Loop: Header=BB80_13 Depth=1
	s_or_b64 exec, exec, s[52:53]
	s_and_saveexec_b64 s[52:53], s[42:43]
	s_cbranch_execnz .LBB80_280
.LBB80_212:                             ;   in Loop: Header=BB80_13 Depth=1
	s_or_b64 exec, exec, s[52:53]
	s_and_saveexec_b64 s[52:53], s[44:45]
	s_cbranch_execnz .LBB80_281
.LBB80_213:                             ;   in Loop: Header=BB80_13 Depth=1
	s_or_b64 exec, exec, s[52:53]
	s_and_saveexec_b64 s[52:53], s[46:47]
	s_cbranch_execnz .LBB80_282
.LBB80_214:                             ;   in Loop: Header=BB80_13 Depth=1
	s_or_b64 exec, exec, s[52:53]
	s_and_saveexec_b64 s[52:53], s[48:49]
	s_cbranch_execnz .LBB80_283
.LBB80_215:                             ;   in Loop: Header=BB80_13 Depth=1
	s_or_b64 exec, exec, s[52:53]
	s_and_saveexec_b64 s[52:53], s[50:51]
	s_cbranch_execz .LBB80_217
.LBB80_216:                             ;   in Loop: Header=BB80_13 Depth=1
	s_waitcnt lgkmcnt(0)
	global_store_short v[0:1], v2, off offset:1920
.LBB80_217:                             ;   in Loop: Header=BB80_13 Depth=1
	s_or_b64 exec, exec, s[52:53]
	s_waitcnt lgkmcnt(0)
	; wave barrier
	s_waitcnt lgkmcnt(0)
	scratch_load_dwordx2 v[0:1], off, off offset:248 ; 8-byte Folded Reload
	v_mov_b32_e32 v2, 0
	v_mov_b32_e32 v3, 0
	s_waitcnt vmcnt(0)
	v_lshl_add_u64 v[0:1], s[58:59], 1, v[0:1]
	s_and_saveexec_b64 s[52:53], s[18:19]
	s_cbranch_execz .LBB80_219
; %bb.218:                              ;   in Loop: Header=BB80_13 Depth=1
	global_load_ushort v3, v[0:1], off
.LBB80_219:                             ;   in Loop: Header=BB80_13 Depth=1
	s_or_b64 exec, exec, s[52:53]
	s_and_saveexec_b64 s[52:53], s[20:21]
	s_cbranch_execz .LBB80_221
; %bb.220:                              ;   in Loop: Header=BB80_13 Depth=1
	global_load_ushort v2, v[0:1], off offset:128
.LBB80_221:                             ;   in Loop: Header=BB80_13 Depth=1
	s_or_b64 exec, exec, s[52:53]
	v_mov_b32_e32 v4, 0
	v_mov_b32_e32 v5, 0
	s_and_saveexec_b64 s[52:53], s[22:23]
	s_cbranch_execz .LBB80_223
; %bb.222:                              ;   in Loop: Header=BB80_13 Depth=1
	global_load_ushort v5, v[0:1], off offset:256
.LBB80_223:                             ;   in Loop: Header=BB80_13 Depth=1
	s_or_b64 exec, exec, s[52:53]
	s_and_saveexec_b64 s[52:53], s[24:25]
	s_cbranch_execz .LBB80_225
; %bb.224:                              ;   in Loop: Header=BB80_13 Depth=1
	global_load_ushort v4, v[0:1], off offset:384
.LBB80_225:                             ;   in Loop: Header=BB80_13 Depth=1
	s_or_b64 exec, exec, s[52:53]
	v_mov_b32_e32 v6, 0
	v_mov_b32_e32 v7, 0
	s_and_saveexec_b64 s[52:53], s[26:27]
	s_cbranch_execz .LBB80_227
; %bb.226:                              ;   in Loop: Header=BB80_13 Depth=1
	global_load_ushort v7, v[0:1], off offset:512
.LBB80_227:                             ;   in Loop: Header=BB80_13 Depth=1
	;; [unrolled: 14-line block ×7, first 2 shown]
	s_or_b64 exec, exec, s[52:53]
	s_and_saveexec_b64 s[52:53], s[50:51]
	s_cbranch_execz .LBB80_249
; %bb.248:                              ;   in Loop: Header=BB80_13 Depth=1
	global_load_ushort v16, v[0:1], off offset:1920
.LBB80_249:                             ;   in Loop: Header=BB80_13 Depth=1
	s_or_b64 exec, exec, s[52:53]
	scratch_load_dword v0, off, off         ; 4-byte Folded Reload
	scratch_load_dword v44, off, off offset:8 ; 4-byte Folded Reload
	scratch_load_dword v45, off, off offset:12 ; 4-byte Folded Reload
	;; [unrolled: 1-line block ×15, first 2 shown]
	s_mov_b32 s52, 0xbfb8aa3b
	s_mov_b32 s53, 0xb2a5705f
	;; [unrolled: 1-line block ×4, first 2 shown]
	v_mov_b32_e32 v26, 0x7f800000
	s_waitcnt vmcnt(15)
	ds_write_b16 v0, v3
	s_waitcnt vmcnt(14)
	ds_write_b16 v44, v2 offset:128
	s_waitcnt vmcnt(13)
	ds_write_b16 v45, v5 offset:256
	;; [unrolled: 2-line block ×15, first 2 shown]
	; wave barrier
	scratch_load_dword v59, off, off offset:4 ; 4-byte Folded Reload
	s_waitcnt vmcnt(0)
	ds_read_b128 v[4:7], v59
	ds_read_b128 v[0:3], v59 offset:16
	s_waitcnt lgkmcnt(0)
	; wave barrier
	s_waitcnt lgkmcnt(0)
	v_cvt_f32_f16_e32 v12, v4
	v_cvt_f32_f16_sdwa v13, v4 dst_sel:DWORD dst_unused:UNUSED_PAD src0_sel:WORD_1
	v_cvt_f32_f16_e32 v10, v5
	v_cvt_f32_f16_sdwa v11, v5 dst_sel:DWORD dst_unused:UNUSED_PAD src0_sel:WORD_1
	v_mul_f32_e32 v8, 0xbfb8aa3b, v12
	v_rndne_f32_e32 v9, v8
	v_sub_f32_e32 v14, v8, v9
	v_fma_mix_f32 v8, v4, s52, -v8 op_sel_hi:[1,0,0]
	v_cvt_i32_f32_e32 v9, v9
	v_fma_mix_f32 v8, v4, s53, v8 op_sel_hi:[1,0,0]
	v_cmp_nlt_f32_e32 vcc, s54, v12
	v_add_f32_e32 v8, v14, v8
	v_exp_f32_e32 v8, v8
	s_nop 0
	v_ldexp_f32 v8, v8, v9
	v_mul_f32_e32 v9, 0xbfb8aa3b, v13
	v_rndne_f32_e32 v14, v9
	v_sub_f32_e32 v15, v9, v14
	v_fma_mix_f32 v9, v4, s52, -v9 op_sel:[1,0,0] op_sel_hi:[1,0,0]
	v_cndmask_b32_e32 v8, 0, v8, vcc
	v_fma_mix_f32 v4, v4, s53, v9 op_sel:[1,0,0] op_sel_hi:[1,0,0]
	v_cvt_i32_f32_e32 v9, v14
	v_add_f32_e32 v4, v15, v4
	v_exp_f32_e32 v4, v4
	v_cmp_ngt_f32_e32 vcc, s55, v12
	v_ldexp_f32 v4, v4, v9
	s_nop 0
	v_cndmask_b32_e32 v8, v26, v8, vcc
	v_cmp_nlt_f32_e32 vcc, s54, v13
	s_nop 1
	v_cndmask_b32_e32 v4, 0, v4, vcc
	v_cmp_ngt_f32_e32 vcc, s55, v13
	s_nop 1
	v_cndmask_b32_e32 v9, v26, v4, vcc
	v_mul_f32_e32 v4, 0xbfb8aa3b, v10
	v_rndne_f32_e32 v14, v4
	v_sub_f32_e32 v15, v4, v14
	v_fma_mix_f32 v4, v5, s52, -v4 op_sel_hi:[1,0,0]
	v_cvt_i32_f32_e32 v14, v14
	v_fma_mix_f32 v4, v5, s53, v4 op_sel_hi:[1,0,0]
	v_pk_add_f32 v[8:9], v[8:9], 1.0 op_sel_hi:[1,0]
	v_add_f32_e32 v4, v15, v4
	v_exp_f32_e32 v4, v4
	v_cmp_nlt_f32_e32 vcc, s54, v10
	v_ldexp_f32 v4, v4, v14
	v_mul_f32_e32 v14, 0xbfb8aa3b, v11
	v_rndne_f32_e32 v15, v14
	v_sub_f32_e32 v16, v14, v15
	v_fma_mix_f32 v14, v5, s52, -v14 op_sel:[1,0,0] op_sel_hi:[1,0,0]
	v_cndmask_b32_e32 v4, 0, v4, vcc
	v_fma_mix_f32 v5, v5, s53, v14 op_sel:[1,0,0] op_sel_hi:[1,0,0]
	v_cvt_i32_f32_e32 v14, v15
	v_add_f32_e32 v5, v16, v5
	v_exp_f32_e32 v5, v5
	v_cmp_ngt_f32_e32 vcc, s55, v10
	v_ldexp_f32 v5, v5, v14
	v_div_scale_f32 v14, s[0:1], v9, v9, v13
	v_rcp_f32_e32 v15, v14
	v_cndmask_b32_e32 v4, v26, v4, vcc
	v_cmp_nlt_f32_e32 vcc, s54, v11
	v_fma_f32 v16, -v14, v15, 1.0
	s_nop 0
	v_cndmask_b32_e32 v5, 0, v5, vcc
	v_cmp_ngt_f32_e32 vcc, s55, v11
	v_fmac_f32_e32 v15, v16, v15
	s_nop 0
	v_cndmask_b32_e32 v5, v26, v5, vcc
	v_div_scale_f32 v16, vcc, v13, v9, v13
	v_mul_f32_e32 v18, v16, v15
	v_fma_f32 v19, -v14, v18, v16
	v_fmac_f32_e32 v18, v19, v15
	v_fma_f32 v14, -v14, v18, v16
	v_div_fmas_f32 v14, v14, v15, v18
	v_div_fixup_f32 v9, v14, v9, v13
	v_div_scale_f32 v13, s[0:1], v8, v8, v12
	v_rcp_f32_e32 v14, v13
	v_pk_add_f32 v[4:5], v[4:5], 1.0 op_sel_hi:[1,0]
	v_fma_f32 v15, -v13, v14, 1.0
	v_fmac_f32_e32 v14, v15, v14
	v_div_scale_f32 v15, vcc, v12, v8, v12
	v_mul_f32_e32 v16, v15, v14
	v_fma_f32 v18, -v13, v16, v15
	v_fmac_f32_e32 v16, v18, v14
	v_fma_f32 v13, -v13, v16, v15
	v_div_fmas_f32 v13, v13, v14, v16
	v_div_fixup_f32 v8, v13, v8, v12
	v_div_scale_f32 v12, s[0:1], v5, v5, v11
	v_rcp_f32_e32 v13, v12
	v_pk_mul_f32 v[8:9], v[40:41], v[8:9]
	v_cvt_f32_f16_sdwa v18, v6 dst_sel:DWORD dst_unused:UNUSED_PAD src0_sel:WORD_1
	v_fma_f32 v14, -v12, v13, 1.0
	v_fmac_f32_e32 v13, v14, v13
	v_div_scale_f32 v14, vcc, v11, v5, v11
	v_mul_f32_e32 v15, v14, v13
	v_fma_f32 v16, -v12, v15, v14
	v_fmac_f32_e32 v15, v16, v13
	v_fma_f32 v12, -v12, v15, v14
	v_div_fmas_f32 v12, v12, v13, v15
	v_div_fixup_f32 v5, v12, v5, v11
	v_div_scale_f32 v11, s[0:1], v4, v4, v10
	v_rcp_f32_e32 v12, v11
	v_cvt_f32_f16_e32 v16, v6
	v_fma_f32 v13, -v11, v12, 1.0
	v_fmac_f32_e32 v12, v13, v12
	v_div_scale_f32 v13, vcc, v10, v4, v10
	v_mul_f32_e32 v14, v13, v12
	v_fma_f32 v15, -v11, v14, v13
	v_fmac_f32_e32 v14, v15, v12
	v_fma_f32 v11, -v11, v14, v13
	v_div_fmas_f32 v11, v11, v12, v14
	v_div_fixup_f32 v4, v11, v4, v10
	v_pk_mul_f32 v[4:5], v[42:43], v[4:5]
	v_cvt_f16_f32_e32 v11, v8
	v_cvt_f16_f32_e32 v13, v4
	v_mul_f32_e32 v4, 0xbfb8aa3b, v16
	v_cvt_f16_f32_e32 v12, v5
	v_rndne_f32_e32 v5, v4
	v_sub_f32_e32 v8, v4, v5
	v_fma_mix_f32 v4, v6, s52, -v4 op_sel_hi:[1,0,0]
	v_cvt_i32_f32_e32 v5, v5
	v_fma_mix_f32 v4, v6, s53, v4 op_sel_hi:[1,0,0]
	v_cmp_nlt_f32_e32 vcc, s54, v16
	v_add_f32_e32 v4, v8, v4
	v_exp_f32_e32 v4, v4
	v_cvt_f16_f32_e32 v10, v9
	v_cvt_f32_f16_e32 v14, v7
	v_cvt_f32_f16_sdwa v15, v7 dst_sel:DWORD dst_unused:UNUSED_PAD src0_sel:WORD_1
	v_ldexp_f32 v4, v4, v5
	v_cndmask_b32_e32 v4, 0, v4, vcc
	v_cmp_ngt_f32_e32 vcc, s55, v16
	s_nop 1
	v_cndmask_b32_e32 v8, v26, v4, vcc
	v_mul_f32_e32 v4, 0xbfb8aa3b, v18
	v_rndne_f32_e32 v5, v4
	v_sub_f32_e32 v9, v4, v5
	v_fma_mix_f32 v4, v6, s52, -v4 op_sel:[1,0,0] op_sel_hi:[1,0,0]
	v_cvt_i32_f32_e32 v5, v5
	v_fma_mix_f32 v4, v6, s53, v4 op_sel:[1,0,0] op_sel_hi:[1,0,0]
	v_cmp_nlt_f32_e32 vcc, s54, v18
	v_add_f32_e32 v4, v9, v4
	v_exp_f32_e32 v4, v4
	s_nop 0
	v_ldexp_f32 v4, v4, v5
	v_cndmask_b32_e32 v4, 0, v4, vcc
	v_cmp_ngt_f32_e32 vcc, s55, v18
	s_nop 1
	v_cndmask_b32_e32 v9, v26, v4, vcc
	v_mul_f32_e32 v4, 0xbfb8aa3b, v14
	v_rndne_f32_e32 v5, v4
	v_sub_f32_e32 v6, v4, v5
	v_fma_mix_f32 v4, v7, s52, -v4 op_sel_hi:[1,0,0]
	v_cvt_i32_f32_e32 v5, v5
	v_fma_mix_f32 v4, v7, s53, v4 op_sel_hi:[1,0,0]
	v_cmp_nlt_f32_e32 vcc, s54, v14
	v_add_f32_e32 v4, v6, v4
	v_exp_f32_e32 v4, v4
	s_nop 0
	v_ldexp_f32 v4, v4, v5
	v_mul_f32_e32 v5, 0xbfb8aa3b, v15
	v_rndne_f32_e32 v6, v5
	v_sub_f32_e32 v19, v5, v6
	v_fma_mix_f32 v5, v7, s52, -v5 op_sel:[1,0,0] op_sel_hi:[1,0,0]
	v_cvt_i32_f32_e32 v6, v6
	v_fma_mix_f32 v5, v7, s53, v5 op_sel:[1,0,0] op_sel_hi:[1,0,0]
	v_cndmask_b32_e32 v4, 0, v4, vcc
	v_add_f32_e32 v5, v19, v5
	v_exp_f32_e32 v5, v5
	v_cmp_ngt_f32_e32 vcc, s55, v14
	v_ldexp_f32 v5, v5, v6
	v_pk_add_f32 v[6:7], v[8:9], 1.0 op_sel_hi:[1,0]
	v_cndmask_b32_e32 v4, v26, v4, vcc
	v_div_scale_f32 v8, s[0:1], v7, v7, v18
	v_rcp_f32_e32 v9, v8
	v_cmp_nlt_f32_e32 vcc, s54, v15
	v_fma_f32 v19, -v8, v9, 1.0
	s_nop 0
	v_cndmask_b32_e32 v5, 0, v5, vcc
	v_cmp_ngt_f32_e32 vcc, s55, v15
	v_fmac_f32_e32 v9, v19, v9
	s_nop 0
	v_cndmask_b32_e32 v5, v26, v5, vcc
	v_div_scale_f32 v19, vcc, v18, v7, v18
	v_mul_f32_e32 v22, v19, v9
	v_fma_f32 v23, -v8, v22, v19
	v_fmac_f32_e32 v22, v23, v9
	v_fma_f32 v8, -v8, v22, v19
	v_div_fmas_f32 v8, v8, v9, v22
	v_div_fixup_f32 v7, v8, v7, v18
	v_div_scale_f32 v8, s[0:1], v6, v6, v16
	v_rcp_f32_e32 v9, v8
	v_pk_add_f32 v[4:5], v[4:5], 1.0 op_sel_hi:[1,0]
	v_fma_f32 v18, -v8, v9, 1.0
	v_fmac_f32_e32 v9, v18, v9
	v_div_scale_f32 v18, vcc, v16, v6, v16
	v_mul_f32_e32 v19, v18, v9
	v_fma_f32 v22, -v8, v19, v18
	v_fmac_f32_e32 v19, v22, v9
	v_fma_f32 v8, -v8, v19, v18
	v_div_fmas_f32 v8, v8, v9, v19
	v_div_fixup_f32 v6, v8, v6, v16
	v_div_scale_f32 v8, s[0:1], v5, v5, v15
	v_rcp_f32_e32 v9, v8
	s_nop 0
	v_fma_f32 v16, -v8, v9, 1.0
	v_fmac_f32_e32 v9, v16, v9
	v_div_scale_f32 v16, vcc, v15, v5, v15
	v_mul_f32_e32 v18, v16, v9
	v_fma_f32 v19, -v8, v18, v16
	v_fmac_f32_e32 v18, v19, v9
	v_fma_f32 v8, -v8, v18, v16
	v_div_fmas_f32 v8, v8, v9, v18
	v_div_fixup_f32 v5, v8, v5, v15
	v_div_scale_f32 v8, s[0:1], v4, v4, v14
	v_rcp_f32_e32 v9, v8
	s_nop 0
	v_fma_f32 v15, -v8, v9, 1.0
	v_fmac_f32_e32 v9, v15, v9
	v_div_scale_f32 v15, vcc, v14, v4, v14
	v_mul_f32_e32 v16, v15, v9
	v_fma_f32 v18, -v8, v16, v15
	v_fmac_f32_e32 v16, v18, v9
	v_fma_f32 v8, -v8, v16, v15
	v_div_fmas_f32 v8, v8, v9, v16
	v_cvt_f32_f16_e32 v16, v0
	v_div_fixup_f32 v4, v8, v4, v14
	v_pk_mul_f32 v[4:5], v[38:39], v[4:5]
	v_pk_mul_f32 v[8:9], v[36:37], v[6:7]
	v_cvt_f32_f16_sdwa v18, v0 dst_sel:DWORD dst_unused:UNUSED_PAD src0_sel:WORD_1
	v_cvt_f16_f32_e32 v6, v9
	v_cvt_f16_f32_e32 v9, v4
	v_mul_f32_e32 v4, 0xbfb8aa3b, v16
	v_cvt_f16_f32_e32 v7, v8
	v_cvt_f16_f32_e32 v8, v5
	v_rndne_f32_e32 v5, v4
	v_sub_f32_e32 v19, v4, v5
	v_fma_mix_f32 v4, v0, s52, -v4 op_sel_hi:[1,0,0]
	v_cvt_i32_f32_e32 v5, v5
	v_fma_mix_f32 v4, v0, s53, v4 op_sel_hi:[1,0,0]
	v_cvt_f32_f16_e32 v14, v1
	v_add_f32_e32 v4, v19, v4
	v_exp_f32_e32 v4, v4
	v_cmp_nlt_f32_e32 vcc, s54, v16
	v_cvt_f32_f16_sdwa v15, v1 dst_sel:DWORD dst_unused:UNUSED_PAD src0_sel:WORD_1
	v_ldexp_f32 v4, v4, v5
	v_mul_f32_e32 v5, 0xbfb8aa3b, v18
	v_rndne_f32_e32 v19, v5
	v_sub_f32_e32 v22, v5, v19
	v_fma_mix_f32 v5, v0, s52, -v5 op_sel:[1,0,0] op_sel_hi:[1,0,0]
	v_cndmask_b32_e32 v4, 0, v4, vcc
	v_fma_mix_f32 v0, v0, s53, v5 op_sel:[1,0,0] op_sel_hi:[1,0,0]
	v_cvt_i32_f32_e32 v5, v19
	v_add_f32_e32 v0, v22, v0
	v_exp_f32_e32 v0, v0
	v_cmp_ngt_f32_e32 vcc, s55, v16
	v_ldexp_f32 v0, v0, v5
	s_nop 0
	v_cndmask_b32_e32 v4, v26, v4, vcc
	v_cmp_nlt_f32_e32 vcc, s54, v18
	s_nop 1
	v_cndmask_b32_e32 v0, 0, v0, vcc
	v_cmp_ngt_f32_e32 vcc, s55, v18
	s_nop 1
	v_cndmask_b32_e32 v5, v26, v0, vcc
	v_mul_f32_e32 v0, 0xbfb8aa3b, v14
	v_rndne_f32_e32 v19, v0
	v_sub_f32_e32 v22, v0, v19
	v_fma_mix_f32 v0, v1, s52, -v0 op_sel_hi:[1,0,0]
	v_cvt_i32_f32_e32 v19, v19
	v_fma_mix_f32 v0, v1, s53, v0 op_sel_hi:[1,0,0]
	v_pk_add_f32 v[4:5], v[4:5], 1.0 op_sel_hi:[1,0]
	v_add_f32_e32 v0, v22, v0
	v_exp_f32_e32 v0, v0
	v_cmp_nlt_f32_e32 vcc, s54, v14
	v_ldexp_f32 v0, v0, v19
	v_mul_f32_e32 v19, 0xbfb8aa3b, v15
	v_rndne_f32_e32 v22, v19
	v_sub_f32_e32 v23, v19, v22
	v_fma_mix_f32 v19, v1, s52, -v19 op_sel:[1,0,0] op_sel_hi:[1,0,0]
	v_cndmask_b32_e32 v0, 0, v0, vcc
	v_fma_mix_f32 v1, v1, s53, v19 op_sel:[1,0,0] op_sel_hi:[1,0,0]
	v_cvt_i32_f32_e32 v19, v22
	v_add_f32_e32 v1, v23, v1
	v_exp_f32_e32 v1, v1
	v_cmp_ngt_f32_e32 vcc, s55, v14
	v_ldexp_f32 v1, v1, v19
	v_div_scale_f32 v19, s[0:1], v5, v5, v18
	v_rcp_f32_e32 v22, v19
	v_cndmask_b32_e32 v0, v26, v0, vcc
	v_cmp_nlt_f32_e32 vcc, s54, v15
	v_fma_f32 v23, -v19, v22, 1.0
	s_nop 0
	v_cndmask_b32_e32 v1, 0, v1, vcc
	v_cmp_ngt_f32_e32 vcc, s55, v15
	v_fmac_f32_e32 v22, v23, v22
	s_nop 0
	v_cndmask_b32_e32 v1, v26, v1, vcc
	v_div_scale_f32 v23, vcc, v18, v5, v18
	v_mul_f32_e32 v24, v23, v22
	v_fma_f32 v25, -v19, v24, v23
	v_fmac_f32_e32 v24, v25, v22
	v_fma_f32 v19, -v19, v24, v23
	v_div_fmas_f32 v19, v19, v22, v24
	v_div_fixup_f32 v5, v19, v5, v18
	v_div_scale_f32 v18, s[0:1], v4, v4, v16
	v_rcp_f32_e32 v19, v18
	v_pk_add_f32 v[0:1], v[0:1], 1.0 op_sel_hi:[1,0]
	v_fma_f32 v22, -v18, v19, 1.0
	v_fmac_f32_e32 v19, v22, v19
	v_div_scale_f32 v22, vcc, v16, v4, v16
	v_mul_f32_e32 v23, v22, v19
	v_fma_f32 v24, -v18, v23, v22
	v_fmac_f32_e32 v23, v24, v19
	v_fma_f32 v18, -v18, v23, v22
	v_div_fmas_f32 v18, v18, v19, v23
	v_div_fixup_f32 v4, v18, v4, v16
	v_div_scale_f32 v16, s[0:1], v1, v1, v15
	v_rcp_f32_e32 v18, v16
	v_pk_mul_f32 v[4:5], v[32:33], v[4:5]
	v_cvt_f32_f16_sdwa v24, v2 dst_sel:DWORD dst_unused:UNUSED_PAD src0_sel:WORD_1
	v_fma_f32 v19, -v16, v18, 1.0
	v_fmac_f32_e32 v18, v19, v18
	v_div_scale_f32 v19, vcc, v15, v1, v15
	v_mul_f32_e32 v22, v19, v18
	v_fma_f32 v23, -v16, v22, v19
	v_fmac_f32_e32 v22, v23, v18
	v_fma_f32 v16, -v16, v22, v19
	v_div_fmas_f32 v16, v16, v18, v22
	v_div_fixup_f32 v1, v16, v1, v15
	v_div_scale_f32 v15, s[0:1], v0, v0, v14
	v_rcp_f32_e32 v16, v15
	v_cvt_f32_f16_e32 v23, v2
	v_fma_f32 v18, -v15, v16, 1.0
	v_fmac_f32_e32 v16, v18, v16
	v_div_scale_f32 v18, vcc, v14, v0, v14
	v_mul_f32_e32 v19, v18, v16
	v_fma_f32 v22, -v15, v19, v18
	v_fmac_f32_e32 v19, v22, v16
	v_fma_f32 v15, -v15, v19, v18
	v_div_fmas_f32 v15, v15, v16, v19
	v_div_fixup_f32 v0, v15, v0, v14
	v_pk_mul_f32 v[0:1], v[34:35], v[0:1]
	v_cvt_f16_f32_e32 v15, v4
	v_cvt_f16_f32_e32 v18, v0
	v_mul_f32_e32 v0, 0xbfb8aa3b, v23
	v_cvt_f16_f32_e32 v16, v1
	v_rndne_f32_e32 v1, v0
	v_sub_f32_e32 v4, v0, v1
	v_fma_mix_f32 v0, v2, s52, -v0 op_sel_hi:[1,0,0]
	v_cvt_i32_f32_e32 v1, v1
	v_fma_mix_f32 v0, v2, s53, v0 op_sel_hi:[1,0,0]
	v_cmp_nlt_f32_e32 vcc, s54, v23
	v_add_f32_e32 v0, v4, v0
	v_exp_f32_e32 v0, v0
	v_cvt_f16_f32_e32 v14, v5
	v_cvt_f32_f16_e32 v19, v3
	v_cvt_f32_f16_sdwa v22, v3 dst_sel:DWORD dst_unused:UNUSED_PAD src0_sel:WORD_1
	v_ldexp_f32 v0, v0, v1
	v_cndmask_b32_e32 v0, 0, v0, vcc
	v_cmp_ngt_f32_e32 vcc, s55, v23
	s_nop 1
	v_cndmask_b32_e32 v4, v26, v0, vcc
	v_mul_f32_e32 v0, 0xbfb8aa3b, v24
	v_rndne_f32_e32 v1, v0
	v_sub_f32_e32 v5, v0, v1
	v_fma_mix_f32 v0, v2, s52, -v0 op_sel:[1,0,0] op_sel_hi:[1,0,0]
	v_cvt_i32_f32_e32 v1, v1
	v_fma_mix_f32 v0, v2, s53, v0 op_sel:[1,0,0] op_sel_hi:[1,0,0]
	v_cmp_nlt_f32_e32 vcc, s54, v24
	v_add_f32_e32 v0, v5, v0
	v_exp_f32_e32 v0, v0
	s_nop 0
	v_ldexp_f32 v0, v0, v1
	v_cndmask_b32_e32 v0, 0, v0, vcc
	v_cmp_ngt_f32_e32 vcc, s55, v24
	s_nop 1
	v_cndmask_b32_e32 v5, v26, v0, vcc
	v_mul_f32_e32 v0, 0xbfb8aa3b, v19
	v_rndne_f32_e32 v1, v0
	v_sub_f32_e32 v2, v0, v1
	v_fma_mix_f32 v0, v3, s52, -v0 op_sel_hi:[1,0,0]
	v_cvt_i32_f32_e32 v1, v1
	v_fma_mix_f32 v0, v3, s53, v0 op_sel_hi:[1,0,0]
	v_cmp_nlt_f32_e32 vcc, s54, v19
	v_add_f32_e32 v0, v2, v0
	v_exp_f32_e32 v0, v0
	s_nop 0
	v_ldexp_f32 v0, v0, v1
	v_mul_f32_e32 v1, 0xbfb8aa3b, v22
	v_rndne_f32_e32 v2, v1
	v_sub_f32_e32 v25, v1, v2
	v_fma_mix_f32 v1, v3, s52, -v1 op_sel:[1,0,0] op_sel_hi:[1,0,0]
	v_cvt_i32_f32_e32 v2, v2
	v_fma_mix_f32 v1, v3, s53, v1 op_sel:[1,0,0] op_sel_hi:[1,0,0]
	v_cndmask_b32_e32 v0, 0, v0, vcc
	v_add_f32_e32 v1, v25, v1
	v_exp_f32_e32 v1, v1
	v_cmp_ngt_f32_e32 vcc, s55, v19
	v_ldexp_f32 v1, v1, v2
	v_pk_add_f32 v[2:3], v[4:5], 1.0 op_sel_hi:[1,0]
	v_cndmask_b32_e32 v0, v26, v0, vcc
	v_div_scale_f32 v4, s[0:1], v3, v3, v24
	v_rcp_f32_e32 v5, v4
	v_cmp_nlt_f32_e32 vcc, s54, v22
	v_fma_f32 v25, -v4, v5, 1.0
	s_nop 0
	v_cndmask_b32_e32 v1, 0, v1, vcc
	v_cmp_ngt_f32_e32 vcc, s55, v22
	v_fmac_f32_e32 v5, v25, v5
	s_nop 0
	v_cndmask_b32_e32 v1, v26, v1, vcc
	v_div_scale_f32 v25, vcc, v24, v3, v24
	v_mul_f32_e32 v26, v25, v5
	v_fma_f32 v27, -v4, v26, v25
	v_fmac_f32_e32 v26, v27, v5
	v_fma_f32 v4, -v4, v26, v25
	v_div_fmas_f32 v4, v4, v5, v26
	v_div_fixup_f32 v3, v4, v3, v24
	v_div_scale_f32 v4, s[0:1], v2, v2, v23
	v_rcp_f32_e32 v5, v4
	v_pk_add_f32 v[0:1], v[0:1], 1.0 op_sel_hi:[1,0]
	v_fma_f32 v24, -v4, v5, 1.0
	v_fmac_f32_e32 v5, v24, v5
	v_div_scale_f32 v24, vcc, v23, v2, v23
	v_mul_f32_e32 v25, v24, v5
	v_fma_f32 v26, -v4, v25, v24
	v_fmac_f32_e32 v25, v26, v5
	v_fma_f32 v4, -v4, v25, v24
	v_div_fmas_f32 v4, v4, v5, v25
	v_div_fixup_f32 v2, v4, v2, v23
	v_div_scale_f32 v4, s[0:1], v1, v1, v22
	v_rcp_f32_e32 v5, v4
	v_pk_mul_f32 v[2:3], v[28:29], v[2:3]
	v_fma_f32 v23, -v4, v5, 1.0
	v_fmac_f32_e32 v5, v23, v5
	v_div_scale_f32 v23, vcc, v22, v1, v22
	v_mul_f32_e32 v24, v23, v5
	v_fma_f32 v25, -v4, v24, v23
	v_fmac_f32_e32 v24, v25, v5
	v_fma_f32 v4, -v4, v24, v23
	v_div_fmas_f32 v4, v4, v5, v24
	v_div_fixup_f32 v1, v4, v1, v22
	v_div_scale_f32 v4, s[0:1], v0, v0, v19
	v_rcp_f32_e32 v5, v4
	s_nop 0
	v_fma_f32 v22, -v4, v5, 1.0
	v_fmac_f32_e32 v5, v22, v5
	v_div_scale_f32 v22, vcc, v19, v0, v19
	v_mul_f32_e32 v23, v22, v5
	v_fma_f32 v24, -v4, v23, v22
	v_fmac_f32_e32 v23, v24, v5
	v_fma_f32 v4, -v4, v23, v22
	v_div_fmas_f32 v4, v4, v5, v23
	v_div_fixup_f32 v0, v4, v0, v19
	v_pk_mul_f32 v[0:1], v[30:31], v[0:1]
	v_cvt_f16_f32_e32 v4, v3
	v_cvt_f16_f32_e32 v5, v2
	;; [unrolled: 1-line block ×4, first 2 shown]
	v_pack_b32_f16 v3, v9, v8
	v_pack_b32_f16 v2, v7, v6
	;; [unrolled: 1-line block ×4, first 2 shown]
	ds_write_b128 v59, v[0:3]
	v_pack_b32_f16 v3, v22, v19
	v_pack_b32_f16 v2, v5, v4
	;; [unrolled: 1-line block ×4, first 2 shown]
	ds_write_b128 v59, v[0:3] offset:16
	; wave barrier
	ds_read_u16 v16, v44 offset:128
	ds_read_u16 v15, v45 offset:256
	;; [unrolled: 1-line block ×15, first 2 shown]
	scratch_load_dwordx2 v[0:1], off, off offset:256 ; 8-byte Folded Reload
	s_waitcnt vmcnt(0)
	v_lshl_add_u64 v[0:1], s[58:59], 1, v[0:1]
	s_and_saveexec_b64 s[52:53], s[18:19]
	s_cbranch_execz .LBB80_251
; %bb.250:                              ;   in Loop: Header=BB80_13 Depth=1
	scratch_load_dword v18, off, off        ; 4-byte Folded Reload
	s_waitcnt vmcnt(0)
	ds_read_u16 v18, v18
	s_waitcnt lgkmcnt(0)
	global_store_short v[0:1], v18, off
.LBB80_251:                             ;   in Loop: Header=BB80_13 Depth=1
	s_or_b64 exec, exec, s[52:53]
	s_and_saveexec_b64 s[18:19], s[20:21]
	s_cbranch_execz .LBB80_253
; %bb.252:                              ;   in Loop: Header=BB80_13 Depth=1
	s_waitcnt lgkmcnt(14)
	global_store_short v[0:1], v16, off offset:128
.LBB80_253:                             ;   in Loop: Header=BB80_13 Depth=1
	s_or_b64 exec, exec, s[18:19]
	s_mov_b64 s[18:19], exec
	s_and_b64 s[0:1], s[18:19], s[22:23]
	v_mov_b32_e32 v39, 0x7f800000
	s_mov_b64 exec, s[0:1]
	s_cbranch_execnz .LBB80_284
; %bb.254:                              ;   in Loop: Header=BB80_13 Depth=1
	s_or_b64 exec, exec, s[18:19]
	s_and_saveexec_b64 s[18:19], s[24:25]
	s_cbranch_execnz .LBB80_285
.LBB80_255:                             ;   in Loop: Header=BB80_13 Depth=1
	s_or_b64 exec, exec, s[18:19]
	s_and_saveexec_b64 s[18:19], s[26:27]
	s_cbranch_execnz .LBB80_286
.LBB80_256:                             ;   in Loop: Header=BB80_13 Depth=1
	s_or_b64 exec, exec, s[18:19]
	s_and_saveexec_b64 s[18:19], s[28:29]
	s_cbranch_execnz .LBB80_287
.LBB80_257:                             ;   in Loop: Header=BB80_13 Depth=1
	s_or_b64 exec, exec, s[18:19]
	s_and_saveexec_b64 s[18:19], s[30:31]
	s_cbranch_execnz .LBB80_288
.LBB80_258:                             ;   in Loop: Header=BB80_13 Depth=1
	s_or_b64 exec, exec, s[18:19]
	s_and_saveexec_b64 s[18:19], s[34:35]
	s_cbranch_execnz .LBB80_289
.LBB80_259:                             ;   in Loop: Header=BB80_13 Depth=1
	s_or_b64 exec, exec, s[18:19]
	s_and_saveexec_b64 s[18:19], s[36:37]
	s_cbranch_execnz .LBB80_290
.LBB80_260:                             ;   in Loop: Header=BB80_13 Depth=1
	s_or_b64 exec, exec, s[18:19]
	s_and_saveexec_b64 s[18:19], s[38:39]
	s_cbranch_execnz .LBB80_291
.LBB80_261:                             ;   in Loop: Header=BB80_13 Depth=1
	s_or_b64 exec, exec, s[18:19]
	s_and_saveexec_b64 s[18:19], s[40:41]
	s_cbranch_execnz .LBB80_292
.LBB80_262:                             ;   in Loop: Header=BB80_13 Depth=1
	s_or_b64 exec, exec, s[18:19]
	s_and_saveexec_b64 s[18:19], s[42:43]
	s_cbranch_execnz .LBB80_293
.LBB80_263:                             ;   in Loop: Header=BB80_13 Depth=1
	s_or_b64 exec, exec, s[18:19]
	s_and_saveexec_b64 s[18:19], s[44:45]
	s_cbranch_execnz .LBB80_294
.LBB80_264:                             ;   in Loop: Header=BB80_13 Depth=1
	s_or_b64 exec, exec, s[18:19]
	s_and_saveexec_b64 s[18:19], s[46:47]
	s_cbranch_execnz .LBB80_295
.LBB80_265:                             ;   in Loop: Header=BB80_13 Depth=1
	s_or_b64 exec, exec, s[18:19]
	s_and_saveexec_b64 s[18:19], s[48:49]
	s_cbranch_execnz .LBB80_296
.LBB80_266:                             ;   in Loop: Header=BB80_13 Depth=1
	s_or_b64 exec, exec, s[18:19]
	s_and_saveexec_b64 s[18:19], s[50:51]
	s_cbranch_execz .LBB80_12
	s_branch .LBB80_297
.LBB80_267:                             ;   in Loop: Header=BB80_13 Depth=1
	global_load_ushort v28, v[8:9], off offset:1664
	s_or_b64 exec, exec, s[52:53]
	s_and_saveexec_b64 s[52:53], s[48:49]
	s_cbranch_execz .LBB80_73
.LBB80_268:                             ;   in Loop: Header=BB80_13 Depth=1
	global_load_ushort v27, v[8:9], off offset:1792
	s_or_b64 exec, exec, s[52:53]
	v_mov_b32_e32 v29, 0
	s_and_saveexec_b64 s[52:53], s[50:51]
	s_cbranch_execnz .LBB80_74
	s_branch .LBB80_75
.LBB80_269:                             ;   in Loop: Header=BB80_13 Depth=1
	scratch_load_dword v18, off, off        ; 4-byte Folded Reload
	s_waitcnt vmcnt(0)
	ds_read_u16 v18, v18
	s_waitcnt lgkmcnt(0)
	global_store_short v[0:1], v18, off
	s_or_b64 exec, exec, s[52:53]
	s_and_saveexec_b64 s[52:53], s[20:21]
	s_cbranch_execz .LBB80_202
.LBB80_270:                             ;   in Loop: Header=BB80_13 Depth=1
	s_waitcnt lgkmcnt(14)
	global_store_short v[0:1], v16, off offset:128
	s_or_b64 exec, exec, s[52:53]
	s_and_saveexec_b64 s[52:53], s[22:23]
	s_cbranch_execz .LBB80_203
.LBB80_271:                             ;   in Loop: Header=BB80_13 Depth=1
	s_waitcnt lgkmcnt(13)
	global_store_short v[0:1], v15, off offset:256
	s_or_b64 exec, exec, s[52:53]
	s_and_saveexec_b64 s[52:53], s[24:25]
	s_cbranch_execz .LBB80_204
.LBB80_272:                             ;   in Loop: Header=BB80_13 Depth=1
	s_waitcnt lgkmcnt(12)
	global_store_short v[0:1], v14, off offset:384
	s_or_b64 exec, exec, s[52:53]
	s_and_saveexec_b64 s[52:53], s[26:27]
	s_cbranch_execz .LBB80_205
.LBB80_273:                             ;   in Loop: Header=BB80_13 Depth=1
	s_waitcnt lgkmcnt(11)
	global_store_short v[0:1], v13, off offset:512
	s_or_b64 exec, exec, s[52:53]
	s_and_saveexec_b64 s[52:53], s[28:29]
	s_cbranch_execz .LBB80_206
.LBB80_274:                             ;   in Loop: Header=BB80_13 Depth=1
	s_waitcnt lgkmcnt(10)
	global_store_short v[0:1], v12, off offset:640
	s_or_b64 exec, exec, s[52:53]
	s_and_saveexec_b64 s[52:53], s[30:31]
	s_cbranch_execz .LBB80_207
.LBB80_275:                             ;   in Loop: Header=BB80_13 Depth=1
	s_waitcnt lgkmcnt(9)
	global_store_short v[0:1], v11, off offset:768
	s_or_b64 exec, exec, s[52:53]
	s_and_saveexec_b64 s[52:53], s[34:35]
	s_cbranch_execz .LBB80_208
.LBB80_276:                             ;   in Loop: Header=BB80_13 Depth=1
	s_waitcnt lgkmcnt(8)
	global_store_short v[0:1], v10, off offset:896
	s_or_b64 exec, exec, s[52:53]
	s_and_saveexec_b64 s[52:53], s[36:37]
	s_cbranch_execz .LBB80_209
.LBB80_277:                             ;   in Loop: Header=BB80_13 Depth=1
	s_waitcnt lgkmcnt(7)
	global_store_short v[0:1], v9, off offset:1024
	s_or_b64 exec, exec, s[52:53]
	s_and_saveexec_b64 s[52:53], s[38:39]
	s_cbranch_execz .LBB80_210
.LBB80_278:                             ;   in Loop: Header=BB80_13 Depth=1
	s_waitcnt lgkmcnt(6)
	global_store_short v[0:1], v8, off offset:1152
	s_or_b64 exec, exec, s[52:53]
	s_and_saveexec_b64 s[52:53], s[40:41]
	s_cbranch_execz .LBB80_211
.LBB80_279:                             ;   in Loop: Header=BB80_13 Depth=1
	s_waitcnt lgkmcnt(5)
	global_store_short v[0:1], v7, off offset:1280
	s_or_b64 exec, exec, s[52:53]
	s_and_saveexec_b64 s[52:53], s[42:43]
	s_cbranch_execz .LBB80_212
.LBB80_280:                             ;   in Loop: Header=BB80_13 Depth=1
	s_waitcnt lgkmcnt(4)
	global_store_short v[0:1], v6, off offset:1408
	s_or_b64 exec, exec, s[52:53]
	s_and_saveexec_b64 s[52:53], s[44:45]
	s_cbranch_execz .LBB80_213
.LBB80_281:                             ;   in Loop: Header=BB80_13 Depth=1
	s_waitcnt lgkmcnt(3)
	global_store_short v[0:1], v5, off offset:1536
	s_or_b64 exec, exec, s[52:53]
	s_and_saveexec_b64 s[52:53], s[46:47]
	s_cbranch_execz .LBB80_214
.LBB80_282:                             ;   in Loop: Header=BB80_13 Depth=1
	s_waitcnt lgkmcnt(2)
	global_store_short v[0:1], v4, off offset:1664
	s_or_b64 exec, exec, s[52:53]
	s_and_saveexec_b64 s[52:53], s[48:49]
	s_cbranch_execz .LBB80_215
.LBB80_283:                             ;   in Loop: Header=BB80_13 Depth=1
	s_waitcnt lgkmcnt(1)
	global_store_short v[0:1], v3, off offset:1792
	s_or_b64 exec, exec, s[52:53]
	s_and_saveexec_b64 s[52:53], s[50:51]
	s_cbranch_execnz .LBB80_216
	s_branch .LBB80_217
.LBB80_284:                             ;   in Loop: Header=BB80_13 Depth=1
	s_waitcnt lgkmcnt(13)
	global_store_short v[0:1], v15, off offset:256
	s_or_b64 exec, exec, s[18:19]
	s_and_saveexec_b64 s[18:19], s[24:25]
	s_cbranch_execz .LBB80_255
.LBB80_285:                             ;   in Loop: Header=BB80_13 Depth=1
	s_waitcnt lgkmcnt(12)
	global_store_short v[0:1], v14, off offset:384
	s_or_b64 exec, exec, s[18:19]
	s_and_saveexec_b64 s[18:19], s[26:27]
	s_cbranch_execz .LBB80_256
.LBB80_286:                             ;   in Loop: Header=BB80_13 Depth=1
	s_waitcnt lgkmcnt(11)
	global_store_short v[0:1], v13, off offset:512
	s_or_b64 exec, exec, s[18:19]
	s_and_saveexec_b64 s[18:19], s[28:29]
	s_cbranch_execz .LBB80_257
.LBB80_287:                             ;   in Loop: Header=BB80_13 Depth=1
	s_waitcnt lgkmcnt(10)
	global_store_short v[0:1], v12, off offset:640
	s_or_b64 exec, exec, s[18:19]
	s_and_saveexec_b64 s[18:19], s[30:31]
	s_cbranch_execz .LBB80_258
.LBB80_288:                             ;   in Loop: Header=BB80_13 Depth=1
	s_waitcnt lgkmcnt(9)
	global_store_short v[0:1], v11, off offset:768
	s_or_b64 exec, exec, s[18:19]
	s_and_saveexec_b64 s[18:19], s[34:35]
	s_cbranch_execz .LBB80_259
.LBB80_289:                             ;   in Loop: Header=BB80_13 Depth=1
	s_waitcnt lgkmcnt(8)
	global_store_short v[0:1], v10, off offset:896
	s_or_b64 exec, exec, s[18:19]
	s_and_saveexec_b64 s[18:19], s[36:37]
	s_cbranch_execz .LBB80_260
.LBB80_290:                             ;   in Loop: Header=BB80_13 Depth=1
	s_waitcnt lgkmcnt(7)
	global_store_short v[0:1], v9, off offset:1024
	s_or_b64 exec, exec, s[18:19]
	s_and_saveexec_b64 s[18:19], s[38:39]
	s_cbranch_execz .LBB80_261
.LBB80_291:                             ;   in Loop: Header=BB80_13 Depth=1
	s_waitcnt lgkmcnt(6)
	global_store_short v[0:1], v8, off offset:1152
	s_or_b64 exec, exec, s[18:19]
	s_and_saveexec_b64 s[18:19], s[40:41]
	s_cbranch_execz .LBB80_262
.LBB80_292:                             ;   in Loop: Header=BB80_13 Depth=1
	s_waitcnt lgkmcnt(5)
	global_store_short v[0:1], v7, off offset:1280
	s_or_b64 exec, exec, s[18:19]
	s_and_saveexec_b64 s[18:19], s[42:43]
	s_cbranch_execz .LBB80_263
.LBB80_293:                             ;   in Loop: Header=BB80_13 Depth=1
	s_waitcnt lgkmcnt(4)
	global_store_short v[0:1], v6, off offset:1408
	s_or_b64 exec, exec, s[18:19]
	s_and_saveexec_b64 s[18:19], s[44:45]
	s_cbranch_execz .LBB80_264
.LBB80_294:                             ;   in Loop: Header=BB80_13 Depth=1
	s_waitcnt lgkmcnt(3)
	global_store_short v[0:1], v5, off offset:1536
	s_or_b64 exec, exec, s[18:19]
	s_and_saveexec_b64 s[18:19], s[46:47]
	s_cbranch_execz .LBB80_265
.LBB80_295:                             ;   in Loop: Header=BB80_13 Depth=1
	s_waitcnt lgkmcnt(2)
	global_store_short v[0:1], v4, off offset:1664
	s_or_b64 exec, exec, s[18:19]
	s_and_saveexec_b64 s[18:19], s[48:49]
	s_cbranch_execz .LBB80_266
.LBB80_296:                             ;   in Loop: Header=BB80_13 Depth=1
	s_waitcnt lgkmcnt(1)
	global_store_short v[0:1], v3, off offset:1792
	s_or_b64 exec, exec, s[18:19]
	s_and_saveexec_b64 s[18:19], s[50:51]
	s_cbranch_execz .LBB80_12
.LBB80_297:                             ;   in Loop: Header=BB80_13 Depth=1
	s_waitcnt lgkmcnt(0)
	global_store_short v[0:1], v2, off offset:1920
	s_branch .LBB80_12
.LBB80_298:
	s_endpgm
	.section	.rodata,"a",@progbits
	.p2align	6, 0x0
	.amdhsa_kernel _Z25selective_scan_fwd_kernelI32Selective_Scan_fwd_kernel_traitsILi64ELi16ELi1ELb1ELb1ELb1ELb1ELb1EN3c104HalfEfS2_EEv13SSMParamsBase
		.amdhsa_group_segment_fixed_size 0
		.amdhsa_private_segment_fixed_size 332
		.amdhsa_kernarg_size 248
		.amdhsa_user_sgpr_count 2
		.amdhsa_user_sgpr_dispatch_ptr 0
		.amdhsa_user_sgpr_queue_ptr 0
		.amdhsa_user_sgpr_kernarg_segment_ptr 1
		.amdhsa_user_sgpr_dispatch_id 0
		.amdhsa_user_sgpr_kernarg_preload_length 0
		.amdhsa_user_sgpr_kernarg_preload_offset 0
		.amdhsa_user_sgpr_private_segment_size 0
		.amdhsa_uses_dynamic_stack 0
		.amdhsa_enable_private_segment 1
		.amdhsa_system_sgpr_workgroup_id_x 1
		.amdhsa_system_sgpr_workgroup_id_y 1
		.amdhsa_system_sgpr_workgroup_id_z 0
		.amdhsa_system_sgpr_workgroup_info 0
		.amdhsa_system_vgpr_workitem_id 0
		.amdhsa_next_free_vgpr 96
		.amdhsa_next_free_sgpr 100
		.amdhsa_accum_offset 96
		.amdhsa_reserve_vcc 1
		.amdhsa_float_round_mode_32 0
		.amdhsa_float_round_mode_16_64 0
		.amdhsa_float_denorm_mode_32 3
		.amdhsa_float_denorm_mode_16_64 3
		.amdhsa_dx10_clamp 1
		.amdhsa_ieee_mode 1
		.amdhsa_fp16_overflow 0
		.amdhsa_tg_split 0
		.amdhsa_exception_fp_ieee_invalid_op 0
		.amdhsa_exception_fp_denorm_src 0
		.amdhsa_exception_fp_ieee_div_zero 0
		.amdhsa_exception_fp_ieee_overflow 0
		.amdhsa_exception_fp_ieee_underflow 0
		.amdhsa_exception_fp_ieee_inexact 0
		.amdhsa_exception_int_div_zero 0
	.end_amdhsa_kernel
	.section	.text._Z25selective_scan_fwd_kernelI32Selective_Scan_fwd_kernel_traitsILi64ELi16ELi1ELb1ELb1ELb1ELb1ELb1EN3c104HalfEfS2_EEv13SSMParamsBase,"axG",@progbits,_Z25selective_scan_fwd_kernelI32Selective_Scan_fwd_kernel_traitsILi64ELi16ELi1ELb1ELb1ELb1ELb1ELb1EN3c104HalfEfS2_EEv13SSMParamsBase,comdat
.Lfunc_end80:
	.size	_Z25selective_scan_fwd_kernelI32Selective_Scan_fwd_kernel_traitsILi64ELi16ELi1ELb1ELb1ELb1ELb1ELb1EN3c104HalfEfS2_EEv13SSMParamsBase, .Lfunc_end80-_Z25selective_scan_fwd_kernelI32Selective_Scan_fwd_kernel_traitsILi64ELi16ELi1ELb1ELb1ELb1ELb1ELb1EN3c104HalfEfS2_EEv13SSMParamsBase
                                        ; -- End function
	.section	.AMDGPU.csdata,"",@progbits
; Kernel info:
; codeLenInByte = 27188
; NumSgprs: 106
; NumVgprs: 96
; NumAgprs: 0
; TotalNumVgprs: 96
; ScratchSize: 332
; MemoryBound: 0
; FloatMode: 240
; IeeeMode: 1
; LDSByteSize: 0 bytes/workgroup (compile time only)
; SGPRBlocks: 13
; VGPRBlocks: 11
; NumSGPRsForWavesPerEU: 106
; NumVGPRsForWavesPerEU: 96
; AccumOffset: 96
; Occupancy: 5
; WaveLimiterHint : 1
; COMPUTE_PGM_RSRC2:SCRATCH_EN: 1
; COMPUTE_PGM_RSRC2:USER_SGPR: 2
; COMPUTE_PGM_RSRC2:TRAP_HANDLER: 0
; COMPUTE_PGM_RSRC2:TGID_X_EN: 1
; COMPUTE_PGM_RSRC2:TGID_Y_EN: 1
; COMPUTE_PGM_RSRC2:TGID_Z_EN: 0
; COMPUTE_PGM_RSRC2:TIDIG_COMP_CNT: 0
; COMPUTE_PGM_RSRC3_GFX90A:ACCUM_OFFSET: 23
; COMPUTE_PGM_RSRC3_GFX90A:TG_SPLIT: 0
	.section	.text._Z25selective_scan_fwd_kernelI32Selective_Scan_fwd_kernel_traitsILi64ELi16ELi1ELb1ELb1ELb1ELb1ELb0EN3c104HalfEfS2_EEv13SSMParamsBase,"axG",@progbits,_Z25selective_scan_fwd_kernelI32Selective_Scan_fwd_kernel_traitsILi64ELi16ELi1ELb1ELb1ELb1ELb1ELb0EN3c104HalfEfS2_EEv13SSMParamsBase,comdat
	.protected	_Z25selective_scan_fwd_kernelI32Selective_Scan_fwd_kernel_traitsILi64ELi16ELi1ELb1ELb1ELb1ELb1ELb0EN3c104HalfEfS2_EEv13SSMParamsBase ; -- Begin function _Z25selective_scan_fwd_kernelI32Selective_Scan_fwd_kernel_traitsILi64ELi16ELi1ELb1ELb1ELb1ELb1ELb0EN3c104HalfEfS2_EEv13SSMParamsBase
	.globl	_Z25selective_scan_fwd_kernelI32Selective_Scan_fwd_kernel_traitsILi64ELi16ELi1ELb1ELb1ELb1ELb1ELb0EN3c104HalfEfS2_EEv13SSMParamsBase
	.p2align	8
	.type	_Z25selective_scan_fwd_kernelI32Selective_Scan_fwd_kernel_traitsILi64ELi16ELi1ELb1ELb1ELb1ELb1ELb0EN3c104HalfEfS2_EEv13SSMParamsBase,@function
_Z25selective_scan_fwd_kernelI32Selective_Scan_fwd_kernel_traitsILi64ELi16ELi1ELb1ELb1ELb1ELb1ELb0EN3c104HalfEfS2_EEv13SSMParamsBase: ; @_Z25selective_scan_fwd_kernelI32Selective_Scan_fwd_kernel_traitsILi64ELi16ELi1ELb1ELb1ELb1ELb1ELb0EN3c104HalfEfS2_EEv13SSMParamsBase
; %bb.0:
	s_load_dword s37, s[0:1], 0x18
	s_load_dwordx4 s[4:7], s[0:1], 0xe8
	s_mov_b32 s28, s3
	s_waitcnt lgkmcnt(0)
	s_abs_i32 s36, s37
	v_cvt_f32_u32_e32 v1, s36
	s_cmp_eq_u64 s[6:7], 0
	v_rcp_iflag_f32_e32 v1, v1
	s_nop 0
	v_mul_f32_e32 v1, 0x4f7ffffe, v1
	v_cvt_u32_f32_e32 v1, v1
	s_nop 0
	v_readfirstlane_b32 s24, v1
	s_cbranch_scc1 .LBB81_3
; %bb.1:
	s_ashr_i32 s3, s2, 31
	s_add_u32 s6, s6, s2
	s_addc_u32 s7, s7, s3
	v_mov_b32_e32 v1, 0
	global_load_ubyte v1, v1, s[6:7]
	s_waitcnt vmcnt(0)
	v_and_b32_e32 v1, 1, v1
	v_cmp_eq_u32_e64 s[58:59], 1, v1
	s_load_dwordx2 s[6:7], s[0:1], 0x20
	s_cmp_eq_u64 s[4:5], 0
	s_cbranch_scc1 .LBB81_4
.LBB81_2:
	s_ashr_i32 s3, s2, 31
	s_lshl_b64 s[8:9], s[2:3], 2
	s_add_u32 s4, s4, s8
	s_addc_u32 s5, s5, s9
	s_load_dword s34, s[4:5], 0x0
	s_waitcnt lgkmcnt(0)
	s_ashr_i32 s35, s34, 31
	s_cmp_eq_u64 s[6:7], s[34:35]
	s_cbranch_scc0 .LBB81_5
	s_branch .LBB81_85
.LBB81_3:
	s_mov_b64 s[58:59], 0
	s_load_dwordx2 s[6:7], s[0:1], 0x20
	s_cmp_eq_u64 s[4:5], 0
	s_cbranch_scc0 .LBB81_2
.LBB81_4:
	s_mov_b32 s34, s2
	s_ashr_i32 s35, s34, 31
	s_waitcnt lgkmcnt(0)
	s_cmp_eq_u64 s[6:7], s[34:35]
	s_cbranch_scc1 .LBB81_85
.LBB81_5:
	s_load_dwordx16 s[4:19], s[0:1], 0x88
	s_load_dwordx2 s[38:39], s[0:1], 0x8
	s_mov_b32 s33, 0
	s_mov_b32 s98, 0
	s_waitcnt lgkmcnt(0)
	s_cmp_eq_u64 s[10:11], 0
	s_cbranch_scc1 .LBB81_7
; %bb.6:
	s_ashr_i32 s29, s28, 31
	s_lshl_b64 s[20:21], s[28:29], 2
	s_add_u32 s10, s10, s20
	s_addc_u32 s11, s11, s21
	s_load_dword s98, s[10:11], 0x0
.LBB81_7:
	s_cmp_eq_u64 s[16:17], 0
	s_cbranch_scc1 .LBB81_9
; %bb.8:
	s_ashr_i32 s29, s28, 31
	s_lshl_b64 s[10:11], s[28:29], 2
	s_add_u32 s10, s16, s10
	s_addc_u32 s11, s17, s11
	s_load_dword s33, s[10:11], 0x0
.LBB81_9:
	s_cmp_lt_i32 s38, 1
	s_cbranch_scc1 .LBB81_85
; %bb.10:
	s_sub_i32 s3, 0, s36
	s_mul_i32 s3, s3, s24
	s_mul_hi_u32 s3, s24, s3
	s_abs_i32 s16, s28
	s_add_i32 s3, s24, s3
	s_load_dwordx8 s[60:67], s[0:1], 0x2c
	s_load_dwordx2 s[10:11], s[0:1], 0x7c
	s_load_dwordx4 s[20:23], s[0:1], 0x6c
	s_load_dwordx8 s[68:75], s[0:1], 0x4c
	s_load_dwordx2 s[30:31], s[0:1], 0xd8
	s_load_dwordx4 s[24:27], s[0:1], 0xc8
	s_load_dword s99, s[0:1], 0x84
	s_mul_hi_u32 s3, s16, s3
	s_load_dword s17, s[0:1], 0x28
	s_ashr_i32 s0, s28, 31
	s_ashr_i32 s1, s37, 31
	s_xor_b32 s0, s0, s1
	s_mul_i32 s1, s3, s36
	s_sub_i32 s1, s16, s1
	s_add_i32 s16, s3, 1
	s_sub_i32 s29, s1, s36
	s_cmp_ge_u32 s1, s36
	s_cselect_b32 s3, s16, s3
	s_cselect_b32 s1, s29, s1
	s_add_i32 s16, s3, 1
	s_cmp_ge_u32 s1, s36
	s_cselect_b32 s1, s16, s3
	s_xor_b32 s1, s1, s0
	s_waitcnt lgkmcnt(0)
	s_mul_i32 s78, s70, s2
	s_mov_b32 s79, 0
	s_sub_i32 s3, s1, s0
	s_lshl_b64 s[0:1], s[78:79], 1
	s_add_u32 s12, s12, s0
	s_mul_i32 s78, s71, s28
	s_addc_u32 s13, s13, s1
	s_lshl_b64 s[0:1], s[78:79], 1
	s_add_u32 s70, s12, s0
	s_mul_i32 s78, s72, s2
	s_addc_u32 s71, s13, s1
	;; [unrolled: 4-line block ×10, first 2 shown]
	s_lshl_b64 s[0:1], s[78:79], 1
	s_add_u32 s65, s3, s0
	s_addc_u32 s69, s4, s1
	s_add_i32 s0, s38, 0x7ff
	s_lshr_b32 s1, s0, 11
	s_bitcmp1_b32 s17, 0
	s_cselect_b64 s[80:81], -1, 0
	s_cmp_gt_i32 s39, 0
	s_cselect_b64 s[4:5], -1, 0
                                        ; implicit-def: $vgpr95 : SGPR spill to VGPR lane
	s_mul_i32 s78, s20, s2
	v_writelane_b32 v95, s4, 0
	v_mbcnt_lo_u32_b32 v1, -1, 0
	v_mbcnt_hi_u32_b32 v2, -1, v1
	v_writelane_b32 v95, s5, 1
	s_add_i32 s4, 0, 0x840
	v_writelane_b32 v95, s38, 2
	s_and_b32 s0, s38, 0x3ff
	s_cmp_eq_u32 s0, 0
	v_writelane_b32 v95, s39, 3
	s_cselect_b64 s[84:85], -1, 0
	v_writelane_b32 v95, s1, 4
	s_add_i32 s0, s1, -1
	v_writelane_b32 v95, s0, 5
	s_lshl_b64 s[0:1], s[78:79], 1
	s_movk_i32 s3, 0x80
	s_add_u32 s16, s18, s0
	s_addc_u32 s17, s19, s1
	v_cmp_gt_u32_e64 s[0:1], s3, v2
	v_add_u32_e32 v1, 64, v2
	v_lshrrev_b32_e32 v3, 5, v2
	v_writelane_b32 v95, s0, 6
	v_add_u32_e32 v3, v3, v2
	v_lshl_add_u32 v3, v3, 4, 0
	v_writelane_b32 v95, s1, 7
	v_cmp_gt_u32_e64 s[0:1], s3, v1
	v_lshrrev_b32_e32 v1, 5, v1
	v_add_lshl_u32 v1, v1, v2, 4
	scratch_store_dword off, v3, off        ; 4-byte Folded Spill
	v_add_u32_e32 v3, 0, v1
	scratch_store_dword off, v3, off offset:4 ; 4-byte Folded Spill
	v_lshlrev_b32_e32 v3, 1, v2
	v_bfe_u32 v4, v2, 4, 27
	v_add_lshl_u32 v3, v4, v3, 4
	v_add_u32_e32 v1, s4, v1
	scratch_store_dword off, v1, off offset:44 ; 4-byte Folded Spill
	v_add_u32_e32 v1, s4, v3
	scratch_store_dword off, v1, off offset:48 ; 4-byte Folded Spill
	v_and_b32_e32 v1, 15, v2
	v_cmp_ne_u32_e64 s[4:5], 0, v1
	v_cmp_lt_u32_e64 s[6:7], 1, v1
	v_cmp_lt_u32_e64 s[8:9], 3, v1
	;; [unrolled: 1-line block ×3, first 2 shown]
	v_and_b32_e32 v1, 16, v2
	v_add_u32_e32 v4, 0, v3
	v_cmp_ne_u32_e64 s[12:13], 0, v1
	v_add_u32_e32 v1, -1, v2
	v_and_b32_e32 v3, 64, v2
	v_cmp_lt_i32_e32 vcc, v1, v3
	scratch_store_dword off, v4, off offset:8 ; 4-byte Folded Spill
	v_lshlrev_b32_e32 v4, 4, v0
	v_cndmask_b32_e32 v1, v1, v2, vcc
	v_lshlrev_b32_e32 v1, 2, v1
	scratch_store_dword off, v1, off offset:52 ; 4-byte Folded Spill
	v_or_b32_e32 v1, 1, v4
	v_writelane_b32 v95, s0, 8
	s_mul_i32 s78, s21, s28
	scratch_store_dword off, v1, off offset:188 ; 4-byte Folded Spill
	v_or_b32_e32 v1, 2, v4
	v_writelane_b32 v95, s1, 9
	s_lshl_b64 s[0:1], s[78:79], 1
	scratch_store_dword off, v1, off offset:192 ; 4-byte Folded Spill
	v_or_b32_e32 v1, 3, v4
	s_add_u32 s0, s16, s0
	s_mul_i32 s78, s74, s2
	scratch_store_dword off, v1, off offset:196 ; 4-byte Folded Spill
	v_or_b32_e32 v1, 4, v4
	s_addc_u32 s1, s17, s1
	s_lshl_b64 s[16:17], s[78:79], 1
	scratch_store_dword off, v1, off offset:200 ; 4-byte Folded Spill
	v_or_b32_e32 v1, 5, v4
	v_mov_b32_e32 v43, 0
	s_add_u32 s3, s26, s16
	v_lshlrev_b32_e32 v42, 4, v2
	s_mul_i32 s78, s75, s28
	scratch_store_dword off, v1, off offset:204 ; 4-byte Folded Spill
	v_or_b32_e32 v1, 6, v4
	s_addc_u32 s20, s27, s17
	v_lshl_add_u64 v[6:7], s[0:1], 0, v[42:43]
	s_lshl_b64 s[0:1], s[78:79], 1
	scratch_store_dword off, v1, off offset:208 ; 4-byte Folded Spill
	v_or_b32_e32 v1, 7, v4
	s_add_u32 s0, s3, s0
	s_mul_i32 s78, s22, s2
	scratch_store_dword off, v1, off offset:212 ; 4-byte Folded Spill
	v_or_b32_e32 v1, 8, v4
	s_addc_u32 s1, s20, s1
	s_lshl_b64 s[2:3], s[78:79], 1
	scratch_store_dword off, v1, off offset:216 ; 4-byte Folded Spill
	v_or_b32_e32 v1, 9, v4
	s_add_u32 s20, s30, s2
	s_mul_i32 s78, s23, s28
	scratch_store_dword off, v1, off offset:220 ; 4-byte Folded Spill
	v_or_b32_e32 v1, 10, v4
	s_addc_u32 s21, s31, s3
	s_lshl_b64 s[2:3], s[78:79], 1
	scratch_store_dword off, v1, off offset:224 ; 4-byte Folded Spill
	v_or_b32_e32 v1, 11, v4
	s_add_u32 s2, s20, s2
	scratch_store_dword off, v1, off offset:228 ; 4-byte Folded Spill
	v_or_b32_e32 v1, 12, v4
	scratch_store_dwordx2 off, v[6:7], off offset:160 ; 8-byte Folded Spill
	s_addc_u32 s3, s21, s3
	v_lshl_add_u64 v[6:7], s[0:1], 0, v[42:43]
	scratch_store_dword off, v1, off offset:232 ; 4-byte Folded Spill
	v_or_b32_e32 v1, 13, v4
	scratch_store_dwordx2 off, v[6:7], off offset:168 ; 8-byte Folded Spill
	v_lshl_add_u64 v[6:7], s[2:3], 0, v[42:43]
	scratch_store_dword off, v1, off offset:236 ; 4-byte Folded Spill
	v_or_b32_e32 v1, 14, v4
	s_add_i32 s0, 0, 0x1088
	v_cmp_lt_u32_e64 s[14:15], 31, v2
	v_cmp_eq_u32_e64 s[16:17], 63, v0
	v_cmp_gt_u32_e64 s[18:19], 64, v0
	scratch_store_dwordx2 off, v[6:7], off offset:176 ; 8-byte Folded Spill
	scratch_store_dword off, v1, off offset:240 ; 4-byte Folded Spill
	scratch_store_dword off, v4, off offset:184 ; 4-byte Folded Spill
	v_or_b32_e32 v1, 15, v4
	s_mov_b32 s26, 0x3fb8aa3b
	s_mov_b32 s27, 0xc2ce8ed0
	;; [unrolled: 1-line block ×5, first 2 shown]
	v_mov_b32_e32 v30, 0x3ecc95a3
	s_mov_b32 s31, 0x3f317218
	s_mov_b32 s34, 0x33800000
	v_writelane_b32 v95, s0, 10
	s_mov_b32 s77, 0xc2fc0000
	s_mov_b32 s0, 0xbfb8aa3b
	;; [unrolled: 1-line block ×5, first 2 shown]
	v_lshlrev_b32_e32 v42, 4, v2
	v_mov_b32_e32 v31, 0x7f800000
	v_mov_b32_e32 v32, 0x3f317218
	;; [unrolled: 1-line block ×4, first 2 shown]
	s_mov_b32 s83, 0
                                        ; implicit-def: $vgpr2_vgpr3
	v_cmp_eq_u32_e64 s[20:21], 0, v0
	scratch_store_dword off, v1, off offset:244 ; 4-byte Folded Spill
                                        ; implicit-def: $vgpr1
	scratch_store_dwordx4 off, v[2:5], off offset:120 ; 16-byte Folded Spill
                                        ; implicit-def: $vgpr2_vgpr3
	scratch_store_dwordx4 off, v[2:5], off offset:104 ; 16-byte Folded Spill
                                        ; implicit-def: $vgpr2_vgpr3
	scratch_store_dwordx4 off, v[2:5], off offset:56 ; 16-byte Folded Spill
                                        ; implicit-def: $vgpr38_vgpr39
                                        ; implicit-def: $vgpr2_vgpr3
	scratch_store_dwordx4 off, v[2:5], off offset:88 ; 16-byte Folded Spill
                                        ; implicit-def: $vgpr2_vgpr3
	scratch_store_dwordx4 off, v[2:5], off offset:72 ; 16-byte Folded Spill
	s_branch .LBB81_12
.LBB81_11:                              ;   in Loop: Header=BB81_12 Depth=1
	s_or_b64 exec, exec, s[22:23]
	scratch_load_dword v27, off, off        ; 4-byte Folded Reload
	scratch_load_dword v28, off, off offset:4 ; 4-byte Folded Reload
	v_mov_b32_e32 v24, 0x7f800000
	s_add_u32 s72, s72, 0x800
	s_addc_u32 s73, s73, 0
	s_add_u32 s70, s70, 0x800
	s_addc_u32 s71, s71, 0
	;; [unrolled: 2-line block ×4, first 2 shown]
	s_add_i32 s83, s83, 1
	v_mov_b32_e32 v31, 0x7f800000
	s_waitcnt vmcnt(1)
	ds_write2_b64 v27, v[6:7], v[8:9] offset1:1
	s_waitcnt vmcnt(0)
	ds_write_b128 v28, v[2:5] offset:1024
	; wave barrier
	scratch_load_dword v29, off, off offset:8 ; 4-byte Folded Reload
	s_waitcnt vmcnt(0)
	ds_read_b128 v[16:19], v29
	ds_read_b128 v[34:37], v29 offset:16
	s_waitcnt lgkmcnt(1)
	v_cvt_f32_f16_e32 v6, v16
	v_cvt_f32_f16_sdwa v7, v16 dst_sel:DWORD dst_unused:UNUSED_PAD src0_sel:WORD_1
	v_cvt_f32_f16_e32 v9, v17
	v_cvt_f32_f16_sdwa v8, v17 dst_sel:DWORD dst_unused:UNUSED_PAD src0_sel:WORD_1
	v_mul_f32_e32 v2, 0xbfb8aa3b, v6
	v_rndne_f32_e32 v3, v2
	v_fma_mix_f32 v4, v16, s0, -v2 op_sel_hi:[1,0,0]
	v_sub_f32_e32 v2, v2, v3
	v_fma_mix_f32 v4, v16, s1, v4 op_sel_hi:[1,0,0]
	v_cvt_i32_f32_e32 v3, v3
	v_add_f32_e32 v2, v2, v4
	v_exp_f32_e32 v2, v2
	v_cmp_nlt_f32_e32 vcc, s56, v6
	scratch_store_dwordx4 off, v[16:19], off offset:120 ; 16-byte Folded Spill
	s_waitcnt lgkmcnt(0)
	scratch_store_dwordx4 off, v[34:37], off offset:104 ; 16-byte Folded Spill
	v_ldexp_f32 v2, v2, v3
	v_mul_f32_e32 v3, 0xbfb8aa3b, v7
	v_rndne_f32_e32 v4, v3
	v_sub_f32_e32 v5, v3, v4
	v_fma_mix_f32 v3, v16, s0, -v3 op_sel:[1,0,0] op_sel_hi:[1,0,0]
	v_cvt_i32_f32_e32 v4, v4
	v_fma_mix_f32 v3, v16, s1, v3 op_sel:[1,0,0] op_sel_hi:[1,0,0]
	v_cndmask_b32_e32 v2, 0, v2, vcc
	v_add_f32_e32 v3, v5, v3
	v_exp_f32_e32 v3, v3
	v_cmp_ngt_f32_e32 vcc, s57, v6
	s_waitcnt lgkmcnt(0)
	; wave barrier
	v_ldexp_f32 v3, v3, v4
	v_mul_f32_e32 v4, 0xbfb8aa3b, v9
	v_rndne_f32_e32 v5, v4
	v_sub_f32_e32 v10, v4, v5
	v_fma_mix_f32 v4, v17, s0, -v4 op_sel_hi:[1,0,0]
	v_cvt_i32_f32_e32 v5, v5
	v_fma_mix_f32 v4, v17, s1, v4 op_sel_hi:[1,0,0]
	v_cndmask_b32_e32 v2, v24, v2, vcc
	v_add_f32_e32 v4, v10, v4
	v_exp_f32_e32 v4, v4
	v_cmp_nlt_f32_e32 vcc, s56, v7
	v_ldexp_f32 v4, v4, v5
	v_mul_f32_e32 v5, 0xbfb8aa3b, v8
	v_rndne_f32_e32 v10, v5
	v_sub_f32_e32 v11, v5, v10
	v_fma_mix_f32 v5, v17, s0, -v5 op_sel:[1,0,0] op_sel_hi:[1,0,0]
	v_cvt_i32_f32_e32 v10, v10
	v_fma_mix_f32 v5, v17, s1, v5 op_sel:[1,0,0] op_sel_hi:[1,0,0]
	v_cndmask_b32_e32 v3, 0, v3, vcc
	v_add_f32_e32 v5, v11, v5
	v_exp_f32_e32 v5, v5
	v_cmp_ngt_f32_e32 vcc, s57, v7
	v_ldexp_f32 v5, v5, v10
	s_nop 0
	v_cndmask_b32_e32 v3, v24, v3, vcc
	v_pk_add_f32 v[2:3], v[2:3], 1.0 op_sel_hi:[1,0]
	v_cmp_nlt_f32_e32 vcc, s56, v9
	v_div_scale_f32 v10, s[22:23], v3, v3, v7
	v_rcp_f32_e32 v11, v10
	v_cndmask_b32_e32 v4, 0, v4, vcc
	v_cmp_ngt_f32_e32 vcc, s57, v9
	v_fma_f32 v12, -v10, v11, 1.0
	s_nop 0
	v_cndmask_b32_e32 v4, v24, v4, vcc
	v_cmp_nlt_f32_e32 vcc, s56, v8
	v_fmac_f32_e32 v11, v12, v11
	s_nop 0
	v_cndmask_b32_e32 v5, 0, v5, vcc
	v_cmp_ngt_f32_e32 vcc, s57, v8
	s_nop 1
	v_cndmask_b32_e32 v5, v24, v5, vcc
	v_div_scale_f32 v12, vcc, v7, v3, v7
	v_mul_f32_e32 v13, v12, v11
	v_fma_f32 v14, -v10, v13, v12
	v_fmac_f32_e32 v13, v14, v11
	v_fma_f32 v10, -v10, v13, v12
	v_div_scale_f32 v12, s[22:23], v2, v2, v6
	v_rcp_f32_e32 v14, v12
	v_div_fmas_f32 v10, v10, v11, v13
	v_div_fixup_f32 v3, v10, v3, v7
	v_pk_add_f32 v[4:5], v[4:5], 1.0 op_sel_hi:[1,0]
	v_fma_f32 v7, -v12, v14, 1.0
	v_fmac_f32_e32 v14, v7, v14
	v_div_scale_f32 v7, vcc, v6, v2, v6
	v_mul_f32_e32 v10, v7, v14
	v_fma_f32 v11, -v12, v10, v7
	v_fmac_f32_e32 v10, v11, v14
	v_div_scale_f32 v11, s[22:23], v5, v5, v8
	v_fma_f32 v7, -v12, v10, v7
	v_rcp_f32_e32 v12, v11
	v_div_fmas_f32 v7, v7, v14, v10
	v_div_fixup_f32 v2, v7, v2, v6
	v_pk_mul_f32 v[2:3], v[62:63], v[2:3]
	v_fma_f32 v6, -v11, v12, 1.0
	v_fmac_f32_e32 v12, v6, v12
	v_div_scale_f32 v6, vcc, v8, v5, v8
	v_mul_f32_e32 v7, v6, v12
	v_fma_f32 v10, -v11, v7, v6
	v_fmac_f32_e32 v7, v10, v12
	v_div_scale_f32 v10, s[22:23], v4, v4, v9
	v_fma_f32 v6, -v11, v7, v6
	v_rcp_f32_e32 v11, v10
	v_div_fmas_f32 v6, v6, v12, v7
	v_div_fixup_f32 v5, v6, v5, v8
	v_cvt_f32_f16_e32 v13, v19
	v_fma_f32 v6, -v10, v11, 1.0
	v_fmac_f32_e32 v11, v6, v11
	v_div_scale_f32 v6, vcc, v9, v4, v9
	v_mul_f32_e32 v7, v6, v11
	v_fma_f32 v8, -v10, v7, v6
	v_fmac_f32_e32 v7, v8, v11
	v_fma_f32 v6, -v10, v7, v6
	v_cvt_f32_f16_e32 v10, v18
	v_div_fmas_f32 v6, v6, v11, v7
	v_div_fixup_f32 v4, v6, v4, v9
	v_cvt_f16_f32_e32 v7, v2
	v_mul_f32_e32 v2, 0xbfb8aa3b, v10
	v_pk_mul_f32 v[4:5], v[64:65], v[4:5]
	v_cvt_f16_f32_e32 v6, v3
	v_rndne_f32_e32 v3, v2
	v_cvt_f16_f32_e32 v9, v4
	v_sub_f32_e32 v4, v2, v3
	v_fma_mix_f32 v2, v18, s0, -v2 op_sel_hi:[1,0,0]
	v_cvt_i32_f32_e32 v3, v3
	v_fma_mix_f32 v2, v18, s1, v2 op_sel_hi:[1,0,0]
	v_cvt_f32_f16_sdwa v11, v18 dst_sel:DWORD dst_unused:UNUSED_PAD src0_sel:WORD_1
	v_add_f32_e32 v2, v4, v2
	v_exp_f32_e32 v2, v2
	v_cvt_f16_f32_e32 v8, v5
	v_cvt_f32_f16_sdwa v12, v19 dst_sel:DWORD dst_unused:UNUSED_PAD src0_sel:WORD_1
	v_cmp_nlt_f32_e32 vcc, s56, v10
	v_ldexp_f32 v2, v2, v3
	v_mul_f32_e32 v3, 0xbfb8aa3b, v11
	v_rndne_f32_e32 v4, v3
	v_sub_f32_e32 v5, v3, v4
	v_fma_mix_f32 v3, v18, s0, -v3 op_sel:[1,0,0] op_sel_hi:[1,0,0]
	v_cvt_i32_f32_e32 v4, v4
	v_fma_mix_f32 v3, v18, s1, v3 op_sel:[1,0,0] op_sel_hi:[1,0,0]
	v_cndmask_b32_e32 v2, 0, v2, vcc
	v_add_f32_e32 v3, v5, v3
	v_exp_f32_e32 v3, v3
	v_cmp_ngt_f32_e32 vcc, s57, v10
	v_ldexp_f32 v3, v3, v4
	v_mul_f32_e32 v4, 0xbfb8aa3b, v13
	v_rndne_f32_e32 v5, v4
	v_sub_f32_e32 v14, v4, v5
	v_fma_mix_f32 v4, v19, s0, -v4 op_sel_hi:[1,0,0]
	v_cvt_i32_f32_e32 v5, v5
	v_fma_mix_f32 v4, v19, s1, v4 op_sel_hi:[1,0,0]
	v_cndmask_b32_e32 v2, v24, v2, vcc
	v_add_f32_e32 v4, v14, v4
	v_exp_f32_e32 v4, v4
	v_cmp_nlt_f32_e32 vcc, s56, v11
	v_ldexp_f32 v4, v4, v5
	v_mul_f32_e32 v5, 0xbfb8aa3b, v12
	v_rndne_f32_e32 v14, v5
	v_sub_f32_e32 v15, v5, v14
	v_fma_mix_f32 v5, v19, s0, -v5 op_sel:[1,0,0] op_sel_hi:[1,0,0]
	v_cvt_i32_f32_e32 v14, v14
	v_fma_mix_f32 v5, v19, s1, v5 op_sel:[1,0,0] op_sel_hi:[1,0,0]
	v_cndmask_b32_e32 v3, 0, v3, vcc
	v_add_f32_e32 v5, v15, v5
	v_exp_f32_e32 v5, v5
	v_cmp_ngt_f32_e32 vcc, s57, v11
	v_ldexp_f32 v5, v5, v14
	s_nop 0
	v_cndmask_b32_e32 v3, v24, v3, vcc
	v_pk_add_f32 v[2:3], v[2:3], 1.0 op_sel_hi:[1,0]
	v_cmp_nlt_f32_e32 vcc, s56, v13
	v_div_scale_f32 v14, s[22:23], v3, v3, v11
	v_rcp_f32_e32 v15, v14
	v_cndmask_b32_e32 v4, 0, v4, vcc
	v_cmp_ngt_f32_e32 vcc, s57, v13
	v_fma_f32 v16, -v14, v15, 1.0
	s_nop 0
	v_cndmask_b32_e32 v4, v24, v4, vcc
	v_cmp_nlt_f32_e32 vcc, s56, v12
	v_fmac_f32_e32 v15, v16, v15
	s_nop 0
	v_cndmask_b32_e32 v5, 0, v5, vcc
	v_cmp_ngt_f32_e32 vcc, s57, v12
	s_nop 1
	v_cndmask_b32_e32 v5, v24, v5, vcc
	v_div_scale_f32 v16, vcc, v11, v3, v11
	v_mul_f32_e32 v17, v16, v15
	v_fma_f32 v18, -v14, v17, v16
	v_fmac_f32_e32 v17, v18, v15
	v_fma_f32 v14, -v14, v17, v16
	v_div_scale_f32 v16, s[22:23], v2, v2, v10
	v_rcp_f32_e32 v18, v16
	v_div_fmas_f32 v14, v14, v15, v17
	v_div_fixup_f32 v3, v14, v3, v11
	v_pk_add_f32 v[4:5], v[4:5], 1.0 op_sel_hi:[1,0]
	v_fma_f32 v11, -v16, v18, 1.0
	v_fmac_f32_e32 v18, v11, v18
	v_div_scale_f32 v11, vcc, v10, v2, v10
	v_mul_f32_e32 v14, v11, v18
	v_fma_f32 v15, -v16, v14, v11
	v_fmac_f32_e32 v14, v15, v18
	v_div_scale_f32 v15, s[22:23], v5, v5, v12
	v_fma_f32 v11, -v16, v14, v11
	v_rcp_f32_e32 v16, v15
	v_div_fmas_f32 v11, v11, v18, v14
	v_div_fixup_f32 v2, v11, v2, v10
	v_cvt_f32_f16_e32 v17, v35
	v_fma_f32 v10, -v15, v16, 1.0
	v_fmac_f32_e32 v16, v10, v16
	v_div_scale_f32 v10, vcc, v12, v5, v12
	v_mul_f32_e32 v11, v10, v16
	v_fma_f32 v14, -v15, v11, v10
	v_fmac_f32_e32 v11, v14, v16
	v_div_scale_f32 v14, s[22:23], v4, v4, v13
	v_fma_f32 v10, -v15, v11, v10
	v_rcp_f32_e32 v15, v14
	v_div_fmas_f32 v10, v10, v16, v11
	v_div_fixup_f32 v5, v10, v5, v12
	v_cvt_f32_f16_sdwa v16, v35 dst_sel:DWORD dst_unused:UNUSED_PAD src0_sel:WORD_1
	v_fma_f32 v10, -v14, v15, 1.0
	v_fmac_f32_e32 v15, v10, v15
	v_div_scale_f32 v10, vcc, v13, v4, v13
	v_mul_f32_e32 v11, v10, v15
	v_fma_f32 v12, -v14, v11, v10
	v_fmac_f32_e32 v11, v12, v15
	v_fma_f32 v10, -v14, v11, v10
	v_cvt_f32_f16_e32 v14, v34
	v_div_fmas_f32 v10, v10, v15, v11
	v_div_fixup_f32 v4, v10, v4, v13
	v_pk_mul_f32 v[10:11], v[60:61], v[4:5]
	v_pk_mul_f32 v[4:5], v[58:59], v[2:3]
	v_cvt_f32_f16_sdwa v15, v34 dst_sel:DWORD dst_unused:UNUSED_PAD src0_sel:WORD_1
	v_cvt_f16_f32_e32 v2, v5
	v_cvt_f16_f32_e32 v5, v10
	v_mul_f32_e32 v10, 0xbfb8aa3b, v14
	v_cvt_f16_f32_e32 v3, v4
	v_cvt_f16_f32_e32 v4, v11
	v_rndne_f32_e32 v11, v10
	v_sub_f32_e32 v12, v10, v11
	v_fma_mix_f32 v10, v34, s0, -v10 op_sel_hi:[1,0,0]
	v_cvt_i32_f32_e32 v11, v11
	v_fma_mix_f32 v10, v34, s1, v10 op_sel_hi:[1,0,0]
	v_cmp_nlt_f32_e32 vcc, s56, v14
	v_add_f32_e32 v10, v12, v10
	v_exp_f32_e32 v10, v10
	v_pack_b32_f16 v5, v5, v4
	v_pack_b32_f16 v4, v3, v2
	;; [unrolled: 1-line block ×3, first 2 shown]
	v_ldexp_f32 v10, v10, v11
	v_mul_f32_e32 v11, 0xbfb8aa3b, v15
	v_rndne_f32_e32 v12, v11
	v_sub_f32_e32 v13, v11, v12
	v_fma_mix_f32 v11, v34, s0, -v11 op_sel:[1,0,0] op_sel_hi:[1,0,0]
	v_cvt_i32_f32_e32 v12, v12
	v_fma_mix_f32 v11, v34, s1, v11 op_sel:[1,0,0] op_sel_hi:[1,0,0]
	v_cndmask_b32_e32 v10, 0, v10, vcc
	v_add_f32_e32 v11, v13, v11
	v_exp_f32_e32 v11, v11
	v_cmp_ngt_f32_e32 vcc, s57, v14
	v_pack_b32_f16 v2, v7, v6
	ds_write_b128 v29, v[2:5]
	v_ldexp_f32 v11, v11, v12
	v_mul_f32_e32 v12, 0xbfb8aa3b, v17
	v_rndne_f32_e32 v13, v12
	v_sub_f32_e32 v18, v12, v13
	v_fma_mix_f32 v12, v35, s0, -v12 op_sel_hi:[1,0,0]
	v_cvt_i32_f32_e32 v13, v13
	v_fma_mix_f32 v12, v35, s1, v12 op_sel_hi:[1,0,0]
	v_cndmask_b32_e32 v10, v24, v10, vcc
	v_add_f32_e32 v12, v18, v12
	v_exp_f32_e32 v12, v12
	v_cmp_nlt_f32_e32 vcc, s56, v15
	v_ldexp_f32 v12, v12, v13
	v_mul_f32_e32 v13, 0xbfb8aa3b, v16
	v_rndne_f32_e32 v18, v13
	v_sub_f32_e32 v19, v13, v18
	v_fma_mix_f32 v13, v35, s0, -v13 op_sel:[1,0,0] op_sel_hi:[1,0,0]
	v_cvt_i32_f32_e32 v18, v18
	v_fma_mix_f32 v13, v35, s1, v13 op_sel:[1,0,0] op_sel_hi:[1,0,0]
	v_cndmask_b32_e32 v11, 0, v11, vcc
	v_add_f32_e32 v13, v19, v13
	v_exp_f32_e32 v13, v13
	v_cmp_ngt_f32_e32 vcc, s57, v15
	v_ldexp_f32 v13, v13, v18
	s_nop 0
	v_cndmask_b32_e32 v11, v24, v11, vcc
	v_pk_add_f32 v[10:11], v[10:11], 1.0 op_sel_hi:[1,0]
	v_cmp_nlt_f32_e32 vcc, s56, v17
	v_div_scale_f32 v18, s[22:23], v11, v11, v15
	v_rcp_f32_e32 v19, v18
	v_cndmask_b32_e32 v12, 0, v12, vcc
	v_cmp_ngt_f32_e32 vcc, s57, v17
	v_fma_f32 v20, -v18, v19, 1.0
	s_nop 0
	v_cndmask_b32_e32 v12, v24, v12, vcc
	v_cmp_nlt_f32_e32 vcc, s56, v16
	v_fmac_f32_e32 v19, v20, v19
	s_nop 0
	v_cndmask_b32_e32 v13, 0, v13, vcc
	v_cmp_ngt_f32_e32 vcc, s57, v16
	s_nop 1
	v_cndmask_b32_e32 v13, v24, v13, vcc
	v_div_scale_f32 v20, vcc, v15, v11, v15
	v_mul_f32_e32 v21, v20, v19
	v_fma_f32 v22, -v18, v21, v20
	v_fmac_f32_e32 v21, v22, v19
	v_fma_f32 v18, -v18, v21, v20
	v_div_scale_f32 v20, s[22:23], v10, v10, v14
	v_rcp_f32_e32 v22, v20
	v_div_fmas_f32 v18, v18, v19, v21
	v_div_fixup_f32 v11, v18, v11, v15
	v_pk_add_f32 v[12:13], v[12:13], 1.0 op_sel_hi:[1,0]
	v_fma_f32 v15, -v20, v22, 1.0
	v_fmac_f32_e32 v22, v15, v22
	v_div_scale_f32 v15, vcc, v14, v10, v14
	v_mul_f32_e32 v18, v15, v22
	v_fma_f32 v19, -v20, v18, v15
	v_fmac_f32_e32 v18, v19, v22
	v_div_scale_f32 v19, s[22:23], v13, v13, v16
	v_fma_f32 v15, -v20, v18, v15
	v_rcp_f32_e32 v20, v19
	v_div_fmas_f32 v15, v15, v22, v18
	v_div_fixup_f32 v10, v15, v10, v14
	v_pk_mul_f32 v[10:11], v[54:55], v[10:11]
	v_fma_f32 v14, -v19, v20, 1.0
	v_fmac_f32_e32 v20, v14, v20
	v_div_scale_f32 v14, vcc, v16, v13, v16
	v_mul_f32_e32 v15, v14, v20
	v_fma_f32 v18, -v19, v15, v14
	v_fmac_f32_e32 v15, v18, v20
	v_div_scale_f32 v18, s[22:23], v12, v12, v17
	v_fma_f32 v14, -v19, v15, v14
	v_rcp_f32_e32 v19, v18
	v_div_fmas_f32 v14, v14, v20, v15
	v_div_fixup_f32 v13, v14, v13, v16
	v_cvt_f32_f16_e32 v21, v37
	v_fma_f32 v14, -v18, v19, 1.0
	v_fmac_f32_e32 v19, v14, v19
	v_div_scale_f32 v14, vcc, v17, v12, v17
	v_mul_f32_e32 v15, v14, v19
	v_fma_f32 v16, -v18, v15, v14
	v_fmac_f32_e32 v15, v16, v19
	v_fma_f32 v14, -v18, v15, v14
	v_div_fmas_f32 v14, v14, v19, v15
	v_cvt_f32_f16_e32 v15, v36
	v_div_fixup_f32 v12, v14, v12, v17
	v_cvt_f16_f32_e32 v16, v10
	v_pk_mul_f32 v[12:13], v[56:57], v[12:13]
	v_mul_f32_e32 v10, 0xbfb8aa3b, v15
	v_cvt_f16_f32_e32 v14, v11
	v_rndne_f32_e32 v11, v10
	v_cvt_f16_f32_e32 v18, v12
	v_sub_f32_e32 v12, v10, v11
	v_fma_mix_f32 v10, v36, s0, -v10 op_sel_hi:[1,0,0]
	v_cvt_i32_f32_e32 v11, v11
	v_fma_mix_f32 v10, v36, s1, v10 op_sel_hi:[1,0,0]
	v_cvt_f32_f16_sdwa v19, v36 dst_sel:DWORD dst_unused:UNUSED_PAD src0_sel:WORD_1
	v_add_f32_e32 v10, v12, v10
	v_exp_f32_e32 v10, v10
	v_cvt_f16_f32_e32 v17, v13
	v_cvt_f32_f16_sdwa v20, v37 dst_sel:DWORD dst_unused:UNUSED_PAD src0_sel:WORD_1
	v_cmp_nlt_f32_e32 vcc, s56, v15
	v_ldexp_f32 v10, v10, v11
	v_mul_f32_e32 v11, 0xbfb8aa3b, v19
	v_rndne_f32_e32 v12, v11
	v_sub_f32_e32 v13, v11, v12
	v_fma_mix_f32 v11, v36, s0, -v11 op_sel:[1,0,0] op_sel_hi:[1,0,0]
	v_cvt_i32_f32_e32 v12, v12
	v_fma_mix_f32 v11, v36, s1, v11 op_sel:[1,0,0] op_sel_hi:[1,0,0]
	v_cndmask_b32_e32 v10, 0, v10, vcc
	v_add_f32_e32 v11, v13, v11
	v_exp_f32_e32 v11, v11
	v_cmp_ngt_f32_e32 vcc, s57, v15
	v_ldexp_f32 v11, v11, v12
	v_mul_f32_e32 v12, 0xbfb8aa3b, v21
	v_rndne_f32_e32 v13, v12
	v_sub_f32_e32 v22, v12, v13
	v_fma_mix_f32 v12, v37, s0, -v12 op_sel_hi:[1,0,0]
	v_cvt_i32_f32_e32 v13, v13
	v_fma_mix_f32 v12, v37, s1, v12 op_sel_hi:[1,0,0]
	v_cndmask_b32_e32 v10, v24, v10, vcc
	v_add_f32_e32 v12, v22, v12
	v_exp_f32_e32 v12, v12
	v_cmp_nlt_f32_e32 vcc, s56, v19
	v_ldexp_f32 v12, v12, v13
	v_mul_f32_e32 v13, 0xbfb8aa3b, v20
	v_rndne_f32_e32 v22, v13
	v_sub_f32_e32 v23, v13, v22
	v_fma_mix_f32 v13, v37, s0, -v13 op_sel:[1,0,0] op_sel_hi:[1,0,0]
	v_cvt_i32_f32_e32 v22, v22
	v_fma_mix_f32 v13, v37, s1, v13 op_sel:[1,0,0] op_sel_hi:[1,0,0]
	v_cndmask_b32_e32 v11, 0, v11, vcc
	v_add_f32_e32 v13, v23, v13
	v_exp_f32_e32 v13, v13
	v_cmp_ngt_f32_e32 vcc, s57, v19
	v_ldexp_f32 v13, v13, v22
	s_nop 0
	v_cndmask_b32_e32 v11, v24, v11, vcc
	v_pk_add_f32 v[10:11], v[10:11], 1.0 op_sel_hi:[1,0]
	v_cmp_nlt_f32_e32 vcc, s56, v21
	v_div_scale_f32 v22, s[22:23], v11, v11, v19
	v_rcp_f32_e32 v23, v22
	v_cndmask_b32_e32 v12, 0, v12, vcc
	v_cmp_ngt_f32_e32 vcc, s57, v21
	s_nop 1
	v_cndmask_b32_e32 v12, v24, v12, vcc
	v_cmp_nlt_f32_e32 vcc, s56, v20
	s_nop 1
	v_cndmask_b32_e32 v13, 0, v13, vcc
	v_cmp_ngt_f32_e32 vcc, s57, v20
	s_nop 1
	v_cndmask_b32_e32 v13, v24, v13, vcc
	v_fma_f32 v24, -v22, v23, 1.0
	v_fmac_f32_e32 v23, v24, v23
	v_div_scale_f32 v24, vcc, v19, v11, v19
	v_mul_f32_e32 v25, v24, v23
	v_fma_f32 v26, -v22, v25, v24
	v_fmac_f32_e32 v25, v26, v23
	v_fma_f32 v22, -v22, v25, v24
	v_div_scale_f32 v24, s[22:23], v10, v10, v15
	v_rcp_f32_e32 v26, v24
	v_div_fmas_f32 v22, v22, v23, v25
	v_div_fixup_f32 v11, v22, v11, v19
	v_pk_add_f32 v[12:13], v[12:13], 1.0 op_sel_hi:[1,0]
	v_fma_f32 v19, -v24, v26, 1.0
	v_fmac_f32_e32 v26, v19, v26
	v_div_scale_f32 v19, vcc, v15, v10, v15
	v_mul_f32_e32 v22, v19, v26
	v_fma_f32 v23, -v24, v22, v19
	v_fmac_f32_e32 v22, v23, v26
	v_div_scale_f32 v23, s[22:23], v13, v13, v20
	v_fma_f32 v19, -v24, v22, v19
	v_rcp_f32_e32 v24, v23
	v_div_fmas_f32 v19, v19, v26, v22
	v_div_fixup_f32 v10, v19, v10, v15
	v_pk_mul_f32 v[0:1], v[0:1], v[10:11]
	v_fma_f32 v15, -v23, v24, 1.0
	v_fmac_f32_e32 v24, v15, v24
	v_div_scale_f32 v15, vcc, v20, v13, v20
	v_mul_f32_e32 v19, v15, v24
	v_fma_f32 v22, -v23, v19, v15
	v_fmac_f32_e32 v19, v22, v24
	v_div_scale_f32 v22, s[22:23], v12, v12, v21
	v_fma_f32 v15, -v23, v19, v15
	v_rcp_f32_e32 v23, v22
	v_div_fmas_f32 v15, v15, v24, v19
	v_div_fixup_f32 v13, v15, v13, v20
	v_cvt_f16_f32_e32 v1, v1
	v_fma_f32 v15, -v22, v23, 1.0
	v_fmac_f32_e32 v23, v15, v23
	v_div_scale_f32 v15, vcc, v21, v12, v21
	v_mul_f32_e32 v19, v15, v23
	v_fma_f32 v20, -v22, v19, v15
	v_fmac_f32_e32 v19, v20, v23
	v_fma_f32 v15, -v22, v19, v15
	v_div_fmas_f32 v15, v15, v23, v19
	v_div_fixup_f32 v12, v15, v12, v21
	v_pk_mul_f32 v[12:13], v[52:53], v[12:13]
	v_cvt_f16_f32_e32 v0, v0
	v_cvt_f16_f32_e32 v10, v13
	;; [unrolled: 1-line block ×3, first 2 shown]
	v_pack_b32_f16 v2, v0, v1
	v_pack_b32_f16 v1, v18, v17
	;; [unrolled: 1-line block ×4, first 2 shown]
	ds_write_b128 v29, v[0:3] offset:16
	; wave barrier
	scratch_load_dwordx2 v[8:9], off, off offset:176 ; 8-byte Folded Reload
	ds_read_b128 v[0:3], v27
	ds_read_b128 v[4:7], v28 offset:1024
	s_waitcnt lgkmcnt(1)
	v_lshrrev_b32_e32 v12, 16, v3
	v_alignbit_b32 v11, v2, v1, 16
	v_alignbit_b32 v10, v1, v0, 16
	s_waitcnt vmcnt(0)
	v_lshl_add_u64 v[8:9], s[2:3], 1, v[8:9]
	v_readlane_b32 s2, v95, 4
	s_cmp_eq_u32 s83, s2
	global_store_short v[8:9], v0, off
	v_alignbit_b32 v0, v3, v2, 16
	global_store_short v[8:9], v12, off offset:14
	global_store_dword v[8:9], v0, off offset:10
	global_store_dwordx2 v[8:9], v[10:11], off offset:2
	s_waitcnt lgkmcnt(0)
	global_store_dwordx4 v[8:9], v[4:7], off offset:1024
	s_cbranch_scc1 .LBB81_85
.LBB81_12:                              ; =>This Loop Header: Depth=1
                                        ;     Child Loop BB81_55 Depth 2
	v_lshl_add_u64 v[0:1], s[70:71], 0, v[42:43]
	s_waitcnt lgkmcnt(0)
	; wave barrier
	s_mov_b64 s[2:3], exec
	v_readlane_b32 s22, v95, 6
	v_readlane_b32 s23, v95, 7
	s_and_b64 s[22:23], s[2:3], s[22:23]
	s_mov_b64 exec, s[22:23]
	s_cbranch_execz .LBB81_14
; %bb.13:                               ;   in Loop: Header=BB81_12 Depth=1
	global_load_dwordx4 v[2:5], v[0:1], off
	s_waitcnt vmcnt(0)
	scratch_store_dwordx4 off, v[2:5], off offset:88 ; 16-byte Folded Spill
.LBB81_14:                              ;   in Loop: Header=BB81_12 Depth=1
	s_or_b64 exec, exec, s[2:3]
	s_mov_b64 s[2:3], exec
	v_readlane_b32 s22, v95, 8
	v_readlane_b32 s23, v95, 9
	s_and_b64 s[22:23], s[2:3], s[22:23]
	s_mov_b64 exec, s[22:23]
	s_cbranch_execz .LBB81_16
; %bb.15:                               ;   in Loop: Header=BB81_12 Depth=1
	global_load_dwordx4 v[0:3], v[0:1], off offset:1024
	s_waitcnt vmcnt(0)
	scratch_store_dwordx4 off, v[0:3], off offset:72 ; 16-byte Folded Spill
.LBB81_16:                              ;   in Loop: Header=BB81_12 Depth=1
	s_or_b64 exec, exec, s[2:3]
	scratch_load_dword v0, off, off         ; 4-byte Folded Reload
	scratch_load_dwordx4 v[2:5], off, off offset:88 ; 16-byte Folded Reload
	s_waitcnt vmcnt(0)
	ds_write_b128 v0, v[2:5]
	scratch_load_dword v0, off, off offset:4 ; 4-byte Folded Reload
	scratch_load_dwordx4 v[2:5], off, off offset:72 ; 16-byte Folded Reload
	s_waitcnt vmcnt(0)
	ds_write_b128 v0, v[2:5] offset:1024
	; wave barrier
	scratch_load_dword v0, off, off offset:8 ; 4-byte Folded Reload
	s_waitcnt vmcnt(0)
	ds_read_b128 v[2:5], v0
	s_waitcnt lgkmcnt(0)
	scratch_store_dwordx4 off, v[2:5], off offset:88 ; 16-byte Folded Spill
	ds_read_b128 v[0:3], v0 offset:16
	s_waitcnt lgkmcnt(0)
	scratch_store_dwordx4 off, v[0:3], off offset:72 ; 16-byte Folded Spill
	s_nop 1
	v_lshl_add_u64 v[0:1], s[72:73], 0, v[42:43]
	s_waitcnt lgkmcnt(0)
	; wave barrier
	s_mov_b64 s[2:3], exec
	v_readlane_b32 s22, v95, 6
	v_readlane_b32 s23, v95, 7
	s_and_b64 s[22:23], s[2:3], s[22:23]
	s_mov_b64 exec, s[22:23]
	s_cbranch_execz .LBB81_18
; %bb.17:                               ;   in Loop: Header=BB81_12 Depth=1
	global_load_dwordx4 v[2:5], v[0:1], off
	s_waitcnt vmcnt(0)
	scratch_store_dwordx4 off, v[2:5], off offset:56 ; 16-byte Folded Spill
.LBB81_18:                              ;   in Loop: Header=BB81_12 Depth=1
	s_or_b64 exec, exec, s[2:3]
	s_mov_b64 s[2:3], exec
	v_readlane_b32 s22, v95, 8
	v_readlane_b32 s23, v95, 9
	s_and_b64 s[22:23], s[2:3], s[22:23]
	s_mov_b64 exec, s[22:23]
	s_cbranch_execz .LBB81_20
; %bb.19:                               ;   in Loop: Header=BB81_12 Depth=1
	global_load_dwordx4 v[38:41], v[0:1], off offset:1024
.LBB81_20:                              ;   in Loop: Header=BB81_12 Depth=1
	s_or_b64 exec, exec, s[2:3]
	scratch_load_dword v0, off, off         ; 4-byte Folded Reload
	scratch_load_dwordx4 v[2:5], off, off offset:56 ; 16-byte Folded Reload
	s_mov_b32 s2, 0x41a00000
	s_waitcnt vmcnt(0)
	ds_write_b128 v0, v[2:5]
	scratch_load_dword v0, off, off offset:4 ; 4-byte Folded Reload
	s_waitcnt vmcnt(0)
	ds_write_b128 v0, v[38:41] offset:1024
	; wave barrier
	scratch_load_dword v0, off, off offset:8 ; 4-byte Folded Reload
	s_waitcnt vmcnt(0)
	ds_read_b128 v[2:5], v0
	ds_read_b128 v[38:41], v0 offset:16
	s_waitcnt lgkmcnt(1)
	v_cvt_f32_f16_e32 v0, v2
	scratch_store_dwordx4 off, v[2:5], off offset:56 ; 16-byte Folded Spill
	v_add_f32_e32 v90, s33, v0
	v_cmp_ge_f32_e32 vcc, s2, v90
	s_and_b64 s[2:3], s[80:81], vcc
	s_and_saveexec_b64 s[22:23], s[2:3]
	s_cbranch_execz .LBB81_22
; %bb.21:                               ;   in Loop: Header=BB81_12 Depth=1
	v_mul_f32_e32 v0, 0x3fb8aa3b, v90
	v_rndne_f32_e32 v1, v0
	v_sub_f32_e32 v2, v0, v1
	v_fma_f32 v0, v90, s26, -v0
	v_fmac_f32_e32 v0, 0x32a5705f, v90
	v_add_f32_e32 v0, v2, v0
	v_cvt_i32_f32_e32 v1, v1
	v_exp_f32_e32 v0, v0
	v_cmp_ngt_f32_e32 vcc, s27, v90
	v_ldexp_f32 v0, v0, v1
	s_nop 0
	v_cndmask_b32_e32 v0, 0, v0, vcc
	v_cmp_nlt_f32_e32 vcc, s28, v90
	s_nop 1
	v_cndmask_b32_e32 v16, v31, v0, vcc
	v_add_f32_e32 v2, 1.0, v16
	v_add_f32_e32 v0, -1.0, v2
	v_sub_f32_e32 v1, v0, v2
	v_add_f32_e32 v1, 1.0, v1
	v_sub_f32_e32 v0, v16, v0
	v_add_f32_e32 v3, v0, v1
	v_frexp_mant_f32_e32 v4, v2
	v_cvt_f64_f32_e32 v[0:1], v2
	v_frexp_exp_i32_f64_e32 v0, v[0:1]
	v_cmp_gt_f32_e32 vcc, s30, v4
	v_cmp_gt_f32_e64 s[2:3], s34, v16
	s_nop 0
	v_subbrev_co_u32_e32 v8, vcc, 0, v0, vcc
	v_sub_u32_e32 v0, 0, v8
	v_ldexp_f32 v1, v2, v0
	v_add_f32_e32 v2, -1.0, v1
	v_add_f32_e32 v4, 1.0, v1
	v_ldexp_f32 v0, v3, v0
	v_add_f32_e32 v3, 1.0, v2
	v_add_f32_e32 v5, -1.0, v4
	v_sub_f32_e32 v3, v1, v3
	v_sub_f32_e32 v1, v1, v5
	v_add_f32_e32 v3, v0, v3
	v_add_f32_e32 v0, v0, v1
	;; [unrolled: 1-line block ×3, first 2 shown]
	v_rcp_f32_e32 v11, v9
	v_sub_f32_e32 v1, v4, v9
	v_add_f32_e32 v10, v0, v1
	v_add_f32_e32 v1, v2, v3
	v_mul_f32_e32 v13, v1, v11
	v_sub_f32_e32 v0, v2, v1
	v_mul_f32_e32 v2, v9, v13
	v_fma_f32 v4, v13, v9, -v2
	v_fmac_f32_e32 v4, v13, v10
	v_add_f32_e32 v12, v3, v0
	v_add_f32_e32 v0, v2, v4
	v_sub_f32_e32 v3, v1, v0
	v_pk_add_f32 v[6:7], v[0:1], v[2:3] neg_lo:[0,1] neg_hi:[0,1]
	v_mov_b32_e32 v5, v0
	v_pk_add_f32 v[0:1], v[6:7], v[4:5] neg_lo:[0,1] neg_hi:[0,1]
	v_cmp_eq_f32_e32 vcc, s29, v16
	v_add_f32_e32 v1, v12, v1
	v_add_f32_e32 v0, v0, v1
	;; [unrolled: 1-line block ×3, first 2 shown]
	v_mul_f32_e32 v12, v11, v1
	v_mul_f32_e32 v2, v9, v12
	v_fma_f32 v4, v12, v9, -v2
	v_fmac_f32_e32 v4, v12, v10
	v_sub_f32_e32 v3, v3, v1
	v_add_f32_e32 v9, v0, v3
	v_add_f32_e32 v0, v2, v4
	v_sub_f32_e32 v3, v1, v0
	v_pk_add_f32 v[6:7], v[0:1], v[2:3] neg_lo:[0,1] neg_hi:[0,1]
	v_mov_b32_e32 v5, v0
	v_pk_add_f32 v[0:1], v[6:7], v[4:5] neg_lo:[0,1] neg_hi:[0,1]
	s_or_b64 vcc, s[2:3], vcc
	v_add_f32_e32 v1, v9, v1
	v_add_f32_e32 v0, v0, v1
	;; [unrolled: 1-line block ×4, first 2 shown]
	v_sub_f32_e32 v2, v1, v13
	v_mul_f32_e32 v0, v11, v0
	v_sub_f32_e32 v2, v12, v2
	v_add_f32_e32 v2, v2, v0
	v_add_f32_e32 v4, v1, v2
	v_mul_f32_e32 v5, v4, v4
	v_fmamk_f32 v0, v5, 0x3e9b6dac, v30
	v_fmaak_f32 v33, v5, v0, 0x3f2aaada
	v_cvt_f32_i32_e32 v0, v8
	v_sub_f32_e32 v1, v4, v1
	v_sub_f32_e32 v1, v2, v1
	v_ldexp_f32 v6, v1, 1
	v_mul_f32_e32 v1, v4, v5
	v_ldexp_f32 v3, v4, 1
	v_pk_mul_f32 v[4:5], v[0:1], v[32:33]
	s_nop 0
	v_fma_f32 v2, v0, s31, -v4
	v_fmac_f32_e32 v2, 0xb102e308, v0
	v_pk_add_f32 v[0:1], v[4:5], v[2:3]
	s_nop 0
	v_sub_f32_e32 v3, v1, v3
	v_sub_f32_e32 v3, v5, v3
	v_add_f32_e32 v7, v6, v3
	v_mov_b32_e32 v6, v4
	v_pk_add_f32 v[4:5], v[0:1], v[4:5] neg_lo:[0,1] neg_hi:[0,1]
	v_pk_add_f32 v[8:9], v[0:1], v[6:7]
	v_mov_b32_e32 v3, v0
	v_mov_b32_e32 v5, v9
	v_pk_add_f32 v[10:11], v[2:3], v[4:5] neg_lo:[0,1] neg_hi:[0,1]
	v_pk_add_f32 v[2:3], v[2:3], v[4:5]
	v_mov_b32_e32 v6, v7
	v_mov_b32_e32 v4, v3
	v_pk_add_f32 v[12:13], v[4:5], v[0:1] neg_lo:[0,1] neg_hi:[0,1]
	v_mov_b32_e32 v2, v9
	v_mov_b32_e32 v5, v12
	v_pk_add_f32 v[14:15], v[8:9], v[4:5] neg_lo:[0,1] neg_hi:[0,1]
	v_mov_b32_e32 v8, v1
	v_mov_b32_e32 v9, v12
	;; [unrolled: 1-line block ×3, first 2 shown]
	v_pk_add_f32 v[2:3], v[2:3], v[8:9] neg_lo:[0,1] neg_hi:[0,1]
	v_mov_b32_e32 v7, v0
	v_pk_add_f32 v[0:1], v[6:7], v[2:3] neg_lo:[0,1] neg_hi:[0,1]
	v_mov_b32_e32 v14, v10
	v_pk_add_f32 v[2:3], v[14:15], v[0:1]
	s_nop 0
	v_mov_b32_e32 v6, v3
	v_pk_add_f32 v[6:7], v[2:3], v[6:7]
	s_nop 0
	v_pk_add_f32 v[4:5], v[4:5], v[6:7]
	v_mov_b32_e32 v1, v6
	v_mov_b32_e32 v3, v4
	v_pk_add_f32 v[8:9], v[2:3], v[10:11] neg_lo:[0,1] neg_hi:[0,1]
	s_nop 0
	v_sub_f32_e32 v2, v2, v8
	v_pk_add_f32 v[0:1], v[0:1], v[8:9] neg_lo:[0,1] neg_hi:[0,1]
	v_sub_f32_e32 v2, v10, v2
	v_add_f32_e32 v0, v0, v2
	v_add_f32_e32 v0, v0, v1
	;; [unrolled: 1-line block ×3, first 2 shown]
	v_cndmask_b32_e32 v90, v0, v16, vcc
.LBB81_22:                              ;   in Loop: Header=BB81_12 Depth=1
	s_or_b64 exec, exec, s[22:23]
	scratch_load_dwordx4 v[0:3], off, off offset:56 ; 16-byte Folded Reload
	s_mov_b32 s2, 0x41a00000
	s_waitcnt vmcnt(0)
	v_cvt_f32_f16_sdwa v0, v0 dst_sel:DWORD dst_unused:UNUSED_PAD src0_sel:WORD_1
	v_add_f32_e32 v91, s33, v0
	v_cmp_ge_f32_e32 vcc, s2, v91
	s_and_b64 s[2:3], s[80:81], vcc
	s_and_saveexec_b64 s[22:23], s[2:3]
	s_cbranch_execz .LBB81_24
; %bb.23:                               ;   in Loop: Header=BB81_12 Depth=1
	v_mul_f32_e32 v0, 0x3fb8aa3b, v91
	v_rndne_f32_e32 v1, v0
	v_sub_f32_e32 v2, v0, v1
	v_fma_f32 v0, v91, s26, -v0
	v_fmac_f32_e32 v0, 0x32a5705f, v91
	v_add_f32_e32 v0, v2, v0
	v_cvt_i32_f32_e32 v1, v1
	v_exp_f32_e32 v0, v0
	v_cmp_ngt_f32_e32 vcc, s27, v91
	v_ldexp_f32 v0, v0, v1
	s_nop 0
	v_cndmask_b32_e32 v0, 0, v0, vcc
	v_cmp_nlt_f32_e32 vcc, s28, v91
	s_nop 1
	v_cndmask_b32_e32 v16, v31, v0, vcc
	v_add_f32_e32 v2, 1.0, v16
	v_add_f32_e32 v0, -1.0, v2
	v_sub_f32_e32 v1, v0, v2
	v_add_f32_e32 v1, 1.0, v1
	v_sub_f32_e32 v0, v16, v0
	v_add_f32_e32 v3, v0, v1
	v_frexp_mant_f32_e32 v4, v2
	v_cvt_f64_f32_e32 v[0:1], v2
	v_frexp_exp_i32_f64_e32 v0, v[0:1]
	v_cmp_gt_f32_e32 vcc, s30, v4
	v_cmp_gt_f32_e64 s[2:3], s34, v16
	s_nop 0
	v_subbrev_co_u32_e32 v8, vcc, 0, v0, vcc
	v_sub_u32_e32 v0, 0, v8
	v_ldexp_f32 v1, v2, v0
	v_add_f32_e32 v2, -1.0, v1
	v_add_f32_e32 v4, 1.0, v1
	v_ldexp_f32 v0, v3, v0
	v_add_f32_e32 v3, 1.0, v2
	v_add_f32_e32 v5, -1.0, v4
	v_sub_f32_e32 v3, v1, v3
	v_sub_f32_e32 v1, v1, v5
	v_add_f32_e32 v3, v0, v3
	v_add_f32_e32 v0, v0, v1
	;; [unrolled: 1-line block ×3, first 2 shown]
	v_rcp_f32_e32 v11, v9
	v_sub_f32_e32 v1, v4, v9
	v_add_f32_e32 v10, v0, v1
	v_add_f32_e32 v1, v2, v3
	v_mul_f32_e32 v13, v1, v11
	v_sub_f32_e32 v0, v2, v1
	v_mul_f32_e32 v2, v9, v13
	v_fma_f32 v4, v13, v9, -v2
	v_fmac_f32_e32 v4, v13, v10
	v_add_f32_e32 v12, v3, v0
	v_add_f32_e32 v0, v2, v4
	v_sub_f32_e32 v3, v1, v0
	v_pk_add_f32 v[6:7], v[0:1], v[2:3] neg_lo:[0,1] neg_hi:[0,1]
	v_mov_b32_e32 v5, v0
	v_pk_add_f32 v[0:1], v[6:7], v[4:5] neg_lo:[0,1] neg_hi:[0,1]
	v_cmp_eq_f32_e32 vcc, s29, v16
	v_add_f32_e32 v1, v12, v1
	v_add_f32_e32 v0, v0, v1
	;; [unrolled: 1-line block ×3, first 2 shown]
	v_mul_f32_e32 v12, v11, v1
	v_mul_f32_e32 v2, v9, v12
	v_fma_f32 v4, v12, v9, -v2
	v_fmac_f32_e32 v4, v12, v10
	v_sub_f32_e32 v3, v3, v1
	v_add_f32_e32 v9, v0, v3
	v_add_f32_e32 v0, v2, v4
	v_sub_f32_e32 v3, v1, v0
	v_pk_add_f32 v[6:7], v[0:1], v[2:3] neg_lo:[0,1] neg_hi:[0,1]
	v_mov_b32_e32 v5, v0
	v_pk_add_f32 v[0:1], v[6:7], v[4:5] neg_lo:[0,1] neg_hi:[0,1]
	s_or_b64 vcc, s[2:3], vcc
	v_add_f32_e32 v1, v9, v1
	v_add_f32_e32 v0, v0, v1
	;; [unrolled: 1-line block ×4, first 2 shown]
	v_sub_f32_e32 v2, v1, v13
	v_mul_f32_e32 v0, v11, v0
	v_sub_f32_e32 v2, v12, v2
	v_add_f32_e32 v2, v2, v0
	v_add_f32_e32 v4, v1, v2
	v_mul_f32_e32 v5, v4, v4
	v_fmamk_f32 v0, v5, 0x3e9b6dac, v30
	v_fmaak_f32 v33, v5, v0, 0x3f2aaada
	v_cvt_f32_i32_e32 v0, v8
	v_sub_f32_e32 v1, v4, v1
	v_sub_f32_e32 v1, v2, v1
	v_ldexp_f32 v6, v1, 1
	v_mul_f32_e32 v1, v4, v5
	v_ldexp_f32 v3, v4, 1
	v_pk_mul_f32 v[4:5], v[0:1], v[32:33]
	s_nop 0
	v_fma_f32 v2, v0, s31, -v4
	v_fmac_f32_e32 v2, 0xb102e308, v0
	v_pk_add_f32 v[0:1], v[4:5], v[2:3]
	s_nop 0
	v_sub_f32_e32 v3, v1, v3
	v_sub_f32_e32 v3, v5, v3
	v_add_f32_e32 v7, v6, v3
	v_mov_b32_e32 v6, v4
	v_pk_add_f32 v[4:5], v[0:1], v[4:5] neg_lo:[0,1] neg_hi:[0,1]
	v_pk_add_f32 v[8:9], v[0:1], v[6:7]
	v_mov_b32_e32 v3, v0
	v_mov_b32_e32 v5, v9
	v_pk_add_f32 v[10:11], v[2:3], v[4:5] neg_lo:[0,1] neg_hi:[0,1]
	v_pk_add_f32 v[2:3], v[2:3], v[4:5]
	v_mov_b32_e32 v6, v7
	v_mov_b32_e32 v4, v3
	v_pk_add_f32 v[12:13], v[4:5], v[0:1] neg_lo:[0,1] neg_hi:[0,1]
	v_mov_b32_e32 v2, v9
	v_mov_b32_e32 v5, v12
	v_pk_add_f32 v[14:15], v[8:9], v[4:5] neg_lo:[0,1] neg_hi:[0,1]
	v_mov_b32_e32 v8, v1
	v_mov_b32_e32 v9, v12
	;; [unrolled: 1-line block ×3, first 2 shown]
	v_pk_add_f32 v[2:3], v[2:3], v[8:9] neg_lo:[0,1] neg_hi:[0,1]
	v_mov_b32_e32 v7, v0
	v_pk_add_f32 v[0:1], v[6:7], v[2:3] neg_lo:[0,1] neg_hi:[0,1]
	v_mov_b32_e32 v14, v10
	v_pk_add_f32 v[2:3], v[14:15], v[0:1]
	s_nop 0
	v_mov_b32_e32 v6, v3
	v_pk_add_f32 v[6:7], v[2:3], v[6:7]
	s_nop 0
	v_pk_add_f32 v[4:5], v[4:5], v[6:7]
	v_mov_b32_e32 v1, v6
	v_mov_b32_e32 v3, v4
	v_pk_add_f32 v[8:9], v[2:3], v[10:11] neg_lo:[0,1] neg_hi:[0,1]
	s_nop 0
	v_sub_f32_e32 v2, v2, v8
	v_pk_add_f32 v[0:1], v[0:1], v[8:9] neg_lo:[0,1] neg_hi:[0,1]
	v_sub_f32_e32 v2, v10, v2
	v_add_f32_e32 v0, v0, v2
	v_add_f32_e32 v0, v0, v1
	;; [unrolled: 1-line block ×3, first 2 shown]
	v_cndmask_b32_e32 v91, v0, v16, vcc
.LBB81_24:                              ;   in Loop: Header=BB81_12 Depth=1
	s_or_b64 exec, exec, s[22:23]
	scratch_load_dwordx4 v[0:3], off, off offset:56 ; 16-byte Folded Reload
	s_mov_b32 s2, 0x41a00000
	s_waitcnt vmcnt(0)
	v_cvt_f32_f16_e32 v0, v1
	v_add_f32_e32 v87, s33, v0
	v_cmp_ge_f32_e32 vcc, s2, v87
	s_and_b64 s[2:3], s[80:81], vcc
	s_and_saveexec_b64 s[22:23], s[2:3]
	s_cbranch_execz .LBB81_26
; %bb.25:                               ;   in Loop: Header=BB81_12 Depth=1
	v_mul_f32_e32 v0, 0x3fb8aa3b, v87
	v_rndne_f32_e32 v1, v0
	v_sub_f32_e32 v2, v0, v1
	v_fma_f32 v0, v87, s26, -v0
	v_fmac_f32_e32 v0, 0x32a5705f, v87
	v_add_f32_e32 v0, v2, v0
	v_cvt_i32_f32_e32 v1, v1
	v_exp_f32_e32 v0, v0
	v_cmp_ngt_f32_e32 vcc, s27, v87
	v_ldexp_f32 v0, v0, v1
	s_nop 0
	v_cndmask_b32_e32 v0, 0, v0, vcc
	v_cmp_nlt_f32_e32 vcc, s28, v87
	s_nop 1
	v_cndmask_b32_e32 v16, v31, v0, vcc
	v_add_f32_e32 v2, 1.0, v16
	v_add_f32_e32 v0, -1.0, v2
	v_sub_f32_e32 v1, v0, v2
	v_add_f32_e32 v1, 1.0, v1
	v_sub_f32_e32 v0, v16, v0
	v_add_f32_e32 v3, v0, v1
	v_frexp_mant_f32_e32 v4, v2
	v_cvt_f64_f32_e32 v[0:1], v2
	v_frexp_exp_i32_f64_e32 v0, v[0:1]
	v_cmp_gt_f32_e32 vcc, s30, v4
	v_cmp_gt_f32_e64 s[2:3], s34, v16
	s_nop 0
	v_subbrev_co_u32_e32 v8, vcc, 0, v0, vcc
	v_sub_u32_e32 v0, 0, v8
	v_ldexp_f32 v1, v2, v0
	v_add_f32_e32 v2, -1.0, v1
	v_add_f32_e32 v4, 1.0, v1
	v_ldexp_f32 v0, v3, v0
	v_add_f32_e32 v3, 1.0, v2
	v_add_f32_e32 v5, -1.0, v4
	v_sub_f32_e32 v3, v1, v3
	v_sub_f32_e32 v1, v1, v5
	v_add_f32_e32 v3, v0, v3
	v_add_f32_e32 v0, v0, v1
	v_add_f32_e32 v9, v4, v0
	v_rcp_f32_e32 v11, v9
	v_sub_f32_e32 v1, v4, v9
	v_add_f32_e32 v10, v0, v1
	v_add_f32_e32 v1, v2, v3
	v_mul_f32_e32 v13, v1, v11
	v_sub_f32_e32 v0, v2, v1
	v_mul_f32_e32 v2, v9, v13
	v_fma_f32 v4, v13, v9, -v2
	v_fmac_f32_e32 v4, v13, v10
	v_add_f32_e32 v12, v3, v0
	v_add_f32_e32 v0, v2, v4
	v_sub_f32_e32 v3, v1, v0
	v_pk_add_f32 v[6:7], v[0:1], v[2:3] neg_lo:[0,1] neg_hi:[0,1]
	v_mov_b32_e32 v5, v0
	v_pk_add_f32 v[0:1], v[6:7], v[4:5] neg_lo:[0,1] neg_hi:[0,1]
	v_cmp_eq_f32_e32 vcc, s29, v16
	v_add_f32_e32 v1, v12, v1
	v_add_f32_e32 v0, v0, v1
	;; [unrolled: 1-line block ×3, first 2 shown]
	v_mul_f32_e32 v12, v11, v1
	v_mul_f32_e32 v2, v9, v12
	v_fma_f32 v4, v12, v9, -v2
	v_fmac_f32_e32 v4, v12, v10
	v_sub_f32_e32 v3, v3, v1
	v_add_f32_e32 v9, v0, v3
	v_add_f32_e32 v0, v2, v4
	v_sub_f32_e32 v3, v1, v0
	v_pk_add_f32 v[6:7], v[0:1], v[2:3] neg_lo:[0,1] neg_hi:[0,1]
	v_mov_b32_e32 v5, v0
	v_pk_add_f32 v[0:1], v[6:7], v[4:5] neg_lo:[0,1] neg_hi:[0,1]
	s_or_b64 vcc, s[2:3], vcc
	v_add_f32_e32 v1, v9, v1
	v_add_f32_e32 v0, v0, v1
	;; [unrolled: 1-line block ×4, first 2 shown]
	v_sub_f32_e32 v2, v1, v13
	v_mul_f32_e32 v0, v11, v0
	v_sub_f32_e32 v2, v12, v2
	v_add_f32_e32 v2, v2, v0
	v_add_f32_e32 v4, v1, v2
	v_mul_f32_e32 v5, v4, v4
	v_fmamk_f32 v0, v5, 0x3e9b6dac, v30
	v_fmaak_f32 v33, v5, v0, 0x3f2aaada
	v_cvt_f32_i32_e32 v0, v8
	v_sub_f32_e32 v1, v4, v1
	v_sub_f32_e32 v1, v2, v1
	v_ldexp_f32 v6, v1, 1
	v_mul_f32_e32 v1, v4, v5
	v_ldexp_f32 v3, v4, 1
	v_pk_mul_f32 v[4:5], v[0:1], v[32:33]
	s_nop 0
	v_fma_f32 v2, v0, s31, -v4
	v_fmac_f32_e32 v2, 0xb102e308, v0
	v_pk_add_f32 v[0:1], v[4:5], v[2:3]
	s_nop 0
	v_sub_f32_e32 v3, v1, v3
	v_sub_f32_e32 v3, v5, v3
	v_add_f32_e32 v7, v6, v3
	v_mov_b32_e32 v6, v4
	v_pk_add_f32 v[4:5], v[0:1], v[4:5] neg_lo:[0,1] neg_hi:[0,1]
	v_pk_add_f32 v[8:9], v[0:1], v[6:7]
	v_mov_b32_e32 v3, v0
	v_mov_b32_e32 v5, v9
	v_pk_add_f32 v[10:11], v[2:3], v[4:5] neg_lo:[0,1] neg_hi:[0,1]
	v_pk_add_f32 v[2:3], v[2:3], v[4:5]
	v_mov_b32_e32 v6, v7
	v_mov_b32_e32 v4, v3
	v_pk_add_f32 v[12:13], v[4:5], v[0:1] neg_lo:[0,1] neg_hi:[0,1]
	v_mov_b32_e32 v2, v9
	v_mov_b32_e32 v5, v12
	v_pk_add_f32 v[14:15], v[8:9], v[4:5] neg_lo:[0,1] neg_hi:[0,1]
	v_mov_b32_e32 v8, v1
	v_mov_b32_e32 v9, v12
	;; [unrolled: 1-line block ×3, first 2 shown]
	v_pk_add_f32 v[2:3], v[2:3], v[8:9] neg_lo:[0,1] neg_hi:[0,1]
	v_mov_b32_e32 v7, v0
	v_pk_add_f32 v[0:1], v[6:7], v[2:3] neg_lo:[0,1] neg_hi:[0,1]
	v_mov_b32_e32 v14, v10
	v_pk_add_f32 v[2:3], v[14:15], v[0:1]
	s_nop 0
	v_mov_b32_e32 v6, v3
	v_pk_add_f32 v[6:7], v[2:3], v[6:7]
	s_nop 0
	v_pk_add_f32 v[4:5], v[4:5], v[6:7]
	v_mov_b32_e32 v1, v6
	v_mov_b32_e32 v3, v4
	v_pk_add_f32 v[8:9], v[2:3], v[10:11] neg_lo:[0,1] neg_hi:[0,1]
	s_nop 0
	v_sub_f32_e32 v2, v2, v8
	v_pk_add_f32 v[0:1], v[0:1], v[8:9] neg_lo:[0,1] neg_hi:[0,1]
	v_sub_f32_e32 v2, v10, v2
	v_add_f32_e32 v0, v0, v2
	v_add_f32_e32 v0, v0, v1
	;; [unrolled: 1-line block ×3, first 2 shown]
	v_cndmask_b32_e32 v87, v0, v16, vcc
.LBB81_26:                              ;   in Loop: Header=BB81_12 Depth=1
	s_or_b64 exec, exec, s[22:23]
	scratch_load_dwordx4 v[0:3], off, off offset:56 ; 16-byte Folded Reload
	s_mov_b32 s2, 0x41a00000
	s_waitcnt vmcnt(0)
	v_cvt_f32_f16_sdwa v0, v1 dst_sel:DWORD dst_unused:UNUSED_PAD src0_sel:WORD_1
	v_add_f32_e32 v44, s33, v0
	v_cmp_ge_f32_e32 vcc, s2, v44
	s_and_b64 s[2:3], s[80:81], vcc
	s_and_saveexec_b64 s[22:23], s[2:3]
	s_cbranch_execz .LBB81_28
; %bb.27:                               ;   in Loop: Header=BB81_12 Depth=1
	v_mul_f32_e32 v0, 0x3fb8aa3b, v44
	v_rndne_f32_e32 v1, v0
	v_sub_f32_e32 v2, v0, v1
	v_fma_f32 v0, v44, s26, -v0
	v_fmac_f32_e32 v0, 0x32a5705f, v44
	v_add_f32_e32 v0, v2, v0
	v_cvt_i32_f32_e32 v1, v1
	v_exp_f32_e32 v0, v0
	v_cmp_ngt_f32_e32 vcc, s27, v44
	v_ldexp_f32 v0, v0, v1
	s_nop 0
	v_cndmask_b32_e32 v0, 0, v0, vcc
	v_cmp_nlt_f32_e32 vcc, s28, v44
	s_nop 1
	v_cndmask_b32_e32 v16, v31, v0, vcc
	v_add_f32_e32 v2, 1.0, v16
	v_add_f32_e32 v0, -1.0, v2
	v_sub_f32_e32 v1, v0, v2
	v_add_f32_e32 v1, 1.0, v1
	v_sub_f32_e32 v0, v16, v0
	v_add_f32_e32 v3, v0, v1
	v_frexp_mant_f32_e32 v4, v2
	v_cvt_f64_f32_e32 v[0:1], v2
	v_frexp_exp_i32_f64_e32 v0, v[0:1]
	v_cmp_gt_f32_e32 vcc, s30, v4
	v_cmp_gt_f32_e64 s[2:3], s34, v16
	s_nop 0
	v_subbrev_co_u32_e32 v8, vcc, 0, v0, vcc
	v_sub_u32_e32 v0, 0, v8
	v_ldexp_f32 v1, v2, v0
	v_add_f32_e32 v2, -1.0, v1
	v_add_f32_e32 v4, 1.0, v1
	v_ldexp_f32 v0, v3, v0
	v_add_f32_e32 v3, 1.0, v2
	v_add_f32_e32 v5, -1.0, v4
	v_sub_f32_e32 v3, v1, v3
	v_sub_f32_e32 v1, v1, v5
	v_add_f32_e32 v3, v0, v3
	v_add_f32_e32 v0, v0, v1
	;; [unrolled: 1-line block ×3, first 2 shown]
	v_rcp_f32_e32 v11, v9
	v_sub_f32_e32 v1, v4, v9
	v_add_f32_e32 v10, v0, v1
	v_add_f32_e32 v1, v2, v3
	v_mul_f32_e32 v13, v1, v11
	v_sub_f32_e32 v0, v2, v1
	v_mul_f32_e32 v2, v9, v13
	v_fma_f32 v4, v13, v9, -v2
	v_fmac_f32_e32 v4, v13, v10
	v_add_f32_e32 v12, v3, v0
	v_add_f32_e32 v0, v2, v4
	v_sub_f32_e32 v3, v1, v0
	v_pk_add_f32 v[6:7], v[0:1], v[2:3] neg_lo:[0,1] neg_hi:[0,1]
	v_mov_b32_e32 v5, v0
	v_pk_add_f32 v[0:1], v[6:7], v[4:5] neg_lo:[0,1] neg_hi:[0,1]
	v_cmp_eq_f32_e32 vcc, s29, v16
	v_add_f32_e32 v1, v12, v1
	v_add_f32_e32 v0, v0, v1
	;; [unrolled: 1-line block ×3, first 2 shown]
	v_mul_f32_e32 v12, v11, v1
	v_mul_f32_e32 v2, v9, v12
	v_fma_f32 v4, v12, v9, -v2
	v_fmac_f32_e32 v4, v12, v10
	v_sub_f32_e32 v3, v3, v1
	v_add_f32_e32 v9, v0, v3
	v_add_f32_e32 v0, v2, v4
	v_sub_f32_e32 v3, v1, v0
	v_pk_add_f32 v[6:7], v[0:1], v[2:3] neg_lo:[0,1] neg_hi:[0,1]
	v_mov_b32_e32 v5, v0
	v_pk_add_f32 v[0:1], v[6:7], v[4:5] neg_lo:[0,1] neg_hi:[0,1]
	s_or_b64 vcc, s[2:3], vcc
	v_add_f32_e32 v1, v9, v1
	v_add_f32_e32 v0, v0, v1
	;; [unrolled: 1-line block ×4, first 2 shown]
	v_sub_f32_e32 v2, v1, v13
	v_mul_f32_e32 v0, v11, v0
	v_sub_f32_e32 v2, v12, v2
	v_add_f32_e32 v2, v2, v0
	v_add_f32_e32 v4, v1, v2
	v_mul_f32_e32 v5, v4, v4
	v_fmamk_f32 v0, v5, 0x3e9b6dac, v30
	v_fmaak_f32 v33, v5, v0, 0x3f2aaada
	v_cvt_f32_i32_e32 v0, v8
	v_sub_f32_e32 v1, v4, v1
	v_sub_f32_e32 v1, v2, v1
	v_ldexp_f32 v6, v1, 1
	v_mul_f32_e32 v1, v4, v5
	v_ldexp_f32 v3, v4, 1
	v_pk_mul_f32 v[4:5], v[0:1], v[32:33]
	s_nop 0
	v_fma_f32 v2, v0, s31, -v4
	v_fmac_f32_e32 v2, 0xb102e308, v0
	v_pk_add_f32 v[0:1], v[4:5], v[2:3]
	s_nop 0
	v_sub_f32_e32 v3, v1, v3
	v_sub_f32_e32 v3, v5, v3
	v_add_f32_e32 v7, v6, v3
	v_mov_b32_e32 v6, v4
	v_pk_add_f32 v[4:5], v[0:1], v[4:5] neg_lo:[0,1] neg_hi:[0,1]
	v_pk_add_f32 v[8:9], v[0:1], v[6:7]
	v_mov_b32_e32 v3, v0
	v_mov_b32_e32 v5, v9
	v_pk_add_f32 v[10:11], v[2:3], v[4:5] neg_lo:[0,1] neg_hi:[0,1]
	v_pk_add_f32 v[2:3], v[2:3], v[4:5]
	v_mov_b32_e32 v6, v7
	v_mov_b32_e32 v4, v3
	v_pk_add_f32 v[12:13], v[4:5], v[0:1] neg_lo:[0,1] neg_hi:[0,1]
	v_mov_b32_e32 v2, v9
	v_mov_b32_e32 v5, v12
	v_pk_add_f32 v[14:15], v[8:9], v[4:5] neg_lo:[0,1] neg_hi:[0,1]
	v_mov_b32_e32 v8, v1
	v_mov_b32_e32 v9, v12
	;; [unrolled: 1-line block ×3, first 2 shown]
	v_pk_add_f32 v[2:3], v[2:3], v[8:9] neg_lo:[0,1] neg_hi:[0,1]
	v_mov_b32_e32 v7, v0
	v_pk_add_f32 v[0:1], v[6:7], v[2:3] neg_lo:[0,1] neg_hi:[0,1]
	v_mov_b32_e32 v14, v10
	v_pk_add_f32 v[2:3], v[14:15], v[0:1]
	s_nop 0
	v_mov_b32_e32 v6, v3
	v_pk_add_f32 v[6:7], v[2:3], v[6:7]
	s_nop 0
	v_pk_add_f32 v[4:5], v[4:5], v[6:7]
	v_mov_b32_e32 v1, v6
	v_mov_b32_e32 v3, v4
	v_pk_add_f32 v[8:9], v[2:3], v[10:11] neg_lo:[0,1] neg_hi:[0,1]
	s_nop 0
	v_sub_f32_e32 v2, v2, v8
	v_pk_add_f32 v[0:1], v[0:1], v[8:9] neg_lo:[0,1] neg_hi:[0,1]
	v_sub_f32_e32 v2, v10, v2
	v_add_f32_e32 v0, v0, v2
	v_add_f32_e32 v0, v0, v1
	v_add_f32_e32 v0, v4, v0
	v_cndmask_b32_e32 v44, v0, v16, vcc
.LBB81_28:                              ;   in Loop: Header=BB81_12 Depth=1
	s_or_b64 exec, exec, s[22:23]
	scratch_load_dwordx4 v[0:3], off, off offset:56 ; 16-byte Folded Reload
	s_mov_b32 s2, 0x41a00000
	s_waitcnt vmcnt(0)
	v_cvt_f32_f16_e32 v0, v2
	v_add_f32_e32 v45, s33, v0
	v_cmp_ge_f32_e32 vcc, s2, v45
	s_and_b64 s[2:3], s[80:81], vcc
	s_and_saveexec_b64 s[22:23], s[2:3]
	s_cbranch_execz .LBB81_30
; %bb.29:                               ;   in Loop: Header=BB81_12 Depth=1
	v_mul_f32_e32 v0, 0x3fb8aa3b, v45
	v_rndne_f32_e32 v1, v0
	v_sub_f32_e32 v2, v0, v1
	v_fma_f32 v0, v45, s26, -v0
	v_fmac_f32_e32 v0, 0x32a5705f, v45
	v_add_f32_e32 v0, v2, v0
	v_cvt_i32_f32_e32 v1, v1
	v_exp_f32_e32 v0, v0
	v_cmp_ngt_f32_e32 vcc, s27, v45
	v_ldexp_f32 v0, v0, v1
	s_nop 0
	v_cndmask_b32_e32 v0, 0, v0, vcc
	v_cmp_nlt_f32_e32 vcc, s28, v45
	s_nop 1
	v_cndmask_b32_e32 v16, v31, v0, vcc
	v_add_f32_e32 v2, 1.0, v16
	v_add_f32_e32 v0, -1.0, v2
	v_sub_f32_e32 v1, v0, v2
	v_add_f32_e32 v1, 1.0, v1
	v_sub_f32_e32 v0, v16, v0
	v_add_f32_e32 v3, v0, v1
	v_frexp_mant_f32_e32 v4, v2
	v_cvt_f64_f32_e32 v[0:1], v2
	v_frexp_exp_i32_f64_e32 v0, v[0:1]
	v_cmp_gt_f32_e32 vcc, s30, v4
	v_cmp_gt_f32_e64 s[2:3], s34, v16
	s_nop 0
	v_subbrev_co_u32_e32 v8, vcc, 0, v0, vcc
	v_sub_u32_e32 v0, 0, v8
	v_ldexp_f32 v1, v2, v0
	v_add_f32_e32 v2, -1.0, v1
	v_add_f32_e32 v4, 1.0, v1
	v_ldexp_f32 v0, v3, v0
	v_add_f32_e32 v3, 1.0, v2
	v_add_f32_e32 v5, -1.0, v4
	v_sub_f32_e32 v3, v1, v3
	v_sub_f32_e32 v1, v1, v5
	v_add_f32_e32 v3, v0, v3
	v_add_f32_e32 v0, v0, v1
	;; [unrolled: 1-line block ×3, first 2 shown]
	v_rcp_f32_e32 v11, v9
	v_sub_f32_e32 v1, v4, v9
	v_add_f32_e32 v10, v0, v1
	v_add_f32_e32 v1, v2, v3
	v_mul_f32_e32 v13, v1, v11
	v_sub_f32_e32 v0, v2, v1
	v_mul_f32_e32 v2, v9, v13
	v_fma_f32 v4, v13, v9, -v2
	v_fmac_f32_e32 v4, v13, v10
	v_add_f32_e32 v12, v3, v0
	v_add_f32_e32 v0, v2, v4
	v_sub_f32_e32 v3, v1, v0
	v_pk_add_f32 v[6:7], v[0:1], v[2:3] neg_lo:[0,1] neg_hi:[0,1]
	v_mov_b32_e32 v5, v0
	v_pk_add_f32 v[0:1], v[6:7], v[4:5] neg_lo:[0,1] neg_hi:[0,1]
	v_cmp_eq_f32_e32 vcc, s29, v16
	v_add_f32_e32 v1, v12, v1
	v_add_f32_e32 v0, v0, v1
	;; [unrolled: 1-line block ×3, first 2 shown]
	v_mul_f32_e32 v12, v11, v1
	v_mul_f32_e32 v2, v9, v12
	v_fma_f32 v4, v12, v9, -v2
	v_fmac_f32_e32 v4, v12, v10
	v_sub_f32_e32 v3, v3, v1
	v_add_f32_e32 v9, v0, v3
	v_add_f32_e32 v0, v2, v4
	v_sub_f32_e32 v3, v1, v0
	v_pk_add_f32 v[6:7], v[0:1], v[2:3] neg_lo:[0,1] neg_hi:[0,1]
	v_mov_b32_e32 v5, v0
	v_pk_add_f32 v[0:1], v[6:7], v[4:5] neg_lo:[0,1] neg_hi:[0,1]
	s_or_b64 vcc, s[2:3], vcc
	v_add_f32_e32 v1, v9, v1
	v_add_f32_e32 v0, v0, v1
	;; [unrolled: 1-line block ×4, first 2 shown]
	v_sub_f32_e32 v2, v1, v13
	v_mul_f32_e32 v0, v11, v0
	v_sub_f32_e32 v2, v12, v2
	v_add_f32_e32 v2, v2, v0
	v_add_f32_e32 v4, v1, v2
	v_mul_f32_e32 v5, v4, v4
	v_fmamk_f32 v0, v5, 0x3e9b6dac, v30
	v_fmaak_f32 v33, v5, v0, 0x3f2aaada
	v_cvt_f32_i32_e32 v0, v8
	v_sub_f32_e32 v1, v4, v1
	v_sub_f32_e32 v1, v2, v1
	v_ldexp_f32 v6, v1, 1
	v_mul_f32_e32 v1, v4, v5
	v_ldexp_f32 v3, v4, 1
	v_pk_mul_f32 v[4:5], v[0:1], v[32:33]
	s_nop 0
	v_fma_f32 v2, v0, s31, -v4
	v_fmac_f32_e32 v2, 0xb102e308, v0
	v_pk_add_f32 v[0:1], v[4:5], v[2:3]
	s_nop 0
	v_sub_f32_e32 v3, v1, v3
	v_sub_f32_e32 v3, v5, v3
	v_add_f32_e32 v7, v6, v3
	v_mov_b32_e32 v6, v4
	v_pk_add_f32 v[4:5], v[0:1], v[4:5] neg_lo:[0,1] neg_hi:[0,1]
	v_pk_add_f32 v[8:9], v[0:1], v[6:7]
	v_mov_b32_e32 v3, v0
	v_mov_b32_e32 v5, v9
	v_pk_add_f32 v[10:11], v[2:3], v[4:5] neg_lo:[0,1] neg_hi:[0,1]
	v_pk_add_f32 v[2:3], v[2:3], v[4:5]
	v_mov_b32_e32 v6, v7
	v_mov_b32_e32 v4, v3
	v_pk_add_f32 v[12:13], v[4:5], v[0:1] neg_lo:[0,1] neg_hi:[0,1]
	v_mov_b32_e32 v2, v9
	v_mov_b32_e32 v5, v12
	v_pk_add_f32 v[14:15], v[8:9], v[4:5] neg_lo:[0,1] neg_hi:[0,1]
	v_mov_b32_e32 v8, v1
	v_mov_b32_e32 v9, v12
	;; [unrolled: 1-line block ×3, first 2 shown]
	v_pk_add_f32 v[2:3], v[2:3], v[8:9] neg_lo:[0,1] neg_hi:[0,1]
	v_mov_b32_e32 v7, v0
	v_pk_add_f32 v[0:1], v[6:7], v[2:3] neg_lo:[0,1] neg_hi:[0,1]
	v_mov_b32_e32 v14, v10
	v_pk_add_f32 v[2:3], v[14:15], v[0:1]
	s_nop 0
	v_mov_b32_e32 v6, v3
	v_pk_add_f32 v[6:7], v[2:3], v[6:7]
	s_nop 0
	v_pk_add_f32 v[4:5], v[4:5], v[6:7]
	v_mov_b32_e32 v1, v6
	v_mov_b32_e32 v3, v4
	v_pk_add_f32 v[8:9], v[2:3], v[10:11] neg_lo:[0,1] neg_hi:[0,1]
	s_nop 0
	v_sub_f32_e32 v2, v2, v8
	v_pk_add_f32 v[0:1], v[0:1], v[8:9] neg_lo:[0,1] neg_hi:[0,1]
	v_sub_f32_e32 v2, v10, v2
	v_add_f32_e32 v0, v0, v2
	v_add_f32_e32 v0, v0, v1
	;; [unrolled: 1-line block ×3, first 2 shown]
	v_cndmask_b32_e32 v45, v0, v16, vcc
.LBB81_30:                              ;   in Loop: Header=BB81_12 Depth=1
	s_or_b64 exec, exec, s[22:23]
	scratch_load_dwordx4 v[0:3], off, off offset:56 ; 16-byte Folded Reload
	s_mov_b32 s2, 0x41a00000
	s_waitcnt vmcnt(0)
	v_cvt_f32_f16_sdwa v0, v2 dst_sel:DWORD dst_unused:UNUSED_PAD src0_sel:WORD_1
	v_add_f32_e32 v46, s33, v0
	v_cmp_ge_f32_e32 vcc, s2, v46
	s_and_b64 s[2:3], s[80:81], vcc
	s_and_saveexec_b64 s[22:23], s[2:3]
	s_cbranch_execz .LBB81_32
; %bb.31:                               ;   in Loop: Header=BB81_12 Depth=1
	v_mul_f32_e32 v0, 0x3fb8aa3b, v46
	v_rndne_f32_e32 v1, v0
	v_sub_f32_e32 v2, v0, v1
	v_fma_f32 v0, v46, s26, -v0
	v_fmac_f32_e32 v0, 0x32a5705f, v46
	v_add_f32_e32 v0, v2, v0
	v_cvt_i32_f32_e32 v1, v1
	v_exp_f32_e32 v0, v0
	v_cmp_ngt_f32_e32 vcc, s27, v46
	v_ldexp_f32 v0, v0, v1
	s_nop 0
	v_cndmask_b32_e32 v0, 0, v0, vcc
	v_cmp_nlt_f32_e32 vcc, s28, v46
	s_nop 1
	v_cndmask_b32_e32 v16, v31, v0, vcc
	v_add_f32_e32 v2, 1.0, v16
	v_add_f32_e32 v0, -1.0, v2
	v_sub_f32_e32 v1, v0, v2
	v_add_f32_e32 v1, 1.0, v1
	v_sub_f32_e32 v0, v16, v0
	v_add_f32_e32 v3, v0, v1
	v_frexp_mant_f32_e32 v4, v2
	v_cvt_f64_f32_e32 v[0:1], v2
	v_frexp_exp_i32_f64_e32 v0, v[0:1]
	v_cmp_gt_f32_e32 vcc, s30, v4
	v_cmp_gt_f32_e64 s[2:3], s34, v16
	s_nop 0
	v_subbrev_co_u32_e32 v8, vcc, 0, v0, vcc
	v_sub_u32_e32 v0, 0, v8
	v_ldexp_f32 v1, v2, v0
	v_add_f32_e32 v2, -1.0, v1
	v_add_f32_e32 v4, 1.0, v1
	v_ldexp_f32 v0, v3, v0
	v_add_f32_e32 v3, 1.0, v2
	v_add_f32_e32 v5, -1.0, v4
	v_sub_f32_e32 v3, v1, v3
	v_sub_f32_e32 v1, v1, v5
	v_add_f32_e32 v3, v0, v3
	v_add_f32_e32 v0, v0, v1
	;; [unrolled: 1-line block ×3, first 2 shown]
	v_rcp_f32_e32 v11, v9
	v_sub_f32_e32 v1, v4, v9
	v_add_f32_e32 v10, v0, v1
	v_add_f32_e32 v1, v2, v3
	v_mul_f32_e32 v13, v1, v11
	v_sub_f32_e32 v0, v2, v1
	v_mul_f32_e32 v2, v9, v13
	v_fma_f32 v4, v13, v9, -v2
	v_fmac_f32_e32 v4, v13, v10
	v_add_f32_e32 v12, v3, v0
	v_add_f32_e32 v0, v2, v4
	v_sub_f32_e32 v3, v1, v0
	v_pk_add_f32 v[6:7], v[0:1], v[2:3] neg_lo:[0,1] neg_hi:[0,1]
	v_mov_b32_e32 v5, v0
	v_pk_add_f32 v[0:1], v[6:7], v[4:5] neg_lo:[0,1] neg_hi:[0,1]
	v_cmp_eq_f32_e32 vcc, s29, v16
	v_add_f32_e32 v1, v12, v1
	v_add_f32_e32 v0, v0, v1
	;; [unrolled: 1-line block ×3, first 2 shown]
	v_mul_f32_e32 v12, v11, v1
	v_mul_f32_e32 v2, v9, v12
	v_fma_f32 v4, v12, v9, -v2
	v_fmac_f32_e32 v4, v12, v10
	v_sub_f32_e32 v3, v3, v1
	v_add_f32_e32 v9, v0, v3
	v_add_f32_e32 v0, v2, v4
	v_sub_f32_e32 v3, v1, v0
	v_pk_add_f32 v[6:7], v[0:1], v[2:3] neg_lo:[0,1] neg_hi:[0,1]
	v_mov_b32_e32 v5, v0
	v_pk_add_f32 v[0:1], v[6:7], v[4:5] neg_lo:[0,1] neg_hi:[0,1]
	s_or_b64 vcc, s[2:3], vcc
	v_add_f32_e32 v1, v9, v1
	v_add_f32_e32 v0, v0, v1
	;; [unrolled: 1-line block ×4, first 2 shown]
	v_sub_f32_e32 v2, v1, v13
	v_mul_f32_e32 v0, v11, v0
	v_sub_f32_e32 v2, v12, v2
	v_add_f32_e32 v2, v2, v0
	v_add_f32_e32 v4, v1, v2
	v_mul_f32_e32 v5, v4, v4
	v_fmamk_f32 v0, v5, 0x3e9b6dac, v30
	v_fmaak_f32 v33, v5, v0, 0x3f2aaada
	v_cvt_f32_i32_e32 v0, v8
	v_sub_f32_e32 v1, v4, v1
	v_sub_f32_e32 v1, v2, v1
	v_ldexp_f32 v6, v1, 1
	v_mul_f32_e32 v1, v4, v5
	v_ldexp_f32 v3, v4, 1
	v_pk_mul_f32 v[4:5], v[0:1], v[32:33]
	s_nop 0
	v_fma_f32 v2, v0, s31, -v4
	v_fmac_f32_e32 v2, 0xb102e308, v0
	v_pk_add_f32 v[0:1], v[4:5], v[2:3]
	s_nop 0
	v_sub_f32_e32 v3, v1, v3
	v_sub_f32_e32 v3, v5, v3
	v_add_f32_e32 v7, v6, v3
	v_mov_b32_e32 v6, v4
	v_pk_add_f32 v[4:5], v[0:1], v[4:5] neg_lo:[0,1] neg_hi:[0,1]
	v_pk_add_f32 v[8:9], v[0:1], v[6:7]
	v_mov_b32_e32 v3, v0
	v_mov_b32_e32 v5, v9
	v_pk_add_f32 v[10:11], v[2:3], v[4:5] neg_lo:[0,1] neg_hi:[0,1]
	v_pk_add_f32 v[2:3], v[2:3], v[4:5]
	v_mov_b32_e32 v6, v7
	v_mov_b32_e32 v4, v3
	v_pk_add_f32 v[12:13], v[4:5], v[0:1] neg_lo:[0,1] neg_hi:[0,1]
	v_mov_b32_e32 v2, v9
	v_mov_b32_e32 v5, v12
	v_pk_add_f32 v[14:15], v[8:9], v[4:5] neg_lo:[0,1] neg_hi:[0,1]
	v_mov_b32_e32 v8, v1
	v_mov_b32_e32 v9, v12
	;; [unrolled: 1-line block ×3, first 2 shown]
	v_pk_add_f32 v[2:3], v[2:3], v[8:9] neg_lo:[0,1] neg_hi:[0,1]
	v_mov_b32_e32 v7, v0
	v_pk_add_f32 v[0:1], v[6:7], v[2:3] neg_lo:[0,1] neg_hi:[0,1]
	v_mov_b32_e32 v14, v10
	v_pk_add_f32 v[2:3], v[14:15], v[0:1]
	s_nop 0
	v_mov_b32_e32 v6, v3
	v_pk_add_f32 v[6:7], v[2:3], v[6:7]
	s_nop 0
	v_pk_add_f32 v[4:5], v[4:5], v[6:7]
	v_mov_b32_e32 v1, v6
	v_mov_b32_e32 v3, v4
	v_pk_add_f32 v[8:9], v[2:3], v[10:11] neg_lo:[0,1] neg_hi:[0,1]
	s_nop 0
	v_sub_f32_e32 v2, v2, v8
	v_pk_add_f32 v[0:1], v[0:1], v[8:9] neg_lo:[0,1] neg_hi:[0,1]
	v_sub_f32_e32 v2, v10, v2
	v_add_f32_e32 v0, v0, v2
	v_add_f32_e32 v0, v0, v1
	;; [unrolled: 1-line block ×3, first 2 shown]
	v_cndmask_b32_e32 v46, v0, v16, vcc
.LBB81_32:                              ;   in Loop: Header=BB81_12 Depth=1
	s_or_b64 exec, exec, s[22:23]
	scratch_load_dwordx4 v[0:3], off, off offset:56 ; 16-byte Folded Reload
	s_mov_b32 s2, 0x41a00000
	s_waitcnt vmcnt(0)
	v_cvt_f32_f16_e32 v0, v3
	v_add_f32_e32 v47, s33, v0
	v_cmp_ge_f32_e32 vcc, s2, v47
	s_and_b64 s[2:3], s[80:81], vcc
	s_and_saveexec_b64 s[22:23], s[2:3]
	s_cbranch_execz .LBB81_34
; %bb.33:                               ;   in Loop: Header=BB81_12 Depth=1
	v_mul_f32_e32 v0, 0x3fb8aa3b, v47
	v_rndne_f32_e32 v1, v0
	v_sub_f32_e32 v2, v0, v1
	v_fma_f32 v0, v47, s26, -v0
	v_fmac_f32_e32 v0, 0x32a5705f, v47
	v_add_f32_e32 v0, v2, v0
	v_cvt_i32_f32_e32 v1, v1
	v_exp_f32_e32 v0, v0
	v_cmp_ngt_f32_e32 vcc, s27, v47
	v_ldexp_f32 v0, v0, v1
	s_nop 0
	v_cndmask_b32_e32 v0, 0, v0, vcc
	v_cmp_nlt_f32_e32 vcc, s28, v47
	s_nop 1
	v_cndmask_b32_e32 v16, v31, v0, vcc
	v_add_f32_e32 v2, 1.0, v16
	v_add_f32_e32 v0, -1.0, v2
	v_sub_f32_e32 v1, v0, v2
	v_add_f32_e32 v1, 1.0, v1
	v_sub_f32_e32 v0, v16, v0
	v_add_f32_e32 v3, v0, v1
	v_frexp_mant_f32_e32 v4, v2
	v_cvt_f64_f32_e32 v[0:1], v2
	v_frexp_exp_i32_f64_e32 v0, v[0:1]
	v_cmp_gt_f32_e32 vcc, s30, v4
	v_cmp_gt_f32_e64 s[2:3], s34, v16
	s_nop 0
	v_subbrev_co_u32_e32 v8, vcc, 0, v0, vcc
	v_sub_u32_e32 v0, 0, v8
	v_ldexp_f32 v1, v2, v0
	v_add_f32_e32 v2, -1.0, v1
	v_add_f32_e32 v4, 1.0, v1
	v_ldexp_f32 v0, v3, v0
	v_add_f32_e32 v3, 1.0, v2
	v_add_f32_e32 v5, -1.0, v4
	v_sub_f32_e32 v3, v1, v3
	v_sub_f32_e32 v1, v1, v5
	v_add_f32_e32 v3, v0, v3
	v_add_f32_e32 v0, v0, v1
	;; [unrolled: 1-line block ×3, first 2 shown]
	v_rcp_f32_e32 v11, v9
	v_sub_f32_e32 v1, v4, v9
	v_add_f32_e32 v10, v0, v1
	v_add_f32_e32 v1, v2, v3
	v_mul_f32_e32 v13, v1, v11
	v_sub_f32_e32 v0, v2, v1
	v_mul_f32_e32 v2, v9, v13
	v_fma_f32 v4, v13, v9, -v2
	v_fmac_f32_e32 v4, v13, v10
	v_add_f32_e32 v12, v3, v0
	v_add_f32_e32 v0, v2, v4
	v_sub_f32_e32 v3, v1, v0
	v_pk_add_f32 v[6:7], v[0:1], v[2:3] neg_lo:[0,1] neg_hi:[0,1]
	v_mov_b32_e32 v5, v0
	v_pk_add_f32 v[0:1], v[6:7], v[4:5] neg_lo:[0,1] neg_hi:[0,1]
	v_cmp_eq_f32_e32 vcc, s29, v16
	v_add_f32_e32 v1, v12, v1
	v_add_f32_e32 v0, v0, v1
	;; [unrolled: 1-line block ×3, first 2 shown]
	v_mul_f32_e32 v12, v11, v1
	v_mul_f32_e32 v2, v9, v12
	v_fma_f32 v4, v12, v9, -v2
	v_fmac_f32_e32 v4, v12, v10
	v_sub_f32_e32 v3, v3, v1
	v_add_f32_e32 v9, v0, v3
	v_add_f32_e32 v0, v2, v4
	v_sub_f32_e32 v3, v1, v0
	v_pk_add_f32 v[6:7], v[0:1], v[2:3] neg_lo:[0,1] neg_hi:[0,1]
	v_mov_b32_e32 v5, v0
	v_pk_add_f32 v[0:1], v[6:7], v[4:5] neg_lo:[0,1] neg_hi:[0,1]
	s_or_b64 vcc, s[2:3], vcc
	v_add_f32_e32 v1, v9, v1
	v_add_f32_e32 v0, v0, v1
	;; [unrolled: 1-line block ×4, first 2 shown]
	v_sub_f32_e32 v2, v1, v13
	v_mul_f32_e32 v0, v11, v0
	v_sub_f32_e32 v2, v12, v2
	v_add_f32_e32 v2, v2, v0
	v_add_f32_e32 v4, v1, v2
	v_mul_f32_e32 v5, v4, v4
	v_fmamk_f32 v0, v5, 0x3e9b6dac, v30
	v_fmaak_f32 v33, v5, v0, 0x3f2aaada
	v_cvt_f32_i32_e32 v0, v8
	v_sub_f32_e32 v1, v4, v1
	v_sub_f32_e32 v1, v2, v1
	v_ldexp_f32 v6, v1, 1
	v_mul_f32_e32 v1, v4, v5
	v_ldexp_f32 v3, v4, 1
	v_pk_mul_f32 v[4:5], v[0:1], v[32:33]
	s_nop 0
	v_fma_f32 v2, v0, s31, -v4
	v_fmac_f32_e32 v2, 0xb102e308, v0
	v_pk_add_f32 v[0:1], v[4:5], v[2:3]
	s_nop 0
	v_sub_f32_e32 v3, v1, v3
	v_sub_f32_e32 v3, v5, v3
	v_add_f32_e32 v7, v6, v3
	v_mov_b32_e32 v6, v4
	v_pk_add_f32 v[4:5], v[0:1], v[4:5] neg_lo:[0,1] neg_hi:[0,1]
	v_pk_add_f32 v[8:9], v[0:1], v[6:7]
	v_mov_b32_e32 v3, v0
	v_mov_b32_e32 v5, v9
	v_pk_add_f32 v[10:11], v[2:3], v[4:5] neg_lo:[0,1] neg_hi:[0,1]
	v_pk_add_f32 v[2:3], v[2:3], v[4:5]
	v_mov_b32_e32 v6, v7
	v_mov_b32_e32 v4, v3
	v_pk_add_f32 v[12:13], v[4:5], v[0:1] neg_lo:[0,1] neg_hi:[0,1]
	v_mov_b32_e32 v2, v9
	v_mov_b32_e32 v5, v12
	v_pk_add_f32 v[14:15], v[8:9], v[4:5] neg_lo:[0,1] neg_hi:[0,1]
	v_mov_b32_e32 v8, v1
	v_mov_b32_e32 v9, v12
	;; [unrolled: 1-line block ×3, first 2 shown]
	v_pk_add_f32 v[2:3], v[2:3], v[8:9] neg_lo:[0,1] neg_hi:[0,1]
	v_mov_b32_e32 v7, v0
	v_pk_add_f32 v[0:1], v[6:7], v[2:3] neg_lo:[0,1] neg_hi:[0,1]
	v_mov_b32_e32 v14, v10
	v_pk_add_f32 v[2:3], v[14:15], v[0:1]
	s_nop 0
	v_mov_b32_e32 v6, v3
	v_pk_add_f32 v[6:7], v[2:3], v[6:7]
	s_nop 0
	v_pk_add_f32 v[4:5], v[4:5], v[6:7]
	v_mov_b32_e32 v1, v6
	v_mov_b32_e32 v3, v4
	v_pk_add_f32 v[8:9], v[2:3], v[10:11] neg_lo:[0,1] neg_hi:[0,1]
	s_nop 0
	v_sub_f32_e32 v2, v2, v8
	v_pk_add_f32 v[0:1], v[0:1], v[8:9] neg_lo:[0,1] neg_hi:[0,1]
	v_sub_f32_e32 v2, v10, v2
	v_add_f32_e32 v0, v0, v2
	v_add_f32_e32 v0, v0, v1
	;; [unrolled: 1-line block ×3, first 2 shown]
	v_cndmask_b32_e32 v47, v0, v16, vcc
.LBB81_34:                              ;   in Loop: Header=BB81_12 Depth=1
	s_or_b64 exec, exec, s[22:23]
	scratch_load_dwordx4 v[0:3], off, off offset:56 ; 16-byte Folded Reload
	s_mov_b32 s2, 0x41a00000
	s_waitcnt vmcnt(0)
	v_cvt_f32_f16_sdwa v0, v3 dst_sel:DWORD dst_unused:UNUSED_PAD src0_sel:WORD_1
	v_add_f32_e32 v48, s33, v0
	v_cmp_ge_f32_e32 vcc, s2, v48
	s_and_b64 s[2:3], s[80:81], vcc
	s_and_saveexec_b64 s[22:23], s[2:3]
	s_cbranch_execz .LBB81_36
; %bb.35:                               ;   in Loop: Header=BB81_12 Depth=1
	v_mul_f32_e32 v0, 0x3fb8aa3b, v48
	v_rndne_f32_e32 v1, v0
	v_sub_f32_e32 v2, v0, v1
	v_fma_f32 v0, v48, s26, -v0
	v_fmac_f32_e32 v0, 0x32a5705f, v48
	v_add_f32_e32 v0, v2, v0
	v_cvt_i32_f32_e32 v1, v1
	v_exp_f32_e32 v0, v0
	v_cmp_ngt_f32_e32 vcc, s27, v48
	v_ldexp_f32 v0, v0, v1
	s_nop 0
	v_cndmask_b32_e32 v0, 0, v0, vcc
	v_cmp_nlt_f32_e32 vcc, s28, v48
	s_nop 1
	v_cndmask_b32_e32 v16, v31, v0, vcc
	v_add_f32_e32 v2, 1.0, v16
	v_add_f32_e32 v0, -1.0, v2
	v_sub_f32_e32 v1, v0, v2
	v_add_f32_e32 v1, 1.0, v1
	v_sub_f32_e32 v0, v16, v0
	v_add_f32_e32 v3, v0, v1
	v_frexp_mant_f32_e32 v4, v2
	v_cvt_f64_f32_e32 v[0:1], v2
	v_frexp_exp_i32_f64_e32 v0, v[0:1]
	v_cmp_gt_f32_e32 vcc, s30, v4
	v_cmp_gt_f32_e64 s[2:3], s34, v16
	s_nop 0
	v_subbrev_co_u32_e32 v8, vcc, 0, v0, vcc
	v_sub_u32_e32 v0, 0, v8
	v_ldexp_f32 v1, v2, v0
	v_add_f32_e32 v2, -1.0, v1
	v_add_f32_e32 v4, 1.0, v1
	v_ldexp_f32 v0, v3, v0
	v_add_f32_e32 v3, 1.0, v2
	v_add_f32_e32 v5, -1.0, v4
	v_sub_f32_e32 v3, v1, v3
	v_sub_f32_e32 v1, v1, v5
	v_add_f32_e32 v3, v0, v3
	v_add_f32_e32 v0, v0, v1
	;; [unrolled: 1-line block ×3, first 2 shown]
	v_rcp_f32_e32 v11, v9
	v_sub_f32_e32 v1, v4, v9
	v_add_f32_e32 v10, v0, v1
	v_add_f32_e32 v1, v2, v3
	v_mul_f32_e32 v13, v1, v11
	v_sub_f32_e32 v0, v2, v1
	v_mul_f32_e32 v2, v9, v13
	v_fma_f32 v4, v13, v9, -v2
	v_fmac_f32_e32 v4, v13, v10
	v_add_f32_e32 v12, v3, v0
	v_add_f32_e32 v0, v2, v4
	v_sub_f32_e32 v3, v1, v0
	v_pk_add_f32 v[6:7], v[0:1], v[2:3] neg_lo:[0,1] neg_hi:[0,1]
	v_mov_b32_e32 v5, v0
	v_pk_add_f32 v[0:1], v[6:7], v[4:5] neg_lo:[0,1] neg_hi:[0,1]
	v_cmp_eq_f32_e32 vcc, s29, v16
	v_add_f32_e32 v1, v12, v1
	v_add_f32_e32 v0, v0, v1
	;; [unrolled: 1-line block ×3, first 2 shown]
	v_mul_f32_e32 v12, v11, v1
	v_mul_f32_e32 v2, v9, v12
	v_fma_f32 v4, v12, v9, -v2
	v_fmac_f32_e32 v4, v12, v10
	v_sub_f32_e32 v3, v3, v1
	v_add_f32_e32 v9, v0, v3
	v_add_f32_e32 v0, v2, v4
	v_sub_f32_e32 v3, v1, v0
	v_pk_add_f32 v[6:7], v[0:1], v[2:3] neg_lo:[0,1] neg_hi:[0,1]
	v_mov_b32_e32 v5, v0
	v_pk_add_f32 v[0:1], v[6:7], v[4:5] neg_lo:[0,1] neg_hi:[0,1]
	s_or_b64 vcc, s[2:3], vcc
	v_add_f32_e32 v1, v9, v1
	v_add_f32_e32 v0, v0, v1
	;; [unrolled: 1-line block ×4, first 2 shown]
	v_sub_f32_e32 v2, v1, v13
	v_mul_f32_e32 v0, v11, v0
	v_sub_f32_e32 v2, v12, v2
	v_add_f32_e32 v2, v2, v0
	v_add_f32_e32 v4, v1, v2
	v_mul_f32_e32 v5, v4, v4
	v_fmamk_f32 v0, v5, 0x3e9b6dac, v30
	v_fmaak_f32 v33, v5, v0, 0x3f2aaada
	v_cvt_f32_i32_e32 v0, v8
	v_sub_f32_e32 v1, v4, v1
	v_sub_f32_e32 v1, v2, v1
	v_ldexp_f32 v6, v1, 1
	v_mul_f32_e32 v1, v4, v5
	v_ldexp_f32 v3, v4, 1
	v_pk_mul_f32 v[4:5], v[0:1], v[32:33]
	s_nop 0
	v_fma_f32 v2, v0, s31, -v4
	v_fmac_f32_e32 v2, 0xb102e308, v0
	v_pk_add_f32 v[0:1], v[4:5], v[2:3]
	s_nop 0
	v_sub_f32_e32 v3, v1, v3
	v_sub_f32_e32 v3, v5, v3
	v_add_f32_e32 v7, v6, v3
	v_mov_b32_e32 v6, v4
	v_pk_add_f32 v[4:5], v[0:1], v[4:5] neg_lo:[0,1] neg_hi:[0,1]
	v_pk_add_f32 v[8:9], v[0:1], v[6:7]
	v_mov_b32_e32 v3, v0
	v_mov_b32_e32 v5, v9
	v_pk_add_f32 v[10:11], v[2:3], v[4:5] neg_lo:[0,1] neg_hi:[0,1]
	v_pk_add_f32 v[2:3], v[2:3], v[4:5]
	v_mov_b32_e32 v6, v7
	v_mov_b32_e32 v4, v3
	v_pk_add_f32 v[12:13], v[4:5], v[0:1] neg_lo:[0,1] neg_hi:[0,1]
	v_mov_b32_e32 v2, v9
	v_mov_b32_e32 v5, v12
	v_pk_add_f32 v[14:15], v[8:9], v[4:5] neg_lo:[0,1] neg_hi:[0,1]
	v_mov_b32_e32 v8, v1
	v_mov_b32_e32 v9, v12
	;; [unrolled: 1-line block ×3, first 2 shown]
	v_pk_add_f32 v[2:3], v[2:3], v[8:9] neg_lo:[0,1] neg_hi:[0,1]
	v_mov_b32_e32 v7, v0
	v_pk_add_f32 v[0:1], v[6:7], v[2:3] neg_lo:[0,1] neg_hi:[0,1]
	v_mov_b32_e32 v14, v10
	v_pk_add_f32 v[2:3], v[14:15], v[0:1]
	s_nop 0
	v_mov_b32_e32 v6, v3
	v_pk_add_f32 v[6:7], v[2:3], v[6:7]
	s_nop 0
	v_pk_add_f32 v[4:5], v[4:5], v[6:7]
	v_mov_b32_e32 v1, v6
	v_mov_b32_e32 v3, v4
	v_pk_add_f32 v[8:9], v[2:3], v[10:11] neg_lo:[0,1] neg_hi:[0,1]
	s_nop 0
	v_sub_f32_e32 v2, v2, v8
	v_pk_add_f32 v[0:1], v[0:1], v[8:9] neg_lo:[0,1] neg_hi:[0,1]
	v_sub_f32_e32 v2, v10, v2
	v_add_f32_e32 v0, v0, v2
	v_add_f32_e32 v0, v0, v1
	;; [unrolled: 1-line block ×3, first 2 shown]
	v_cndmask_b32_e32 v48, v0, v16, vcc
.LBB81_36:                              ;   in Loop: Header=BB81_12 Depth=1
	s_or_b64 exec, exec, s[22:23]
	s_waitcnt lgkmcnt(0)
	v_cvt_f32_f16_e32 v0, v38
	s_mov_b32 s2, 0x41a00000
	v_add_f32_e32 v49, s33, v0
	v_cmp_ge_f32_e32 vcc, s2, v49
	s_and_b64 s[2:3], s[80:81], vcc
	s_and_saveexec_b64 s[22:23], s[2:3]
	s_cbranch_execz .LBB81_38
; %bb.37:                               ;   in Loop: Header=BB81_12 Depth=1
	v_mul_f32_e32 v0, 0x3fb8aa3b, v49
	v_rndne_f32_e32 v1, v0
	v_sub_f32_e32 v2, v0, v1
	v_fma_f32 v0, v49, s26, -v0
	v_fmac_f32_e32 v0, 0x32a5705f, v49
	v_add_f32_e32 v0, v2, v0
	v_cvt_i32_f32_e32 v1, v1
	v_exp_f32_e32 v0, v0
	v_cmp_ngt_f32_e32 vcc, s27, v49
	v_ldexp_f32 v0, v0, v1
	s_nop 0
	v_cndmask_b32_e32 v0, 0, v0, vcc
	v_cmp_nlt_f32_e32 vcc, s28, v49
	s_nop 1
	v_cndmask_b32_e32 v16, v31, v0, vcc
	v_add_f32_e32 v2, 1.0, v16
	v_add_f32_e32 v0, -1.0, v2
	v_sub_f32_e32 v1, v0, v2
	v_add_f32_e32 v1, 1.0, v1
	v_sub_f32_e32 v0, v16, v0
	v_add_f32_e32 v3, v0, v1
	v_frexp_mant_f32_e32 v4, v2
	v_cvt_f64_f32_e32 v[0:1], v2
	v_frexp_exp_i32_f64_e32 v0, v[0:1]
	v_cmp_gt_f32_e32 vcc, s30, v4
	v_cmp_gt_f32_e64 s[2:3], s34, v16
	s_nop 0
	v_subbrev_co_u32_e32 v8, vcc, 0, v0, vcc
	v_sub_u32_e32 v0, 0, v8
	v_ldexp_f32 v1, v2, v0
	v_add_f32_e32 v2, -1.0, v1
	v_add_f32_e32 v4, 1.0, v1
	v_ldexp_f32 v0, v3, v0
	v_add_f32_e32 v3, 1.0, v2
	v_add_f32_e32 v5, -1.0, v4
	v_sub_f32_e32 v3, v1, v3
	v_sub_f32_e32 v1, v1, v5
	v_add_f32_e32 v3, v0, v3
	v_add_f32_e32 v0, v0, v1
	;; [unrolled: 1-line block ×3, first 2 shown]
	v_rcp_f32_e32 v11, v9
	v_sub_f32_e32 v1, v4, v9
	v_add_f32_e32 v10, v0, v1
	v_add_f32_e32 v1, v2, v3
	v_mul_f32_e32 v13, v1, v11
	v_sub_f32_e32 v0, v2, v1
	v_mul_f32_e32 v2, v9, v13
	v_fma_f32 v4, v13, v9, -v2
	v_fmac_f32_e32 v4, v13, v10
	v_add_f32_e32 v12, v3, v0
	v_add_f32_e32 v0, v2, v4
	v_sub_f32_e32 v3, v1, v0
	v_pk_add_f32 v[6:7], v[0:1], v[2:3] neg_lo:[0,1] neg_hi:[0,1]
	v_mov_b32_e32 v5, v0
	v_pk_add_f32 v[0:1], v[6:7], v[4:5] neg_lo:[0,1] neg_hi:[0,1]
	v_cmp_eq_f32_e32 vcc, s29, v16
	v_add_f32_e32 v1, v12, v1
	v_add_f32_e32 v0, v0, v1
	;; [unrolled: 1-line block ×3, first 2 shown]
	v_mul_f32_e32 v12, v11, v1
	v_mul_f32_e32 v2, v9, v12
	v_fma_f32 v4, v12, v9, -v2
	v_fmac_f32_e32 v4, v12, v10
	v_sub_f32_e32 v3, v3, v1
	v_add_f32_e32 v9, v0, v3
	v_add_f32_e32 v0, v2, v4
	v_sub_f32_e32 v3, v1, v0
	v_pk_add_f32 v[6:7], v[0:1], v[2:3] neg_lo:[0,1] neg_hi:[0,1]
	v_mov_b32_e32 v5, v0
	v_pk_add_f32 v[0:1], v[6:7], v[4:5] neg_lo:[0,1] neg_hi:[0,1]
	s_or_b64 vcc, s[2:3], vcc
	v_add_f32_e32 v1, v9, v1
	v_add_f32_e32 v0, v0, v1
	;; [unrolled: 1-line block ×4, first 2 shown]
	v_sub_f32_e32 v2, v1, v13
	v_mul_f32_e32 v0, v11, v0
	v_sub_f32_e32 v2, v12, v2
	v_add_f32_e32 v2, v2, v0
	v_add_f32_e32 v4, v1, v2
	v_mul_f32_e32 v5, v4, v4
	v_fmamk_f32 v0, v5, 0x3e9b6dac, v30
	v_fmaak_f32 v33, v5, v0, 0x3f2aaada
	v_cvt_f32_i32_e32 v0, v8
	v_sub_f32_e32 v1, v4, v1
	v_sub_f32_e32 v1, v2, v1
	v_ldexp_f32 v6, v1, 1
	v_mul_f32_e32 v1, v4, v5
	v_ldexp_f32 v3, v4, 1
	v_pk_mul_f32 v[4:5], v[0:1], v[32:33]
	s_nop 0
	v_fma_f32 v2, v0, s31, -v4
	v_fmac_f32_e32 v2, 0xb102e308, v0
	v_pk_add_f32 v[0:1], v[4:5], v[2:3]
	s_nop 0
	v_sub_f32_e32 v3, v1, v3
	v_sub_f32_e32 v3, v5, v3
	v_add_f32_e32 v7, v6, v3
	v_mov_b32_e32 v6, v4
	v_pk_add_f32 v[4:5], v[0:1], v[4:5] neg_lo:[0,1] neg_hi:[0,1]
	v_pk_add_f32 v[8:9], v[0:1], v[6:7]
	v_mov_b32_e32 v3, v0
	v_mov_b32_e32 v5, v9
	v_pk_add_f32 v[10:11], v[2:3], v[4:5] neg_lo:[0,1] neg_hi:[0,1]
	v_pk_add_f32 v[2:3], v[2:3], v[4:5]
	v_mov_b32_e32 v6, v7
	v_mov_b32_e32 v4, v3
	v_pk_add_f32 v[12:13], v[4:5], v[0:1] neg_lo:[0,1] neg_hi:[0,1]
	v_mov_b32_e32 v2, v9
	v_mov_b32_e32 v5, v12
	v_pk_add_f32 v[14:15], v[8:9], v[4:5] neg_lo:[0,1] neg_hi:[0,1]
	v_mov_b32_e32 v8, v1
	v_mov_b32_e32 v9, v12
	;; [unrolled: 1-line block ×3, first 2 shown]
	v_pk_add_f32 v[2:3], v[2:3], v[8:9] neg_lo:[0,1] neg_hi:[0,1]
	v_mov_b32_e32 v7, v0
	v_pk_add_f32 v[0:1], v[6:7], v[2:3] neg_lo:[0,1] neg_hi:[0,1]
	v_mov_b32_e32 v14, v10
	v_pk_add_f32 v[2:3], v[14:15], v[0:1]
	s_nop 0
	v_mov_b32_e32 v6, v3
	v_pk_add_f32 v[6:7], v[2:3], v[6:7]
	s_nop 0
	v_pk_add_f32 v[4:5], v[4:5], v[6:7]
	v_mov_b32_e32 v1, v6
	v_mov_b32_e32 v3, v4
	v_pk_add_f32 v[8:9], v[2:3], v[10:11] neg_lo:[0,1] neg_hi:[0,1]
	s_nop 0
	v_sub_f32_e32 v2, v2, v8
	v_pk_add_f32 v[0:1], v[0:1], v[8:9] neg_lo:[0,1] neg_hi:[0,1]
	v_sub_f32_e32 v2, v10, v2
	v_add_f32_e32 v0, v0, v2
	v_add_f32_e32 v0, v0, v1
	;; [unrolled: 1-line block ×3, first 2 shown]
	v_cndmask_b32_e32 v49, v0, v16, vcc
.LBB81_38:                              ;   in Loop: Header=BB81_12 Depth=1
	s_or_b64 exec, exec, s[22:23]
	v_cvt_f32_f16_sdwa v0, v38 dst_sel:DWORD dst_unused:UNUSED_PAD src0_sel:WORD_1
	s_mov_b32 s2, 0x41a00000
	v_add_f32_e32 v92, s33, v0
	v_cmp_ge_f32_e32 vcc, s2, v92
	s_and_b64 s[2:3], s[80:81], vcc
	s_and_saveexec_b64 s[22:23], s[2:3]
	s_cbranch_execz .LBB81_40
; %bb.39:                               ;   in Loop: Header=BB81_12 Depth=1
	v_mul_f32_e32 v0, 0x3fb8aa3b, v92
	v_rndne_f32_e32 v1, v0
	v_sub_f32_e32 v2, v0, v1
	v_fma_f32 v0, v92, s26, -v0
	v_fmac_f32_e32 v0, 0x32a5705f, v92
	v_add_f32_e32 v0, v2, v0
	v_cvt_i32_f32_e32 v1, v1
	v_exp_f32_e32 v0, v0
	v_cmp_ngt_f32_e32 vcc, s27, v92
	v_ldexp_f32 v0, v0, v1
	s_nop 0
	v_cndmask_b32_e32 v0, 0, v0, vcc
	v_cmp_nlt_f32_e32 vcc, s28, v92
	s_nop 1
	v_cndmask_b32_e32 v16, v31, v0, vcc
	v_add_f32_e32 v2, 1.0, v16
	v_add_f32_e32 v0, -1.0, v2
	v_sub_f32_e32 v1, v0, v2
	v_add_f32_e32 v1, 1.0, v1
	v_sub_f32_e32 v0, v16, v0
	v_add_f32_e32 v3, v0, v1
	v_frexp_mant_f32_e32 v4, v2
	v_cvt_f64_f32_e32 v[0:1], v2
	v_frexp_exp_i32_f64_e32 v0, v[0:1]
	v_cmp_gt_f32_e32 vcc, s30, v4
	v_cmp_gt_f32_e64 s[2:3], s34, v16
	s_nop 0
	v_subbrev_co_u32_e32 v8, vcc, 0, v0, vcc
	v_sub_u32_e32 v0, 0, v8
	v_ldexp_f32 v1, v2, v0
	v_add_f32_e32 v2, -1.0, v1
	v_add_f32_e32 v4, 1.0, v1
	v_ldexp_f32 v0, v3, v0
	v_add_f32_e32 v3, 1.0, v2
	v_add_f32_e32 v5, -1.0, v4
	v_sub_f32_e32 v3, v1, v3
	v_sub_f32_e32 v1, v1, v5
	v_add_f32_e32 v3, v0, v3
	v_add_f32_e32 v0, v0, v1
	;; [unrolled: 1-line block ×3, first 2 shown]
	v_rcp_f32_e32 v11, v9
	v_sub_f32_e32 v1, v4, v9
	v_add_f32_e32 v10, v0, v1
	v_add_f32_e32 v1, v2, v3
	v_mul_f32_e32 v13, v1, v11
	v_sub_f32_e32 v0, v2, v1
	v_mul_f32_e32 v2, v9, v13
	v_fma_f32 v4, v13, v9, -v2
	v_fmac_f32_e32 v4, v13, v10
	v_add_f32_e32 v12, v3, v0
	v_add_f32_e32 v0, v2, v4
	v_sub_f32_e32 v3, v1, v0
	v_pk_add_f32 v[6:7], v[0:1], v[2:3] neg_lo:[0,1] neg_hi:[0,1]
	v_mov_b32_e32 v5, v0
	v_pk_add_f32 v[0:1], v[6:7], v[4:5] neg_lo:[0,1] neg_hi:[0,1]
	v_cmp_eq_f32_e32 vcc, s29, v16
	v_add_f32_e32 v1, v12, v1
	v_add_f32_e32 v0, v0, v1
	;; [unrolled: 1-line block ×3, first 2 shown]
	v_mul_f32_e32 v12, v11, v1
	v_mul_f32_e32 v2, v9, v12
	v_fma_f32 v4, v12, v9, -v2
	v_fmac_f32_e32 v4, v12, v10
	v_sub_f32_e32 v3, v3, v1
	v_add_f32_e32 v9, v0, v3
	v_add_f32_e32 v0, v2, v4
	v_sub_f32_e32 v3, v1, v0
	v_pk_add_f32 v[6:7], v[0:1], v[2:3] neg_lo:[0,1] neg_hi:[0,1]
	v_mov_b32_e32 v5, v0
	v_pk_add_f32 v[0:1], v[6:7], v[4:5] neg_lo:[0,1] neg_hi:[0,1]
	s_or_b64 vcc, s[2:3], vcc
	v_add_f32_e32 v1, v9, v1
	v_add_f32_e32 v0, v0, v1
	;; [unrolled: 1-line block ×4, first 2 shown]
	v_sub_f32_e32 v2, v1, v13
	v_mul_f32_e32 v0, v11, v0
	v_sub_f32_e32 v2, v12, v2
	v_add_f32_e32 v2, v2, v0
	v_add_f32_e32 v4, v1, v2
	v_mul_f32_e32 v5, v4, v4
	v_fmamk_f32 v0, v5, 0x3e9b6dac, v30
	v_fmaak_f32 v33, v5, v0, 0x3f2aaada
	v_cvt_f32_i32_e32 v0, v8
	v_sub_f32_e32 v1, v4, v1
	v_sub_f32_e32 v1, v2, v1
	v_ldexp_f32 v6, v1, 1
	v_mul_f32_e32 v1, v4, v5
	v_ldexp_f32 v3, v4, 1
	v_pk_mul_f32 v[4:5], v[0:1], v[32:33]
	s_nop 0
	v_fma_f32 v2, v0, s31, -v4
	v_fmac_f32_e32 v2, 0xb102e308, v0
	v_pk_add_f32 v[0:1], v[4:5], v[2:3]
	s_nop 0
	v_sub_f32_e32 v3, v1, v3
	v_sub_f32_e32 v3, v5, v3
	v_add_f32_e32 v7, v6, v3
	v_mov_b32_e32 v6, v4
	v_pk_add_f32 v[4:5], v[0:1], v[4:5] neg_lo:[0,1] neg_hi:[0,1]
	v_pk_add_f32 v[8:9], v[0:1], v[6:7]
	v_mov_b32_e32 v3, v0
	v_mov_b32_e32 v5, v9
	v_pk_add_f32 v[10:11], v[2:3], v[4:5] neg_lo:[0,1] neg_hi:[0,1]
	v_pk_add_f32 v[2:3], v[2:3], v[4:5]
	v_mov_b32_e32 v6, v7
	v_mov_b32_e32 v4, v3
	v_pk_add_f32 v[12:13], v[4:5], v[0:1] neg_lo:[0,1] neg_hi:[0,1]
	v_mov_b32_e32 v2, v9
	v_mov_b32_e32 v5, v12
	v_pk_add_f32 v[14:15], v[8:9], v[4:5] neg_lo:[0,1] neg_hi:[0,1]
	v_mov_b32_e32 v8, v1
	v_mov_b32_e32 v9, v12
	;; [unrolled: 1-line block ×3, first 2 shown]
	v_pk_add_f32 v[2:3], v[2:3], v[8:9] neg_lo:[0,1] neg_hi:[0,1]
	v_mov_b32_e32 v7, v0
	v_pk_add_f32 v[0:1], v[6:7], v[2:3] neg_lo:[0,1] neg_hi:[0,1]
	v_mov_b32_e32 v14, v10
	v_pk_add_f32 v[2:3], v[14:15], v[0:1]
	s_nop 0
	v_mov_b32_e32 v6, v3
	v_pk_add_f32 v[6:7], v[2:3], v[6:7]
	s_nop 0
	v_pk_add_f32 v[4:5], v[4:5], v[6:7]
	v_mov_b32_e32 v1, v6
	v_mov_b32_e32 v3, v4
	v_pk_add_f32 v[8:9], v[2:3], v[10:11] neg_lo:[0,1] neg_hi:[0,1]
	s_nop 0
	v_sub_f32_e32 v2, v2, v8
	v_pk_add_f32 v[0:1], v[0:1], v[8:9] neg_lo:[0,1] neg_hi:[0,1]
	v_sub_f32_e32 v2, v10, v2
	v_add_f32_e32 v0, v0, v2
	v_add_f32_e32 v0, v0, v1
	v_add_f32_e32 v0, v4, v0
	v_cndmask_b32_e32 v92, v0, v16, vcc
.LBB81_40:                              ;   in Loop: Header=BB81_12 Depth=1
	s_or_b64 exec, exec, s[22:23]
	v_cvt_f32_f16_e32 v0, v39
	s_mov_b32 s2, 0x41a00000
	v_add_f32_e32 v85, s33, v0
	v_cmp_ge_f32_e32 vcc, s2, v85
	s_and_b64 s[2:3], s[80:81], vcc
	s_and_saveexec_b64 s[22:23], s[2:3]
	s_cbranch_execz .LBB81_42
; %bb.41:                               ;   in Loop: Header=BB81_12 Depth=1
	v_mul_f32_e32 v0, 0x3fb8aa3b, v85
	v_rndne_f32_e32 v1, v0
	v_sub_f32_e32 v2, v0, v1
	v_fma_f32 v0, v85, s26, -v0
	v_fmac_f32_e32 v0, 0x32a5705f, v85
	v_add_f32_e32 v0, v2, v0
	v_cvt_i32_f32_e32 v1, v1
	v_exp_f32_e32 v0, v0
	v_cmp_ngt_f32_e32 vcc, s27, v85
	v_ldexp_f32 v0, v0, v1
	s_nop 0
	v_cndmask_b32_e32 v0, 0, v0, vcc
	v_cmp_nlt_f32_e32 vcc, s28, v85
	s_nop 1
	v_cndmask_b32_e32 v16, v31, v0, vcc
	v_add_f32_e32 v2, 1.0, v16
	v_add_f32_e32 v0, -1.0, v2
	v_sub_f32_e32 v1, v0, v2
	v_add_f32_e32 v1, 1.0, v1
	v_sub_f32_e32 v0, v16, v0
	v_add_f32_e32 v3, v0, v1
	v_frexp_mant_f32_e32 v4, v2
	v_cvt_f64_f32_e32 v[0:1], v2
	v_frexp_exp_i32_f64_e32 v0, v[0:1]
	v_cmp_gt_f32_e32 vcc, s30, v4
	v_cmp_gt_f32_e64 s[2:3], s34, v16
	s_nop 0
	v_subbrev_co_u32_e32 v8, vcc, 0, v0, vcc
	v_sub_u32_e32 v0, 0, v8
	v_ldexp_f32 v1, v2, v0
	v_add_f32_e32 v2, -1.0, v1
	v_add_f32_e32 v4, 1.0, v1
	v_ldexp_f32 v0, v3, v0
	v_add_f32_e32 v3, 1.0, v2
	v_add_f32_e32 v5, -1.0, v4
	v_sub_f32_e32 v3, v1, v3
	v_sub_f32_e32 v1, v1, v5
	v_add_f32_e32 v3, v0, v3
	v_add_f32_e32 v0, v0, v1
	;; [unrolled: 1-line block ×3, first 2 shown]
	v_rcp_f32_e32 v11, v9
	v_sub_f32_e32 v1, v4, v9
	v_add_f32_e32 v10, v0, v1
	v_add_f32_e32 v1, v2, v3
	v_mul_f32_e32 v13, v1, v11
	v_sub_f32_e32 v0, v2, v1
	v_mul_f32_e32 v2, v9, v13
	v_fma_f32 v4, v13, v9, -v2
	v_fmac_f32_e32 v4, v13, v10
	v_add_f32_e32 v12, v3, v0
	v_add_f32_e32 v0, v2, v4
	v_sub_f32_e32 v3, v1, v0
	v_pk_add_f32 v[6:7], v[0:1], v[2:3] neg_lo:[0,1] neg_hi:[0,1]
	v_mov_b32_e32 v5, v0
	v_pk_add_f32 v[0:1], v[6:7], v[4:5] neg_lo:[0,1] neg_hi:[0,1]
	v_cmp_eq_f32_e32 vcc, s29, v16
	v_add_f32_e32 v1, v12, v1
	v_add_f32_e32 v0, v0, v1
	;; [unrolled: 1-line block ×3, first 2 shown]
	v_mul_f32_e32 v12, v11, v1
	v_mul_f32_e32 v2, v9, v12
	v_fma_f32 v4, v12, v9, -v2
	v_fmac_f32_e32 v4, v12, v10
	v_sub_f32_e32 v3, v3, v1
	v_add_f32_e32 v9, v0, v3
	v_add_f32_e32 v0, v2, v4
	v_sub_f32_e32 v3, v1, v0
	v_pk_add_f32 v[6:7], v[0:1], v[2:3] neg_lo:[0,1] neg_hi:[0,1]
	v_mov_b32_e32 v5, v0
	v_pk_add_f32 v[0:1], v[6:7], v[4:5] neg_lo:[0,1] neg_hi:[0,1]
	s_or_b64 vcc, s[2:3], vcc
	v_add_f32_e32 v1, v9, v1
	v_add_f32_e32 v0, v0, v1
	;; [unrolled: 1-line block ×4, first 2 shown]
	v_sub_f32_e32 v2, v1, v13
	v_mul_f32_e32 v0, v11, v0
	v_sub_f32_e32 v2, v12, v2
	v_add_f32_e32 v2, v2, v0
	v_add_f32_e32 v4, v1, v2
	v_mul_f32_e32 v5, v4, v4
	v_fmamk_f32 v0, v5, 0x3e9b6dac, v30
	v_fmaak_f32 v33, v5, v0, 0x3f2aaada
	v_cvt_f32_i32_e32 v0, v8
	v_sub_f32_e32 v1, v4, v1
	v_sub_f32_e32 v1, v2, v1
	v_ldexp_f32 v6, v1, 1
	v_mul_f32_e32 v1, v4, v5
	v_ldexp_f32 v3, v4, 1
	v_pk_mul_f32 v[4:5], v[0:1], v[32:33]
	s_nop 0
	v_fma_f32 v2, v0, s31, -v4
	v_fmac_f32_e32 v2, 0xb102e308, v0
	v_pk_add_f32 v[0:1], v[4:5], v[2:3]
	s_nop 0
	v_sub_f32_e32 v3, v1, v3
	v_sub_f32_e32 v3, v5, v3
	v_add_f32_e32 v7, v6, v3
	v_mov_b32_e32 v6, v4
	v_pk_add_f32 v[4:5], v[0:1], v[4:5] neg_lo:[0,1] neg_hi:[0,1]
	v_pk_add_f32 v[8:9], v[0:1], v[6:7]
	v_mov_b32_e32 v3, v0
	v_mov_b32_e32 v5, v9
	v_pk_add_f32 v[10:11], v[2:3], v[4:5] neg_lo:[0,1] neg_hi:[0,1]
	v_pk_add_f32 v[2:3], v[2:3], v[4:5]
	v_mov_b32_e32 v6, v7
	v_mov_b32_e32 v4, v3
	v_pk_add_f32 v[12:13], v[4:5], v[0:1] neg_lo:[0,1] neg_hi:[0,1]
	v_mov_b32_e32 v2, v9
	v_mov_b32_e32 v5, v12
	v_pk_add_f32 v[14:15], v[8:9], v[4:5] neg_lo:[0,1] neg_hi:[0,1]
	v_mov_b32_e32 v8, v1
	v_mov_b32_e32 v9, v12
	;; [unrolled: 1-line block ×3, first 2 shown]
	v_pk_add_f32 v[2:3], v[2:3], v[8:9] neg_lo:[0,1] neg_hi:[0,1]
	v_mov_b32_e32 v7, v0
	v_pk_add_f32 v[0:1], v[6:7], v[2:3] neg_lo:[0,1] neg_hi:[0,1]
	v_mov_b32_e32 v14, v10
	v_pk_add_f32 v[2:3], v[14:15], v[0:1]
	s_nop 0
	v_mov_b32_e32 v6, v3
	v_pk_add_f32 v[6:7], v[2:3], v[6:7]
	s_nop 0
	v_pk_add_f32 v[4:5], v[4:5], v[6:7]
	v_mov_b32_e32 v1, v6
	v_mov_b32_e32 v3, v4
	v_pk_add_f32 v[8:9], v[2:3], v[10:11] neg_lo:[0,1] neg_hi:[0,1]
	s_nop 0
	v_sub_f32_e32 v2, v2, v8
	v_pk_add_f32 v[0:1], v[0:1], v[8:9] neg_lo:[0,1] neg_hi:[0,1]
	v_sub_f32_e32 v2, v10, v2
	v_add_f32_e32 v0, v0, v2
	v_add_f32_e32 v0, v0, v1
	;; [unrolled: 1-line block ×3, first 2 shown]
	v_cndmask_b32_e32 v85, v0, v16, vcc
.LBB81_42:                              ;   in Loop: Header=BB81_12 Depth=1
	s_or_b64 exec, exec, s[22:23]
	v_cvt_f32_f16_sdwa v0, v39 dst_sel:DWORD dst_unused:UNUSED_PAD src0_sel:WORD_1
	s_mov_b32 s2, 0x41a00000
	v_add_f32_e32 v86, s33, v0
	v_cmp_ge_f32_e32 vcc, s2, v86
	s_and_b64 s[2:3], s[80:81], vcc
	s_and_saveexec_b64 s[22:23], s[2:3]
	s_cbranch_execz .LBB81_44
; %bb.43:                               ;   in Loop: Header=BB81_12 Depth=1
	v_mul_f32_e32 v0, 0x3fb8aa3b, v86
	v_rndne_f32_e32 v1, v0
	v_sub_f32_e32 v2, v0, v1
	v_fma_f32 v0, v86, s26, -v0
	v_fmac_f32_e32 v0, 0x32a5705f, v86
	v_add_f32_e32 v0, v2, v0
	v_cvt_i32_f32_e32 v1, v1
	v_exp_f32_e32 v0, v0
	v_cmp_ngt_f32_e32 vcc, s27, v86
	v_ldexp_f32 v0, v0, v1
	s_nop 0
	v_cndmask_b32_e32 v0, 0, v0, vcc
	v_cmp_nlt_f32_e32 vcc, s28, v86
	s_nop 1
	v_cndmask_b32_e32 v16, v31, v0, vcc
	v_add_f32_e32 v2, 1.0, v16
	v_add_f32_e32 v0, -1.0, v2
	v_sub_f32_e32 v1, v0, v2
	v_add_f32_e32 v1, 1.0, v1
	v_sub_f32_e32 v0, v16, v0
	v_add_f32_e32 v3, v0, v1
	v_frexp_mant_f32_e32 v4, v2
	v_cvt_f64_f32_e32 v[0:1], v2
	v_frexp_exp_i32_f64_e32 v0, v[0:1]
	v_cmp_gt_f32_e32 vcc, s30, v4
	v_cmp_gt_f32_e64 s[2:3], s34, v16
	s_nop 0
	v_subbrev_co_u32_e32 v8, vcc, 0, v0, vcc
	v_sub_u32_e32 v0, 0, v8
	v_ldexp_f32 v1, v2, v0
	v_add_f32_e32 v2, -1.0, v1
	v_add_f32_e32 v4, 1.0, v1
	v_ldexp_f32 v0, v3, v0
	v_add_f32_e32 v3, 1.0, v2
	v_add_f32_e32 v5, -1.0, v4
	v_sub_f32_e32 v3, v1, v3
	v_sub_f32_e32 v1, v1, v5
	v_add_f32_e32 v3, v0, v3
	v_add_f32_e32 v0, v0, v1
	;; [unrolled: 1-line block ×3, first 2 shown]
	v_rcp_f32_e32 v11, v9
	v_sub_f32_e32 v1, v4, v9
	v_add_f32_e32 v10, v0, v1
	v_add_f32_e32 v1, v2, v3
	v_mul_f32_e32 v13, v1, v11
	v_sub_f32_e32 v0, v2, v1
	v_mul_f32_e32 v2, v9, v13
	v_fma_f32 v4, v13, v9, -v2
	v_fmac_f32_e32 v4, v13, v10
	v_add_f32_e32 v12, v3, v0
	v_add_f32_e32 v0, v2, v4
	v_sub_f32_e32 v3, v1, v0
	v_pk_add_f32 v[6:7], v[0:1], v[2:3] neg_lo:[0,1] neg_hi:[0,1]
	v_mov_b32_e32 v5, v0
	v_pk_add_f32 v[0:1], v[6:7], v[4:5] neg_lo:[0,1] neg_hi:[0,1]
	v_cmp_eq_f32_e32 vcc, s29, v16
	v_add_f32_e32 v1, v12, v1
	v_add_f32_e32 v0, v0, v1
	;; [unrolled: 1-line block ×3, first 2 shown]
	v_mul_f32_e32 v12, v11, v1
	v_mul_f32_e32 v2, v9, v12
	v_fma_f32 v4, v12, v9, -v2
	v_fmac_f32_e32 v4, v12, v10
	v_sub_f32_e32 v3, v3, v1
	v_add_f32_e32 v9, v0, v3
	v_add_f32_e32 v0, v2, v4
	v_sub_f32_e32 v3, v1, v0
	v_pk_add_f32 v[6:7], v[0:1], v[2:3] neg_lo:[0,1] neg_hi:[0,1]
	v_mov_b32_e32 v5, v0
	v_pk_add_f32 v[0:1], v[6:7], v[4:5] neg_lo:[0,1] neg_hi:[0,1]
	s_or_b64 vcc, s[2:3], vcc
	v_add_f32_e32 v1, v9, v1
	v_add_f32_e32 v0, v0, v1
	;; [unrolled: 1-line block ×4, first 2 shown]
	v_sub_f32_e32 v2, v1, v13
	v_mul_f32_e32 v0, v11, v0
	v_sub_f32_e32 v2, v12, v2
	v_add_f32_e32 v2, v2, v0
	v_add_f32_e32 v4, v1, v2
	v_mul_f32_e32 v5, v4, v4
	v_fmamk_f32 v0, v5, 0x3e9b6dac, v30
	v_fmaak_f32 v33, v5, v0, 0x3f2aaada
	v_cvt_f32_i32_e32 v0, v8
	v_sub_f32_e32 v1, v4, v1
	v_sub_f32_e32 v1, v2, v1
	v_ldexp_f32 v6, v1, 1
	v_mul_f32_e32 v1, v4, v5
	v_ldexp_f32 v3, v4, 1
	v_pk_mul_f32 v[4:5], v[0:1], v[32:33]
	s_nop 0
	v_fma_f32 v2, v0, s31, -v4
	v_fmac_f32_e32 v2, 0xb102e308, v0
	v_pk_add_f32 v[0:1], v[4:5], v[2:3]
	s_nop 0
	v_sub_f32_e32 v3, v1, v3
	v_sub_f32_e32 v3, v5, v3
	v_add_f32_e32 v7, v6, v3
	v_mov_b32_e32 v6, v4
	v_pk_add_f32 v[4:5], v[0:1], v[4:5] neg_lo:[0,1] neg_hi:[0,1]
	v_pk_add_f32 v[8:9], v[0:1], v[6:7]
	v_mov_b32_e32 v3, v0
	v_mov_b32_e32 v5, v9
	v_pk_add_f32 v[10:11], v[2:3], v[4:5] neg_lo:[0,1] neg_hi:[0,1]
	v_pk_add_f32 v[2:3], v[2:3], v[4:5]
	v_mov_b32_e32 v6, v7
	v_mov_b32_e32 v4, v3
	v_pk_add_f32 v[12:13], v[4:5], v[0:1] neg_lo:[0,1] neg_hi:[0,1]
	v_mov_b32_e32 v2, v9
	v_mov_b32_e32 v5, v12
	v_pk_add_f32 v[14:15], v[8:9], v[4:5] neg_lo:[0,1] neg_hi:[0,1]
	v_mov_b32_e32 v8, v1
	v_mov_b32_e32 v9, v12
	v_mov_b32_e32 v11, v3
	v_pk_add_f32 v[2:3], v[2:3], v[8:9] neg_lo:[0,1] neg_hi:[0,1]
	v_mov_b32_e32 v7, v0
	v_pk_add_f32 v[0:1], v[6:7], v[2:3] neg_lo:[0,1] neg_hi:[0,1]
	v_mov_b32_e32 v14, v10
	v_pk_add_f32 v[2:3], v[14:15], v[0:1]
	s_nop 0
	v_mov_b32_e32 v6, v3
	v_pk_add_f32 v[6:7], v[2:3], v[6:7]
	s_nop 0
	v_pk_add_f32 v[4:5], v[4:5], v[6:7]
	v_mov_b32_e32 v1, v6
	v_mov_b32_e32 v3, v4
	v_pk_add_f32 v[8:9], v[2:3], v[10:11] neg_lo:[0,1] neg_hi:[0,1]
	s_nop 0
	v_sub_f32_e32 v2, v2, v8
	v_pk_add_f32 v[0:1], v[0:1], v[8:9] neg_lo:[0,1] neg_hi:[0,1]
	v_sub_f32_e32 v2, v10, v2
	v_add_f32_e32 v0, v0, v2
	v_add_f32_e32 v0, v0, v1
	v_add_f32_e32 v0, v4, v0
	v_cndmask_b32_e32 v86, v0, v16, vcc
.LBB81_44:                              ;   in Loop: Header=BB81_12 Depth=1
	s_or_b64 exec, exec, s[22:23]
	v_cvt_f32_f16_e32 v0, v40
	s_mov_b32 s2, 0x41a00000
	v_add_f32_e32 v6, s33, v0
	v_cmp_ge_f32_e32 vcc, s2, v6
	s_and_b64 s[2:3], s[80:81], vcc
	s_and_saveexec_b64 s[22:23], s[2:3]
	s_cbranch_execz .LBB81_46
; %bb.45:                               ;   in Loop: Header=BB81_12 Depth=1
	v_mul_f32_e32 v0, 0x3fb8aa3b, v6
	v_rndne_f32_e32 v1, v0
	v_sub_f32_e32 v2, v0, v1
	v_fma_f32 v0, v6, s26, -v0
	v_fmac_f32_e32 v0, 0x32a5705f, v6
	v_add_f32_e32 v0, v2, v0
	v_cvt_i32_f32_e32 v1, v1
	v_exp_f32_e32 v0, v0
	v_cmp_ngt_f32_e32 vcc, s27, v6
	v_ldexp_f32 v0, v0, v1
	s_nop 0
	v_cndmask_b32_e32 v0, 0, v0, vcc
	v_cmp_nlt_f32_e32 vcc, s28, v6
	s_nop 1
	v_cndmask_b32_e32 v16, v31, v0, vcc
	v_add_f32_e32 v2, 1.0, v16
	v_add_f32_e32 v0, -1.0, v2
	v_sub_f32_e32 v1, v0, v2
	v_add_f32_e32 v1, 1.0, v1
	v_sub_f32_e32 v0, v16, v0
	v_add_f32_e32 v3, v0, v1
	v_frexp_mant_f32_e32 v4, v2
	v_cvt_f64_f32_e32 v[0:1], v2
	v_frexp_exp_i32_f64_e32 v0, v[0:1]
	v_cmp_gt_f32_e32 vcc, s30, v4
	v_cmp_gt_f32_e64 s[2:3], s34, v16
	s_nop 0
	v_subbrev_co_u32_e32 v8, vcc, 0, v0, vcc
	v_sub_u32_e32 v0, 0, v8
	v_ldexp_f32 v1, v2, v0
	v_add_f32_e32 v2, -1.0, v1
	v_add_f32_e32 v4, 1.0, v1
	v_ldexp_f32 v0, v3, v0
	v_add_f32_e32 v3, 1.0, v2
	v_add_f32_e32 v5, -1.0, v4
	v_sub_f32_e32 v3, v1, v3
	v_sub_f32_e32 v1, v1, v5
	v_add_f32_e32 v3, v0, v3
	v_add_f32_e32 v0, v0, v1
	;; [unrolled: 1-line block ×3, first 2 shown]
	v_rcp_f32_e32 v11, v9
	v_sub_f32_e32 v1, v4, v9
	v_add_f32_e32 v10, v0, v1
	v_add_f32_e32 v1, v2, v3
	v_mul_f32_e32 v13, v1, v11
	v_sub_f32_e32 v0, v2, v1
	v_mul_f32_e32 v2, v9, v13
	v_fma_f32 v4, v13, v9, -v2
	v_fmac_f32_e32 v4, v13, v10
	v_add_f32_e32 v12, v3, v0
	v_add_f32_e32 v0, v2, v4
	v_sub_f32_e32 v3, v1, v0
	v_pk_add_f32 v[6:7], v[0:1], v[2:3] neg_lo:[0,1] neg_hi:[0,1]
	v_mov_b32_e32 v5, v0
	v_pk_add_f32 v[0:1], v[6:7], v[4:5] neg_lo:[0,1] neg_hi:[0,1]
	v_cmp_eq_f32_e32 vcc, s29, v16
	v_add_f32_e32 v1, v12, v1
	v_add_f32_e32 v0, v0, v1
	;; [unrolled: 1-line block ×3, first 2 shown]
	v_mul_f32_e32 v12, v11, v1
	v_mul_f32_e32 v2, v9, v12
	v_fma_f32 v4, v12, v9, -v2
	v_fmac_f32_e32 v4, v12, v10
	v_sub_f32_e32 v3, v3, v1
	v_add_f32_e32 v9, v0, v3
	v_add_f32_e32 v0, v2, v4
	v_sub_f32_e32 v3, v1, v0
	v_pk_add_f32 v[6:7], v[0:1], v[2:3] neg_lo:[0,1] neg_hi:[0,1]
	v_mov_b32_e32 v5, v0
	v_pk_add_f32 v[0:1], v[6:7], v[4:5] neg_lo:[0,1] neg_hi:[0,1]
	s_or_b64 vcc, s[2:3], vcc
	v_add_f32_e32 v1, v9, v1
	v_add_f32_e32 v0, v0, v1
	;; [unrolled: 1-line block ×4, first 2 shown]
	v_sub_f32_e32 v2, v1, v13
	v_mul_f32_e32 v0, v11, v0
	v_sub_f32_e32 v2, v12, v2
	v_add_f32_e32 v2, v2, v0
	v_add_f32_e32 v4, v1, v2
	v_mul_f32_e32 v5, v4, v4
	v_fmamk_f32 v0, v5, 0x3e9b6dac, v30
	v_fmaak_f32 v33, v5, v0, 0x3f2aaada
	v_cvt_f32_i32_e32 v0, v8
	v_sub_f32_e32 v1, v4, v1
	v_sub_f32_e32 v1, v2, v1
	v_ldexp_f32 v6, v1, 1
	v_mul_f32_e32 v1, v4, v5
	v_ldexp_f32 v3, v4, 1
	v_pk_mul_f32 v[4:5], v[0:1], v[32:33]
	s_nop 0
	v_fma_f32 v2, v0, s31, -v4
	v_fmac_f32_e32 v2, 0xb102e308, v0
	v_pk_add_f32 v[0:1], v[4:5], v[2:3]
	s_nop 0
	v_sub_f32_e32 v3, v1, v3
	v_sub_f32_e32 v3, v5, v3
	v_add_f32_e32 v7, v6, v3
	v_mov_b32_e32 v6, v4
	v_pk_add_f32 v[4:5], v[0:1], v[4:5] neg_lo:[0,1] neg_hi:[0,1]
	v_pk_add_f32 v[8:9], v[0:1], v[6:7]
	v_mov_b32_e32 v3, v0
	v_mov_b32_e32 v5, v9
	v_pk_add_f32 v[10:11], v[2:3], v[4:5] neg_lo:[0,1] neg_hi:[0,1]
	v_pk_add_f32 v[2:3], v[2:3], v[4:5]
	v_mov_b32_e32 v6, v7
	v_mov_b32_e32 v4, v3
	v_pk_add_f32 v[12:13], v[4:5], v[0:1] neg_lo:[0,1] neg_hi:[0,1]
	v_mov_b32_e32 v2, v9
	v_mov_b32_e32 v5, v12
	v_pk_add_f32 v[14:15], v[8:9], v[4:5] neg_lo:[0,1] neg_hi:[0,1]
	v_mov_b32_e32 v8, v1
	v_mov_b32_e32 v9, v12
	;; [unrolled: 1-line block ×3, first 2 shown]
	v_pk_add_f32 v[2:3], v[2:3], v[8:9] neg_lo:[0,1] neg_hi:[0,1]
	v_mov_b32_e32 v7, v0
	v_pk_add_f32 v[0:1], v[6:7], v[2:3] neg_lo:[0,1] neg_hi:[0,1]
	v_mov_b32_e32 v14, v10
	v_pk_add_f32 v[2:3], v[14:15], v[0:1]
	s_nop 0
	v_mov_b32_e32 v6, v3
	v_pk_add_f32 v[6:7], v[2:3], v[6:7]
	s_nop 0
	v_pk_add_f32 v[4:5], v[4:5], v[6:7]
	v_mov_b32_e32 v1, v6
	v_mov_b32_e32 v3, v4
	v_pk_add_f32 v[8:9], v[2:3], v[10:11] neg_lo:[0,1] neg_hi:[0,1]
	s_nop 0
	v_sub_f32_e32 v2, v2, v8
	v_pk_add_f32 v[0:1], v[0:1], v[8:9] neg_lo:[0,1] neg_hi:[0,1]
	v_sub_f32_e32 v2, v10, v2
	v_add_f32_e32 v0, v0, v2
	v_add_f32_e32 v0, v0, v1
	v_add_f32_e32 v0, v4, v0
	v_cndmask_b32_e32 v6, v0, v16, vcc
.LBB81_46:                              ;   in Loop: Header=BB81_12 Depth=1
	s_or_b64 exec, exec, s[22:23]
	v_cvt_f32_f16_sdwa v0, v40 dst_sel:DWORD dst_unused:UNUSED_PAD src0_sel:WORD_1
	s_mov_b32 s2, 0x41a00000
	v_add_f32_e32 v7, s33, v0
	v_cmp_ge_f32_e32 vcc, s2, v7
	s_and_b64 s[2:3], s[80:81], vcc
	s_and_saveexec_b64 s[22:23], s[2:3]
	s_cbranch_execz .LBB81_48
; %bb.47:                               ;   in Loop: Header=BB81_12 Depth=1
	v_mul_f32_e32 v0, 0x3fb8aa3b, v7
	v_rndne_f32_e32 v1, v0
	v_sub_f32_e32 v2, v0, v1
	v_fma_f32 v0, v7, s26, -v0
	v_fmac_f32_e32 v0, 0x32a5705f, v7
	v_add_f32_e32 v0, v2, v0
	v_cvt_i32_f32_e32 v1, v1
	v_exp_f32_e32 v0, v0
	v_cmp_ngt_f32_e32 vcc, s27, v7
	v_ldexp_f32 v0, v0, v1
	s_nop 0
	v_cndmask_b32_e32 v0, 0, v0, vcc
	v_cmp_nlt_f32_e32 vcc, s28, v7
	s_nop 1
	v_cndmask_b32_e32 v7, v31, v0, vcc
	v_add_f32_e32 v2, 1.0, v7
	v_add_f32_e32 v0, -1.0, v2
	v_sub_f32_e32 v1, v0, v2
	v_add_f32_e32 v1, 1.0, v1
	v_sub_f32_e32 v0, v7, v0
	v_add_f32_e32 v3, v0, v1
	v_frexp_mant_f32_e32 v4, v2
	v_cvt_f64_f32_e32 v[0:1], v2
	v_frexp_exp_i32_f64_e32 v0, v[0:1]
	v_cmp_gt_f32_e32 vcc, s30, v4
	v_cmp_gt_f32_e64 s[2:3], s34, v7
	s_nop 0
	v_subbrev_co_u32_e32 v10, vcc, 0, v0, vcc
	v_sub_u32_e32 v0, 0, v10
	v_ldexp_f32 v1, v2, v0
	v_add_f32_e32 v2, -1.0, v1
	v_add_f32_e32 v4, 1.0, v1
	v_ldexp_f32 v0, v3, v0
	v_add_f32_e32 v3, 1.0, v2
	v_add_f32_e32 v5, -1.0, v4
	v_sub_f32_e32 v3, v1, v3
	v_sub_f32_e32 v1, v1, v5
	v_add_f32_e32 v3, v0, v3
	v_add_f32_e32 v0, v0, v1
	;; [unrolled: 1-line block ×3, first 2 shown]
	v_rcp_f32_e32 v13, v11
	v_sub_f32_e32 v1, v4, v11
	v_add_f32_e32 v12, v0, v1
	v_add_f32_e32 v1, v2, v3
	v_mul_f32_e32 v15, v1, v13
	v_sub_f32_e32 v0, v2, v1
	v_mul_f32_e32 v2, v11, v15
	v_fma_f32 v4, v15, v11, -v2
	v_fmac_f32_e32 v4, v15, v12
	v_add_f32_e32 v14, v3, v0
	v_add_f32_e32 v0, v2, v4
	v_sub_f32_e32 v3, v1, v0
	v_pk_add_f32 v[8:9], v[0:1], v[2:3] neg_lo:[0,1] neg_hi:[0,1]
	v_mov_b32_e32 v5, v0
	v_pk_add_f32 v[0:1], v[8:9], v[4:5] neg_lo:[0,1] neg_hi:[0,1]
	v_cmp_eq_f32_e32 vcc, s29, v7
	v_add_f32_e32 v1, v14, v1
	v_add_f32_e32 v0, v0, v1
	;; [unrolled: 1-line block ×3, first 2 shown]
	v_mul_f32_e32 v14, v13, v1
	v_mul_f32_e32 v2, v11, v14
	v_fma_f32 v4, v14, v11, -v2
	v_fmac_f32_e32 v4, v14, v12
	v_sub_f32_e32 v3, v3, v1
	v_add_f32_e32 v11, v0, v3
	v_add_f32_e32 v0, v2, v4
	v_sub_f32_e32 v3, v1, v0
	v_pk_add_f32 v[8:9], v[0:1], v[2:3] neg_lo:[0,1] neg_hi:[0,1]
	v_mov_b32_e32 v5, v0
	v_pk_add_f32 v[0:1], v[8:9], v[4:5] neg_lo:[0,1] neg_hi:[0,1]
	s_or_b64 vcc, s[2:3], vcc
	v_add_f32_e32 v1, v11, v1
	v_add_f32_e32 v0, v0, v1
	;; [unrolled: 1-line block ×4, first 2 shown]
	v_sub_f32_e32 v2, v1, v15
	v_mul_f32_e32 v0, v13, v0
	v_sub_f32_e32 v2, v14, v2
	v_add_f32_e32 v2, v2, v0
	v_add_f32_e32 v4, v1, v2
	v_mul_f32_e32 v5, v4, v4
	v_fmamk_f32 v0, v5, 0x3e9b6dac, v30
	v_fmaak_f32 v33, v5, v0, 0x3f2aaada
	v_cvt_f32_i32_e32 v0, v10
	v_sub_f32_e32 v1, v4, v1
	v_sub_f32_e32 v1, v2, v1
	v_ldexp_f32 v8, v1, 1
	v_mul_f32_e32 v1, v4, v5
	v_ldexp_f32 v3, v4, 1
	v_pk_mul_f32 v[4:5], v[0:1], v[32:33]
	s_nop 0
	v_fma_f32 v2, v0, s31, -v4
	v_fmac_f32_e32 v2, 0xb102e308, v0
	v_pk_add_f32 v[0:1], v[4:5], v[2:3]
	s_nop 0
	v_sub_f32_e32 v3, v1, v3
	v_sub_f32_e32 v3, v5, v3
	v_add_f32_e32 v9, v8, v3
	v_mov_b32_e32 v8, v4
	v_pk_add_f32 v[4:5], v[0:1], v[4:5] neg_lo:[0,1] neg_hi:[0,1]
	v_pk_add_f32 v[10:11], v[0:1], v[8:9]
	v_mov_b32_e32 v3, v0
	v_mov_b32_e32 v5, v11
	v_pk_add_f32 v[12:13], v[2:3], v[4:5] neg_lo:[0,1] neg_hi:[0,1]
	v_pk_add_f32 v[2:3], v[2:3], v[4:5]
	v_mov_b32_e32 v8, v9
	v_mov_b32_e32 v4, v3
	v_pk_add_f32 v[14:15], v[4:5], v[0:1] neg_lo:[0,1] neg_hi:[0,1]
	v_mov_b32_e32 v2, v11
	v_mov_b32_e32 v5, v14
	v_pk_add_f32 v[16:17], v[10:11], v[4:5] neg_lo:[0,1] neg_hi:[0,1]
	v_mov_b32_e32 v10, v1
	v_mov_b32_e32 v11, v14
	;; [unrolled: 1-line block ×3, first 2 shown]
	v_pk_add_f32 v[2:3], v[2:3], v[10:11] neg_lo:[0,1] neg_hi:[0,1]
	v_mov_b32_e32 v9, v0
	v_pk_add_f32 v[0:1], v[8:9], v[2:3] neg_lo:[0,1] neg_hi:[0,1]
	v_mov_b32_e32 v16, v12
	v_pk_add_f32 v[2:3], v[16:17], v[0:1]
	s_nop 0
	v_mov_b32_e32 v8, v3
	v_pk_add_f32 v[8:9], v[2:3], v[8:9]
	s_nop 0
	v_pk_add_f32 v[4:5], v[4:5], v[8:9]
	v_mov_b32_e32 v1, v8
	v_mov_b32_e32 v3, v4
	v_pk_add_f32 v[10:11], v[2:3], v[12:13] neg_lo:[0,1] neg_hi:[0,1]
	s_nop 0
	v_sub_f32_e32 v2, v2, v10
	v_pk_add_f32 v[0:1], v[0:1], v[10:11] neg_lo:[0,1] neg_hi:[0,1]
	v_sub_f32_e32 v2, v12, v2
	v_add_f32_e32 v0, v0, v2
	v_add_f32_e32 v0, v0, v1
	;; [unrolled: 1-line block ×3, first 2 shown]
	v_cndmask_b32_e32 v7, v0, v7, vcc
.LBB81_48:                              ;   in Loop: Header=BB81_12 Depth=1
	s_or_b64 exec, exec, s[22:23]
	v_cvt_f32_f16_e32 v0, v41
	s_mov_b32 s2, 0x41a00000
	v_add_f32_e32 v8, s33, v0
	v_cmp_ge_f32_e32 vcc, s2, v8
	s_and_b64 s[2:3], s[80:81], vcc
	s_and_saveexec_b64 s[22:23], s[2:3]
	s_cbranch_execz .LBB81_50
; %bb.49:                               ;   in Loop: Header=BB81_12 Depth=1
	v_mul_f32_e32 v0, 0x3fb8aa3b, v8
	v_rndne_f32_e32 v1, v0
	v_sub_f32_e32 v2, v0, v1
	v_fma_f32 v0, v8, s26, -v0
	v_fmac_f32_e32 v0, 0x32a5705f, v8
	v_add_f32_e32 v0, v2, v0
	v_cvt_i32_f32_e32 v1, v1
	v_exp_f32_e32 v0, v0
	v_cmp_ngt_f32_e32 vcc, s27, v8
	v_ldexp_f32 v0, v0, v1
	s_nop 0
	v_cndmask_b32_e32 v0, 0, v0, vcc
	v_cmp_nlt_f32_e32 vcc, s28, v8
	s_nop 1
	v_cndmask_b32_e32 v18, v31, v0, vcc
	v_add_f32_e32 v2, 1.0, v18
	v_add_f32_e32 v0, -1.0, v2
	v_sub_f32_e32 v1, v0, v2
	v_add_f32_e32 v1, 1.0, v1
	v_sub_f32_e32 v0, v18, v0
	v_add_f32_e32 v3, v0, v1
	v_frexp_mant_f32_e32 v4, v2
	v_cvt_f64_f32_e32 v[0:1], v2
	v_frexp_exp_i32_f64_e32 v0, v[0:1]
	v_cmp_gt_f32_e32 vcc, s30, v4
	v_cmp_gt_f32_e64 s[2:3], s34, v18
	s_nop 0
	v_subbrev_co_u32_e32 v10, vcc, 0, v0, vcc
	v_sub_u32_e32 v0, 0, v10
	v_ldexp_f32 v1, v2, v0
	v_add_f32_e32 v2, -1.0, v1
	v_add_f32_e32 v4, 1.0, v1
	v_ldexp_f32 v0, v3, v0
	v_add_f32_e32 v3, 1.0, v2
	v_add_f32_e32 v5, -1.0, v4
	v_sub_f32_e32 v3, v1, v3
	v_sub_f32_e32 v1, v1, v5
	v_add_f32_e32 v3, v0, v3
	v_add_f32_e32 v0, v0, v1
	v_add_f32_e32 v11, v4, v0
	v_rcp_f32_e32 v13, v11
	v_sub_f32_e32 v1, v4, v11
	v_add_f32_e32 v12, v0, v1
	v_add_f32_e32 v1, v2, v3
	v_mul_f32_e32 v15, v1, v13
	v_sub_f32_e32 v0, v2, v1
	v_mul_f32_e32 v2, v11, v15
	v_fma_f32 v4, v15, v11, -v2
	v_fmac_f32_e32 v4, v15, v12
	v_add_f32_e32 v14, v3, v0
	v_add_f32_e32 v0, v2, v4
	v_sub_f32_e32 v3, v1, v0
	v_pk_add_f32 v[8:9], v[0:1], v[2:3] neg_lo:[0,1] neg_hi:[0,1]
	v_mov_b32_e32 v5, v0
	v_pk_add_f32 v[0:1], v[8:9], v[4:5] neg_lo:[0,1] neg_hi:[0,1]
	v_cmp_eq_f32_e32 vcc, s29, v18
	v_add_f32_e32 v1, v14, v1
	v_add_f32_e32 v0, v0, v1
	;; [unrolled: 1-line block ×3, first 2 shown]
	v_mul_f32_e32 v14, v13, v1
	v_mul_f32_e32 v2, v11, v14
	v_fma_f32 v4, v14, v11, -v2
	v_fmac_f32_e32 v4, v14, v12
	v_sub_f32_e32 v3, v3, v1
	v_add_f32_e32 v11, v0, v3
	v_add_f32_e32 v0, v2, v4
	v_sub_f32_e32 v3, v1, v0
	v_pk_add_f32 v[8:9], v[0:1], v[2:3] neg_lo:[0,1] neg_hi:[0,1]
	v_mov_b32_e32 v5, v0
	v_pk_add_f32 v[0:1], v[8:9], v[4:5] neg_lo:[0,1] neg_hi:[0,1]
	s_or_b64 vcc, s[2:3], vcc
	v_add_f32_e32 v1, v11, v1
	v_add_f32_e32 v0, v0, v1
	;; [unrolled: 1-line block ×4, first 2 shown]
	v_sub_f32_e32 v2, v1, v15
	v_mul_f32_e32 v0, v13, v0
	v_sub_f32_e32 v2, v14, v2
	v_add_f32_e32 v2, v2, v0
	v_add_f32_e32 v4, v1, v2
	v_mul_f32_e32 v5, v4, v4
	v_fmamk_f32 v0, v5, 0x3e9b6dac, v30
	v_fmaak_f32 v33, v5, v0, 0x3f2aaada
	v_cvt_f32_i32_e32 v0, v10
	v_sub_f32_e32 v1, v4, v1
	v_sub_f32_e32 v1, v2, v1
	v_ldexp_f32 v8, v1, 1
	v_mul_f32_e32 v1, v4, v5
	v_ldexp_f32 v3, v4, 1
	v_pk_mul_f32 v[4:5], v[0:1], v[32:33]
	s_nop 0
	v_fma_f32 v2, v0, s31, -v4
	v_fmac_f32_e32 v2, 0xb102e308, v0
	v_pk_add_f32 v[0:1], v[4:5], v[2:3]
	s_nop 0
	v_sub_f32_e32 v3, v1, v3
	v_sub_f32_e32 v3, v5, v3
	v_add_f32_e32 v9, v8, v3
	v_mov_b32_e32 v8, v4
	v_pk_add_f32 v[4:5], v[0:1], v[4:5] neg_lo:[0,1] neg_hi:[0,1]
	v_pk_add_f32 v[10:11], v[0:1], v[8:9]
	v_mov_b32_e32 v3, v0
	v_mov_b32_e32 v5, v11
	v_pk_add_f32 v[12:13], v[2:3], v[4:5] neg_lo:[0,1] neg_hi:[0,1]
	v_pk_add_f32 v[2:3], v[2:3], v[4:5]
	v_mov_b32_e32 v8, v9
	v_mov_b32_e32 v4, v3
	v_pk_add_f32 v[14:15], v[4:5], v[0:1] neg_lo:[0,1] neg_hi:[0,1]
	v_mov_b32_e32 v2, v11
	v_mov_b32_e32 v5, v14
	v_pk_add_f32 v[16:17], v[10:11], v[4:5] neg_lo:[0,1] neg_hi:[0,1]
	v_mov_b32_e32 v10, v1
	v_mov_b32_e32 v11, v14
	;; [unrolled: 1-line block ×3, first 2 shown]
	v_pk_add_f32 v[2:3], v[2:3], v[10:11] neg_lo:[0,1] neg_hi:[0,1]
	v_mov_b32_e32 v9, v0
	v_pk_add_f32 v[0:1], v[8:9], v[2:3] neg_lo:[0,1] neg_hi:[0,1]
	v_mov_b32_e32 v16, v12
	v_pk_add_f32 v[2:3], v[16:17], v[0:1]
	s_nop 0
	v_mov_b32_e32 v8, v3
	v_pk_add_f32 v[8:9], v[2:3], v[8:9]
	s_nop 0
	v_pk_add_f32 v[4:5], v[4:5], v[8:9]
	v_mov_b32_e32 v1, v8
	v_mov_b32_e32 v3, v4
	v_pk_add_f32 v[10:11], v[2:3], v[12:13] neg_lo:[0,1] neg_hi:[0,1]
	s_nop 0
	v_sub_f32_e32 v2, v2, v10
	v_pk_add_f32 v[0:1], v[0:1], v[10:11] neg_lo:[0,1] neg_hi:[0,1]
	v_sub_f32_e32 v2, v12, v2
	v_add_f32_e32 v0, v0, v2
	v_add_f32_e32 v0, v0, v1
	;; [unrolled: 1-line block ×3, first 2 shown]
	v_cndmask_b32_e32 v8, v0, v18, vcc
.LBB81_50:                              ;   in Loop: Header=BB81_12 Depth=1
	s_or_b64 exec, exec, s[22:23]
	v_cvt_f32_f16_sdwa v0, v41 dst_sel:DWORD dst_unused:UNUSED_PAD src0_sel:WORD_1
	s_mov_b32 s2, 0x41a00000
	v_add_f32_e32 v9, s33, v0
	v_cmp_ge_f32_e32 vcc, s2, v9
	s_and_b64 s[2:3], s[80:81], vcc
	s_and_saveexec_b64 s[22:23], s[2:3]
	s_cbranch_execz .LBB81_52
; %bb.51:                               ;   in Loop: Header=BB81_12 Depth=1
	v_mul_f32_e32 v0, 0x3fb8aa3b, v9
	v_rndne_f32_e32 v1, v0
	v_sub_f32_e32 v2, v0, v1
	v_fma_f32 v0, v9, s26, -v0
	v_fmac_f32_e32 v0, 0x32a5705f, v9
	v_add_f32_e32 v0, v2, v0
	v_cvt_i32_f32_e32 v1, v1
	v_exp_f32_e32 v0, v0
	v_cmp_ngt_f32_e32 vcc, s27, v9
	v_ldexp_f32 v0, v0, v1
	s_nop 0
	v_cndmask_b32_e32 v0, 0, v0, vcc
	v_cmp_nlt_f32_e32 vcc, s28, v9
	s_nop 1
	v_cndmask_b32_e32 v9, v31, v0, vcc
	v_add_f32_e32 v2, 1.0, v9
	v_add_f32_e32 v0, -1.0, v2
	v_sub_f32_e32 v1, v0, v2
	v_add_f32_e32 v1, 1.0, v1
	v_sub_f32_e32 v0, v9, v0
	v_add_f32_e32 v3, v0, v1
	v_frexp_mant_f32_e32 v4, v2
	v_cvt_f64_f32_e32 v[0:1], v2
	v_frexp_exp_i32_f64_e32 v0, v[0:1]
	v_cmp_gt_f32_e32 vcc, s30, v4
	v_cmp_gt_f32_e64 s[2:3], s34, v9
	s_nop 0
	v_subbrev_co_u32_e32 v12, vcc, 0, v0, vcc
	v_sub_u32_e32 v0, 0, v12
	v_ldexp_f32 v1, v2, v0
	v_add_f32_e32 v2, -1.0, v1
	v_add_f32_e32 v4, 1.0, v1
	v_ldexp_f32 v0, v3, v0
	v_add_f32_e32 v3, 1.0, v2
	v_add_f32_e32 v5, -1.0, v4
	v_sub_f32_e32 v3, v1, v3
	v_sub_f32_e32 v1, v1, v5
	v_add_f32_e32 v3, v0, v3
	v_add_f32_e32 v0, v0, v1
	;; [unrolled: 1-line block ×3, first 2 shown]
	v_rcp_f32_e32 v15, v13
	v_sub_f32_e32 v1, v4, v13
	v_add_f32_e32 v14, v0, v1
	v_add_f32_e32 v1, v2, v3
	v_mul_f32_e32 v17, v1, v15
	v_sub_f32_e32 v0, v2, v1
	v_mul_f32_e32 v2, v13, v17
	v_fma_f32 v4, v17, v13, -v2
	v_fmac_f32_e32 v4, v17, v14
	v_add_f32_e32 v16, v3, v0
	v_add_f32_e32 v0, v2, v4
	v_sub_f32_e32 v3, v1, v0
	v_pk_add_f32 v[10:11], v[0:1], v[2:3] neg_lo:[0,1] neg_hi:[0,1]
	v_mov_b32_e32 v5, v0
	v_pk_add_f32 v[0:1], v[10:11], v[4:5] neg_lo:[0,1] neg_hi:[0,1]
	v_cmp_eq_f32_e32 vcc, s29, v9
	v_add_f32_e32 v1, v16, v1
	v_add_f32_e32 v0, v0, v1
	;; [unrolled: 1-line block ×3, first 2 shown]
	v_mul_f32_e32 v16, v15, v1
	v_mul_f32_e32 v2, v13, v16
	v_fma_f32 v4, v16, v13, -v2
	v_fmac_f32_e32 v4, v16, v14
	v_sub_f32_e32 v3, v3, v1
	v_add_f32_e32 v13, v0, v3
	v_add_f32_e32 v0, v2, v4
	v_sub_f32_e32 v3, v1, v0
	v_pk_add_f32 v[10:11], v[0:1], v[2:3] neg_lo:[0,1] neg_hi:[0,1]
	v_mov_b32_e32 v5, v0
	v_pk_add_f32 v[0:1], v[10:11], v[4:5] neg_lo:[0,1] neg_hi:[0,1]
	s_or_b64 vcc, s[2:3], vcc
	v_add_f32_e32 v1, v13, v1
	v_add_f32_e32 v0, v0, v1
	v_add_f32_e32 v1, v17, v16
	v_add_f32_e32 v0, v3, v0
	v_sub_f32_e32 v2, v1, v17
	v_mul_f32_e32 v0, v15, v0
	v_sub_f32_e32 v2, v16, v2
	v_add_f32_e32 v2, v2, v0
	v_add_f32_e32 v4, v1, v2
	v_mul_f32_e32 v5, v4, v4
	v_fmamk_f32 v0, v5, 0x3e9b6dac, v30
	v_fmaak_f32 v33, v5, v0, 0x3f2aaada
	v_cvt_f32_i32_e32 v0, v12
	v_sub_f32_e32 v1, v4, v1
	v_sub_f32_e32 v1, v2, v1
	v_ldexp_f32 v10, v1, 1
	v_mul_f32_e32 v1, v4, v5
	v_ldexp_f32 v3, v4, 1
	v_pk_mul_f32 v[4:5], v[0:1], v[32:33]
	s_nop 0
	v_fma_f32 v2, v0, s31, -v4
	v_fmac_f32_e32 v2, 0xb102e308, v0
	v_pk_add_f32 v[0:1], v[4:5], v[2:3]
	s_nop 0
	v_sub_f32_e32 v3, v1, v3
	v_sub_f32_e32 v3, v5, v3
	v_add_f32_e32 v11, v10, v3
	v_mov_b32_e32 v10, v4
	v_pk_add_f32 v[4:5], v[0:1], v[4:5] neg_lo:[0,1] neg_hi:[0,1]
	v_pk_add_f32 v[12:13], v[0:1], v[10:11]
	v_mov_b32_e32 v3, v0
	v_mov_b32_e32 v5, v13
	v_pk_add_f32 v[14:15], v[2:3], v[4:5] neg_lo:[0,1] neg_hi:[0,1]
	v_pk_add_f32 v[2:3], v[2:3], v[4:5]
	v_mov_b32_e32 v10, v11
	v_mov_b32_e32 v4, v3
	v_pk_add_f32 v[16:17], v[4:5], v[0:1] neg_lo:[0,1] neg_hi:[0,1]
	v_mov_b32_e32 v2, v13
	v_mov_b32_e32 v5, v16
	v_pk_add_f32 v[18:19], v[12:13], v[4:5] neg_lo:[0,1] neg_hi:[0,1]
	v_mov_b32_e32 v12, v1
	v_mov_b32_e32 v13, v16
	;; [unrolled: 1-line block ×3, first 2 shown]
	v_pk_add_f32 v[2:3], v[2:3], v[12:13] neg_lo:[0,1] neg_hi:[0,1]
	v_mov_b32_e32 v11, v0
	v_pk_add_f32 v[0:1], v[10:11], v[2:3] neg_lo:[0,1] neg_hi:[0,1]
	v_mov_b32_e32 v18, v14
	v_pk_add_f32 v[2:3], v[18:19], v[0:1]
	s_nop 0
	v_mov_b32_e32 v10, v3
	v_pk_add_f32 v[10:11], v[2:3], v[10:11]
	s_nop 0
	v_pk_add_f32 v[4:5], v[4:5], v[10:11]
	v_mov_b32_e32 v1, v10
	v_mov_b32_e32 v3, v4
	v_pk_add_f32 v[12:13], v[2:3], v[14:15] neg_lo:[0,1] neg_hi:[0,1]
	s_nop 0
	v_sub_f32_e32 v2, v2, v12
	v_pk_add_f32 v[0:1], v[0:1], v[12:13] neg_lo:[0,1] neg_hi:[0,1]
	v_sub_f32_e32 v2, v14, v2
	v_add_f32_e32 v0, v0, v2
	v_add_f32_e32 v0, v0, v1
	;; [unrolled: 1-line block ×3, first 2 shown]
	v_cndmask_b32_e32 v9, v0, v9, vcc
.LBB81_52:                              ;   in Loop: Header=BB81_12 Depth=1
	s_or_b64 exec, exec, s[22:23]
	scratch_load_dwordx4 v[14:17], off, off offset:72 ; 16-byte Folded Reload
	scratch_load_dwordx4 v[20:23], off, off offset:88 ; 16-byte Folded Reload
	v_readlane_b32 s22, v95, 0
	v_readlane_b32 s23, v95, 1
	s_lshl_b32 s2, s83, 10
	s_and_b64 vcc, exec, s[22:23]
	s_waitcnt lgkmcnt(0)
	; wave barrier
	s_waitcnt vmcnt(1)
	v_cvt_f32_f16_e32 v2, v17
	v_cvt_f32_f16_sdwa v3, v16 dst_sel:DWORD dst_unused:UNUSED_PAD src0_sel:WORD_1
	v_cvt_f32_f16_e32 v4, v16
	v_cvt_f32_f16_sdwa v13, v17 dst_sel:DWORD dst_unused:UNUSED_PAD src0_sel:WORD_1
	v_cvt_f32_f16_sdwa v5, v15 dst_sel:DWORD dst_unused:UNUSED_PAD src0_sel:WORD_1
	v_cvt_f32_f16_e32 v10, v15
	v_cvt_f32_f16_sdwa v11, v14 dst_sel:DWORD dst_unused:UNUSED_PAD src0_sel:WORD_1
	v_cvt_f32_f16_e32 v12, v14
	s_waitcnt vmcnt(0)
	v_cvt_f32_f16_sdwa v14, v23 dst_sel:DWORD dst_unused:UNUSED_PAD src0_sel:WORD_1
	v_cvt_f32_f16_e32 v15, v23
	v_cvt_f32_f16_sdwa v16, v22 dst_sel:DWORD dst_unused:UNUSED_PAD src0_sel:WORD_1
	v_cvt_f32_f16_e32 v17, v22
	;; [unrolled: 2-line block ×4, first 2 shown]
	v_mul_f32_e32 v52, s98, v2
	v_mul_f32_e32 v1, s98, v3
	;; [unrolled: 1-line block ×16, first 2 shown]
	s_cbranch_vccz .LBB81_81
; %bb.53:                               ;   in Loop: Header=BB81_12 Depth=1
	v_mul_f32_e32 v2, v8, v2
	scratch_store_dwordx4 off, v[38:41], off offset:144 ; 16-byte Folded Spill
	scratch_store_dwordx2 off, v[32:33], off offset:136 ; 8-byte Folded Spill
	scratch_store_dword off, v2, off offset:16 ; 4-byte Folded Spill
	v_mul_f32_e32 v2, v7, v3
	scratch_store_dword off, v2, off offset:20 ; 4-byte Folded Spill
	v_mul_f32_e32 v2, v6, v4
	;; [unrolled: 2-line block ×6, first 2 shown]
	scratch_store_dword off, v2, off offset:40 ; 4-byte Folded Spill
	scratch_load_dword v2, off, off offset:184 ; 4-byte Folded Reload
	v_readlane_b32 s88, v95, 2
	s_sub_i32 s3, s88, s2
	s_cmp_lg_u32 s83, 0
	v_readlane_b32 s22, v95, 5
	s_cselect_b64 s[74:75], -1, 0
	s_cmp_eq_u32 s83, s22
	s_cselect_b64 s[86:87], -1, 0
	v_readlane_b32 s89, v95, 3
	s_mov_b32 s78, 0
	v_mul_f32_e32 v13, v9, v13
	v_lshl_add_u64 v[66:67], s[62:63], 0, v[42:43]
	v_lshl_add_u64 v[68:69], s[66:67], 0, v[42:43]
	v_mul_f32_e32 v21, v48, v14
	v_mul_f32_e32 v22, v47, v15
	;; [unrolled: 1-line block ×8, first 2 shown]
	s_mov_b32 s88, s78
	s_mov_b32 s90, s78
	;; [unrolled: 1-line block ×3, first 2 shown]
	v_readlane_b32 s82, v95, 10
	scratch_store_dword off, v13, off offset:12 ; 4-byte Folded Spill
	s_waitcnt vmcnt(1)
	v_cmp_gt_u32_e32 vcc, s3, v2
	scratch_load_dword v2, off, off offset:188 ; 4-byte Folded Reload
	s_or_b64 s[22:23], s[84:85], vcc
	s_waitcnt vmcnt(0)
	v_cmp_gt_u32_e32 vcc, s3, v2
	scratch_load_dword v2, off, off offset:192 ; 4-byte Folded Reload
	s_or_b64 s[24:25], s[84:85], vcc
	;; [unrolled: 4-line block ×15, first 2 shown]
	s_waitcnt vmcnt(0)
	v_cmp_gt_u32_e32 vcc, s3, v2
	s_or_b64 s[54:55], s[84:85], vcc
	s_mov_b32 s3, s89
	s_branch .LBB81_55
.LBB81_54:                              ;   in Loop: Header=BB81_55 Depth=2
	s_or_b64 exec, exec, s[94:95]
	v_mul_f32_e32 v18, v82, v18
	v_fma_f32 v19, v82, v19, v34
	v_cndmask_b32_e64 v34, v19, v34, s[20:21]
	v_cndmask_b32_e64 v18, v18, v82, s[20:21]
	s_waitcnt lgkmcnt(0)
	v_fmac_f32_e32 v34, v80, v18
	v_fmac_f32_e32 v35, v34, v50
	;; [unrolled: 1-line block ×16, first 2 shown]
	v_cvt_f32_f16_sdwa v3, v30 dst_sel:DWORD dst_unused:UNUSED_PAD src0_sel:WORD_1
	v_cvt_f32_f16_sdwa v5, v31 dst_sel:DWORD dst_unused:UNUSED_PAD src0_sel:WORD_1
	v_cvt_f32_f16_e32 v2, v30
	v_cvt_f32_f16_e32 v4, v31
	v_cvt_f32_f16_sdwa v11, v32 dst_sel:DWORD dst_unused:UNUSED_PAD src0_sel:WORD_1
	v_cvt_f32_f16_sdwa v13, v33 dst_sel:DWORD dst_unused:UNUSED_PAD src0_sel:WORD_1
	v_cvt_f32_f16_e32 v10, v32
	v_cvt_f32_f16_e32 v12, v33
	v_cvt_f32_f16_sdwa v15, v26 dst_sel:DWORD dst_unused:UNUSED_PAD src0_sel:WORD_1
	v_cvt_f32_f16_sdwa v17, v27 dst_sel:DWORD dst_unused:UNUSED_PAD src0_sel:WORD_1
	v_cvt_f32_f16_e32 v14, v26
	v_cvt_f32_f16_e32 v16, v27
	v_cvt_f32_f16_sdwa v19, v28 dst_sel:DWORD dst_unused:UNUSED_PAD src0_sel:WORD_1
	v_cvt_f32_f16_sdwa v27, v29 dst_sel:DWORD dst_unused:UNUSED_PAD src0_sel:WORD_1
	v_cvt_f32_f16_e32 v18, v28
	v_cvt_f32_f16_e32 v26, v29
	s_add_i32 s82, s82, 8
	s_add_i32 s3, s3, -1
	s_add_i32 s92, s92, s99
	s_add_i32 s90, s90, s68
	;; [unrolled: 1-line block ×4, first 2 shown]
	v_pk_fma_f32 v[64:65], v[36:37], v[4:5], v[64:65]
	v_pk_fma_f32 v[62:63], v[34:35], v[2:3], v[62:63]
	v_pk_fma_f32 v[60:61], v[40:41], v[12:13], v[60:61]
	v_pk_fma_f32 v[58:59], v[38:39], v[10:11], v[58:59]
	v_pk_fma_f32 v[56:57], v[76:77], v[16:17], v[56:57]
	v_pk_fma_f32 v[54:55], v[72:73], v[14:15], v[54:55]
	v_pk_fma_f32 v[52:53], v[78:79], v[26:27], v[52:53]
	s_cmp_eq_u32 s3, 0
	v_pk_fma_f32 v[0:1], v[74:75], v[18:19], v[0:1]
	s_cbranch_scc1 .LBB81_80
.LBB81_55:                              ;   Parent Loop BB81_12 Depth=1
                                        ; =>  This Inner Loop Header: Depth=2
	s_lshl_b64 s[94:95], s[78:79], 2
	s_add_u32 s94, s60, s94
	s_mov_b32 s89, s79
	s_addc_u32 s95, s76, s95
	v_lshl_add_u64 v[4:5], s[88:89], 1, v[66:67]
	global_load_dword v2, v43, s[94:95]
	global_load_dwordx4 v[10:13], v[4:5], off
	scratch_load_dword v3, off, off         ; 4-byte Folded Reload
	s_mov_b32 s91, s79
	s_andn2_b64 vcc, exec, s[74:75]
	s_waitcnt vmcnt(0)
	ds_write_b128 v3, v[10:13]
	global_load_dwordx4 v[10:13], v[4:5], off offset:1024
	s_nop 0
	scratch_load_dword v4, off, off offset:4 ; 4-byte Folded Reload
	s_waitcnt vmcnt(0)
	ds_write_b128 v4, v[10:13] offset:1024
	; wave barrier
	scratch_load_dword v14, off, off offset:8 ; 4-byte Folded Reload
	v_lshl_add_u64 v[4:5], s[90:91], 1, v[68:69]
	s_waitcnt vmcnt(0)
	ds_read_b128 v[38:41], v14
	ds_read_b128 v[34:37], v14 offset:16
	global_load_dwordx4 v[10:13], v[4:5], off
	s_waitcnt vmcnt(0)
	ds_write_b128 v3, v[10:13] offset:2112
	global_load_dwordx4 v[10:13], v[4:5], off offset:1024
	scratch_load_dword v3, off, off offset:44 ; 4-byte Folded Reload
	s_waitcnt vmcnt(0)
	ds_write_b128 v3, v[10:13] offset:1024
	; wave barrier
	scratch_load_dword v3, off, off offset:48 ; 4-byte Folded Reload
	ds_read_b128 v[30:33], v14 offset:2112
	s_waitcnt vmcnt(0)
	ds_read_b128 v[26:29], v3 offset:16
	s_cbranch_vccnz .LBB81_57
; %bb.56:                               ;   in Loop: Header=BB81_55 Depth=2
	v_mov_b32_e32 v3, s82
	ds_read_b64 v[70:71], v3
	s_cbranch_execz .LBB81_58
	s_branch .LBB81_61
.LBB81_57:                              ;   in Loop: Header=BB81_55 Depth=2
                                        ; implicit-def: $vgpr71
.LBB81_58:                              ;   in Loop: Header=BB81_55 Depth=2
	s_andn2_b64 vcc, exec, s[58:59]
	s_waitcnt lgkmcnt(0)
	v_mov_b32_e32 v71, 0
	s_cbranch_vccnz .LBB81_60
; %bb.59:                               ;   in Loop: Header=BB81_55 Depth=2
	s_mov_b32 s93, s79
	s_lshl_b64 s[94:95], s[92:93], 1
	s_add_u32 s94, s65, s94
	s_addc_u32 s95, s69, s95
	global_load_ushort v3, v43, s[94:95]
	s_waitcnt vmcnt(0)
	v_cvt_f32_f16_e32 v71, v3
.LBB81_60:                              ;   in Loop: Header=BB81_55 Depth=2
	v_mov_b32_e32 v70, 1.0
.LBB81_61:                              ;   in Loop: Header=BB81_55 Depth=2
	v_mul_f32_e32 v16, 0x3fb8aa3b, v2
	v_mul_f32_e32 v17, v16, v90
	v_cmp_gt_f32_e32 vcc, s77, v17
	s_waitcnt lgkmcnt(4)
	v_cvt_f32_f16_e32 v14, v34
	v_cvt_f32_f16_sdwa v15, v34 dst_sel:DWORD dst_unused:UNUSED_PAD src0_sel:WORD_1
	v_cndmask_b32_e32 v17, 0, v94, vcc
	v_fmac_f32_e32 v17, v16, v90
	v_exp_f32_e32 v34, v17
	v_cvt_f32_f16_e32 v18, v35
	v_cvt_f32_f16_sdwa v19, v35 dst_sel:DWORD dst_unused:UNUSED_PAD src0_sel:WORD_1
	v_cndmask_b32_e32 v35, 1.0, v89, vcc
	v_cvt_f32_f16_e32 v2, v38
	v_mul_f32_e32 v35, v34, v35
	v_mul_f32_e32 v34, v16, v91
	v_cmp_gt_f32_e32 vcc, s77, v34
	v_cvt_f32_f16_sdwa v3, v38 dst_sel:DWORD dst_unused:UNUSED_PAD src0_sel:WORD_1
	v_cvt_f32_f16_e32 v4, v39
	v_cndmask_b32_e32 v34, 0, v94, vcc
	v_fmac_f32_e32 v34, v16, v91
	v_cvt_f32_f16_e32 v74, v36
	v_cvt_f32_f16_sdwa v75, v36 dst_sel:DWORD dst_unused:UNUSED_PAD src0_sel:WORD_1
	v_mul_f32_e32 v2, v88, v2
	v_exp_f32_e32 v36, v34
	v_cndmask_b32_e64 v82, 1.0, v35, s[22:23]
	v_mul_f32_e32 v35, v16, v87
	v_cndmask_b32_e64 v34, 0, v2, s[22:23]
	v_cndmask_b32_e32 v2, 1.0, v89, vcc
	v_cmp_gt_f32_e32 vcc, s77, v35
	v_mul_f32_e32 v3, v83, v3
	v_mul_f32_e32 v2, v36, v2
	v_cndmask_b32_e32 v35, 0, v94, vcc
	v_fmac_f32_e32 v35, v16, v87
	v_exp_f32_e32 v36, v35
	v_cndmask_b32_e64 v35, 0, v3, s[24:25]
	v_mul_f32_e32 v3, v93, v4
	v_mul_f32_e32 v4, v16, v44
	v_cndmask_b32_e64 v50, 1.0, v2, s[24:25]
	v_cndmask_b32_e32 v2, 1.0, v89, vcc
	v_cmp_gt_f32_e32 vcc, s77, v4
	v_cvt_f32_f16_sdwa v5, v39 dst_sel:DWORD dst_unused:UNUSED_PAD src0_sel:WORD_1
	v_mul_f32_e32 v2, v36, v2
	v_cndmask_b32_e32 v4, 0, v94, vcc
	v_fmac_f32_e32 v4, v16, v44
	v_exp_f32_e32 v4, v4
	v_cndmask_b32_e64 v36, 0, v3, s[26:27]
	v_cndmask_b32_e32 v3, 1.0, v89, vcc
	v_cvt_f32_f16_e32 v10, v40
	v_mul_f32_e32 v3, v4, v3
	v_mul_f32_e32 v4, v25, v5
	;; [unrolled: 1-line block ×3, first 2 shown]
	v_cmp_gt_f32_e32 vcc, s77, v5
	v_cvt_f32_f16_e32 v78, v37
	v_cvt_f32_f16_sdwa v17, v37 dst_sel:DWORD dst_unused:UNUSED_PAD src0_sel:WORD_1
	v_cndmask_b32_e32 v5, 0, v94, vcc
	v_fmac_f32_e32 v5, v16, v45
	v_exp_f32_e32 v5, v5
	v_cndmask_b32_e64 v37, 0, v4, s[28:29]
	v_cndmask_b32_e32 v4, 1.0, v89, vcc
	v_cvt_f32_f16_sdwa v11, v40 dst_sel:DWORD dst_unused:UNUSED_PAD src0_sel:WORD_1
	v_mul_f32_e32 v4, v5, v4
	v_mul_f32_e32 v5, v24, v10
	;; [unrolled: 1-line block ×3, first 2 shown]
	v_cmp_gt_f32_e32 vcc, s77, v10
	v_cndmask_b32_e64 v38, 0, v5, s[30:31]
	v_cvt_f32_f16_e32 v12, v41
	v_cndmask_b32_e32 v10, 0, v94, vcc
	v_fmac_f32_e32 v10, v16, v46
	v_exp_f32_e32 v10, v10
	v_cndmask_b32_e32 v5, 1.0, v89, vcc
	v_cvt_f32_f16_sdwa v13, v41 dst_sel:DWORD dst_unused:UNUSED_PAD src0_sel:WORD_1
	v_cndmask_b32_e64 v2, 1.0, v2, s[26:27]
	v_mul_f32_e32 v5, v10, v5
	v_mul_f32_e32 v10, v23, v11
	;; [unrolled: 1-line block ×3, first 2 shown]
	v_cmp_gt_f32_e32 vcc, s77, v11
	v_cndmask_b32_e64 v39, 0, v10, s[34:35]
	v_cndmask_b32_e64 v3, 1.0, v3, s[28:29]
	v_cndmask_b32_e32 v11, 0, v94, vcc
	v_fmac_f32_e32 v11, v16, v47
	v_exp_f32_e32 v11, v11
	v_cndmask_b32_e32 v10, 1.0, v89, vcc
	v_cndmask_b32_e64 v4, 1.0, v4, s[30:31]
	v_cndmask_b32_e64 v5, 1.0, v5, s[34:35]
	v_mul_f32_e32 v10, v11, v10
	v_mul_f32_e32 v11, v22, v12
	;; [unrolled: 1-line block ×3, first 2 shown]
	v_cmp_gt_f32_e32 vcc, s77, v12
	v_cndmask_b32_e64 v40, 0, v11, s[36:37]
	v_cndmask_b32_e64 v10, 1.0, v10, s[36:37]
	v_cndmask_b32_e32 v12, 0, v94, vcc
	v_fmac_f32_e32 v12, v16, v48
	v_exp_f32_e32 v12, v12
	v_cndmask_b32_e32 v11, 1.0, v89, vcc
	v_mul_f32_e32 v11, v12, v11
	v_mul_f32_e32 v12, v21, v13
	;; [unrolled: 1-line block ×3, first 2 shown]
	v_cmp_gt_f32_e32 vcc, s77, v13
	v_cndmask_b32_e64 v41, 0, v12, s[38:39]
	v_cndmask_b32_e64 v11, 1.0, v11, s[38:39]
	v_cndmask_b32_e32 v13, 0, v94, vcc
	v_fmac_f32_e32 v13, v16, v49
	v_exp_f32_e32 v13, v13
	v_cndmask_b32_e32 v12, 1.0, v89, vcc
	v_mul_f32_e32 v12, v13, v12
	scratch_load_dword v13, off, off offset:40 ; 4-byte Folded Reload
	v_cndmask_b32_e64 v12, 1.0, v12, s[40:41]
	s_waitcnt vmcnt(0)
	v_mul_f32_e32 v13, v13, v14
	v_mul_f32_e32 v14, v16, v92
	v_cmp_gt_f32_e32 vcc, s77, v14
	v_cndmask_b32_e64 v72, 0, v13, s[40:41]
	s_nop 0
	v_cndmask_b32_e32 v14, 0, v94, vcc
	v_fmac_f32_e32 v14, v16, v92
	v_exp_f32_e32 v14, v14
	v_cndmask_b32_e32 v13, 1.0, v89, vcc
	v_mul_f32_e32 v13, v14, v13
	scratch_load_dword v14, off, off offset:36 ; 4-byte Folded Reload
	v_cndmask_b32_e64 v13, 1.0, v13, s[42:43]
	s_waitcnt vmcnt(0)
	v_mul_f32_e32 v14, v14, v15
	v_mul_f32_e32 v15, v16, v85
	v_cmp_gt_f32_e32 vcc, s77, v15
	v_cndmask_b32_e64 v73, 0, v14, s[42:43]
	s_nop 0
	v_cndmask_b32_e32 v15, 0, v94, vcc
	v_fmac_f32_e32 v15, v16, v85
	v_exp_f32_e32 v15, v15
	v_cndmask_b32_e32 v14, 1.0, v89, vcc
	v_mul_f32_e32 v14, v15, v14
	scratch_load_dword v15, off, off offset:32 ; 4-byte Folded Reload
	v_cndmask_b32_e64 v84, 1.0, v14, s[44:45]
	s_waitcnt vmcnt(0)
	v_mul_f32_e32 v15, v15, v18
	v_cndmask_b32_e64 v76, 0, v15, s[44:45]
	scratch_load_dword v15, off, off offset:28 ; 4-byte Folded Reload
	v_mul_f32_e32 v18, v16, v86
	v_cmp_gt_f32_e32 vcc, s77, v18
	s_waitcnt vmcnt(0)
	v_mul_f32_e32 v15, v15, v19
	v_cndmask_b32_e64 v77, 0, v15, s[46:47]
	scratch_load_dword v15, off, off offset:24 ; 4-byte Folded Reload
	v_cndmask_b32_e32 v18, 0, v94, vcc
	v_fmac_f32_e32 v18, v16, v86
	v_exp_f32_e32 v18, v18
	v_cndmask_b32_e32 v14, 1.0, v89, vcc
	v_mul_f32_e32 v19, v16, v8
	v_mul_f32_e32 v14, v18, v14
	;; [unrolled: 1-line block ×3, first 2 shown]
	v_cmp_gt_f32_e32 vcc, s77, v18
	v_cndmask_b32_e64 v51, 1.0, v14, s[46:47]
	s_waitcnt vmcnt(0)
	v_mul_f32_e32 v15, v15, v74
	v_cndmask_b32_e32 v18, 0, v94, vcc
	v_fmac_f32_e32 v18, v16, v6
	v_exp_f32_e32 v18, v18
	v_cndmask_b32_e32 v14, 1.0, v89, vcc
	v_cndmask_b32_e64 v74, 0, v15, s[48:49]
	v_mul_f32_e32 v14, v18, v14
	v_mul_f32_e32 v18, v16, v7
	v_cmp_gt_f32_e32 vcc, s77, v18
	v_cndmask_b32_e64 v14, 1.0, v14, s[48:49]
	s_nop 0
	v_cndmask_b32_e32 v18, 0, v94, vcc
	v_fmac_f32_e32 v18, v16, v7
	v_exp_f32_e32 v18, v18
	v_cndmask_b32_e32 v15, 1.0, v89, vcc
	v_cmp_gt_f32_e32 vcc, s77, v19
	v_mul_f32_e32 v15, v18, v15
	scratch_load_dword v18, off, off offset:20 ; 4-byte Folded Reload
	v_cndmask_b32_e32 v19, 0, v94, vcc
	v_fmac_f32_e32 v19, v16, v8
	v_exp_f32_e32 v19, v19
	v_cndmask_b32_e64 v15, 1.0, v15, s[50:51]
	s_waitcnt vmcnt(0)
	v_mul_f32_e32 v18, v18, v75
	v_cndmask_b32_e64 v75, 0, v18, s[50:51]
	v_cndmask_b32_e32 v18, 1.0, v89, vcc
	v_mul_f32_e32 v18, v19, v18
	scratch_load_dword v19, off, off offset:16 ; 4-byte Folded Reload
	s_waitcnt vmcnt(0)
	v_mul_f32_e32 v19, v19, v78
	v_mul_f32_e32 v78, v16, v9
	v_cmp_gt_f32_e32 vcc, s77, v78
	s_nop 1
	v_cndmask_b32_e32 v78, 0, v94, vcc
	v_fmac_f32_e32 v78, v16, v9
	v_exp_f32_e32 v79, v78
	v_cndmask_b32_e64 v78, 0, v19, s[52:53]
	scratch_load_dword v19, off, off offset:12 ; 4-byte Folded Reload
	v_cndmask_b32_e64 v16, 1.0, v18, s[52:53]
	v_cndmask_b32_e32 v18, 1.0, v89, vcc
	v_mul_f32_e32 v18, v79, v18
	s_waitcnt vmcnt(0)
	v_mul_f32_e32 v17, v19, v17
	v_cndmask_b32_e64 v79, 0, v17, s[54:55]
	v_cndmask_b32_e64 v17, 1.0, v18, s[54:55]
	v_mul_f32_e32 v18, v50, v82
	v_fma_f32 v19, v50, v34, v35
	v_mul_f32_e32 v18, v18, v2
	v_fma_f32 v19, v19, v2, v36
	;; [unrolled: 2-line block ×15, first 2 shown]
	s_nop 0
	v_mov_b32_dpp v19, v80 row_shr:1 row_mask:0xf bank_mask:0xf
	v_mov_b32_dpp v18, v20 row_shr:1 row_mask:0xf bank_mask:0xf
	s_and_saveexec_b64 s[94:95], s[4:5]
; %bb.62:                               ;   in Loop: Header=BB81_55 Depth=2
	v_mul_f32_e32 v19, v80, v19
	v_fmac_f32_e32 v20, v80, v18
	v_mov_b32_e32 v80, v19
; %bb.63:                               ;   in Loop: Header=BB81_55 Depth=2
	s_or_b64 exec, exec, s[94:95]
	s_nop 0
	v_mov_b32_dpp v18, v80 row_shr:2 row_mask:0xf bank_mask:0xf
	v_mov_b32_dpp v19, v20 row_shr:2 row_mask:0xf bank_mask:0xf
	s_and_saveexec_b64 s[94:95], s[6:7]
; %bb.64:                               ;   in Loop: Header=BB81_55 Depth=2
	v_fmac_f32_e32 v20, v80, v19
	v_mul_f32_e32 v80, v80, v18
; %bb.65:                               ;   in Loop: Header=BB81_55 Depth=2
	s_or_b64 exec, exec, s[94:95]
	s_nop 0
	v_mov_b32_dpp v18, v80 row_shr:4 row_mask:0xf bank_mask:0xf
	v_mov_b32_dpp v19, v20 row_shr:4 row_mask:0xf bank_mask:0xf
	s_and_saveexec_b64 s[94:95], s[8:9]
; %bb.66:                               ;   in Loop: Header=BB81_55 Depth=2
	v_fmac_f32_e32 v20, v80, v19
	v_mul_f32_e32 v80, v80, v18
	;; [unrolled: 9-line block ×3, first 2 shown]
; %bb.69:                               ;   in Loop: Header=BB81_55 Depth=2
	s_or_b64 exec, exec, s[94:95]
	s_nop 0
	v_mov_b32_dpp v18, v80 row_bcast:15 row_mask:0xf bank_mask:0xf
	v_mov_b32_dpp v19, v20 row_bcast:15 row_mask:0xf bank_mask:0xf
	s_and_saveexec_b64 s[94:95], s[12:13]
; %bb.70:                               ;   in Loop: Header=BB81_55 Depth=2
	v_fmac_f32_e32 v20, v80, v19
	v_mul_f32_e32 v80, v80, v18
; %bb.71:                               ;   in Loop: Header=BB81_55 Depth=2
	s_or_b64 exec, exec, s[94:95]
	s_nop 0
	v_mov_b32_dpp v18, v80 row_bcast:31 row_mask:0xf bank_mask:0xf
	v_mov_b32_dpp v19, v20 row_bcast:31 row_mask:0xf bank_mask:0xf
	v_mov_b32_e32 v81, v20
	v_mul_f32_e32 v18, v80, v18
	v_fmac_f32_e32 v81, v80, v19
	v_cndmask_b32_e64 v80, v80, v18, s[14:15]
	v_cndmask_b32_e64 v81, v20, v81, s[14:15]
	s_and_saveexec_b64 s[94:95], s[16:17]
	s_cbranch_execz .LBB81_73
; %bb.72:                               ;   in Loop: Header=BB81_55 Depth=2
	ds_write_b64 v43, v[80:81] offset:4224
.LBB81_73:                              ;   in Loop: Header=BB81_55 Depth=2
	s_or_b64 exec, exec, s[94:95]
	scratch_load_dword v19, off, off offset:52 ; 4-byte Folded Reload
	s_waitcnt lgkmcnt(0)
	; wave barrier
	s_waitcnt vmcnt(0) lgkmcnt(0)
	ds_bpermute_b32 v18, v19, v80
	ds_bpermute_b32 v19, v19, v81
	v_mov_b32_e32 v81, v71
	s_and_saveexec_b64 s[94:95], s[18:19]
	s_cbranch_execz .LBB81_77
; %bb.74:                               ;   in Loop: Header=BB81_55 Depth=2
	ds_read_b64 v[80:81], v43 offset:4224
	s_and_saveexec_b64 s[96:97], s[20:21]
	s_cbranch_execz .LBB81_76
; %bb.75:                               ;   in Loop: Header=BB81_55 Depth=2
	ds_write_b64 v43, v[70:71] offset:4224
.LBB81_76:                              ;   in Loop: Header=BB81_55 Depth=2
	s_or_b64 exec, exec, s[96:97]
	s_waitcnt lgkmcnt(0)
	v_fmac_f32_e32 v81, v71, v80
	v_mul_f32_e32 v70, v70, v80
	v_mov_b32_e32 v71, v81
.LBB81_77:                              ;   in Loop: Header=BB81_55 Depth=2
	s_or_b64 exec, exec, s[94:95]
	s_waitcnt lgkmcnt(0)
	; wave barrier
	s_waitcnt lgkmcnt(0)
	ds_read_b32 v80, v43 offset:4228
	s_and_saveexec_b64 s[94:95], s[20:21]
	s_cbranch_execz .LBB81_54
; %bb.78:                               ;   in Loop: Header=BB81_55 Depth=2
	v_mov_b32_e32 v20, s82
	s_andn2_b64 vcc, exec, s[86:87]
	ds_write_b64 v20, v[70:71]
	s_cbranch_vccnz .LBB81_54
; %bb.79:                               ;   in Loop: Header=BB81_55 Depth=2
	s_mov_b32 s93, s79
	v_cvt_f16_f32_e32 v20, v81
	s_lshl_b64 s[96:97], s[92:93], 1
	s_add_u32 s96, s65, s96
	s_addc_u32 s97, s69, s97
	global_store_short v43, v20, s[96:97]
	s_branch .LBB81_54
.LBB81_80:                              ;   in Loop: Header=BB81_12 Depth=1
	scratch_load_dwordx2 v[32:33], off, off offset:136 ; 8-byte Folded Reload
	scratch_load_dwordx4 v[38:41], off, off offset:144 ; 16-byte Folded Reload
	s_mov_b32 s26, 0x3fb8aa3b
	s_mov_b32 s27, 0xc2ce8ed0
	;; [unrolled: 1-line block ×7, first 2 shown]
	v_mov_b32_e32 v30, 0x3ecc95a3
.LBB81_81:                              ;   in Loop: Header=BB81_12 Depth=1
	v_cvt_f16_f32_e32 v2, v62
	v_cvt_f16_f32_e32 v6, v63
	s_waitcnt lgkmcnt(0)
	; wave barrier
	v_cvt_f16_f32_e32 v3, v64
	v_pack_b32_f16 v2, v2, v6
	scratch_load_dword v6, off, off offset:8 ; 4-byte Folded Reload
	v_cvt_f16_f32_e32 v7, v65
	v_cvt_f16_f32_e32 v4, v58
	;; [unrolled: 1-line block ×13, first 2 shown]
	v_pack_b32_f16 v5, v5, v9
	v_pack_b32_f16 v4, v4, v8
	;; [unrolled: 1-line block ×3, first 2 shown]
	s_mov_b32 s3, s79
	s_lshl_b64 s[22:23], s[2:3], 1
	s_waitcnt vmcnt(0)
	ds_write_b128 v6, v[2:5]
	v_pack_b32_f16 v5, v16, v17
	v_pack_b32_f16 v4, v14, v15
	;; [unrolled: 1-line block ×4, first 2 shown]
	ds_write_b128 v6, v[2:5] offset:16
	; wave barrier
	scratch_load_dword v2, off, off         ; 4-byte Folded Reload
	scratch_load_dword v6, off, off offset:4 ; 4-byte Folded Reload
	scratch_load_dwordx2 v[10:11], off, off offset:160 ; 8-byte Folded Reload
	s_waitcnt vmcnt(2)
	ds_read_b128 v[2:5], v2
	s_waitcnt vmcnt(1)
	ds_read_b128 v[6:9], v6 offset:1024
	s_waitcnt vmcnt(0)
	v_lshl_add_u64 v[10:11], v[10:11], 0, s[22:23]
	s_waitcnt lgkmcnt(1)
	v_lshrrev_b32_e32 v14, 16, v5
	global_store_short v[10:11], v2, off
	v_alignbit_b32 v12, v3, v2, 16
	v_alignbit_b32 v2, v5, v4, 16
	;; [unrolled: 1-line block ×3, first 2 shown]
	global_store_short v[10:11], v14, off offset:14
	global_store_dword v[10:11], v2, off offset:10
	global_store_dwordx2 v[10:11], v[12:13], off offset:2
	s_waitcnt lgkmcnt(0)
	global_store_dwordx4 v[10:11], v[6:9], off offset:1024
	s_waitcnt lgkmcnt(0)
	; wave barrier
	scratch_load_dwordx2 v[2:3], off, off offset:168 ; 8-byte Folded Reload
	s_waitcnt vmcnt(0)
	v_lshl_add_u64 v[26:27], v[2:3], 0, s[22:23]
	s_mov_b64 s[22:23], exec
	scratch_load_dwordx4 v[6:9], off, off offset:120 ; 16-byte Folded Reload
	v_readlane_b32 s24, v95, 6
	v_readlane_b32 s25, v95, 7
	s_and_b64 s[24:25], s[22:23], s[24:25]
	s_mov_b64 exec, s[24:25]
	s_cbranch_execz .LBB81_83
; %bb.82:                               ;   in Loop: Header=BB81_12 Depth=1
	global_load_dwordx4 v[6:9], v[26:27], off
.LBB81_83:                              ;   in Loop: Header=BB81_12 Depth=1
	s_or_b64 exec, exec, s[22:23]
	s_mov_b64 s[22:23], exec
	scratch_load_dwordx4 v[2:5], off, off offset:104 ; 16-byte Folded Reload
	v_readlane_b32 s24, v95, 8
	v_readlane_b32 s25, v95, 9
	s_and_b64 s[24:25], s[22:23], s[24:25]
	s_mov_b64 exec, s[24:25]
	s_cbranch_execz .LBB81_11
; %bb.84:                               ;   in Loop: Header=BB81_12 Depth=1
	global_load_dwordx4 v[2:5], v[26:27], off offset:1024
	s_branch .LBB81_11
.LBB81_85:
	s_endpgm
	.section	.rodata,"a",@progbits
	.p2align	6, 0x0
	.amdhsa_kernel _Z25selective_scan_fwd_kernelI32Selective_Scan_fwd_kernel_traitsILi64ELi16ELi1ELb1ELb1ELb1ELb1ELb0EN3c104HalfEfS2_EEv13SSMParamsBase
		.amdhsa_group_segment_fixed_size 0
		.amdhsa_private_segment_fixed_size 252
		.amdhsa_kernarg_size 248
		.amdhsa_user_sgpr_count 2
		.amdhsa_user_sgpr_dispatch_ptr 0
		.amdhsa_user_sgpr_queue_ptr 0
		.amdhsa_user_sgpr_kernarg_segment_ptr 1
		.amdhsa_user_sgpr_dispatch_id 0
		.amdhsa_user_sgpr_kernarg_preload_length 0
		.amdhsa_user_sgpr_kernarg_preload_offset 0
		.amdhsa_user_sgpr_private_segment_size 0
		.amdhsa_uses_dynamic_stack 0
		.amdhsa_enable_private_segment 1
		.amdhsa_system_sgpr_workgroup_id_x 1
		.amdhsa_system_sgpr_workgroup_id_y 1
		.amdhsa_system_sgpr_workgroup_id_z 0
		.amdhsa_system_sgpr_workgroup_info 0
		.amdhsa_system_vgpr_workitem_id 0
		.amdhsa_next_free_vgpr 96
		.amdhsa_next_free_sgpr 100
		.amdhsa_accum_offset 96
		.amdhsa_reserve_vcc 1
		.amdhsa_float_round_mode_32 0
		.amdhsa_float_round_mode_16_64 0
		.amdhsa_float_denorm_mode_32 3
		.amdhsa_float_denorm_mode_16_64 3
		.amdhsa_dx10_clamp 1
		.amdhsa_ieee_mode 1
		.amdhsa_fp16_overflow 0
		.amdhsa_tg_split 0
		.amdhsa_exception_fp_ieee_invalid_op 0
		.amdhsa_exception_fp_denorm_src 0
		.amdhsa_exception_fp_ieee_div_zero 0
		.amdhsa_exception_fp_ieee_overflow 0
		.amdhsa_exception_fp_ieee_underflow 0
		.amdhsa_exception_fp_ieee_inexact 0
		.amdhsa_exception_int_div_zero 0
	.end_amdhsa_kernel
	.section	.text._Z25selective_scan_fwd_kernelI32Selective_Scan_fwd_kernel_traitsILi64ELi16ELi1ELb1ELb1ELb1ELb1ELb0EN3c104HalfEfS2_EEv13SSMParamsBase,"axG",@progbits,_Z25selective_scan_fwd_kernelI32Selective_Scan_fwd_kernel_traitsILi64ELi16ELi1ELb1ELb1ELb1ELb1ELb0EN3c104HalfEfS2_EEv13SSMParamsBase,comdat
.Lfunc_end81:
	.size	_Z25selective_scan_fwd_kernelI32Selective_Scan_fwd_kernel_traitsILi64ELi16ELi1ELb1ELb1ELb1ELb1ELb0EN3c104HalfEfS2_EEv13SSMParamsBase, .Lfunc_end81-_Z25selective_scan_fwd_kernelI32Selective_Scan_fwd_kernel_traitsILi64ELi16ELi1ELb1ELb1ELb1ELb1ELb0EN3c104HalfEfS2_EEv13SSMParamsBase
                                        ; -- End function
	.section	.AMDGPU.csdata,"",@progbits
; Kernel info:
; codeLenInByte = 19948
; NumSgprs: 106
; NumVgprs: 96
; NumAgprs: 0
; TotalNumVgprs: 96
; ScratchSize: 252
; MemoryBound: 1
; FloatMode: 240
; IeeeMode: 1
; LDSByteSize: 0 bytes/workgroup (compile time only)
; SGPRBlocks: 13
; VGPRBlocks: 11
; NumSGPRsForWavesPerEU: 106
; NumVGPRsForWavesPerEU: 96
; AccumOffset: 96
; Occupancy: 5
; WaveLimiterHint : 1
; COMPUTE_PGM_RSRC2:SCRATCH_EN: 1
; COMPUTE_PGM_RSRC2:USER_SGPR: 2
; COMPUTE_PGM_RSRC2:TRAP_HANDLER: 0
; COMPUTE_PGM_RSRC2:TGID_X_EN: 1
; COMPUTE_PGM_RSRC2:TGID_Y_EN: 1
; COMPUTE_PGM_RSRC2:TGID_Z_EN: 0
; COMPUTE_PGM_RSRC2:TIDIG_COMP_CNT: 0
; COMPUTE_PGM_RSRC3_GFX90A:ACCUM_OFFSET: 23
; COMPUTE_PGM_RSRC3_GFX90A:TG_SPLIT: 0
	.section	.text._Z25selective_scan_fwd_kernelI32Selective_Scan_fwd_kernel_traitsILi64ELi16ELi1ELb1ELb1ELb1ELb0ELb1EN3c104HalfEfS2_EEv13SSMParamsBase,"axG",@progbits,_Z25selective_scan_fwd_kernelI32Selective_Scan_fwd_kernel_traitsILi64ELi16ELi1ELb1ELb1ELb1ELb0ELb1EN3c104HalfEfS2_EEv13SSMParamsBase,comdat
	.protected	_Z25selective_scan_fwd_kernelI32Selective_Scan_fwd_kernel_traitsILi64ELi16ELi1ELb1ELb1ELb1ELb0ELb1EN3c104HalfEfS2_EEv13SSMParamsBase ; -- Begin function _Z25selective_scan_fwd_kernelI32Selective_Scan_fwd_kernel_traitsILi64ELi16ELi1ELb1ELb1ELb1ELb0ELb1EN3c104HalfEfS2_EEv13SSMParamsBase
	.globl	_Z25selective_scan_fwd_kernelI32Selective_Scan_fwd_kernel_traitsILi64ELi16ELi1ELb1ELb1ELb1ELb0ELb1EN3c104HalfEfS2_EEv13SSMParamsBase
	.p2align	8
	.type	_Z25selective_scan_fwd_kernelI32Selective_Scan_fwd_kernel_traitsILi64ELi16ELi1ELb1ELb1ELb1ELb0ELb1EN3c104HalfEfS2_EEv13SSMParamsBase,@function
_Z25selective_scan_fwd_kernelI32Selective_Scan_fwd_kernel_traitsILi64ELi16ELi1ELb1ELb1ELb1ELb0ELb1EN3c104HalfEfS2_EEv13SSMParamsBase: ; @_Z25selective_scan_fwd_kernelI32Selective_Scan_fwd_kernel_traitsILi64ELi16ELi1ELb1ELb1ELb1ELb0ELb1EN3c104HalfEfS2_EEv13SSMParamsBase
; %bb.0:
	s_load_dword s27, s[0:1], 0x18
	s_load_dwordx4 s[4:7], s[0:1], 0xe0
	s_load_dwordx2 s[10:11], s[0:1], 0xf0
	s_mov_b32 s20, s3
	s_ashr_i32 s3, s2, 31
	s_waitcnt lgkmcnt(0)
	s_abs_i32 s26, s27
	v_cvt_f32_u32_e32 v1, s26
	s_lshl_b64 s[8:9], s[2:3], 2
	s_add_u32 s24, s4, s8
	s_addc_u32 s25, s5, s9
	v_rcp_iflag_f32_e32 v1, v1
	s_cmp_eq_u64 s[10:11], 0
                                        ; implicit-def: $vgpr95 : SGPR spill to VGPR lane
	v_mul_f32_e32 v1, 0x4f7ffffe, v1
	v_cvt_u32_f32_e32 v1, v1
	s_nop 0
	v_readfirstlane_b32 s28, v1
	s_cbranch_scc1 .LBB82_2
; %bb.1:
	s_add_u32 s4, s10, s2
	s_addc_u32 s5, s11, s3
	v_mov_b32_e32 v1, 0
	global_load_ubyte v1, v1, s[4:5]
	s_waitcnt vmcnt(0)
	v_and_b32_e32 v1, 1, v1
	v_cmp_eq_u32_e64 s[4:5], 1, v1
	s_branch .LBB82_3
.LBB82_2:
	s_mov_b64 s[4:5], 0
.LBB82_3:
	s_nop 0
	v_writelane_b32 v95, s4, 0
	s_cmp_eq_u64 s[6:7], 0
	s_nop 0
	v_writelane_b32 v95, s5, 1
	s_load_dwordx2 s[4:5], s[0:1], 0x20
	s_cbranch_scc1 .LBB82_5
; %bb.4:
	s_add_u32 s2, s6, s8
	s_addc_u32 s3, s7, s9
	s_load_dword s2, s[2:3], 0x0
	s_waitcnt lgkmcnt(0)
	s_ashr_i32 s3, s2, 31
.LBB82_5:
	s_waitcnt lgkmcnt(0)
	s_cmp_eq_u64 s[4:5], s[2:3]
	s_cbranch_scc1 .LBB82_234
; %bb.6:
	s_load_dwordx16 s[4:19], s[0:1], 0x88
	s_load_dwordx2 s[22:23], s[24:25], 0x0
	s_mov_b32 s3, 0
	v_writelane_b32 v95, s3, 2
	v_writelane_b32 v95, s3, 3
	s_waitcnt lgkmcnt(0)
	s_cmp_eq_u64 s[10:11], 0
	s_cbranch_scc1 .LBB82_8
; %bb.7:
	s_ashr_i32 s21, s20, 31
	s_lshl_b64 s[24:25], s[20:21], 2
	s_add_u32 s10, s10, s24
	s_addc_u32 s11, s11, s25
	s_load_dword s3, s[10:11], 0x0
	s_waitcnt lgkmcnt(0)
	v_writelane_b32 v95, s3, 3
.LBB82_8:
	s_cmp_eq_u64 s[16:17], 0
	s_cbranch_scc1 .LBB82_10
; %bb.9:
	s_ashr_i32 s21, s20, 31
	s_lshl_b64 s[10:11], s[20:21], 2
	s_add_u32 s10, s16, s10
	s_addc_u32 s11, s17, s11
	s_load_dword s3, s[10:11], 0x0
	s_waitcnt lgkmcnt(0)
	v_writelane_b32 v95, s3, 2
.LBB82_10:
	s_sub_i32 s29, s23, s22
	s_cmp_lt_i32 s29, 1
	s_cbranch_scc1 .LBB82_234
; %bb.11:
	v_mbcnt_lo_u32_b32 v1, -1, 0
	v_mbcnt_hi_u32_b32 v20, -1, v1
	s_sub_i32 s3, 0, s26
	v_lshrrev_b32_e32 v1, 5, v20
	s_mul_i32 s3, s3, s28
	v_and_b32_e32 v1, 2, v1
	s_mul_hi_u32 s3, s28, s3
	v_add_u32_e32 v1, v1, v20
	s_abs_i32 s21, s20
	s_add_i32 s28, s28, s3
	v_add_u32_e32 v2, 64, v20
	v_lshl_add_u32 v1, v1, 1, 0
	s_load_dwordx8 s[36:43], s[0:1], 0x2c
	s_load_dwordx2 s[10:11], s[0:1], 0x5c
	s_load_dwordx4 s[44:47], s[0:1], 0x4c
	s_load_dwordx4 s[48:51], s[0:1], 0x7c
	s_load_dwordx2 s[24:25], s[0:1], 0x6c
	s_load_dwordx2 s[16:17], s[0:1], 0xc8
	s_mul_hi_u32 s3, s21, s28
	s_load_dword s28, s[0:1], 0xc
	s_load_dword s23, s[0:1], 0x28
	scratch_store_dword off, v1, off offset:4 ; 4-byte Folded Spill
	scratch_store_dword off, v2, off offset:180 ; 4-byte Folded Spill
	v_lshrrev_b32_e32 v1, 5, v2
	s_ashr_i32 s0, s20, 31
	s_ashr_i32 s1, s27, 31
	v_and_b32_e32 v1, 6, v1
	s_xor_b32 s0, s0, s1
	s_mul_i32 s1, s3, s26
	v_add_lshl_u32 v1, v1, v20, 1
	s_sub_i32 s1, s21, s1
	v_or_b32_e32 v3, 0x80, v20
	v_add_u32_e32 v2, 0, v1
	s_add_i32 s21, s3, 1
	s_sub_i32 s27, s1, s26
	scratch_store_dword off, v2, off offset:8 ; 4-byte Folded Spill
	scratch_store_dword off, v3, off offset:184 ; 4-byte Folded Spill
	v_lshrrev_b32_e32 v2, 5, v3
	s_cmp_ge_u32 s1, s26
	v_and_b32_e32 v2, 6, v2
	s_cselect_b32 s3, s21, s3
	v_add_lshl_u32 v2, v2, v20, 1
	s_cselect_b32 s1, s27, s1
	s_add_i32 s21, s3, 1
	v_add_u32_e32 v4, 0xc0, v20
	v_add_u32_e32 v3, 0, v2
	s_cmp_ge_u32 s1, s26
	scratch_store_dword off, v3, off offset:12 ; 4-byte Folded Spill
	scratch_store_dword off, v4, off offset:188 ; 4-byte Folded Spill
	v_lshrrev_b32_e32 v3, 5, v4
	s_cselect_b32 s1, s21, s3
	v_and_b32_e32 v3, 14, v3
	s_xor_b32 s1, s1, s0
	s_waitcnt lgkmcnt(0)
	s_mul_i32 s92, s22, s46
	s_mov_b32 s93, 0
	v_add_lshl_u32 v3, v3, v20, 1
	s_sub_i32 s3, s1, s0
	s_lshl_b64 s[0:1], s[92:93], 1
	v_or_b32_e32 v5, 0x100, v20
	v_add_u32_e32 v4, 0, v3
	s_add_u32 s12, s12, s0
	s_mul_i32 s92, s47, s20
	scratch_store_dword off, v4, off offset:16 ; 4-byte Folded Spill
	scratch_store_dword off, v5, off offset:192 ; 4-byte Folded Spill
	v_lshrrev_b32_e32 v4, 5, v5
	s_addc_u32 s13, s13, s1
	s_lshl_b64 s[0:1], s[92:93], 1
	v_and_b32_e32 v4, 10, v4
	s_add_u32 s26, s12, s0
	s_mul_i32 s92, s22, s10
	v_add_lshl_u32 v4, v4, v20, 1
	s_addc_u32 s27, s13, s1
	s_lshl_b64 s[0:1], s[92:93], 1
	v_add_u32_e32 v6, 0x140, v20
	v_add_u32_e32 v5, 0, v4
	s_add_u32 s10, s14, s0
	s_mul_i32 s92, s11, s20
	scratch_store_dword off, v5, off offset:20 ; 4-byte Folded Spill
	scratch_store_dword off, v6, off offset:196 ; 4-byte Folded Spill
	v_lshrrev_b32_e32 v5, 5, v6
	s_addc_u32 s12, s15, s1
	s_lshl_b64 s[0:1], s[92:93], 1
	v_and_b32_e32 v5, 14, v5
	s_add_u32 s0, s10, s0
	v_add_lshl_u32 v5, v5, v20, 1
	s_addc_u32 s1, s12, s1
	v_or_b32_e32 v7, 0x180, v20
	v_add_u32_e32 v6, 0, v5
	v_writelane_b32 v95, s0, 4
	s_mul_i32 s92, s36, s20
	scratch_store_dword off, v6, off offset:24 ; 4-byte Folded Spill
	scratch_store_dword off, v7, off offset:200 ; 4-byte Folded Spill
	v_lshrrev_b32_e32 v6, 5, v7
	v_writelane_b32 v95, s1, 5
	s_lshl_b64 s[0:1], s[92:93], 2
	v_and_b32_e32 v6, 14, v6
	s_add_u32 s99, s4, s0
	v_add_lshl_u32 v6, v6, v20, 1
	s_addc_u32 s0, s5, s1
	s_mul_i32 s92, s22, s38
	v_add_u32_e32 v8, 0x1c0, v20
	v_add_u32_e32 v7, 0, v6
	v_writelane_b32 v95, s0, 6
	s_lshl_b64 s[0:1], s[92:93], 1
	scratch_store_dword off, v7, off offset:28 ; 4-byte Folded Spill
	scratch_store_dword off, v8, off offset:204 ; 4-byte Folded Spill
	v_lshrrev_b32_e32 v7, 5, v8
	s_add_u32 s4, s6, s0
	s_mul_i32 s92, s3, s41
	v_and_b32_e32 v7, 30, v7
	s_addc_u32 s5, s7, s1
	s_lshl_b64 s[0:1], s[92:93], 1
	v_add_lshl_u32 v7, v7, v20, 1
	s_add_u32 s0, s4, s0
	v_or_b32_e32 v9, 0x200, v20
	v_add_u32_e32 v8, 0, v7
	s_addc_u32 s1, s5, s1
	scratch_store_dword off, v8, off offset:32 ; 4-byte Folded Spill
	scratch_store_dword off, v9, off offset:208 ; 4-byte Folded Spill
	v_lshrrev_b32_e32 v8, 5, v9
	v_writelane_b32 v95, s0, 7
	v_and_b32_e32 v8, 18, v8
	v_add_lshl_u32 v8, v8, v20, 1
	v_writelane_b32 v95, s1, 8
	v_writelane_b32 v95, s36, 9
	v_add_u32_e32 v10, 0x240, v20
	v_add_u32_e32 v9, 0, v8
	v_writelane_b32 v95, s37, 10
	scratch_store_dword off, v9, off offset:36 ; 4-byte Folded Spill
	scratch_store_dword off, v10, off offset:212 ; 4-byte Folded Spill
	v_lshrrev_b32_e32 v9, 5, v10
	v_writelane_b32 v95, s38, 11
	v_and_b32_e32 v9, 22, v9
	v_writelane_b32 v95, s39, 12
	v_add_lshl_u32 v9, v9, v20, 1
	v_writelane_b32 v95, s40, 13
	v_or_b32_e32 v11, 0x280, v20
	v_add_u32_e32 v10, 0, v9
	v_writelane_b32 v95, s41, 14
	scratch_store_dword off, v10, off offset:40 ; 4-byte Folded Spill
	scratch_store_dword off, v11, off offset:216 ; 4-byte Folded Spill
	v_lshrrev_b32_e32 v10, 5, v11
	v_writelane_b32 v95, s42, 15
	s_mul_i32 s92, s22, s42
	v_and_b32_e32 v10, 22, v10
	v_writelane_b32 v95, s43, 16
	s_lshl_b64 s[0:1], s[92:93], 1
	v_add_lshl_u32 v10, v10, v20, 1
	s_add_u32 s4, s8, s0
	v_writelane_b32 v95, s44, 17
	s_mul_i32 s92, s3, s45
	v_add_u32_e32 v12, 0x2c0, v20
	v_add_u32_e32 v11, 0, v10
	s_addc_u32 s5, s9, s1
	v_writelane_b32 v95, s45, 18
	s_lshl_b64 s[0:1], s[92:93], 1
	scratch_store_dword off, v11, off offset:44 ; 4-byte Folded Spill
	scratch_store_dword off, v12, off offset:220 ; 4-byte Folded Spill
	v_lshrrev_b32_e32 v11, 5, v12
	v_writelane_b32 v95, s46, 19
	s_add_u32 s0, s4, s0
	v_and_b32_e32 v11, 30, v11
	v_writelane_b32 v95, s47, 20
	s_addc_u32 s1, s5, s1
	v_add_lshl_u32 v11, v11, v20, 1
	v_writelane_b32 v95, s0, 21
	v_or_b32_e32 v13, 0x300, v20
	v_add_u32_e32 v12, 0, v11
	v_writelane_b32 v95, s1, 22
	s_mul_i32 s92, s2, s48
	scratch_store_dword off, v12, off offset:48 ; 4-byte Folded Spill
	scratch_store_dword off, v13, off offset:224 ; 4-byte Folded Spill
	v_lshrrev_b32_e32 v12, 5, v13
	s_lshl_b64 s[0:1], s[92:93], 1
	v_writelane_b32 v95, s48, 23
	v_and_b32_e32 v12, 26, v12
	s_add_u32 s2, s16, s0
	v_writelane_b32 v95, s49, 24
	s_mul_i32 s92, s49, s20
	v_add_lshl_u32 v12, v12, v20, 1
	s_addc_u32 s3, s17, s1
	v_writelane_b32 v95, s50, 25
	s_lshl_b64 s[0:1], s[92:93], 1
	v_add_u32_e32 v14, 0x340, v20
	v_add_u32_e32 v13, 0, v12
	v_writelane_b32 v95, s51, 26
	s_add_u32 s0, s2, s0
	scratch_store_dword off, v13, off offset:52 ; 4-byte Folded Spill
	scratch_store_dword off, v14, off offset:228 ; 4-byte Folded Spill
	v_lshrrev_b32_e32 v13, 5, v14
	v_writelane_b32 v95, s0, 27
	s_addc_u32 s0, s3, s1
	v_and_b32_e32 v13, 30, v13
	v_writelane_b32 v95, s0, 28
	s_add_i32 s0, s29, 0x7ff
	v_add_lshl_u32 v13, v13, v20, 1
	s_lshr_b32 s1, s0, 11
	v_or_b32_e32 v15, 0x380, v20
	v_add_u32_e32 v14, 0, v13
	scratch_store_dword off, v14, off offset:56 ; 4-byte Folded Spill
	scratch_store_dword off, v15, off offset:232 ; 4-byte Folded Spill
	v_lshrrev_b32_e32 v14, 5, v15
	s_bitcmp1_b32 s23, 0
	v_and_b32_e32 v14, 30, v14
	s_cselect_b64 s[4:5], -1, 0
	s_cmp_gt_i32 s28, 0
	v_add_lshl_u32 v14, v14, v20, 1
	s_cselect_b64 s[2:3], -1, 0
	s_add_i32 s0, 0, 0x840
	v_add_u32_e32 v15, 0, v14
	v_add_u32_e32 v1, s0, v1
	;; [unrolled: 1-line block ×3, first 2 shown]
	scratch_store_dword off, v15, off offset:60 ; 4-byte Folded Spill
	scratch_store_dword off, v16, off offset:236 ; 4-byte Folded Spill
	scratch_store_dword off, v1, off offset:96 ; 4-byte Folded Spill
	v_add_u32_e32 v1, s0, v2
	scratch_store_dword off, v1, off offset:100 ; 4-byte Folded Spill
	v_add_u32_e32 v1, s0, v3
	scratch_store_dword off, v1, off offset:104 ; 4-byte Folded Spill
	;; [unrolled: 2-line block ×7, first 2 shown]
	v_add_u32_e32 v1, s0, v9
	v_lshrrev_b32_e32 v15, 5, v16
	scratch_store_dword off, v1, off offset:128 ; 4-byte Folded Spill
	v_add_u32_e32 v1, s0, v10
	v_and_b32_e32 v15, 62, v15
	scratch_store_dword off, v1, off offset:132 ; 4-byte Folded Spill
	v_add_u32_e32 v1, s0, v11
	v_add_lshl_u32 v15, v15, v20, 1
	scratch_store_dword off, v1, off offset:136 ; 4-byte Folded Spill
	v_add_u32_e32 v1, s0, v12
	v_add_u32_e32 v16, 0, v15
	v_lshrrev_b32_e32 v18, 1, v20
	scratch_store_dword off, v1, off offset:140 ; 4-byte Folded Spill
	v_add_u32_e32 v1, s0, v13
	scratch_store_dword off, v16, off offset:64 ; 4-byte Folded Spill
	v_lshlrev_b32_e32 v16, 4, v20
	v_and_b32_e32 v18, 62, v18
	scratch_store_dword off, v1, off offset:144 ; 4-byte Folded Spill
	v_add_u32_e32 v1, s0, v14
	v_add_lshl_u32 v16, v18, v16, 1
	v_writelane_b32 v95, s28, 29
	scratch_store_dword off, v1, off offset:148 ; 4-byte Folded Spill
	v_add_u32_e32 v1, s0, v15
	v_writelane_b32 v95, s2, 30
	scratch_store_dword off, v1, off offset:152 ; 4-byte Folded Spill
	v_add_u32_e32 v1, s0, v16
	s_and_b32 s0, s29, 0x3ff
	v_writelane_b32 v95, s3, 31
	s_cmp_eq_u32 s0, 0
	v_writelane_b32 v95, s29, 32
	s_cselect_b64 s[2:3], -1, 0
	scratch_store_dword off, v1, off offset:156 ; 4-byte Folded Spill
	v_writelane_b32 v95, s2, 33
	v_and_b32_e32 v1, 15, v20
	v_cmp_lt_u32_e64 s[6:7], 7, v1
	v_writelane_b32 v95, s3, 34
	v_cmp_ne_u32_e64 s[2:3], 0, v1
	s_add_i32 s0, s1, -1
	s_mul_i32 s92, s22, s24
	v_writelane_b32 v95, s2, 35
	v_and_b32_e32 v2, 64, v20
	v_lshlrev_b32_e32 v19, 4, v0
	v_writelane_b32 v95, s3, 36
	v_cmp_lt_u32_e64 s[2:3], 1, v1
	v_cmp_gt_u32_e64 s[14:15], 64, v0
	v_cmp_eq_u32_e64 s[16:17], 0, v0
	v_writelane_b32 v95, s2, 37
	v_add_u32_e32 v18, 0, v16
	v_mov_b32_e32 v17, 0
	v_writelane_b32 v95, s3, 38
	v_cmp_lt_u32_e64 s[2:3], 3, v1
	v_writelane_b32 v95, s6, 39
	v_and_b32_e32 v1, 16, v20
	scratch_store_dword off, v18, off       ; 4-byte Folded Spill
	v_writelane_b32 v95, s7, 40
	v_cmp_ne_u32_e64 s[6:7], 0, v1
	v_add_u32_e32 v1, -1, v20
	v_cmp_lt_i32_e32 vcc, v1, v2
	v_writelane_b32 v95, s6, 41
	v_lshlrev_b32_e32 v16, 1, v20
	v_cndmask_b32_e32 v1, v1, v20, vcc
	v_writelane_b32 v95, s7, 42
	v_writelane_b32 v95, s1, 43
	;; [unrolled: 1-line block ×3, first 2 shown]
	s_lshl_b64 s[0:1], s[92:93], 1
	s_add_u32 s18, s18, s0
	s_addc_u32 s19, s19, s1
	v_cmp_eq_u32_e64 s[0:1], 63, v0
	v_lshlrev_b32_e32 v1, 2, v1
	v_mov_b32_e32 v0, v20
	scratch_store_dwordx2 off, v[0:1], off offset:172 ; 8-byte Folded Spill
	v_or_b32_e32 v0, 1, v19
	scratch_store_dword off, v0, off offset:252 ; 4-byte Folded Spill
	v_or_b32_e32 v0, 2, v19
	scratch_store_dword off, v0, off offset:256 ; 4-byte Folded Spill
	;; [unrolled: 2-line block ×6, first 2 shown]
                                        ; implicit-def: $vgpr0
	v_writelane_b32 v95, s0, 45
	v_or_b32_e32 v0, 7, v19
	scratch_store_dword off, v0, off offset:276 ; 4-byte Folded Spill
	v_or_b32_e32 v0, 8, v19
	s_mul_i32 s92, s25, s20
	scratch_store_dword off, v0, off offset:280 ; 4-byte Folded Spill
	v_or_b32_e32 v0, 9, v19
	v_writelane_b32 v95, s1, 46
	s_lshl_b64 s[0:1], s[92:93], 1
	scratch_store_dword off, v0, off offset:284 ; 4-byte Folded Spill
	v_or_b32_e32 v0, 10, v19
	s_add_u32 s0, s18, s0
	scratch_store_dword off, v0, off offset:288 ; 4-byte Folded Spill
	v_or_b32_e32 v0, 11, v19
	s_addc_u32 s1, s19, s1
	s_add_i32 s18, 0, 0x1088
	scratch_store_dword off, v0, off offset:292 ; 4-byte Folded Spill
	v_or_b32_e32 v0, 12, v19
	v_writelane_b32 v95, s18, 47
	scratch_store_dword off, v0, off offset:296 ; 4-byte Folded Spill
	v_or_b32_e32 v0, 13, v19
	scratch_store_dword off, v0, off offset:300 ; 4-byte Folded Spill
	v_or_b32_e32 v0, 14, v19
	v_writelane_b32 v95, s99, 48
	scratch_store_dword off, v1, off offset:160 ; 4-byte Folded Spill
	scratch_store_dword off, v0, off offset:304 ; 4-byte Folded Spill
	;; [unrolled: 1-line block ×3, first 2 shown]
	v_or_b32_e32 v0, 15, v19
	v_writelane_b32 v95, s4, 49
	v_cmp_lt_u32_e64 s[12:13], 31, v20
	s_mov_b32 s6, 0x41a00000
	s_mov_b32 s7, 0x3fb8aa3b
	;; [unrolled: 1-line block ×10, first 2 shown]
	scratch_store_dword off, v0, off offset:308 ; 4-byte Folded Spill
	v_mov_b32_e32 v40, 0x3ecc95a3
	v_mov_b32_e32 v41, 0x7f800000
	;; [unrolled: 1-line block ×4, first 2 shown]
	v_lshl_add_u64 v[0:1], s[0:1], 0, v[16:17]
	v_mov_b32_e32 v42, 0x3f317218
	v_writelane_b32 v95, s5, 50
	scratch_store_dwordx2 off, v[0:1], off offset:240 ; 8-byte Folded Spill
	s_branch .LBB82_13
.LBB82_12:                              ;   in Loop: Header=BB82_13 Depth=1
	s_or_b64 exec, exec, s[18:19]
	v_readlane_b32 s0, v95, 4
	v_readlane_b32 s1, v95, 5
	s_add_u32 s0, s0, 0x800
	s_addc_u32 s1, s1, 0
	v_writelane_b32 v95, s0, 4
	s_nop 1
	v_writelane_b32 v95, s1, 5
	s_nop 0
	v_readlane_b32 s26, v95, 54
	v_readlane_b32 s27, v95, 55
	s_add_u32 s26, s26, 0x800
	s_addc_u32 s27, s27, 0
	v_readlane_b32 s0, v95, 7
	v_readlane_b32 s1, v95, 8
	s_add_u32 s0, s0, 0x800
	s_addc_u32 s1, s1, 0
	v_writelane_b32 v95, s0, 7
	s_nop 1
	v_writelane_b32 v95, s1, 8
	s_nop 0
	v_readlane_b32 s0, v95, 21
	v_readlane_b32 s1, v95, 22
	s_add_u32 s0, s0, 0x800
	s_addc_u32 s1, s1, 0
	v_writelane_b32 v95, s0, 21
	s_nop 1
	v_writelane_b32 v95, s1, 22
	s_nop 0
	v_readlane_b32 s18, v95, 51
	s_add_i32 s18, s18, 1
	v_readlane_b32 s0, v95, 43
	s_cmp_eq_u32 s18, s0
	s_cbranch_scc1 .LBB82_234
.LBB82_13:                              ; =>This Loop Header: Depth=1
                                        ;     Child Loop BB82_110 Depth 2
	s_waitcnt lgkmcnt(0)
	; wave barrier
	s_waitcnt vmcnt(63) expcnt(7) lgkmcnt(15)
	scratch_load_dwordx2 v[0:1], off, off offset:172 ; 8-byte Folded Reload
	s_lshl_b32 s20, s18, 10
	v_writelane_b32 v95, s18, 51
	s_mov_b32 s18, s20
	v_readlane_b32 s0, v95, 32
	v_writelane_b32 v95, s18, 52
	s_sub_i32 s82, s0, s20
	s_waitcnt vmcnt(0) lgkmcnt(0)
	v_mov_b32_e32 v2, v0
	v_writelane_b32 v95, s19, 53
	v_lshlrev_b32_e32 v16, 1, v2
	v_writelane_b32 v95, s26, 54
	v_cmp_gt_u32_e64 s[18:19], s82, v2
	v_mov_b32_e32 v2, 0
	v_writelane_b32 v95, s27, 55
	v_lshl_add_u64 v[0:1], s[26:27], 0, v[16:17]
	s_and_saveexec_b64 s[20:21], s[18:19]
	s_cbranch_execz .LBB82_15
; %bb.14:                               ;   in Loop: Header=BB82_13 Depth=1
	global_load_ushort v2, v[0:1], off
.LBB82_15:                              ;   in Loop: Header=BB82_13 Depth=1
	s_or_b64 exec, exec, s[20:21]
	scratch_load_dword v3, off, off offset:180 ; 4-byte Folded Reload
	v_mov_b32_e32 v4, 0
	s_waitcnt vmcnt(0)
	v_cmp_gt_u32_e64 s[20:21], s82, v3
	v_mov_b32_e32 v3, 0
	s_and_saveexec_b64 s[22:23], s[20:21]
	s_cbranch_execz .LBB82_17
; %bb.16:                               ;   in Loop: Header=BB82_13 Depth=1
	global_load_ushort v4, v[0:1], off offset:128
.LBB82_17:                              ;   in Loop: Header=BB82_13 Depth=1
	s_or_b64 exec, exec, s[22:23]
	scratch_load_dword v5, off, off offset:184 ; 4-byte Folded Reload
	s_waitcnt vmcnt(0)
	v_cmp_gt_u32_e64 s[22:23], s82, v5
	s_and_saveexec_b64 s[24:25], s[22:23]
	s_cbranch_execz .LBB82_19
; %bb.18:                               ;   in Loop: Header=BB82_13 Depth=1
	global_load_ushort v3, v[0:1], off offset:256
.LBB82_19:                              ;   in Loop: Header=BB82_13 Depth=1
	s_or_b64 exec, exec, s[24:25]
	scratch_load_dword v5, off, off offset:188 ; 4-byte Folded Reload
	v_mov_b32_e32 v6, 0
	s_waitcnt vmcnt(0)
	v_cmp_gt_u32_e64 s[24:25], s82, v5
	v_mov_b32_e32 v5, 0
	s_and_saveexec_b64 s[26:27], s[24:25]
	s_cbranch_execz .LBB82_21
; %bb.20:                               ;   in Loop: Header=BB82_13 Depth=1
	global_load_ushort v6, v[0:1], off offset:384
.LBB82_21:                              ;   in Loop: Header=BB82_13 Depth=1
	s_or_b64 exec, exec, s[26:27]
	scratch_load_dword v7, off, off offset:192 ; 4-byte Folded Reload
	s_waitcnt vmcnt(0)
	v_cmp_gt_u32_e64 s[26:27], s82, v7
	s_and_saveexec_b64 s[28:29], s[26:27]
	s_cbranch_execz .LBB82_23
; %bb.22:                               ;   in Loop: Header=BB82_13 Depth=1
	global_load_ushort v5, v[0:1], off offset:512
.LBB82_23:                              ;   in Loop: Header=BB82_13 Depth=1
	;; [unrolled: 20-line block ×4, first 2 shown]
	s_or_b64 exec, exec, s[38:39]
	scratch_load_dword v10, off, off offset:212 ; 4-byte Folded Reload
	v_mov_b32_e32 v12, 0
	v_mov_b32_e32 v13, 0
	s_waitcnt vmcnt(0)
	v_cmp_gt_u32_e64 s[38:39], s82, v10
	s_and_saveexec_b64 s[40:41], s[38:39]
	s_cbranch_execz .LBB82_33
; %bb.32:                               ;   in Loop: Header=BB82_13 Depth=1
	global_load_ushort v13, v[0:1], off offset:1152
.LBB82_33:                              ;   in Loop: Header=BB82_13 Depth=1
	s_or_b64 exec, exec, s[40:41]
	scratch_load_dword v10, off, off offset:216 ; 4-byte Folded Reload
	s_waitcnt vmcnt(0)
	v_cmp_gt_u32_e64 s[40:41], s82, v10
	s_and_saveexec_b64 s[42:43], s[40:41]
	s_cbranch_execz .LBB82_35
; %bb.34:                               ;   in Loop: Header=BB82_13 Depth=1
	global_load_ushort v12, v[0:1], off offset:1280
.LBB82_35:                              ;   in Loop: Header=BB82_13 Depth=1
	s_or_b64 exec, exec, s[42:43]
	scratch_load_dword v10, off, off offset:220 ; 4-byte Folded Reload
	v_mov_b32_e32 v14, 0
	v_mov_b32_e32 v15, 0
	s_waitcnt vmcnt(0)
	v_cmp_gt_u32_e64 s[42:43], s82, v10
	s_and_saveexec_b64 s[44:45], s[42:43]
	s_cbranch_execz .LBB82_37
; %bb.36:                               ;   in Loop: Header=BB82_13 Depth=1
	global_load_ushort v15, v[0:1], off offset:1408
.LBB82_37:                              ;   in Loop: Header=BB82_13 Depth=1
	s_or_b64 exec, exec, s[44:45]
	scratch_load_dword v10, off, off offset:224 ; 4-byte Folded Reload
	s_waitcnt vmcnt(0)
	v_cmp_gt_u32_e64 s[44:45], s82, v10
	s_and_saveexec_b64 s[46:47], s[44:45]
	s_cbranch_execz .LBB82_39
; %bb.38:                               ;   in Loop: Header=BB82_13 Depth=1
	global_load_ushort v14, v[0:1], off offset:1536
.LBB82_39:                              ;   in Loop: Header=BB82_13 Depth=1
	;; [unrolled: 20-line block ×3, first 2 shown]
	s_or_b64 exec, exec, s[50:51]
	scratch_load_dword v10, off, off offset:236 ; 4-byte Folded Reload
	v_mov_b32_e32 v20, 0
	s_waitcnt vmcnt(0)
	v_cmp_gt_u32_e64 s[50:51], s82, v10
	v_mov_b32_e32 v10, 0
	s_and_saveexec_b64 s[52:53], s[50:51]
	s_cbranch_execz .LBB82_45
; %bb.44:                               ;   in Loop: Header=BB82_13 Depth=1
	global_load_ushort v20, v[0:1], off offset:1920
.LBB82_45:                              ;   in Loop: Header=BB82_13 Depth=1
	s_or_b64 exec, exec, s[52:53]
	scratch_load_dword v0, off, off offset:4 ; 4-byte Folded Reload
	v_readlane_b32 s0, v95, 4
	v_readlane_b32 s1, v95, 5
	s_waitcnt vmcnt(0)
	ds_write_b16 v0, v2
	scratch_load_dword v0, off, off offset:8 ; 4-byte Folded Reload
	s_waitcnt vmcnt(0)
	ds_write_b16 v0, v4 offset:128
	scratch_load_dword v0, off, off offset:12 ; 4-byte Folded Reload
	s_waitcnt vmcnt(0)
	ds_write_b16 v0, v3 offset:256
	scratch_load_dword v0, off, off offset:16 ; 4-byte Folded Reload
	s_waitcnt vmcnt(0)
	ds_write_b16 v0, v6 offset:384
	scratch_load_dword v0, off, off offset:20 ; 4-byte Folded Reload
	s_waitcnt vmcnt(0)
	ds_write_b16 v0, v5 offset:512
	scratch_load_dword v0, off, off offset:24 ; 4-byte Folded Reload
	s_waitcnt vmcnt(0)
	ds_write_b16 v0, v8 offset:640
	scratch_load_dword v0, off, off offset:28 ; 4-byte Folded Reload
	s_waitcnt vmcnt(0)
	ds_write_b16 v0, v7 offset:768
	scratch_load_dword v0, off, off offset:32 ; 4-byte Folded Reload
	s_waitcnt vmcnt(0)
	ds_write_b16 v0, v11 offset:896
	scratch_load_dword v0, off, off offset:36 ; 4-byte Folded Reload
	s_waitcnt vmcnt(0)
	ds_write_b16 v0, v9 offset:1024
	scratch_load_dword v0, off, off offset:40 ; 4-byte Folded Reload
	v_lshl_add_u64 v[8:9], s[0:1], 0, v[16:17]
	s_waitcnt vmcnt(0)
	ds_write_b16 v0, v13 offset:1152
	scratch_load_dword v0, off, off offset:44 ; 4-byte Folded Reload
	s_waitcnt vmcnt(0)
	ds_write_b16 v0, v12 offset:1280
	scratch_load_dword v0, off, off offset:48 ; 4-byte Folded Reload
	;; [unrolled: 3-line block ×6, first 2 shown]
	s_waitcnt vmcnt(0)
	ds_write_b16 v0, v20 offset:1920
	; wave barrier
	scratch_load_dword v4, off, off         ; 4-byte Folded Reload
	s_waitcnt vmcnt(0)
	ds_read_b128 v[0:3], v4
	ds_read_b128 v[4:7], v4 offset:16
	s_waitcnt lgkmcnt(0)
	; wave barrier
	s_waitcnt lgkmcnt(0)
	s_and_saveexec_b64 s[52:53], s[18:19]
	s_cbranch_execz .LBB82_47
; %bb.46:                               ;   in Loop: Header=BB82_13 Depth=1
	global_load_ushort v10, v[8:9], off
.LBB82_47:                              ;   in Loop: Header=BB82_13 Depth=1
	s_or_b64 exec, exec, s[52:53]
	v_mov_b32_e32 v11, 0
	v_mov_b32_e32 v12, 0
	s_and_saveexec_b64 s[52:53], s[20:21]
	s_cbranch_execz .LBB82_49
; %bb.48:                               ;   in Loop: Header=BB82_13 Depth=1
	global_load_ushort v12, v[8:9], off offset:128
.LBB82_49:                              ;   in Loop: Header=BB82_13 Depth=1
	s_or_b64 exec, exec, s[52:53]
	s_and_saveexec_b64 s[52:53], s[22:23]
	s_cbranch_execz .LBB82_51
; %bb.50:                               ;   in Loop: Header=BB82_13 Depth=1
	global_load_ushort v11, v[8:9], off offset:256
.LBB82_51:                              ;   in Loop: Header=BB82_13 Depth=1
	s_or_b64 exec, exec, s[52:53]
	v_mov_b32_e32 v13, 0
	v_mov_b32_e32 v14, 0
	s_and_saveexec_b64 s[52:53], s[24:25]
	s_cbranch_execz .LBB82_53
; %bb.52:                               ;   in Loop: Header=BB82_13 Depth=1
	global_load_ushort v14, v[8:9], off offset:384
.LBB82_53:                              ;   in Loop: Header=BB82_13 Depth=1
	s_or_b64 exec, exec, s[52:53]
	s_and_saveexec_b64 s[52:53], s[26:27]
	s_cbranch_execz .LBB82_55
; %bb.54:                               ;   in Loop: Header=BB82_13 Depth=1
	global_load_ushort v13, v[8:9], off offset:512
.LBB82_55:                              ;   in Loop: Header=BB82_13 Depth=1
	;; [unrolled: 14-line block ×6, first 2 shown]
	s_or_b64 exec, exec, s[52:53]
	v_mov_b32_e32 v25, 0
	v_mov_b32_e32 v26, 0
	s_and_saveexec_b64 s[52:53], s[46:47]
	s_cbranch_execnz .LBB82_216
; %bb.72:                               ;   in Loop: Header=BB82_13 Depth=1
	s_or_b64 exec, exec, s[52:53]
	s_and_saveexec_b64 s[52:53], s[48:49]
	s_cbranch_execnz .LBB82_217
.LBB82_73:                              ;   in Loop: Header=BB82_13 Depth=1
	s_or_b64 exec, exec, s[52:53]
	v_mov_b32_e32 v27, 0
	s_and_saveexec_b64 s[52:53], s[50:51]
	s_cbranch_execz .LBB82_75
.LBB82_74:                              ;   in Loop: Header=BB82_13 Depth=1
	global_load_ushort v27, v[8:9], off offset:1920
.LBB82_75:                              ;   in Loop: Header=BB82_13 Depth=1
	s_or_b64 exec, exec, s[52:53]
	scratch_load_dword v8, off, off offset:4 ; 4-byte Folded Reload
	v_readlane_b32 s0, v95, 2
	s_waitcnt vmcnt(0)
	ds_write_b16 v8, v10
	scratch_load_dword v8, off, off offset:8 ; 4-byte Folded Reload
	s_waitcnt vmcnt(0)
	ds_write_b16 v8, v12 offset:128
	scratch_load_dword v8, off, off offset:12 ; 4-byte Folded Reload
	s_waitcnt vmcnt(0)
	ds_write_b16 v8, v11 offset:256
	;; [unrolled: 3-line block ×15, first 2 shown]
	; wave barrier
	scratch_load_dword v8, off, off         ; 4-byte Folded Reload
	s_waitcnt vmcnt(0)
	ds_read_b128 v[12:15], v8
	ds_read_b128 v[8:11], v8 offset:16
	s_waitcnt lgkmcnt(1)
	v_cvt_f32_f16_e32 v18, v12
	v_add_f32_e32 v70, s0, v18
	v_cmp_ge_f32_e32 vcc, s6, v70
	s_and_b64 s[0:1], s[4:5], vcc
	s_and_saveexec_b64 s[54:55], s[0:1]
	s_cbranch_execz .LBB82_77
; %bb.76:                               ;   in Loop: Header=BB82_13 Depth=1
	v_mul_f32_e32 v18, 0x3fb8aa3b, v70
	v_rndne_f32_e32 v19, v18
	v_sub_f32_e32 v20, v18, v19
	v_fma_f32 v18, v70, s7, -v18
	v_fmac_f32_e32 v18, 0x32a5705f, v70
	v_add_f32_e32 v18, v20, v18
	v_cvt_i32_f32_e32 v19, v19
	v_exp_f32_e32 v18, v18
	v_cmp_ngt_f32_e32 vcc, s8, v70
	v_ldexp_f32 v18, v18, v19
	s_nop 0
	v_cndmask_b32_e32 v18, 0, v18, vcc
	v_cmp_nlt_f32_e32 vcc, s9, v70
	s_nop 1
	v_cndmask_b32_e32 v34, v41, v18, vcc
	v_add_f32_e32 v20, 1.0, v34
	v_add_f32_e32 v18, -1.0, v20
	v_sub_f32_e32 v19, v18, v20
	v_add_f32_e32 v19, 1.0, v19
	v_sub_f32_e32 v18, v34, v18
	v_add_f32_e32 v21, v18, v19
	v_frexp_mant_f32_e32 v22, v20
	v_cvt_f64_f32_e32 v[18:19], v20
	v_frexp_exp_i32_f64_e32 v18, v[18:19]
	v_cmp_gt_f32_e32 vcc, s11, v22
	v_cmp_gt_f32_e64 s[52:53], s57, v34
	s_nop 0
	v_subbrev_co_u32_e32 v26, vcc, 0, v18, vcc
	v_sub_u32_e32 v18, 0, v26
	v_ldexp_f32 v19, v20, v18
	v_add_f32_e32 v20, -1.0, v19
	v_add_f32_e32 v22, 1.0, v19
	v_ldexp_f32 v18, v21, v18
	v_add_f32_e32 v21, 1.0, v20
	v_add_f32_e32 v23, -1.0, v22
	v_sub_f32_e32 v21, v19, v21
	v_sub_f32_e32 v19, v19, v23
	v_add_f32_e32 v21, v18, v21
	v_add_f32_e32 v18, v18, v19
	;; [unrolled: 1-line block ×3, first 2 shown]
	v_rcp_f32_e32 v29, v27
	v_sub_f32_e32 v19, v22, v27
	v_add_f32_e32 v28, v18, v19
	v_add_f32_e32 v19, v20, v21
	v_mul_f32_e32 v31, v19, v29
	v_sub_f32_e32 v18, v20, v19
	v_mul_f32_e32 v20, v27, v31
	v_fma_f32 v22, v31, v27, -v20
	v_fmac_f32_e32 v22, v31, v28
	v_add_f32_e32 v30, v21, v18
	v_add_f32_e32 v18, v20, v22
	v_sub_f32_e32 v21, v19, v18
	v_pk_add_f32 v[24:25], v[18:19], v[20:21] neg_lo:[0,1] neg_hi:[0,1]
	v_mov_b32_e32 v23, v18
	v_pk_add_f32 v[18:19], v[24:25], v[22:23] neg_lo:[0,1] neg_hi:[0,1]
	v_cmp_eq_f32_e32 vcc, s10, v34
	v_add_f32_e32 v19, v30, v19
	v_add_f32_e32 v18, v18, v19
	;; [unrolled: 1-line block ×3, first 2 shown]
	v_mul_f32_e32 v30, v29, v19
	v_mul_f32_e32 v20, v27, v30
	v_fma_f32 v22, v30, v27, -v20
	v_fmac_f32_e32 v22, v30, v28
	v_sub_f32_e32 v21, v21, v19
	v_add_f32_e32 v27, v18, v21
	v_add_f32_e32 v18, v20, v22
	v_sub_f32_e32 v21, v19, v18
	v_pk_add_f32 v[24:25], v[18:19], v[20:21] neg_lo:[0,1] neg_hi:[0,1]
	v_mov_b32_e32 v23, v18
	v_pk_add_f32 v[18:19], v[24:25], v[22:23] neg_lo:[0,1] neg_hi:[0,1]
	s_or_b64 vcc, s[52:53], vcc
	v_add_f32_e32 v19, v27, v19
	v_add_f32_e32 v18, v18, v19
	;; [unrolled: 1-line block ×4, first 2 shown]
	v_sub_f32_e32 v20, v19, v31
	v_mul_f32_e32 v18, v29, v18
	v_sub_f32_e32 v20, v30, v20
	v_add_f32_e32 v20, v20, v18
	v_add_f32_e32 v22, v19, v20
	v_mul_f32_e32 v23, v22, v22
	v_fmamk_f32 v18, v23, 0x3e9b6dac, v40
	v_fmaak_f32 v43, v23, v18, 0x3f2aaada
	v_cvt_f32_i32_e32 v18, v26
	v_sub_f32_e32 v19, v22, v19
	v_sub_f32_e32 v19, v20, v19
	v_ldexp_f32 v24, v19, 1
	v_mul_f32_e32 v19, v22, v23
	v_ldexp_f32 v21, v22, 1
	v_pk_mul_f32 v[22:23], v[18:19], v[42:43]
	s_nop 0
	v_fma_f32 v20, v18, s56, -v22
	v_fmac_f32_e32 v20, 0xb102e308, v18
	v_pk_add_f32 v[18:19], v[22:23], v[20:21]
	s_nop 0
	v_sub_f32_e32 v21, v19, v21
	v_sub_f32_e32 v21, v23, v21
	v_add_f32_e32 v25, v24, v21
	v_mov_b32_e32 v24, v22
	v_pk_add_f32 v[22:23], v[18:19], v[22:23] neg_lo:[0,1] neg_hi:[0,1]
	v_pk_add_f32 v[26:27], v[18:19], v[24:25]
	v_mov_b32_e32 v21, v18
	v_mov_b32_e32 v23, v27
	v_pk_add_f32 v[28:29], v[20:21], v[22:23] neg_lo:[0,1] neg_hi:[0,1]
	v_pk_add_f32 v[20:21], v[20:21], v[22:23]
	v_mov_b32_e32 v24, v25
	v_mov_b32_e32 v22, v21
	v_pk_add_f32 v[30:31], v[22:23], v[18:19] neg_lo:[0,1] neg_hi:[0,1]
	v_mov_b32_e32 v20, v27
	v_mov_b32_e32 v23, v30
	v_pk_add_f32 v[32:33], v[26:27], v[22:23] neg_lo:[0,1] neg_hi:[0,1]
	v_mov_b32_e32 v26, v19
	v_mov_b32_e32 v27, v30
	;; [unrolled: 1-line block ×3, first 2 shown]
	v_pk_add_f32 v[20:21], v[20:21], v[26:27] neg_lo:[0,1] neg_hi:[0,1]
	v_mov_b32_e32 v25, v18
	v_pk_add_f32 v[18:19], v[24:25], v[20:21] neg_lo:[0,1] neg_hi:[0,1]
	v_mov_b32_e32 v32, v28
	v_pk_add_f32 v[20:21], v[32:33], v[18:19]
	s_nop 0
	v_mov_b32_e32 v24, v21
	v_pk_add_f32 v[24:25], v[20:21], v[24:25]
	s_nop 0
	v_pk_add_f32 v[22:23], v[22:23], v[24:25]
	v_mov_b32_e32 v19, v24
	v_mov_b32_e32 v21, v22
	v_pk_add_f32 v[26:27], v[20:21], v[28:29] neg_lo:[0,1] neg_hi:[0,1]
	s_nop 0
	v_sub_f32_e32 v20, v20, v26
	v_pk_add_f32 v[18:19], v[18:19], v[26:27] neg_lo:[0,1] neg_hi:[0,1]
	v_sub_f32_e32 v20, v28, v20
	v_add_f32_e32 v18, v18, v20
	v_add_f32_e32 v18, v18, v19
	;; [unrolled: 1-line block ×3, first 2 shown]
	v_cndmask_b32_e32 v70, v18, v34, vcc
.LBB82_77:                              ;   in Loop: Header=BB82_13 Depth=1
	s_or_b64 exec, exec, s[54:55]
	v_cvt_f32_f16_sdwa v12, v12 dst_sel:DWORD dst_unused:UNUSED_PAD src0_sel:WORD_1
	v_readlane_b32 s0, v95, 2
	s_nop 1
	v_add_f32_e32 v19, s0, v12
	v_cmp_ge_f32_e32 vcc, s6, v19
	s_and_b64 s[0:1], s[4:5], vcc
	s_and_saveexec_b64 s[54:55], s[0:1]
	s_cbranch_execz .LBB82_79
; %bb.78:                               ;   in Loop: Header=BB82_13 Depth=1
	v_mul_f32_e32 v12, 0x3fb8aa3b, v19
	v_rndne_f32_e32 v18, v12
	v_sub_f32_e32 v20, v12, v18
	v_fma_f32 v12, v19, s7, -v12
	v_fmac_f32_e32 v12, 0x32a5705f, v19
	v_add_f32_e32 v12, v20, v12
	v_cvt_i32_f32_e32 v18, v18
	v_exp_f32_e32 v12, v12
	v_cmp_ngt_f32_e32 vcc, s8, v19
	v_ldexp_f32 v12, v12, v18
	s_nop 0
	v_cndmask_b32_e32 v12, 0, v12, vcc
	v_cmp_nlt_f32_e32 vcc, s9, v19
	s_nop 1
	v_cndmask_b32_e32 v32, v41, v12, vcc
	v_add_f32_e32 v12, 1.0, v32
	v_add_f32_e32 v18, -1.0, v12
	v_sub_f32_e32 v19, v18, v12
	v_add_f32_e32 v19, 1.0, v19
	v_sub_f32_e32 v18, v32, v18
	v_add_f32_e32 v20, v18, v19
	v_frexp_mant_f32_e32 v21, v12
	v_cvt_f64_f32_e32 v[18:19], v12
	v_frexp_exp_i32_f64_e32 v18, v[18:19]
	v_cmp_gt_f32_e32 vcc, s11, v21
	v_cmp_gt_f32_e64 s[52:53], s57, v32
	s_nop 0
	v_subbrev_co_u32_e32 v26, vcc, 0, v18, vcc
	v_sub_u32_e32 v18, 0, v26
	v_ldexp_f32 v12, v12, v18
	v_ldexp_f32 v18, v20, v18
	v_add_f32_e32 v20, -1.0, v12
	v_add_f32_e32 v19, 1.0, v20
	v_sub_f32_e32 v19, v12, v19
	v_add_f32_e32 v21, v18, v19
	v_add_f32_e32 v19, 1.0, v12
	v_add_f32_e32 v22, -1.0, v19
	v_sub_f32_e32 v12, v12, v22
	v_add_f32_e32 v12, v18, v12
	v_add_f32_e32 v27, v19, v12
	v_rcp_f32_e32 v28, v27
	v_sub_f32_e32 v18, v19, v27
	v_add_f32_e32 v19, v20, v21
	v_add_f32_e32 v12, v12, v18
	v_mul_f32_e32 v30, v19, v28
	v_sub_f32_e32 v18, v20, v19
	v_mul_f32_e32 v20, v27, v30
	v_fma_f32 v22, v30, v27, -v20
	v_fmac_f32_e32 v22, v30, v12
	v_add_f32_e32 v29, v21, v18
	v_add_f32_e32 v18, v20, v22
	v_sub_f32_e32 v21, v19, v18
	v_pk_add_f32 v[24:25], v[18:19], v[20:21] neg_lo:[0,1] neg_hi:[0,1]
	v_mov_b32_e32 v23, v18
	v_pk_add_f32 v[18:19], v[24:25], v[22:23] neg_lo:[0,1] neg_hi:[0,1]
	v_cmp_eq_f32_e32 vcc, s10, v32
	v_add_f32_e32 v19, v29, v19
	v_add_f32_e32 v18, v18, v19
	;; [unrolled: 1-line block ×3, first 2 shown]
	v_mul_f32_e32 v29, v28, v19
	v_mul_f32_e32 v20, v27, v29
	v_fma_f32 v22, v29, v27, -v20
	v_fmac_f32_e32 v22, v29, v12
	v_sub_f32_e32 v12, v21, v19
	v_add_f32_e32 v12, v18, v12
	v_add_f32_e32 v18, v20, v22
	v_sub_f32_e32 v21, v19, v18
	v_pk_add_f32 v[24:25], v[18:19], v[20:21] neg_lo:[0,1] neg_hi:[0,1]
	v_mov_b32_e32 v23, v18
	v_pk_add_f32 v[18:19], v[24:25], v[22:23] neg_lo:[0,1] neg_hi:[0,1]
	s_or_b64 vcc, s[52:53], vcc
	v_add_f32_e32 v12, v12, v19
	v_add_f32_e32 v12, v18, v12
	;; [unrolled: 1-line block ×4, first 2 shown]
	v_sub_f32_e32 v18, v19, v30
	v_mul_f32_e32 v12, v28, v12
	v_sub_f32_e32 v18, v29, v18
	v_add_f32_e32 v12, v18, v12
	v_add_f32_e32 v20, v19, v12
	v_mul_f32_e32 v22, v20, v20
	v_fmamk_f32 v18, v22, 0x3e9b6dac, v40
	v_fmaak_f32 v43, v22, v18, 0x3f2aaada
	v_cvt_f32_i32_e32 v18, v26
	v_sub_f32_e32 v19, v20, v19
	v_sub_f32_e32 v12, v12, v19
	v_mul_f32_e32 v19, v20, v22
	v_pk_mul_f32 v[22:23], v[18:19], v[42:43]
	v_ldexp_f32 v21, v20, 1
	v_fma_f32 v20, v18, s56, -v22
	v_fmac_f32_e32 v20, 0xb102e308, v18
	v_pk_add_f32 v[18:19], v[22:23], v[20:21]
	v_ldexp_f32 v12, v12, 1
	v_sub_f32_e32 v21, v19, v21
	v_sub_f32_e32 v21, v23, v21
	v_add_f32_e32 v25, v12, v21
	v_mov_b32_e32 v24, v22
	v_pk_add_f32 v[22:23], v[18:19], v[22:23] neg_lo:[0,1] neg_hi:[0,1]
	v_pk_add_f32 v[26:27], v[18:19], v[24:25]
	v_mov_b32_e32 v21, v18
	v_mov_b32_e32 v23, v27
	v_pk_add_f32 v[28:29], v[20:21], v[22:23] neg_lo:[0,1] neg_hi:[0,1]
	v_pk_add_f32 v[20:21], v[20:21], v[22:23]
	s_nop 0
	v_mov_b32_e32 v12, v21
	v_pk_add_f32 v[22:23], v[12:13], v[18:19] neg_lo:[0,1] neg_hi:[0,1]
	v_mov_b32_e32 v20, v27
	v_mov_b32_e32 v23, v22
	v_pk_add_f32 v[30:31], v[26:27], v[22:23] neg_lo:[0,1] neg_hi:[0,1]
	v_mov_b32_e32 v26, v19
	v_mov_b32_e32 v27, v22
	v_mov_b32_e32 v29, v21
	v_pk_add_f32 v[20:21], v[20:21], v[26:27] neg_lo:[0,1] neg_hi:[0,1]
	v_mov_b32_e32 v22, v25
	v_mov_b32_e32 v23, v18
	v_pk_add_f32 v[18:19], v[22:23], v[20:21] neg_lo:[0,1] neg_hi:[0,1]
	v_mov_b32_e32 v30, v28
	v_pk_add_f32 v[20:21], v[30:31], v[18:19]
	s_nop 0
	v_mov_b32_e32 v22, v21
	v_pk_add_f32 v[22:23], v[20:21], v[22:23]
	s_nop 0
	v_pk_add_f32 v[24:25], v[12:13], v[22:23]
	v_mov_b32_e32 v19, v22
	v_mov_b32_e32 v21, v24
	v_pk_add_f32 v[26:27], v[20:21], v[28:29] neg_lo:[0,1] neg_hi:[0,1]
	s_nop 0
	v_sub_f32_e32 v12, v20, v26
	v_pk_add_f32 v[18:19], v[18:19], v[26:27] neg_lo:[0,1] neg_hi:[0,1]
	v_sub_f32_e32 v12, v28, v12
	v_add_f32_e32 v12, v18, v12
	v_add_f32_e32 v12, v12, v19
	;; [unrolled: 1-line block ×3, first 2 shown]
	v_cndmask_b32_e32 v19, v12, v32, vcc
.LBB82_79:                              ;   in Loop: Header=BB82_13 Depth=1
	s_or_b64 exec, exec, s[54:55]
	v_cvt_f32_f16_e32 v12, v13
	v_readlane_b32 s0, v95, 2
	s_nop 1
	v_add_f32_e32 v20, s0, v12
	v_cmp_ge_f32_e32 vcc, s6, v20
	s_and_b64 s[0:1], s[4:5], vcc
	s_and_saveexec_b64 s[54:55], s[0:1]
	s_cbranch_execz .LBB82_81
; %bb.80:                               ;   in Loop: Header=BB82_13 Depth=1
	v_mul_f32_e32 v12, 0x3fb8aa3b, v20
	v_rndne_f32_e32 v18, v12
	v_sub_f32_e32 v21, v12, v18
	v_fma_f32 v12, v20, s7, -v12
	v_fmac_f32_e32 v12, 0x32a5705f, v20
	v_add_f32_e32 v12, v21, v12
	v_cvt_i32_f32_e32 v18, v18
	v_exp_f32_e32 v12, v12
	v_cmp_ngt_f32_e32 vcc, s8, v20
	v_ldexp_f32 v12, v12, v18
	s_nop 0
	v_cndmask_b32_e32 v12, 0, v12, vcc
	v_cmp_nlt_f32_e32 vcc, s9, v20
	s_nop 1
	v_cndmask_b32_e32 v34, v41, v12, vcc
	v_add_f32_e32 v12, 1.0, v34
	v_add_f32_e32 v18, -1.0, v12
	v_sub_f32_e32 v20, v18, v12
	v_add_f32_e32 v20, 1.0, v20
	v_sub_f32_e32 v18, v34, v18
	v_add_f32_e32 v18, v18, v20
	v_frexp_mant_f32_e32 v22, v12
	v_cvt_f64_f32_e32 v[20:21], v12
	v_frexp_exp_i32_f64_e32 v20, v[20:21]
	v_cmp_gt_f32_e32 vcc, s11, v22
	v_cmp_gt_f32_e64 s[52:53], s57, v34
	s_nop 0
	v_subbrev_co_u32_e32 v28, vcc, 0, v20, vcc
	v_sub_u32_e32 v20, 0, v28
	v_ldexp_f32 v12, v12, v20
	v_ldexp_f32 v18, v18, v20
	v_add_f32_e32 v20, -1.0, v12
	v_add_f32_e32 v21, 1.0, v20
	v_sub_f32_e32 v21, v12, v21
	v_add_f32_e32 v22, v18, v21
	v_add_f32_e32 v21, 1.0, v12
	v_add_f32_e32 v23, -1.0, v21
	v_sub_f32_e32 v12, v12, v23
	v_add_f32_e32 v12, v18, v12
	v_add_f32_e32 v18, v21, v12
	v_rcp_f32_e32 v29, v18
	v_sub_f32_e32 v21, v21, v18
	v_add_f32_e32 v12, v12, v21
	v_add_f32_e32 v21, v20, v22
	v_sub_f32_e32 v20, v20, v21
	v_mul_f32_e32 v31, v21, v29
	v_add_f32_e32 v30, v22, v20
	v_mul_f32_e32 v22, v18, v31
	v_fma_f32 v24, v31, v18, -v22
	v_fmac_f32_e32 v24, v31, v12
	v_add_f32_e32 v20, v22, v24
	v_sub_f32_e32 v23, v21, v20
	v_pk_add_f32 v[26:27], v[20:21], v[22:23] neg_lo:[0,1] neg_hi:[0,1]
	v_mov_b32_e32 v25, v20
	v_pk_add_f32 v[20:21], v[26:27], v[24:25] neg_lo:[0,1] neg_hi:[0,1]
	v_cmp_eq_f32_e32 vcc, s10, v34
	v_add_f32_e32 v21, v30, v21
	v_add_f32_e32 v20, v20, v21
	;; [unrolled: 1-line block ×3, first 2 shown]
	v_mul_f32_e32 v30, v29, v21
	v_mul_f32_e32 v22, v18, v30
	v_fma_f32 v24, v30, v18, -v22
	v_fmac_f32_e32 v24, v30, v12
	v_sub_f32_e32 v12, v23, v21
	v_add_f32_e32 v12, v20, v12
	v_add_f32_e32 v20, v22, v24
	v_sub_f32_e32 v23, v21, v20
	v_pk_add_f32 v[26:27], v[20:21], v[22:23] neg_lo:[0,1] neg_hi:[0,1]
	v_mov_b32_e32 v25, v20
	v_pk_add_f32 v[20:21], v[26:27], v[24:25] neg_lo:[0,1] neg_hi:[0,1]
	v_add_f32_e32 v18, v31, v30
	v_add_f32_e32 v12, v12, v21
	;; [unrolled: 1-line block ×4, first 2 shown]
	v_sub_f32_e32 v20, v18, v31
	v_mul_f32_e32 v12, v29, v12
	v_sub_f32_e32 v20, v30, v20
	v_add_f32_e32 v12, v20, v12
	v_add_f32_e32 v21, v18, v12
	v_mul_f32_e32 v22, v21, v21
	v_fmamk_f32 v20, v22, 0x3e9b6dac, v40
	v_fmaak_f32 v43, v22, v20, 0x3f2aaada
	v_cvt_f32_i32_e32 v20, v28
	v_sub_f32_e32 v18, v21, v18
	v_ldexp_f32 v23, v21, 1
	v_mul_f32_e32 v21, v21, v22
	v_pk_mul_f32 v[24:25], v[20:21], v[42:43]
	v_sub_f32_e32 v12, v12, v18
	v_fma_f32 v22, v20, s56, -v24
	v_fmac_f32_e32 v22, 0xb102e308, v20
	v_pk_add_f32 v[20:21], v[24:25], v[22:23]
	v_ldexp_f32 v12, v12, 1
	v_sub_f32_e32 v18, v21, v23
	v_sub_f32_e32 v18, v25, v18
	v_add_f32_e32 v27, v12, v18
	v_mov_b32_e32 v26, v24
	v_pk_add_f32 v[24:25], v[20:21], v[24:25] neg_lo:[0,1] neg_hi:[0,1]
	v_pk_add_f32 v[28:29], v[20:21], v[26:27]
	v_mov_b32_e32 v23, v20
	v_mov_b32_e32 v25, v29
	v_pk_add_f32 v[30:31], v[22:23], v[24:25] neg_lo:[0,1] neg_hi:[0,1]
	v_pk_add_f32 v[22:23], v[22:23], v[24:25]
	s_or_b64 vcc, s[52:53], vcc
	v_mov_b32_e32 v12, v23
	v_pk_add_f32 v[24:25], v[12:13], v[20:21] neg_lo:[0,1] neg_hi:[0,1]
	v_mov_b32_e32 v22, v29
	v_mov_b32_e32 v25, v24
	v_pk_add_f32 v[32:33], v[28:29], v[24:25] neg_lo:[0,1] neg_hi:[0,1]
	v_mov_b32_e32 v28, v21
	v_mov_b32_e32 v29, v24
	v_mov_b32_e32 v31, v23
	v_pk_add_f32 v[22:23], v[22:23], v[28:29] neg_lo:[0,1] neg_hi:[0,1]
	v_mov_b32_e32 v24, v27
	v_mov_b32_e32 v25, v20
	v_pk_add_f32 v[20:21], v[24:25], v[22:23] neg_lo:[0,1] neg_hi:[0,1]
	v_mov_b32_e32 v32, v30
	v_pk_add_f32 v[22:23], v[32:33], v[20:21]
	s_nop 0
	v_mov_b32_e32 v18, v23
	v_pk_add_f32 v[24:25], v[22:23], v[18:19]
	s_nop 0
	v_pk_add_f32 v[26:27], v[12:13], v[24:25]
	v_mov_b32_e32 v21, v24
	v_mov_b32_e32 v23, v26
	v_pk_add_f32 v[28:29], v[22:23], v[30:31] neg_lo:[0,1] neg_hi:[0,1]
	s_nop 0
	v_sub_f32_e32 v12, v22, v28
	v_pk_add_f32 v[20:21], v[20:21], v[28:29] neg_lo:[0,1] neg_hi:[0,1]
	v_sub_f32_e32 v12, v30, v12
	v_add_f32_e32 v12, v20, v12
	v_add_f32_e32 v12, v12, v21
	v_add_f32_e32 v12, v26, v12
	v_cndmask_b32_e32 v20, v12, v34, vcc
.LBB82_81:                              ;   in Loop: Header=BB82_13 Depth=1
	s_or_b64 exec, exec, s[54:55]
	v_cvt_f32_f16_sdwa v12, v13 dst_sel:DWORD dst_unused:UNUSED_PAD src0_sel:WORD_1
	v_readlane_b32 s0, v95, 2
	s_nop 1
	v_add_f32_e32 v21, s0, v12
	v_cmp_ge_f32_e32 vcc, s6, v21
	s_and_b64 s[0:1], s[4:5], vcc
	s_and_saveexec_b64 s[54:55], s[0:1]
	s_cbranch_execz .LBB82_83
; %bb.82:                               ;   in Loop: Header=BB82_13 Depth=1
	v_mul_f32_e32 v12, 0x3fb8aa3b, v21
	v_rndne_f32_e32 v13, v12
	v_sub_f32_e32 v18, v12, v13
	v_fma_f32 v12, v21, s7, -v12
	v_fmac_f32_e32 v12, 0x32a5705f, v21
	v_add_f32_e32 v12, v18, v12
	v_cvt_i32_f32_e32 v13, v13
	v_exp_f32_e32 v12, v12
	v_cmp_ngt_f32_e32 vcc, s8, v21
	v_ldexp_f32 v12, v12, v13
	s_nop 0
	v_cndmask_b32_e32 v12, 0, v12, vcc
	v_cmp_nlt_f32_e32 vcc, s9, v21
	s_nop 1
	v_cndmask_b32_e32 v34, v41, v12, vcc
	v_add_f32_e32 v18, 1.0, v34
	v_add_f32_e32 v12, -1.0, v18
	v_sub_f32_e32 v13, v12, v18
	v_add_f32_e32 v13, 1.0, v13
	v_sub_f32_e32 v12, v34, v12
	v_add_f32_e32 v21, v12, v13
	v_frexp_mant_f32_e32 v22, v18
	v_cvt_f64_f32_e32 v[12:13], v18
	v_frexp_exp_i32_f64_e32 v12, v[12:13]
	v_cmp_gt_f32_e32 vcc, s11, v22
	v_cmp_gt_f32_e64 s[52:53], s57, v34
	s_nop 0
	v_subbrev_co_u32_e32 v28, vcc, 0, v12, vcc
	v_sub_u32_e32 v12, 0, v28
	v_ldexp_f32 v13, v18, v12
	v_add_f32_e32 v18, -1.0, v13
	v_add_f32_e32 v22, 1.0, v13
	v_ldexp_f32 v12, v21, v12
	v_add_f32_e32 v21, 1.0, v18
	v_add_f32_e32 v23, -1.0, v22
	v_sub_f32_e32 v21, v13, v21
	v_sub_f32_e32 v13, v13, v23
	v_add_f32_e32 v21, v12, v21
	v_add_f32_e32 v12, v12, v13
	;; [unrolled: 1-line block ×3, first 2 shown]
	v_rcp_f32_e32 v31, v29
	v_sub_f32_e32 v13, v22, v29
	v_add_f32_e32 v30, v12, v13
	v_add_f32_e32 v13, v18, v21
	v_sub_f32_e32 v12, v18, v13
	v_add_f32_e32 v18, v21, v12
	v_mul_f32_e32 v21, v13, v31
	v_mul_f32_e32 v22, v29, v21
	v_fma_f32 v24, v21, v29, -v22
	v_fmac_f32_e32 v24, v21, v30
	v_add_f32_e32 v12, v22, v24
	v_sub_f32_e32 v23, v13, v12
	v_pk_add_f32 v[26:27], v[12:13], v[22:23] neg_lo:[0,1] neg_hi:[0,1]
	v_mov_b32_e32 v25, v12
	v_pk_add_f32 v[12:13], v[26:27], v[24:25] neg_lo:[0,1] neg_hi:[0,1]
	v_cmp_eq_f32_e32 vcc, s10, v34
	v_add_f32_e32 v13, v18, v13
	v_add_f32_e32 v12, v12, v13
	;; [unrolled: 1-line block ×3, first 2 shown]
	v_mul_f32_e32 v18, v31, v13
	v_mul_f32_e32 v22, v29, v18
	v_fma_f32 v24, v18, v29, -v22
	v_fmac_f32_e32 v24, v18, v30
	v_sub_f32_e32 v23, v23, v13
	v_add_f32_e32 v29, v12, v23
	v_add_f32_e32 v12, v22, v24
	v_sub_f32_e32 v23, v13, v12
	v_pk_add_f32 v[26:27], v[12:13], v[22:23] neg_lo:[0,1] neg_hi:[0,1]
	v_mov_b32_e32 v25, v12
	v_pk_add_f32 v[12:13], v[26:27], v[24:25] neg_lo:[0,1] neg_hi:[0,1]
	s_or_b64 vcc, s[52:53], vcc
	v_add_f32_e32 v13, v29, v13
	v_add_f32_e32 v12, v12, v13
	;; [unrolled: 1-line block ×4, first 2 shown]
	v_sub_f32_e32 v21, v13, v21
	v_mul_f32_e32 v12, v31, v12
	v_sub_f32_e32 v18, v18, v21
	v_add_f32_e32 v18, v18, v12
	v_add_f32_e32 v21, v13, v18
	v_mul_f32_e32 v22, v21, v21
	v_fmamk_f32 v12, v22, 0x3e9b6dac, v40
	v_fmaak_f32 v43, v22, v12, 0x3f2aaada
	v_cvt_f32_i32_e32 v12, v28
	v_sub_f32_e32 v13, v21, v13
	v_sub_f32_e32 v13, v18, v13
	v_ldexp_f32 v18, v13, 1
	v_mul_f32_e32 v13, v21, v22
	v_pk_mul_f32 v[24:25], v[12:13], v[42:43]
	v_ldexp_f32 v23, v21, 1
	v_fma_f32 v22, v12, s56, -v24
	v_fmac_f32_e32 v22, 0xb102e308, v12
	v_pk_add_f32 v[12:13], v[24:25], v[22:23]
	v_mov_b32_e32 v26, v24
	v_sub_f32_e32 v21, v13, v23
	v_sub_f32_e32 v21, v25, v21
	v_add_f32_e32 v27, v18, v21
	v_pk_add_f32 v[24:25], v[12:13], v[24:25] neg_lo:[0,1] neg_hi:[0,1]
	v_pk_add_f32 v[28:29], v[12:13], v[26:27]
	v_mov_b32_e32 v23, v12
	v_mov_b32_e32 v25, v29
	v_pk_add_f32 v[30:31], v[22:23], v[24:25] neg_lo:[0,1] neg_hi:[0,1]
	v_pk_add_f32 v[22:23], v[22:23], v[24:25]
	s_nop 0
	v_mov_b32_e32 v18, v23
	v_pk_add_f32 v[24:25], v[18:19], v[12:13] neg_lo:[0,1] neg_hi:[0,1]
	v_mov_b32_e32 v22, v29
	v_mov_b32_e32 v21, v24
	v_pk_add_f32 v[32:33], v[28:29], v[20:21] neg_lo:[0,1] neg_hi:[0,1]
	v_mov_b32_e32 v28, v13
	v_mov_b32_e32 v29, v24
	;; [unrolled: 1-line block ×3, first 2 shown]
	v_pk_add_f32 v[22:23], v[22:23], v[28:29] neg_lo:[0,1] neg_hi:[0,1]
	v_mov_b32_e32 v24, v27
	v_mov_b32_e32 v25, v12
	v_pk_add_f32 v[12:13], v[24:25], v[22:23] neg_lo:[0,1] neg_hi:[0,1]
	v_mov_b32_e32 v32, v30
	v_pk_add_f32 v[22:23], v[32:33], v[12:13]
	s_nop 0
	v_mov_b32_e32 v24, v23
	v_pk_add_f32 v[24:25], v[22:23], v[24:25]
	s_nop 0
	v_pk_add_f32 v[26:27], v[18:19], v[24:25]
	v_mov_b32_e32 v13, v24
	v_mov_b32_e32 v23, v26
	v_pk_add_f32 v[28:29], v[22:23], v[30:31] neg_lo:[0,1] neg_hi:[0,1]
	s_nop 0
	v_sub_f32_e32 v18, v22, v28
	v_pk_add_f32 v[12:13], v[12:13], v[28:29] neg_lo:[0,1] neg_hi:[0,1]
	v_sub_f32_e32 v18, v30, v18
	v_add_f32_e32 v12, v12, v18
	v_add_f32_e32 v12, v12, v13
	;; [unrolled: 1-line block ×3, first 2 shown]
	v_cndmask_b32_e32 v21, v12, v34, vcc
.LBB82_83:                              ;   in Loop: Header=BB82_13 Depth=1
	s_or_b64 exec, exec, s[54:55]
	v_cvt_f32_f16_e32 v12, v14
	v_readlane_b32 s0, v95, 2
	s_nop 1
	v_add_f32_e32 v18, s0, v12
	v_cmp_ge_f32_e32 vcc, s6, v18
	s_and_b64 s[0:1], s[4:5], vcc
	s_and_saveexec_b64 s[54:55], s[0:1]
	s_cbranch_execz .LBB82_85
; %bb.84:                               ;   in Loop: Header=BB82_13 Depth=1
	v_mul_f32_e32 v12, 0x3fb8aa3b, v18
	v_rndne_f32_e32 v13, v12
	v_sub_f32_e32 v22, v12, v13
	v_fma_f32 v12, v18, s7, -v12
	v_fmac_f32_e32 v12, 0x32a5705f, v18
	v_add_f32_e32 v12, v22, v12
	v_cvt_i32_f32_e32 v13, v13
	v_exp_f32_e32 v12, v12
	v_cmp_ngt_f32_e32 vcc, s8, v18
	v_ldexp_f32 v12, v12, v13
	s_nop 0
	v_cndmask_b32_e32 v12, 0, v12, vcc
	v_cmp_nlt_f32_e32 vcc, s9, v18
	s_nop 1
	v_cndmask_b32_e32 v34, v41, v12, vcc
	v_add_f32_e32 v18, 1.0, v34
	v_add_f32_e32 v12, -1.0, v18
	v_sub_f32_e32 v13, v12, v18
	v_add_f32_e32 v13, 1.0, v13
	v_sub_f32_e32 v12, v34, v12
	v_add_f32_e32 v22, v12, v13
	v_frexp_mant_f32_e32 v23, v18
	v_cvt_f64_f32_e32 v[12:13], v18
	v_frexp_exp_i32_f64_e32 v12, v[12:13]
	v_cmp_gt_f32_e32 vcc, s11, v23
	v_cmp_gt_f32_e64 s[52:53], s57, v34
	s_nop 0
	v_subbrev_co_u32_e32 v28, vcc, 0, v12, vcc
	v_sub_u32_e32 v12, 0, v28
	v_ldexp_f32 v13, v18, v12
	v_add_f32_e32 v18, -1.0, v13
	v_add_f32_e32 v23, 1.0, v13
	v_ldexp_f32 v12, v22, v12
	v_add_f32_e32 v22, 1.0, v18
	v_add_f32_e32 v24, -1.0, v23
	v_sub_f32_e32 v22, v13, v22
	v_sub_f32_e32 v13, v13, v24
	v_add_f32_e32 v22, v12, v22
	v_add_f32_e32 v12, v12, v13
	;; [unrolled: 1-line block ×3, first 2 shown]
	v_rcp_f32_e32 v31, v29
	v_sub_f32_e32 v13, v23, v29
	v_add_f32_e32 v30, v12, v13
	v_add_f32_e32 v13, v18, v22
	v_sub_f32_e32 v12, v18, v13
	v_mul_f32_e32 v32, v13, v31
	v_add_f32_e32 v18, v22, v12
	v_mul_f32_e32 v22, v29, v32
	v_fma_f32 v24, v32, v29, -v22
	v_fmac_f32_e32 v24, v32, v30
	v_add_f32_e32 v12, v22, v24
	v_sub_f32_e32 v23, v13, v12
	v_pk_add_f32 v[26:27], v[12:13], v[22:23] neg_lo:[0,1] neg_hi:[0,1]
	v_mov_b32_e32 v25, v12
	v_pk_add_f32 v[12:13], v[26:27], v[24:25] neg_lo:[0,1] neg_hi:[0,1]
	v_cmp_eq_f32_e32 vcc, s10, v34
	v_add_f32_e32 v13, v18, v13
	v_add_f32_e32 v12, v12, v13
	;; [unrolled: 1-line block ×3, first 2 shown]
	v_mul_f32_e32 v18, v31, v13
	v_mul_f32_e32 v22, v29, v18
	v_fma_f32 v24, v18, v29, -v22
	v_fmac_f32_e32 v24, v18, v30
	v_sub_f32_e32 v23, v23, v13
	v_add_f32_e32 v29, v12, v23
	v_add_f32_e32 v12, v22, v24
	v_sub_f32_e32 v23, v13, v12
	v_pk_add_f32 v[26:27], v[12:13], v[22:23] neg_lo:[0,1] neg_hi:[0,1]
	v_mov_b32_e32 v25, v12
	v_pk_add_f32 v[12:13], v[26:27], v[24:25] neg_lo:[0,1] neg_hi:[0,1]
	s_or_b64 vcc, s[52:53], vcc
	v_add_f32_e32 v13, v29, v13
	v_add_f32_e32 v12, v12, v13
	;; [unrolled: 1-line block ×4, first 2 shown]
	v_sub_f32_e32 v22, v13, v32
	v_mul_f32_e32 v12, v31, v12
	v_sub_f32_e32 v18, v18, v22
	v_add_f32_e32 v18, v18, v12
	v_add_f32_e32 v22, v13, v18
	v_mul_f32_e32 v24, v22, v22
	v_fmamk_f32 v12, v24, 0x3e9b6dac, v40
	v_fmaak_f32 v43, v24, v12, 0x3f2aaada
	v_cvt_f32_i32_e32 v12, v28
	v_sub_f32_e32 v13, v22, v13
	v_sub_f32_e32 v13, v18, v13
	v_ldexp_f32 v18, v13, 1
	v_mul_f32_e32 v13, v22, v24
	v_pk_mul_f32 v[24:25], v[12:13], v[42:43]
	v_ldexp_f32 v23, v22, 1
	v_fma_f32 v22, v12, s56, -v24
	v_fmac_f32_e32 v22, 0xb102e308, v12
	v_pk_add_f32 v[12:13], v[24:25], v[22:23]
	v_mov_b32_e32 v26, v24
	v_sub_f32_e32 v23, v13, v23
	v_sub_f32_e32 v23, v25, v23
	v_add_f32_e32 v27, v18, v23
	v_pk_add_f32 v[24:25], v[12:13], v[24:25] neg_lo:[0,1] neg_hi:[0,1]
	v_pk_add_f32 v[28:29], v[12:13], v[26:27]
	v_mov_b32_e32 v23, v12
	v_mov_b32_e32 v25, v29
	v_pk_add_f32 v[30:31], v[22:23], v[24:25] neg_lo:[0,1] neg_hi:[0,1]
	v_pk_add_f32 v[22:23], v[22:23], v[24:25]
	s_nop 0
	v_mov_b32_e32 v18, v23
	v_pk_add_f32 v[24:25], v[18:19], v[12:13] neg_lo:[0,1] neg_hi:[0,1]
	v_mov_b32_e32 v22, v29
	v_mov_b32_e32 v25, v24
	v_pk_add_f32 v[32:33], v[28:29], v[24:25] neg_lo:[0,1] neg_hi:[0,1]
	v_mov_b32_e32 v28, v13
	v_mov_b32_e32 v29, v24
	;; [unrolled: 1-line block ×3, first 2 shown]
	v_pk_add_f32 v[22:23], v[22:23], v[28:29] neg_lo:[0,1] neg_hi:[0,1]
	v_mov_b32_e32 v24, v27
	v_mov_b32_e32 v25, v12
	v_pk_add_f32 v[12:13], v[24:25], v[22:23] neg_lo:[0,1] neg_hi:[0,1]
	v_mov_b32_e32 v32, v30
	v_pk_add_f32 v[22:23], v[32:33], v[12:13]
	s_nop 0
	v_mov_b32_e32 v24, v23
	v_pk_add_f32 v[24:25], v[22:23], v[24:25]
	s_nop 0
	v_pk_add_f32 v[26:27], v[18:19], v[24:25]
	v_mov_b32_e32 v13, v24
	v_mov_b32_e32 v23, v26
	v_pk_add_f32 v[28:29], v[22:23], v[30:31] neg_lo:[0,1] neg_hi:[0,1]
	s_nop 0
	v_sub_f32_e32 v18, v22, v28
	v_pk_add_f32 v[12:13], v[12:13], v[28:29] neg_lo:[0,1] neg_hi:[0,1]
	v_sub_f32_e32 v18, v30, v18
	v_add_f32_e32 v12, v12, v18
	v_add_f32_e32 v12, v12, v13
	;; [unrolled: 1-line block ×3, first 2 shown]
	v_cndmask_b32_e32 v18, v12, v34, vcc
.LBB82_85:                              ;   in Loop: Header=BB82_13 Depth=1
	s_or_b64 exec, exec, s[54:55]
	v_cvt_f32_f16_sdwa v12, v14 dst_sel:DWORD dst_unused:UNUSED_PAD src0_sel:WORD_1
	v_readlane_b32 s0, v95, 2
	s_nop 1
	v_add_f32_e32 v66, s0, v12
	v_cmp_ge_f32_e32 vcc, s6, v66
	s_and_b64 s[0:1], s[4:5], vcc
	s_and_saveexec_b64 s[54:55], s[0:1]
	s_cbranch_execz .LBB82_87
; %bb.86:                               ;   in Loop: Header=BB82_13 Depth=1
	v_mul_f32_e32 v12, 0x3fb8aa3b, v66
	v_rndne_f32_e32 v13, v12
	v_sub_f32_e32 v14, v12, v13
	v_fma_f32 v12, v66, s7, -v12
	v_fmac_f32_e32 v12, 0x32a5705f, v66
	v_add_f32_e32 v12, v14, v12
	v_cvt_i32_f32_e32 v13, v13
	v_exp_f32_e32 v12, v12
	v_cmp_ngt_f32_e32 vcc, s8, v66
	v_ldexp_f32 v12, v12, v13
	s_nop 0
	v_cndmask_b32_e32 v12, 0, v12, vcc
	v_cmp_nlt_f32_e32 vcc, s9, v66
	s_nop 1
	v_cndmask_b32_e32 v34, v41, v12, vcc
	v_add_f32_e32 v14, 1.0, v34
	v_add_f32_e32 v12, -1.0, v14
	v_sub_f32_e32 v13, v12, v14
	v_add_f32_e32 v13, 1.0, v13
	v_sub_f32_e32 v12, v34, v12
	v_add_f32_e32 v22, v12, v13
	v_frexp_mant_f32_e32 v23, v14
	v_cvt_f64_f32_e32 v[12:13], v14
	v_frexp_exp_i32_f64_e32 v12, v[12:13]
	v_cmp_gt_f32_e32 vcc, s11, v23
	v_cmp_gt_f32_e64 s[52:53], s57, v34
	s_nop 0
	v_subbrev_co_u32_e32 v28, vcc, 0, v12, vcc
	v_sub_u32_e32 v12, 0, v28
	v_ldexp_f32 v13, v14, v12
	v_add_f32_e32 v14, -1.0, v13
	v_add_f32_e32 v23, 1.0, v13
	v_ldexp_f32 v12, v22, v12
	v_add_f32_e32 v22, 1.0, v14
	v_add_f32_e32 v24, -1.0, v23
	v_sub_f32_e32 v22, v13, v22
	v_sub_f32_e32 v13, v13, v24
	v_add_f32_e32 v22, v12, v22
	v_add_f32_e32 v12, v12, v13
	;; [unrolled: 1-line block ×3, first 2 shown]
	v_rcp_f32_e32 v31, v29
	v_sub_f32_e32 v13, v23, v29
	v_add_f32_e32 v30, v12, v13
	v_add_f32_e32 v13, v14, v22
	v_sub_f32_e32 v12, v14, v13
	v_mul_f32_e32 v32, v13, v31
	v_add_f32_e32 v14, v22, v12
	v_mul_f32_e32 v22, v29, v32
	v_fma_f32 v24, v32, v29, -v22
	v_fmac_f32_e32 v24, v32, v30
	v_add_f32_e32 v12, v22, v24
	v_sub_f32_e32 v23, v13, v12
	v_pk_add_f32 v[26:27], v[12:13], v[22:23] neg_lo:[0,1] neg_hi:[0,1]
	v_mov_b32_e32 v25, v12
	v_pk_add_f32 v[12:13], v[26:27], v[24:25] neg_lo:[0,1] neg_hi:[0,1]
	v_cmp_eq_f32_e32 vcc, s10, v34
	v_add_f32_e32 v13, v14, v13
	v_add_f32_e32 v12, v12, v13
	;; [unrolled: 1-line block ×3, first 2 shown]
	v_mul_f32_e32 v14, v31, v13
	v_mul_f32_e32 v22, v29, v14
	v_fma_f32 v24, v14, v29, -v22
	v_fmac_f32_e32 v24, v14, v30
	v_sub_f32_e32 v23, v23, v13
	v_add_f32_e32 v29, v12, v23
	v_add_f32_e32 v12, v22, v24
	v_sub_f32_e32 v23, v13, v12
	v_pk_add_f32 v[26:27], v[12:13], v[22:23] neg_lo:[0,1] neg_hi:[0,1]
	v_mov_b32_e32 v25, v12
	v_pk_add_f32 v[12:13], v[26:27], v[24:25] neg_lo:[0,1] neg_hi:[0,1]
	s_or_b64 vcc, s[52:53], vcc
	v_add_f32_e32 v13, v29, v13
	v_add_f32_e32 v12, v12, v13
	;; [unrolled: 1-line block ×4, first 2 shown]
	v_sub_f32_e32 v22, v13, v32
	v_mul_f32_e32 v12, v31, v12
	v_sub_f32_e32 v14, v14, v22
	v_add_f32_e32 v14, v14, v12
	v_add_f32_e32 v22, v13, v14
	v_mul_f32_e32 v24, v22, v22
	v_fmamk_f32 v12, v24, 0x3e9b6dac, v40
	v_fmaak_f32 v43, v24, v12, 0x3f2aaada
	v_cvt_f32_i32_e32 v12, v28
	v_sub_f32_e32 v13, v22, v13
	v_sub_f32_e32 v13, v14, v13
	v_ldexp_f32 v14, v13, 1
	v_mul_f32_e32 v13, v22, v24
	v_pk_mul_f32 v[24:25], v[12:13], v[42:43]
	v_ldexp_f32 v23, v22, 1
	v_fma_f32 v22, v12, s56, -v24
	v_fmac_f32_e32 v22, 0xb102e308, v12
	v_pk_add_f32 v[12:13], v[24:25], v[22:23]
	v_mov_b32_e32 v26, v24
	v_sub_f32_e32 v23, v13, v23
	v_sub_f32_e32 v23, v25, v23
	v_add_f32_e32 v27, v14, v23
	v_pk_add_f32 v[24:25], v[12:13], v[24:25] neg_lo:[0,1] neg_hi:[0,1]
	v_pk_add_f32 v[28:29], v[12:13], v[26:27]
	v_mov_b32_e32 v23, v12
	v_mov_b32_e32 v25, v29
	v_pk_add_f32 v[30:31], v[22:23], v[24:25] neg_lo:[0,1] neg_hi:[0,1]
	v_pk_add_f32 v[22:23], v[22:23], v[24:25]
	s_nop 0
	v_mov_b32_e32 v14, v23
	v_pk_add_f32 v[24:25], v[14:15], v[12:13] neg_lo:[0,1] neg_hi:[0,1]
	v_mov_b32_e32 v22, v29
	v_mov_b32_e32 v25, v24
	v_pk_add_f32 v[32:33], v[28:29], v[24:25] neg_lo:[0,1] neg_hi:[0,1]
	v_mov_b32_e32 v28, v13
	v_mov_b32_e32 v29, v24
	v_mov_b32_e32 v31, v23
	v_pk_add_f32 v[22:23], v[22:23], v[28:29] neg_lo:[0,1] neg_hi:[0,1]
	v_mov_b32_e32 v24, v27
	v_mov_b32_e32 v25, v12
	v_pk_add_f32 v[12:13], v[24:25], v[22:23] neg_lo:[0,1] neg_hi:[0,1]
	v_mov_b32_e32 v32, v30
	v_pk_add_f32 v[22:23], v[32:33], v[12:13]
	s_nop 0
	v_mov_b32_e32 v24, v23
	v_pk_add_f32 v[24:25], v[22:23], v[24:25]
	s_nop 0
	v_pk_add_f32 v[26:27], v[14:15], v[24:25]
	v_mov_b32_e32 v13, v24
	v_mov_b32_e32 v23, v26
	v_pk_add_f32 v[28:29], v[22:23], v[30:31] neg_lo:[0,1] neg_hi:[0,1]
	s_nop 0
	v_sub_f32_e32 v14, v22, v28
	v_pk_add_f32 v[12:13], v[12:13], v[28:29] neg_lo:[0,1] neg_hi:[0,1]
	v_sub_f32_e32 v14, v30, v14
	v_add_f32_e32 v12, v12, v14
	v_add_f32_e32 v12, v12, v13
	;; [unrolled: 1-line block ×3, first 2 shown]
	v_cndmask_b32_e32 v66, v12, v34, vcc
.LBB82_87:                              ;   in Loop: Header=BB82_13 Depth=1
	s_or_b64 exec, exec, s[54:55]
	v_cvt_f32_f16_e32 v12, v15
	v_readlane_b32 s0, v95, 2
	s_nop 1
	v_add_f32_e32 v67, s0, v12
	v_cmp_ge_f32_e32 vcc, s6, v67
	s_and_b64 s[0:1], s[4:5], vcc
	s_and_saveexec_b64 s[54:55], s[0:1]
	s_cbranch_execz .LBB82_89
; %bb.88:                               ;   in Loop: Header=BB82_13 Depth=1
	v_mul_f32_e32 v12, 0x3fb8aa3b, v67
	v_rndne_f32_e32 v13, v12
	v_sub_f32_e32 v14, v12, v13
	v_fma_f32 v12, v67, s7, -v12
	v_fmac_f32_e32 v12, 0x32a5705f, v67
	v_add_f32_e32 v12, v14, v12
	v_cvt_i32_f32_e32 v13, v13
	v_exp_f32_e32 v12, v12
	v_cmp_ngt_f32_e32 vcc, s8, v67
	v_ldexp_f32 v12, v12, v13
	s_nop 0
	v_cndmask_b32_e32 v12, 0, v12, vcc
	v_cmp_nlt_f32_e32 vcc, s9, v67
	s_nop 1
	v_cndmask_b32_e32 v34, v41, v12, vcc
	v_add_f32_e32 v14, 1.0, v34
	v_add_f32_e32 v12, -1.0, v14
	v_sub_f32_e32 v13, v12, v14
	v_add_f32_e32 v13, 1.0, v13
	v_sub_f32_e32 v12, v34, v12
	v_add_f32_e32 v22, v12, v13
	v_frexp_mant_f32_e32 v23, v14
	v_cvt_f64_f32_e32 v[12:13], v14
	v_frexp_exp_i32_f64_e32 v12, v[12:13]
	v_cmp_gt_f32_e32 vcc, s11, v23
	v_cmp_gt_f32_e64 s[52:53], s57, v34
	s_nop 0
	v_subbrev_co_u32_e32 v28, vcc, 0, v12, vcc
	v_sub_u32_e32 v12, 0, v28
	v_ldexp_f32 v13, v14, v12
	v_add_f32_e32 v14, -1.0, v13
	v_add_f32_e32 v23, 1.0, v13
	v_ldexp_f32 v12, v22, v12
	v_add_f32_e32 v22, 1.0, v14
	v_add_f32_e32 v24, -1.0, v23
	v_sub_f32_e32 v22, v13, v22
	v_sub_f32_e32 v13, v13, v24
	v_add_f32_e32 v22, v12, v22
	v_add_f32_e32 v12, v12, v13
	v_add_f32_e32 v29, v23, v12
	v_rcp_f32_e32 v31, v29
	v_sub_f32_e32 v13, v23, v29
	v_add_f32_e32 v30, v12, v13
	v_add_f32_e32 v13, v14, v22
	v_sub_f32_e32 v12, v14, v13
	v_mul_f32_e32 v32, v13, v31
	v_add_f32_e32 v14, v22, v12
	v_mul_f32_e32 v22, v29, v32
	v_fma_f32 v24, v32, v29, -v22
	v_fmac_f32_e32 v24, v32, v30
	v_add_f32_e32 v12, v22, v24
	v_sub_f32_e32 v23, v13, v12
	v_pk_add_f32 v[26:27], v[12:13], v[22:23] neg_lo:[0,1] neg_hi:[0,1]
	v_mov_b32_e32 v25, v12
	v_pk_add_f32 v[12:13], v[26:27], v[24:25] neg_lo:[0,1] neg_hi:[0,1]
	v_cmp_eq_f32_e32 vcc, s10, v34
	v_add_f32_e32 v13, v14, v13
	v_add_f32_e32 v12, v12, v13
	;; [unrolled: 1-line block ×3, first 2 shown]
	v_mul_f32_e32 v14, v31, v13
	v_mul_f32_e32 v22, v29, v14
	v_fma_f32 v24, v14, v29, -v22
	v_fmac_f32_e32 v24, v14, v30
	v_sub_f32_e32 v23, v23, v13
	v_add_f32_e32 v29, v12, v23
	v_add_f32_e32 v12, v22, v24
	v_sub_f32_e32 v23, v13, v12
	v_pk_add_f32 v[26:27], v[12:13], v[22:23] neg_lo:[0,1] neg_hi:[0,1]
	v_mov_b32_e32 v25, v12
	v_pk_add_f32 v[12:13], v[26:27], v[24:25] neg_lo:[0,1] neg_hi:[0,1]
	s_or_b64 vcc, s[52:53], vcc
	v_add_f32_e32 v13, v29, v13
	v_add_f32_e32 v12, v12, v13
	;; [unrolled: 1-line block ×4, first 2 shown]
	v_sub_f32_e32 v22, v13, v32
	v_mul_f32_e32 v12, v31, v12
	v_sub_f32_e32 v14, v14, v22
	v_add_f32_e32 v14, v14, v12
	v_add_f32_e32 v22, v13, v14
	v_mul_f32_e32 v24, v22, v22
	v_fmamk_f32 v12, v24, 0x3e9b6dac, v40
	v_fmaak_f32 v43, v24, v12, 0x3f2aaada
	v_cvt_f32_i32_e32 v12, v28
	v_sub_f32_e32 v13, v22, v13
	v_sub_f32_e32 v13, v14, v13
	v_ldexp_f32 v14, v13, 1
	v_mul_f32_e32 v13, v22, v24
	v_pk_mul_f32 v[24:25], v[12:13], v[42:43]
	v_ldexp_f32 v23, v22, 1
	v_fma_f32 v22, v12, s56, -v24
	v_fmac_f32_e32 v22, 0xb102e308, v12
	v_pk_add_f32 v[12:13], v[24:25], v[22:23]
	v_mov_b32_e32 v26, v24
	v_sub_f32_e32 v23, v13, v23
	v_sub_f32_e32 v23, v25, v23
	v_add_f32_e32 v27, v14, v23
	v_pk_add_f32 v[24:25], v[12:13], v[24:25] neg_lo:[0,1] neg_hi:[0,1]
	v_pk_add_f32 v[28:29], v[12:13], v[26:27]
	v_mov_b32_e32 v23, v12
	v_mov_b32_e32 v25, v29
	v_pk_add_f32 v[30:31], v[22:23], v[24:25] neg_lo:[0,1] neg_hi:[0,1]
	v_pk_add_f32 v[22:23], v[22:23], v[24:25]
	s_nop 0
	v_mov_b32_e32 v14, v23
	v_pk_add_f32 v[24:25], v[14:15], v[12:13] neg_lo:[0,1] neg_hi:[0,1]
	v_mov_b32_e32 v22, v29
	v_mov_b32_e32 v25, v24
	v_pk_add_f32 v[32:33], v[28:29], v[24:25] neg_lo:[0,1] neg_hi:[0,1]
	v_mov_b32_e32 v28, v13
	v_mov_b32_e32 v29, v24
	;; [unrolled: 1-line block ×3, first 2 shown]
	v_pk_add_f32 v[22:23], v[22:23], v[28:29] neg_lo:[0,1] neg_hi:[0,1]
	v_mov_b32_e32 v24, v27
	v_mov_b32_e32 v25, v12
	v_pk_add_f32 v[12:13], v[24:25], v[22:23] neg_lo:[0,1] neg_hi:[0,1]
	v_mov_b32_e32 v32, v30
	v_pk_add_f32 v[22:23], v[32:33], v[12:13]
	s_nop 0
	v_mov_b32_e32 v24, v23
	v_pk_add_f32 v[24:25], v[22:23], v[24:25]
	s_nop 0
	v_pk_add_f32 v[26:27], v[14:15], v[24:25]
	v_mov_b32_e32 v13, v24
	v_mov_b32_e32 v23, v26
	v_pk_add_f32 v[28:29], v[22:23], v[30:31] neg_lo:[0,1] neg_hi:[0,1]
	s_nop 0
	v_sub_f32_e32 v14, v22, v28
	v_pk_add_f32 v[12:13], v[12:13], v[28:29] neg_lo:[0,1] neg_hi:[0,1]
	v_sub_f32_e32 v14, v30, v14
	v_add_f32_e32 v12, v12, v14
	v_add_f32_e32 v12, v12, v13
	;; [unrolled: 1-line block ×3, first 2 shown]
	v_cndmask_b32_e32 v67, v12, v34, vcc
.LBB82_89:                              ;   in Loop: Header=BB82_13 Depth=1
	s_or_b64 exec, exec, s[54:55]
	v_cvt_f32_f16_sdwa v12, v15 dst_sel:DWORD dst_unused:UNUSED_PAD src0_sel:WORD_1
	v_readlane_b32 s0, v95, 2
	s_nop 1
	v_add_f32_e32 v88, s0, v12
	v_cmp_ge_f32_e32 vcc, s6, v88
	s_and_b64 s[0:1], s[4:5], vcc
	s_and_saveexec_b64 s[54:55], s[0:1]
	s_cbranch_execz .LBB82_91
; %bb.90:                               ;   in Loop: Header=BB82_13 Depth=1
	v_mul_f32_e32 v12, 0x3fb8aa3b, v88
	v_rndne_f32_e32 v13, v12
	v_sub_f32_e32 v14, v12, v13
	v_fma_f32 v12, v88, s7, -v12
	v_fmac_f32_e32 v12, 0x32a5705f, v88
	v_add_f32_e32 v12, v14, v12
	v_cvt_i32_f32_e32 v13, v13
	v_exp_f32_e32 v12, v12
	v_cmp_ngt_f32_e32 vcc, s8, v88
	v_ldexp_f32 v12, v12, v13
	s_nop 0
	v_cndmask_b32_e32 v12, 0, v12, vcc
	v_cmp_nlt_f32_e32 vcc, s9, v88
	s_nop 1
	v_cndmask_b32_e32 v34, v41, v12, vcc
	v_add_f32_e32 v14, 1.0, v34
	v_add_f32_e32 v12, -1.0, v14
	v_sub_f32_e32 v13, v12, v14
	v_add_f32_e32 v13, 1.0, v13
	v_sub_f32_e32 v12, v34, v12
	v_add_f32_e32 v15, v12, v13
	v_frexp_mant_f32_e32 v22, v14
	v_cvt_f64_f32_e32 v[12:13], v14
	v_frexp_exp_i32_f64_e32 v12, v[12:13]
	v_cmp_gt_f32_e32 vcc, s11, v22
	v_cmp_gt_f32_e64 s[52:53], s57, v34
	s_nop 0
	v_subbrev_co_u32_e32 v26, vcc, 0, v12, vcc
	v_sub_u32_e32 v12, 0, v26
	v_ldexp_f32 v13, v14, v12
	v_add_f32_e32 v14, -1.0, v13
	v_add_f32_e32 v22, 1.0, v13
	v_ldexp_f32 v12, v15, v12
	v_add_f32_e32 v15, 1.0, v14
	v_add_f32_e32 v23, -1.0, v22
	v_sub_f32_e32 v15, v13, v15
	v_sub_f32_e32 v13, v13, v23
	v_add_f32_e32 v15, v12, v15
	v_add_f32_e32 v12, v12, v13
	;; [unrolled: 1-line block ×3, first 2 shown]
	v_rcp_f32_e32 v29, v27
	v_sub_f32_e32 v13, v22, v27
	v_add_f32_e32 v28, v12, v13
	v_add_f32_e32 v13, v14, v15
	v_mul_f32_e32 v31, v13, v29
	v_sub_f32_e32 v12, v14, v13
	v_mul_f32_e32 v14, v27, v31
	v_fma_f32 v22, v31, v27, -v14
	v_fmac_f32_e32 v22, v31, v28
	v_add_f32_e32 v30, v15, v12
	v_add_f32_e32 v12, v14, v22
	v_sub_f32_e32 v15, v13, v12
	v_pk_add_f32 v[24:25], v[12:13], v[14:15] neg_lo:[0,1] neg_hi:[0,1]
	v_mov_b32_e32 v23, v12
	v_pk_add_f32 v[12:13], v[24:25], v[22:23] neg_lo:[0,1] neg_hi:[0,1]
	v_cmp_eq_f32_e32 vcc, s10, v34
	v_add_f32_e32 v13, v30, v13
	v_add_f32_e32 v12, v12, v13
	;; [unrolled: 1-line block ×3, first 2 shown]
	v_mul_f32_e32 v30, v29, v13
	v_mul_f32_e32 v14, v27, v30
	v_fma_f32 v22, v30, v27, -v14
	v_fmac_f32_e32 v22, v30, v28
	v_sub_f32_e32 v15, v15, v13
	v_add_f32_e32 v27, v12, v15
	v_add_f32_e32 v12, v14, v22
	v_sub_f32_e32 v15, v13, v12
	v_pk_add_f32 v[24:25], v[12:13], v[14:15] neg_lo:[0,1] neg_hi:[0,1]
	v_mov_b32_e32 v23, v12
	v_pk_add_f32 v[12:13], v[24:25], v[22:23] neg_lo:[0,1] neg_hi:[0,1]
	s_or_b64 vcc, s[52:53], vcc
	v_add_f32_e32 v13, v27, v13
	v_add_f32_e32 v12, v12, v13
	;; [unrolled: 1-line block ×4, first 2 shown]
	v_sub_f32_e32 v14, v13, v31
	v_mul_f32_e32 v12, v29, v12
	v_sub_f32_e32 v14, v30, v14
	v_add_f32_e32 v14, v14, v12
	v_add_f32_e32 v22, v13, v14
	v_mul_f32_e32 v23, v22, v22
	v_fmamk_f32 v12, v23, 0x3e9b6dac, v40
	v_fmaak_f32 v43, v23, v12, 0x3f2aaada
	v_cvt_f32_i32_e32 v12, v26
	v_sub_f32_e32 v13, v22, v13
	v_sub_f32_e32 v13, v14, v13
	v_ldexp_f32 v24, v13, 1
	v_mul_f32_e32 v13, v22, v23
	v_ldexp_f32 v15, v22, 1
	v_pk_mul_f32 v[22:23], v[12:13], v[42:43]
	s_nop 0
	v_fma_f32 v14, v12, s56, -v22
	v_fmac_f32_e32 v14, 0xb102e308, v12
	v_pk_add_f32 v[12:13], v[22:23], v[14:15]
	s_nop 0
	v_sub_f32_e32 v15, v13, v15
	v_sub_f32_e32 v15, v23, v15
	v_add_f32_e32 v25, v24, v15
	v_mov_b32_e32 v24, v22
	v_pk_add_f32 v[22:23], v[12:13], v[22:23] neg_lo:[0,1] neg_hi:[0,1]
	v_pk_add_f32 v[26:27], v[12:13], v[24:25]
	v_mov_b32_e32 v15, v12
	v_mov_b32_e32 v23, v27
	v_pk_add_f32 v[28:29], v[14:15], v[22:23] neg_lo:[0,1] neg_hi:[0,1]
	v_pk_add_f32 v[14:15], v[14:15], v[22:23]
	v_mov_b32_e32 v24, v25
	v_mov_b32_e32 v22, v15
	v_pk_add_f32 v[30:31], v[22:23], v[12:13] neg_lo:[0,1] neg_hi:[0,1]
	v_mov_b32_e32 v14, v27
	v_mov_b32_e32 v23, v30
	v_pk_add_f32 v[32:33], v[26:27], v[22:23] neg_lo:[0,1] neg_hi:[0,1]
	v_mov_b32_e32 v26, v13
	v_mov_b32_e32 v27, v30
	;; [unrolled: 1-line block ×3, first 2 shown]
	v_pk_add_f32 v[14:15], v[14:15], v[26:27] neg_lo:[0,1] neg_hi:[0,1]
	v_mov_b32_e32 v25, v12
	v_pk_add_f32 v[12:13], v[24:25], v[14:15] neg_lo:[0,1] neg_hi:[0,1]
	v_mov_b32_e32 v32, v28
	v_pk_add_f32 v[14:15], v[32:33], v[12:13]
	s_nop 0
	v_mov_b32_e32 v24, v15
	v_pk_add_f32 v[24:25], v[14:15], v[24:25]
	s_nop 0
	v_pk_add_f32 v[22:23], v[22:23], v[24:25]
	v_mov_b32_e32 v13, v24
	v_mov_b32_e32 v15, v22
	v_pk_add_f32 v[26:27], v[14:15], v[28:29] neg_lo:[0,1] neg_hi:[0,1]
	s_nop 0
	v_sub_f32_e32 v14, v14, v26
	v_pk_add_f32 v[12:13], v[12:13], v[26:27] neg_lo:[0,1] neg_hi:[0,1]
	v_sub_f32_e32 v14, v28, v14
	v_add_f32_e32 v12, v12, v14
	v_add_f32_e32 v12, v12, v13
	v_add_f32_e32 v12, v22, v12
	v_cndmask_b32_e32 v88, v12, v34, vcc
.LBB82_91:                              ;   in Loop: Header=BB82_13 Depth=1
	s_or_b64 exec, exec, s[54:55]
	s_waitcnt lgkmcnt(0)
	v_cvt_f32_f16_e32 v12, v8
	v_readlane_b32 s0, v95, 2
	s_nop 1
	v_add_f32_e32 v89, s0, v12
	v_cmp_ge_f32_e32 vcc, s6, v89
	s_and_b64 s[0:1], s[4:5], vcc
	s_and_saveexec_b64 s[54:55], s[0:1]
	s_cbranch_execz .LBB82_93
; %bb.92:                               ;   in Loop: Header=BB82_13 Depth=1
	v_mul_f32_e32 v12, 0x3fb8aa3b, v89
	v_rndne_f32_e32 v13, v12
	v_sub_f32_e32 v14, v12, v13
	v_fma_f32 v12, v89, s7, -v12
	v_fmac_f32_e32 v12, 0x32a5705f, v89
	v_add_f32_e32 v12, v14, v12
	v_cvt_i32_f32_e32 v13, v13
	v_exp_f32_e32 v12, v12
	v_cmp_ngt_f32_e32 vcc, s8, v89
	v_ldexp_f32 v12, v12, v13
	s_nop 0
	v_cndmask_b32_e32 v12, 0, v12, vcc
	v_cmp_nlt_f32_e32 vcc, s9, v89
	s_nop 1
	v_cndmask_b32_e32 v34, v41, v12, vcc
	v_add_f32_e32 v14, 1.0, v34
	v_add_f32_e32 v12, -1.0, v14
	v_sub_f32_e32 v13, v12, v14
	v_add_f32_e32 v13, 1.0, v13
	v_sub_f32_e32 v12, v34, v12
	v_add_f32_e32 v15, v12, v13
	v_frexp_mant_f32_e32 v22, v14
	v_cvt_f64_f32_e32 v[12:13], v14
	v_frexp_exp_i32_f64_e32 v12, v[12:13]
	v_cmp_gt_f32_e32 vcc, s11, v22
	v_cmp_gt_f32_e64 s[52:53], s57, v34
	s_nop 0
	v_subbrev_co_u32_e32 v26, vcc, 0, v12, vcc
	v_sub_u32_e32 v12, 0, v26
	v_ldexp_f32 v13, v14, v12
	v_add_f32_e32 v14, -1.0, v13
	v_add_f32_e32 v22, 1.0, v13
	v_ldexp_f32 v12, v15, v12
	v_add_f32_e32 v15, 1.0, v14
	v_add_f32_e32 v23, -1.0, v22
	v_sub_f32_e32 v15, v13, v15
	v_sub_f32_e32 v13, v13, v23
	v_add_f32_e32 v15, v12, v15
	v_add_f32_e32 v12, v12, v13
	;; [unrolled: 1-line block ×3, first 2 shown]
	v_rcp_f32_e32 v29, v27
	v_sub_f32_e32 v13, v22, v27
	v_add_f32_e32 v28, v12, v13
	v_add_f32_e32 v13, v14, v15
	v_mul_f32_e32 v31, v13, v29
	v_sub_f32_e32 v12, v14, v13
	v_mul_f32_e32 v14, v27, v31
	v_fma_f32 v22, v31, v27, -v14
	v_fmac_f32_e32 v22, v31, v28
	v_add_f32_e32 v30, v15, v12
	v_add_f32_e32 v12, v14, v22
	v_sub_f32_e32 v15, v13, v12
	v_pk_add_f32 v[24:25], v[12:13], v[14:15] neg_lo:[0,1] neg_hi:[0,1]
	v_mov_b32_e32 v23, v12
	v_pk_add_f32 v[12:13], v[24:25], v[22:23] neg_lo:[0,1] neg_hi:[0,1]
	v_cmp_eq_f32_e32 vcc, s10, v34
	v_add_f32_e32 v13, v30, v13
	v_add_f32_e32 v12, v12, v13
	;; [unrolled: 1-line block ×3, first 2 shown]
	v_mul_f32_e32 v30, v29, v13
	v_mul_f32_e32 v14, v27, v30
	v_fma_f32 v22, v30, v27, -v14
	v_fmac_f32_e32 v22, v30, v28
	v_sub_f32_e32 v15, v15, v13
	v_add_f32_e32 v27, v12, v15
	v_add_f32_e32 v12, v14, v22
	v_sub_f32_e32 v15, v13, v12
	v_pk_add_f32 v[24:25], v[12:13], v[14:15] neg_lo:[0,1] neg_hi:[0,1]
	v_mov_b32_e32 v23, v12
	v_pk_add_f32 v[12:13], v[24:25], v[22:23] neg_lo:[0,1] neg_hi:[0,1]
	s_or_b64 vcc, s[52:53], vcc
	v_add_f32_e32 v13, v27, v13
	v_add_f32_e32 v12, v12, v13
	;; [unrolled: 1-line block ×4, first 2 shown]
	v_sub_f32_e32 v14, v13, v31
	v_mul_f32_e32 v12, v29, v12
	v_sub_f32_e32 v14, v30, v14
	v_add_f32_e32 v14, v14, v12
	v_add_f32_e32 v22, v13, v14
	v_mul_f32_e32 v23, v22, v22
	v_fmamk_f32 v12, v23, 0x3e9b6dac, v40
	v_fmaak_f32 v43, v23, v12, 0x3f2aaada
	v_cvt_f32_i32_e32 v12, v26
	v_sub_f32_e32 v13, v22, v13
	v_sub_f32_e32 v13, v14, v13
	v_ldexp_f32 v24, v13, 1
	v_mul_f32_e32 v13, v22, v23
	v_ldexp_f32 v15, v22, 1
	v_pk_mul_f32 v[22:23], v[12:13], v[42:43]
	s_nop 0
	v_fma_f32 v14, v12, s56, -v22
	v_fmac_f32_e32 v14, 0xb102e308, v12
	v_pk_add_f32 v[12:13], v[22:23], v[14:15]
	s_nop 0
	v_sub_f32_e32 v15, v13, v15
	v_sub_f32_e32 v15, v23, v15
	v_add_f32_e32 v25, v24, v15
	v_mov_b32_e32 v24, v22
	v_pk_add_f32 v[22:23], v[12:13], v[22:23] neg_lo:[0,1] neg_hi:[0,1]
	v_pk_add_f32 v[26:27], v[12:13], v[24:25]
	v_mov_b32_e32 v15, v12
	v_mov_b32_e32 v23, v27
	v_pk_add_f32 v[28:29], v[14:15], v[22:23] neg_lo:[0,1] neg_hi:[0,1]
	v_pk_add_f32 v[14:15], v[14:15], v[22:23]
	v_mov_b32_e32 v24, v25
	v_mov_b32_e32 v22, v15
	v_pk_add_f32 v[30:31], v[22:23], v[12:13] neg_lo:[0,1] neg_hi:[0,1]
	v_mov_b32_e32 v14, v27
	v_mov_b32_e32 v23, v30
	v_pk_add_f32 v[32:33], v[26:27], v[22:23] neg_lo:[0,1] neg_hi:[0,1]
	v_mov_b32_e32 v26, v13
	v_mov_b32_e32 v27, v30
	;; [unrolled: 1-line block ×3, first 2 shown]
	v_pk_add_f32 v[14:15], v[14:15], v[26:27] neg_lo:[0,1] neg_hi:[0,1]
	v_mov_b32_e32 v25, v12
	v_pk_add_f32 v[12:13], v[24:25], v[14:15] neg_lo:[0,1] neg_hi:[0,1]
	v_mov_b32_e32 v32, v28
	v_pk_add_f32 v[14:15], v[32:33], v[12:13]
	s_nop 0
	v_mov_b32_e32 v24, v15
	v_pk_add_f32 v[24:25], v[14:15], v[24:25]
	s_nop 0
	v_pk_add_f32 v[22:23], v[22:23], v[24:25]
	v_mov_b32_e32 v13, v24
	v_mov_b32_e32 v15, v22
	v_pk_add_f32 v[26:27], v[14:15], v[28:29] neg_lo:[0,1] neg_hi:[0,1]
	s_nop 0
	v_sub_f32_e32 v14, v14, v26
	v_pk_add_f32 v[12:13], v[12:13], v[26:27] neg_lo:[0,1] neg_hi:[0,1]
	v_sub_f32_e32 v14, v28, v14
	v_add_f32_e32 v12, v12, v14
	v_add_f32_e32 v12, v12, v13
	;; [unrolled: 1-line block ×3, first 2 shown]
	v_cndmask_b32_e32 v89, v12, v34, vcc
.LBB82_93:                              ;   in Loop: Header=BB82_13 Depth=1
	s_or_b64 exec, exec, s[54:55]
	v_cvt_f32_f16_sdwa v8, v8 dst_sel:DWORD dst_unused:UNUSED_PAD src0_sel:WORD_1
	v_readlane_b32 s0, v95, 2
	s_nop 1
	v_add_f32_e32 v90, s0, v8
	v_cmp_ge_f32_e32 vcc, s6, v90
	s_and_b64 s[0:1], s[4:5], vcc
	s_and_saveexec_b64 s[54:55], s[0:1]
	s_cbranch_execz .LBB82_95
; %bb.94:                               ;   in Loop: Header=BB82_13 Depth=1
	v_mul_f32_e32 v8, 0x3fb8aa3b, v90
	v_rndne_f32_e32 v12, v8
	v_sub_f32_e32 v13, v8, v12
	v_fma_f32 v8, v90, s7, -v8
	v_fmac_f32_e32 v8, 0x32a5705f, v90
	v_add_f32_e32 v8, v13, v8
	v_cvt_i32_f32_e32 v12, v12
	v_exp_f32_e32 v8, v8
	v_cmp_ngt_f32_e32 vcc, s8, v90
	v_ldexp_f32 v8, v8, v12
	s_nop 0
	v_cndmask_b32_e32 v8, 0, v8, vcc
	v_cmp_nlt_f32_e32 vcc, s9, v90
	s_nop 1
	v_cndmask_b32_e32 v32, v41, v8, vcc
	v_add_f32_e32 v8, 1.0, v32
	v_add_f32_e32 v12, -1.0, v8
	v_sub_f32_e32 v13, v12, v8
	v_add_f32_e32 v13, 1.0, v13
	v_sub_f32_e32 v12, v32, v12
	v_add_f32_e32 v14, v12, v13
	v_frexp_mant_f32_e32 v15, v8
	v_cvt_f64_f32_e32 v[12:13], v8
	v_frexp_exp_i32_f64_e32 v12, v[12:13]
	v_cmp_gt_f32_e32 vcc, s11, v15
	v_cmp_gt_f32_e64 s[52:53], s57, v32
	s_nop 0
	v_subbrev_co_u32_e32 v26, vcc, 0, v12, vcc
	v_sub_u32_e32 v12, 0, v26
	v_ldexp_f32 v8, v8, v12
	v_ldexp_f32 v12, v14, v12
	v_add_f32_e32 v14, -1.0, v8
	v_add_f32_e32 v13, 1.0, v14
	v_sub_f32_e32 v13, v8, v13
	v_add_f32_e32 v15, v12, v13
	v_add_f32_e32 v13, 1.0, v8
	v_add_f32_e32 v22, -1.0, v13
	v_sub_f32_e32 v8, v8, v22
	v_add_f32_e32 v8, v12, v8
	v_add_f32_e32 v27, v13, v8
	v_rcp_f32_e32 v28, v27
	v_sub_f32_e32 v12, v13, v27
	v_add_f32_e32 v13, v14, v15
	v_add_f32_e32 v8, v8, v12
	v_mul_f32_e32 v30, v13, v28
	v_sub_f32_e32 v12, v14, v13
	v_mul_f32_e32 v14, v27, v30
	v_fma_f32 v22, v30, v27, -v14
	v_fmac_f32_e32 v22, v30, v8
	v_add_f32_e32 v29, v15, v12
	v_add_f32_e32 v12, v14, v22
	v_sub_f32_e32 v15, v13, v12
	v_pk_add_f32 v[24:25], v[12:13], v[14:15] neg_lo:[0,1] neg_hi:[0,1]
	v_mov_b32_e32 v23, v12
	v_pk_add_f32 v[12:13], v[24:25], v[22:23] neg_lo:[0,1] neg_hi:[0,1]
	v_cmp_eq_f32_e32 vcc, s10, v32
	v_add_f32_e32 v13, v29, v13
	v_add_f32_e32 v12, v12, v13
	;; [unrolled: 1-line block ×3, first 2 shown]
	v_mul_f32_e32 v29, v28, v13
	v_mul_f32_e32 v14, v27, v29
	v_fma_f32 v22, v29, v27, -v14
	v_fmac_f32_e32 v22, v29, v8
	v_sub_f32_e32 v8, v15, v13
	v_add_f32_e32 v8, v12, v8
	v_add_f32_e32 v12, v14, v22
	v_sub_f32_e32 v15, v13, v12
	v_pk_add_f32 v[24:25], v[12:13], v[14:15] neg_lo:[0,1] neg_hi:[0,1]
	v_mov_b32_e32 v23, v12
	v_pk_add_f32 v[12:13], v[24:25], v[22:23] neg_lo:[0,1] neg_hi:[0,1]
	s_or_b64 vcc, s[52:53], vcc
	v_add_f32_e32 v8, v8, v13
	v_add_f32_e32 v8, v12, v8
	v_add_f32_e32 v13, v30, v29
	v_add_f32_e32 v8, v15, v8
	v_sub_f32_e32 v12, v13, v30
	v_mul_f32_e32 v8, v28, v8
	v_sub_f32_e32 v12, v29, v12
	v_add_f32_e32 v8, v12, v8
	v_add_f32_e32 v14, v13, v8
	v_mul_f32_e32 v22, v14, v14
	v_fmamk_f32 v12, v22, 0x3e9b6dac, v40
	v_fmaak_f32 v43, v22, v12, 0x3f2aaada
	v_cvt_f32_i32_e32 v12, v26
	v_sub_f32_e32 v13, v14, v13
	v_sub_f32_e32 v8, v8, v13
	v_mul_f32_e32 v13, v14, v22
	v_pk_mul_f32 v[22:23], v[12:13], v[42:43]
	v_ldexp_f32 v15, v14, 1
	v_fma_f32 v14, v12, s56, -v22
	v_fmac_f32_e32 v14, 0xb102e308, v12
	v_pk_add_f32 v[12:13], v[22:23], v[14:15]
	v_ldexp_f32 v8, v8, 1
	v_sub_f32_e32 v15, v13, v15
	v_sub_f32_e32 v15, v23, v15
	v_add_f32_e32 v25, v8, v15
	v_mov_b32_e32 v24, v22
	v_pk_add_f32 v[22:23], v[12:13], v[22:23] neg_lo:[0,1] neg_hi:[0,1]
	v_pk_add_f32 v[26:27], v[12:13], v[24:25]
	v_mov_b32_e32 v15, v12
	v_mov_b32_e32 v23, v27
	v_pk_add_f32 v[28:29], v[14:15], v[22:23] neg_lo:[0,1] neg_hi:[0,1]
	v_pk_add_f32 v[14:15], v[14:15], v[22:23]
	s_nop 0
	v_mov_b32_e32 v8, v15
	v_pk_add_f32 v[22:23], v[8:9], v[12:13] neg_lo:[0,1] neg_hi:[0,1]
	v_mov_b32_e32 v14, v27
	v_mov_b32_e32 v23, v22
	v_pk_add_f32 v[30:31], v[26:27], v[22:23] neg_lo:[0,1] neg_hi:[0,1]
	v_mov_b32_e32 v26, v13
	v_mov_b32_e32 v27, v22
	;; [unrolled: 1-line block ×3, first 2 shown]
	v_pk_add_f32 v[14:15], v[14:15], v[26:27] neg_lo:[0,1] neg_hi:[0,1]
	v_mov_b32_e32 v22, v25
	v_mov_b32_e32 v23, v12
	v_pk_add_f32 v[12:13], v[22:23], v[14:15] neg_lo:[0,1] neg_hi:[0,1]
	v_mov_b32_e32 v30, v28
	v_pk_add_f32 v[14:15], v[30:31], v[12:13]
	s_nop 0
	v_mov_b32_e32 v22, v15
	v_pk_add_f32 v[22:23], v[14:15], v[22:23]
	s_nop 0
	v_pk_add_f32 v[24:25], v[8:9], v[22:23]
	v_mov_b32_e32 v13, v22
	v_mov_b32_e32 v15, v24
	v_pk_add_f32 v[26:27], v[14:15], v[28:29] neg_lo:[0,1] neg_hi:[0,1]
	s_nop 0
	v_sub_f32_e32 v8, v14, v26
	v_pk_add_f32 v[12:13], v[12:13], v[26:27] neg_lo:[0,1] neg_hi:[0,1]
	v_sub_f32_e32 v8, v28, v8
	v_add_f32_e32 v8, v12, v8
	v_add_f32_e32 v8, v8, v13
	v_add_f32_e32 v8, v24, v8
	v_cndmask_b32_e32 v90, v8, v32, vcc
.LBB82_95:                              ;   in Loop: Header=BB82_13 Depth=1
	s_or_b64 exec, exec, s[54:55]
	v_cvt_f32_f16_e32 v8, v9
	v_readlane_b32 s0, v95, 2
	s_nop 1
	v_add_f32_e32 v91, s0, v8
	v_cmp_ge_f32_e32 vcc, s6, v91
	s_and_b64 s[0:1], s[4:5], vcc
	s_and_saveexec_b64 s[54:55], s[0:1]
	s_cbranch_execz .LBB82_97
; %bb.96:                               ;   in Loop: Header=BB82_13 Depth=1
	v_mul_f32_e32 v8, 0x3fb8aa3b, v91
	v_rndne_f32_e32 v12, v8
	v_sub_f32_e32 v13, v8, v12
	v_fma_f32 v8, v91, s7, -v8
	v_fmac_f32_e32 v8, 0x32a5705f, v91
	v_add_f32_e32 v8, v13, v8
	v_cvt_i32_f32_e32 v12, v12
	v_exp_f32_e32 v8, v8
	v_cmp_ngt_f32_e32 vcc, s8, v91
	v_ldexp_f32 v8, v8, v12
	s_nop 0
	v_cndmask_b32_e32 v8, 0, v8, vcc
	v_cmp_nlt_f32_e32 vcc, s9, v91
	s_nop 1
	v_cndmask_b32_e32 v32, v41, v8, vcc
	v_add_f32_e32 v8, 1.0, v32
	v_add_f32_e32 v12, -1.0, v8
	v_sub_f32_e32 v13, v12, v8
	v_add_f32_e32 v13, 1.0, v13
	v_sub_f32_e32 v12, v32, v12
	v_add_f32_e32 v14, v12, v13
	v_frexp_mant_f32_e32 v15, v8
	v_cvt_f64_f32_e32 v[12:13], v8
	v_frexp_exp_i32_f64_e32 v12, v[12:13]
	v_cmp_gt_f32_e32 vcc, s11, v15
	v_cmp_gt_f32_e64 s[52:53], s57, v32
	s_nop 0
	v_subbrev_co_u32_e32 v26, vcc, 0, v12, vcc
	v_sub_u32_e32 v12, 0, v26
	v_ldexp_f32 v8, v8, v12
	v_ldexp_f32 v12, v14, v12
	v_add_f32_e32 v14, -1.0, v8
	v_add_f32_e32 v13, 1.0, v14
	v_sub_f32_e32 v13, v8, v13
	v_add_f32_e32 v15, v12, v13
	v_add_f32_e32 v13, 1.0, v8
	v_add_f32_e32 v22, -1.0, v13
	v_sub_f32_e32 v8, v8, v22
	v_add_f32_e32 v8, v12, v8
	v_add_f32_e32 v27, v13, v8
	v_rcp_f32_e32 v28, v27
	v_sub_f32_e32 v12, v13, v27
	v_add_f32_e32 v13, v14, v15
	v_add_f32_e32 v8, v8, v12
	v_mul_f32_e32 v30, v13, v28
	v_sub_f32_e32 v12, v14, v13
	v_mul_f32_e32 v14, v27, v30
	v_fma_f32 v22, v30, v27, -v14
	v_fmac_f32_e32 v22, v30, v8
	v_add_f32_e32 v29, v15, v12
	v_add_f32_e32 v12, v14, v22
	v_sub_f32_e32 v15, v13, v12
	v_pk_add_f32 v[24:25], v[12:13], v[14:15] neg_lo:[0,1] neg_hi:[0,1]
	v_mov_b32_e32 v23, v12
	v_pk_add_f32 v[12:13], v[24:25], v[22:23] neg_lo:[0,1] neg_hi:[0,1]
	v_cmp_eq_f32_e32 vcc, s10, v32
	v_add_f32_e32 v13, v29, v13
	v_add_f32_e32 v12, v12, v13
	;; [unrolled: 1-line block ×3, first 2 shown]
	v_mul_f32_e32 v29, v28, v13
	v_mul_f32_e32 v14, v27, v29
	v_fma_f32 v22, v29, v27, -v14
	v_fmac_f32_e32 v22, v29, v8
	v_sub_f32_e32 v8, v15, v13
	v_add_f32_e32 v8, v12, v8
	v_add_f32_e32 v12, v14, v22
	v_sub_f32_e32 v15, v13, v12
	v_pk_add_f32 v[24:25], v[12:13], v[14:15] neg_lo:[0,1] neg_hi:[0,1]
	v_mov_b32_e32 v23, v12
	v_pk_add_f32 v[12:13], v[24:25], v[22:23] neg_lo:[0,1] neg_hi:[0,1]
	s_or_b64 vcc, s[52:53], vcc
	v_add_f32_e32 v8, v8, v13
	v_add_f32_e32 v8, v12, v8
	;; [unrolled: 1-line block ×4, first 2 shown]
	v_sub_f32_e32 v12, v13, v30
	v_mul_f32_e32 v8, v28, v8
	v_sub_f32_e32 v12, v29, v12
	v_add_f32_e32 v8, v12, v8
	v_add_f32_e32 v14, v13, v8
	v_mul_f32_e32 v22, v14, v14
	v_fmamk_f32 v12, v22, 0x3e9b6dac, v40
	v_fmaak_f32 v43, v22, v12, 0x3f2aaada
	v_cvt_f32_i32_e32 v12, v26
	v_sub_f32_e32 v13, v14, v13
	v_sub_f32_e32 v8, v8, v13
	v_mul_f32_e32 v13, v14, v22
	v_pk_mul_f32 v[22:23], v[12:13], v[42:43]
	v_ldexp_f32 v15, v14, 1
	v_fma_f32 v14, v12, s56, -v22
	v_fmac_f32_e32 v14, 0xb102e308, v12
	v_pk_add_f32 v[12:13], v[22:23], v[14:15]
	v_ldexp_f32 v8, v8, 1
	v_sub_f32_e32 v15, v13, v15
	v_sub_f32_e32 v15, v23, v15
	v_add_f32_e32 v25, v8, v15
	v_mov_b32_e32 v24, v22
	v_pk_add_f32 v[22:23], v[12:13], v[22:23] neg_lo:[0,1] neg_hi:[0,1]
	v_pk_add_f32 v[26:27], v[12:13], v[24:25]
	v_mov_b32_e32 v15, v12
	v_mov_b32_e32 v23, v27
	v_pk_add_f32 v[28:29], v[14:15], v[22:23] neg_lo:[0,1] neg_hi:[0,1]
	v_pk_add_f32 v[14:15], v[14:15], v[22:23]
	s_nop 0
	v_mov_b32_e32 v8, v15
	v_pk_add_f32 v[22:23], v[8:9], v[12:13] neg_lo:[0,1] neg_hi:[0,1]
	v_mov_b32_e32 v14, v27
	v_mov_b32_e32 v23, v22
	v_pk_add_f32 v[30:31], v[26:27], v[22:23] neg_lo:[0,1] neg_hi:[0,1]
	v_mov_b32_e32 v26, v13
	v_mov_b32_e32 v27, v22
	;; [unrolled: 1-line block ×3, first 2 shown]
	v_pk_add_f32 v[14:15], v[14:15], v[26:27] neg_lo:[0,1] neg_hi:[0,1]
	v_mov_b32_e32 v22, v25
	v_mov_b32_e32 v23, v12
	v_pk_add_f32 v[12:13], v[22:23], v[14:15] neg_lo:[0,1] neg_hi:[0,1]
	v_mov_b32_e32 v30, v28
	v_pk_add_f32 v[14:15], v[30:31], v[12:13]
	s_nop 0
	v_mov_b32_e32 v22, v15
	v_pk_add_f32 v[22:23], v[14:15], v[22:23]
	s_nop 0
	v_pk_add_f32 v[24:25], v[8:9], v[22:23]
	v_mov_b32_e32 v13, v22
	v_mov_b32_e32 v15, v24
	v_pk_add_f32 v[26:27], v[14:15], v[28:29] neg_lo:[0,1] neg_hi:[0,1]
	s_nop 0
	v_sub_f32_e32 v8, v14, v26
	v_pk_add_f32 v[12:13], v[12:13], v[26:27] neg_lo:[0,1] neg_hi:[0,1]
	v_sub_f32_e32 v8, v28, v8
	v_add_f32_e32 v8, v12, v8
	v_add_f32_e32 v8, v8, v13
	v_add_f32_e32 v8, v24, v8
	v_cndmask_b32_e32 v91, v8, v32, vcc
.LBB82_97:                              ;   in Loop: Header=BB82_13 Depth=1
	s_or_b64 exec, exec, s[54:55]
	v_cvt_f32_f16_sdwa v8, v9 dst_sel:DWORD dst_unused:UNUSED_PAD src0_sel:WORD_1
	v_readlane_b32 s0, v95, 2
	s_nop 1
	v_add_f32_e32 v92, s0, v8
	v_cmp_ge_f32_e32 vcc, s6, v92
	s_and_b64 s[0:1], s[4:5], vcc
	s_and_saveexec_b64 s[54:55], s[0:1]
	s_cbranch_execz .LBB82_99
; %bb.98:                               ;   in Loop: Header=BB82_13 Depth=1
	v_mul_f32_e32 v8, 0x3fb8aa3b, v92
	v_rndne_f32_e32 v9, v8
	v_sub_f32_e32 v12, v8, v9
	v_fma_f32 v8, v92, s7, -v8
	v_fmac_f32_e32 v8, 0x32a5705f, v92
	v_add_f32_e32 v8, v12, v8
	v_cvt_i32_f32_e32 v9, v9
	v_exp_f32_e32 v8, v8
	v_cmp_ngt_f32_e32 vcc, s8, v92
	v_ldexp_f32 v8, v8, v9
	s_nop 0
	v_cndmask_b32_e32 v8, 0, v8, vcc
	v_cmp_nlt_f32_e32 vcc, s9, v92
	s_nop 1
	v_cndmask_b32_e32 v32, v41, v8, vcc
	v_add_f32_e32 v12, 1.0, v32
	v_add_f32_e32 v8, -1.0, v12
	v_sub_f32_e32 v9, v8, v12
	v_add_f32_e32 v9, 1.0, v9
	v_sub_f32_e32 v8, v32, v8
	v_add_f32_e32 v13, v8, v9
	v_frexp_mant_f32_e32 v14, v12
	v_cvt_f64_f32_e32 v[8:9], v12
	v_frexp_exp_i32_f64_e32 v8, v[8:9]
	v_cmp_gt_f32_e32 vcc, s11, v14
	v_cmp_gt_f32_e64 s[52:53], s57, v32
	s_nop 0
	v_subbrev_co_u32_e32 v24, vcc, 0, v8, vcc
	v_sub_u32_e32 v8, 0, v24
	v_ldexp_f32 v9, v12, v8
	v_add_f32_e32 v12, -1.0, v9
	v_add_f32_e32 v14, 1.0, v9
	v_ldexp_f32 v8, v13, v8
	v_add_f32_e32 v13, 1.0, v12
	v_add_f32_e32 v15, -1.0, v14
	v_sub_f32_e32 v13, v9, v13
	v_sub_f32_e32 v9, v9, v15
	v_add_f32_e32 v13, v8, v13
	v_add_f32_e32 v8, v8, v9
	v_add_f32_e32 v25, v14, v8
	v_rcp_f32_e32 v27, v25
	v_sub_f32_e32 v9, v14, v25
	v_add_f32_e32 v26, v8, v9
	v_add_f32_e32 v9, v12, v13
	v_mul_f32_e32 v29, v9, v27
	v_sub_f32_e32 v8, v12, v9
	v_mul_f32_e32 v12, v25, v29
	v_fma_f32 v14, v29, v25, -v12
	v_fmac_f32_e32 v14, v29, v26
	v_add_f32_e32 v28, v13, v8
	v_add_f32_e32 v8, v12, v14
	v_sub_f32_e32 v13, v9, v8
	v_pk_add_f32 v[22:23], v[8:9], v[12:13] neg_lo:[0,1] neg_hi:[0,1]
	v_mov_b32_e32 v15, v8
	v_pk_add_f32 v[8:9], v[22:23], v[14:15] neg_lo:[0,1] neg_hi:[0,1]
	v_cmp_eq_f32_e32 vcc, s10, v32
	v_add_f32_e32 v9, v28, v9
	v_add_f32_e32 v8, v8, v9
	;; [unrolled: 1-line block ×3, first 2 shown]
	v_mul_f32_e32 v28, v27, v9
	v_mul_f32_e32 v12, v25, v28
	v_fma_f32 v14, v28, v25, -v12
	v_fmac_f32_e32 v14, v28, v26
	v_sub_f32_e32 v13, v13, v9
	v_add_f32_e32 v25, v8, v13
	v_add_f32_e32 v8, v12, v14
	v_sub_f32_e32 v13, v9, v8
	v_pk_add_f32 v[22:23], v[8:9], v[12:13] neg_lo:[0,1] neg_hi:[0,1]
	v_mov_b32_e32 v15, v8
	v_pk_add_f32 v[8:9], v[22:23], v[14:15] neg_lo:[0,1] neg_hi:[0,1]
	s_or_b64 vcc, s[52:53], vcc
	v_add_f32_e32 v9, v25, v9
	v_add_f32_e32 v8, v8, v9
	;; [unrolled: 1-line block ×4, first 2 shown]
	v_sub_f32_e32 v12, v9, v29
	v_mul_f32_e32 v8, v27, v8
	v_sub_f32_e32 v12, v28, v12
	v_add_f32_e32 v12, v12, v8
	v_add_f32_e32 v14, v9, v12
	v_mul_f32_e32 v15, v14, v14
	v_fmamk_f32 v8, v15, 0x3e9b6dac, v40
	v_fmaak_f32 v43, v15, v8, 0x3f2aaada
	v_cvt_f32_i32_e32 v8, v24
	v_sub_f32_e32 v9, v14, v9
	v_sub_f32_e32 v9, v12, v9
	v_ldexp_f32 v22, v9, 1
	v_mul_f32_e32 v9, v14, v15
	v_ldexp_f32 v13, v14, 1
	v_pk_mul_f32 v[14:15], v[8:9], v[42:43]
	s_nop 0
	v_fma_f32 v12, v8, s56, -v14
	v_fmac_f32_e32 v12, 0xb102e308, v8
	v_pk_add_f32 v[8:9], v[14:15], v[12:13]
	s_nop 0
	v_sub_f32_e32 v13, v9, v13
	v_sub_f32_e32 v13, v15, v13
	v_add_f32_e32 v23, v22, v13
	v_mov_b32_e32 v22, v14
	v_pk_add_f32 v[14:15], v[8:9], v[14:15] neg_lo:[0,1] neg_hi:[0,1]
	v_pk_add_f32 v[24:25], v[8:9], v[22:23]
	v_mov_b32_e32 v13, v8
	v_mov_b32_e32 v15, v25
	v_pk_add_f32 v[26:27], v[12:13], v[14:15] neg_lo:[0,1] neg_hi:[0,1]
	v_pk_add_f32 v[12:13], v[12:13], v[14:15]
	v_mov_b32_e32 v22, v23
	v_mov_b32_e32 v14, v13
	v_pk_add_f32 v[28:29], v[14:15], v[8:9] neg_lo:[0,1] neg_hi:[0,1]
	v_mov_b32_e32 v12, v25
	v_mov_b32_e32 v15, v28
	v_pk_add_f32 v[30:31], v[24:25], v[14:15] neg_lo:[0,1] neg_hi:[0,1]
	v_mov_b32_e32 v24, v9
	v_mov_b32_e32 v25, v28
	;; [unrolled: 1-line block ×3, first 2 shown]
	v_pk_add_f32 v[12:13], v[12:13], v[24:25] neg_lo:[0,1] neg_hi:[0,1]
	v_mov_b32_e32 v23, v8
	v_pk_add_f32 v[8:9], v[22:23], v[12:13] neg_lo:[0,1] neg_hi:[0,1]
	v_mov_b32_e32 v30, v26
	v_pk_add_f32 v[12:13], v[30:31], v[8:9]
	s_nop 0
	v_mov_b32_e32 v22, v13
	v_pk_add_f32 v[22:23], v[12:13], v[22:23]
	s_nop 0
	v_pk_add_f32 v[14:15], v[14:15], v[22:23]
	v_mov_b32_e32 v9, v22
	v_mov_b32_e32 v13, v14
	v_pk_add_f32 v[24:25], v[12:13], v[26:27] neg_lo:[0,1] neg_hi:[0,1]
	s_nop 0
	v_sub_f32_e32 v12, v12, v24
	v_pk_add_f32 v[8:9], v[8:9], v[24:25] neg_lo:[0,1] neg_hi:[0,1]
	v_sub_f32_e32 v12, v26, v12
	v_add_f32_e32 v8, v8, v12
	v_add_f32_e32 v8, v8, v9
	;; [unrolled: 1-line block ×3, first 2 shown]
	v_cndmask_b32_e32 v92, v8, v32, vcc
.LBB82_99:                              ;   in Loop: Header=BB82_13 Depth=1
	s_or_b64 exec, exec, s[54:55]
	v_cvt_f32_f16_e32 v8, v10
	v_readlane_b32 s0, v95, 2
	s_nop 1
	v_add_f32_e32 v93, s0, v8
	v_cmp_ge_f32_e32 vcc, s6, v93
	s_and_b64 s[0:1], s[4:5], vcc
	s_and_saveexec_b64 s[54:55], s[0:1]
	s_cbranch_execz .LBB82_101
; %bb.100:                              ;   in Loop: Header=BB82_13 Depth=1
	v_mul_f32_e32 v8, 0x3fb8aa3b, v93
	v_rndne_f32_e32 v9, v8
	v_sub_f32_e32 v12, v8, v9
	v_fma_f32 v8, v93, s7, -v8
	v_fmac_f32_e32 v8, 0x32a5705f, v93
	v_add_f32_e32 v8, v12, v8
	v_cvt_i32_f32_e32 v9, v9
	v_exp_f32_e32 v8, v8
	v_cmp_ngt_f32_e32 vcc, s8, v93
	v_ldexp_f32 v8, v8, v9
	s_nop 0
	v_cndmask_b32_e32 v8, 0, v8, vcc
	v_cmp_nlt_f32_e32 vcc, s9, v93
	s_nop 1
	v_cndmask_b32_e32 v32, v41, v8, vcc
	v_add_f32_e32 v12, 1.0, v32
	v_add_f32_e32 v8, -1.0, v12
	v_sub_f32_e32 v9, v8, v12
	v_add_f32_e32 v9, 1.0, v9
	v_sub_f32_e32 v8, v32, v8
	v_add_f32_e32 v13, v8, v9
	v_frexp_mant_f32_e32 v14, v12
	v_cvt_f64_f32_e32 v[8:9], v12
	v_frexp_exp_i32_f64_e32 v8, v[8:9]
	v_cmp_gt_f32_e32 vcc, s11, v14
	v_cmp_gt_f32_e64 s[52:53], s57, v32
	s_nop 0
	v_subbrev_co_u32_e32 v24, vcc, 0, v8, vcc
	v_sub_u32_e32 v8, 0, v24
	v_ldexp_f32 v9, v12, v8
	v_add_f32_e32 v12, -1.0, v9
	v_add_f32_e32 v14, 1.0, v9
	v_ldexp_f32 v8, v13, v8
	v_add_f32_e32 v13, 1.0, v12
	v_add_f32_e32 v15, -1.0, v14
	v_sub_f32_e32 v13, v9, v13
	v_sub_f32_e32 v9, v9, v15
	v_add_f32_e32 v13, v8, v13
	v_add_f32_e32 v8, v8, v9
	v_add_f32_e32 v25, v14, v8
	v_rcp_f32_e32 v27, v25
	v_sub_f32_e32 v9, v14, v25
	v_add_f32_e32 v26, v8, v9
	v_add_f32_e32 v9, v12, v13
	v_mul_f32_e32 v29, v9, v27
	v_sub_f32_e32 v8, v12, v9
	v_mul_f32_e32 v12, v25, v29
	v_fma_f32 v14, v29, v25, -v12
	v_fmac_f32_e32 v14, v29, v26
	v_add_f32_e32 v28, v13, v8
	v_add_f32_e32 v8, v12, v14
	v_sub_f32_e32 v13, v9, v8
	v_pk_add_f32 v[22:23], v[8:9], v[12:13] neg_lo:[0,1] neg_hi:[0,1]
	v_mov_b32_e32 v15, v8
	v_pk_add_f32 v[8:9], v[22:23], v[14:15] neg_lo:[0,1] neg_hi:[0,1]
	v_cmp_eq_f32_e32 vcc, s10, v32
	v_add_f32_e32 v9, v28, v9
	v_add_f32_e32 v8, v8, v9
	;; [unrolled: 1-line block ×3, first 2 shown]
	v_mul_f32_e32 v28, v27, v9
	v_mul_f32_e32 v12, v25, v28
	v_fma_f32 v14, v28, v25, -v12
	v_fmac_f32_e32 v14, v28, v26
	v_sub_f32_e32 v13, v13, v9
	v_add_f32_e32 v25, v8, v13
	v_add_f32_e32 v8, v12, v14
	v_sub_f32_e32 v13, v9, v8
	v_pk_add_f32 v[22:23], v[8:9], v[12:13] neg_lo:[0,1] neg_hi:[0,1]
	v_mov_b32_e32 v15, v8
	v_pk_add_f32 v[8:9], v[22:23], v[14:15] neg_lo:[0,1] neg_hi:[0,1]
	s_or_b64 vcc, s[52:53], vcc
	v_add_f32_e32 v9, v25, v9
	v_add_f32_e32 v8, v8, v9
	;; [unrolled: 1-line block ×4, first 2 shown]
	v_sub_f32_e32 v12, v9, v29
	v_mul_f32_e32 v8, v27, v8
	v_sub_f32_e32 v12, v28, v12
	v_add_f32_e32 v12, v12, v8
	v_add_f32_e32 v14, v9, v12
	v_mul_f32_e32 v15, v14, v14
	v_fmamk_f32 v8, v15, 0x3e9b6dac, v40
	v_fmaak_f32 v43, v15, v8, 0x3f2aaada
	v_cvt_f32_i32_e32 v8, v24
	v_sub_f32_e32 v9, v14, v9
	v_sub_f32_e32 v9, v12, v9
	v_ldexp_f32 v22, v9, 1
	v_mul_f32_e32 v9, v14, v15
	v_ldexp_f32 v13, v14, 1
	v_pk_mul_f32 v[14:15], v[8:9], v[42:43]
	s_nop 0
	v_fma_f32 v12, v8, s56, -v14
	v_fmac_f32_e32 v12, 0xb102e308, v8
	v_pk_add_f32 v[8:9], v[14:15], v[12:13]
	s_nop 0
	v_sub_f32_e32 v13, v9, v13
	v_sub_f32_e32 v13, v15, v13
	v_add_f32_e32 v23, v22, v13
	v_mov_b32_e32 v22, v14
	v_pk_add_f32 v[14:15], v[8:9], v[14:15] neg_lo:[0,1] neg_hi:[0,1]
	v_pk_add_f32 v[24:25], v[8:9], v[22:23]
	v_mov_b32_e32 v13, v8
	v_mov_b32_e32 v15, v25
	v_pk_add_f32 v[26:27], v[12:13], v[14:15] neg_lo:[0,1] neg_hi:[0,1]
	v_pk_add_f32 v[12:13], v[12:13], v[14:15]
	v_mov_b32_e32 v22, v23
	v_mov_b32_e32 v14, v13
	v_pk_add_f32 v[28:29], v[14:15], v[8:9] neg_lo:[0,1] neg_hi:[0,1]
	v_mov_b32_e32 v12, v25
	v_mov_b32_e32 v15, v28
	v_pk_add_f32 v[30:31], v[24:25], v[14:15] neg_lo:[0,1] neg_hi:[0,1]
	v_mov_b32_e32 v24, v9
	v_mov_b32_e32 v25, v28
	;; [unrolled: 1-line block ×3, first 2 shown]
	v_pk_add_f32 v[12:13], v[12:13], v[24:25] neg_lo:[0,1] neg_hi:[0,1]
	v_mov_b32_e32 v23, v8
	v_pk_add_f32 v[8:9], v[22:23], v[12:13] neg_lo:[0,1] neg_hi:[0,1]
	v_mov_b32_e32 v30, v26
	v_pk_add_f32 v[12:13], v[30:31], v[8:9]
	s_nop 0
	v_mov_b32_e32 v22, v13
	v_pk_add_f32 v[22:23], v[12:13], v[22:23]
	s_nop 0
	v_pk_add_f32 v[14:15], v[14:15], v[22:23]
	v_mov_b32_e32 v9, v22
	v_mov_b32_e32 v13, v14
	v_pk_add_f32 v[24:25], v[12:13], v[26:27] neg_lo:[0,1] neg_hi:[0,1]
	s_nop 0
	v_sub_f32_e32 v12, v12, v24
	v_pk_add_f32 v[8:9], v[8:9], v[24:25] neg_lo:[0,1] neg_hi:[0,1]
	v_sub_f32_e32 v12, v26, v12
	v_add_f32_e32 v8, v8, v12
	v_add_f32_e32 v8, v8, v9
	;; [unrolled: 1-line block ×3, first 2 shown]
	v_cndmask_b32_e32 v93, v8, v32, vcc
.LBB82_101:                             ;   in Loop: Header=BB82_13 Depth=1
	s_or_b64 exec, exec, s[54:55]
	v_cvt_f32_f16_sdwa v8, v10 dst_sel:DWORD dst_unused:UNUSED_PAD src0_sel:WORD_1
	v_readlane_b32 s0, v95, 2
	s_nop 1
	v_add_f32_e32 v94, s0, v8
	v_cmp_ge_f32_e32 vcc, s6, v94
	s_and_b64 s[0:1], s[4:5], vcc
	s_and_saveexec_b64 s[54:55], s[0:1]
	s_cbranch_execz .LBB82_103
; %bb.102:                              ;   in Loop: Header=BB82_13 Depth=1
	v_mul_f32_e32 v8, 0x3fb8aa3b, v94
	v_rndne_f32_e32 v9, v8
	v_sub_f32_e32 v10, v8, v9
	v_fma_f32 v8, v94, s7, -v8
	v_fmac_f32_e32 v8, 0x32a5705f, v94
	v_add_f32_e32 v8, v10, v8
	v_cvt_i32_f32_e32 v9, v9
	v_exp_f32_e32 v8, v8
	v_cmp_ngt_f32_e32 vcc, s8, v94
	v_ldexp_f32 v8, v8, v9
	s_nop 0
	v_cndmask_b32_e32 v8, 0, v8, vcc
	v_cmp_nlt_f32_e32 vcc, s9, v94
	s_nop 1
	v_cndmask_b32_e32 v30, v41, v8, vcc
	v_add_f32_e32 v10, 1.0, v30
	v_add_f32_e32 v8, -1.0, v10
	v_sub_f32_e32 v9, v8, v10
	v_add_f32_e32 v9, 1.0, v9
	v_sub_f32_e32 v8, v30, v8
	v_add_f32_e32 v12, v8, v9
	v_frexp_mant_f32_e32 v13, v10
	v_cvt_f64_f32_e32 v[8:9], v10
	v_frexp_exp_i32_f64_e32 v8, v[8:9]
	v_cmp_gt_f32_e32 vcc, s11, v13
	v_cmp_gt_f32_e64 s[52:53], s57, v30
	s_nop 0
	v_subbrev_co_u32_e32 v24, vcc, 0, v8, vcc
	v_sub_u32_e32 v8, 0, v24
	v_ldexp_f32 v9, v10, v8
	v_add_f32_e32 v10, -1.0, v9
	v_add_f32_e32 v13, 1.0, v9
	v_ldexp_f32 v8, v12, v8
	v_add_f32_e32 v12, 1.0, v10
	v_add_f32_e32 v14, -1.0, v13
	v_sub_f32_e32 v12, v9, v12
	v_sub_f32_e32 v9, v9, v14
	v_add_f32_e32 v12, v8, v12
	v_add_f32_e32 v8, v8, v9
	;; [unrolled: 1-line block ×3, first 2 shown]
	v_rcp_f32_e32 v27, v25
	v_sub_f32_e32 v9, v13, v25
	v_add_f32_e32 v26, v8, v9
	v_add_f32_e32 v9, v10, v12
	v_sub_f32_e32 v8, v10, v9
	v_mul_f32_e32 v28, v9, v27
	v_add_f32_e32 v10, v12, v8
	v_mul_f32_e32 v12, v25, v28
	v_fma_f32 v14, v28, v25, -v12
	v_fmac_f32_e32 v14, v28, v26
	v_add_f32_e32 v8, v12, v14
	v_sub_f32_e32 v13, v9, v8
	v_pk_add_f32 v[22:23], v[8:9], v[12:13] neg_lo:[0,1] neg_hi:[0,1]
	v_mov_b32_e32 v15, v8
	v_pk_add_f32 v[8:9], v[22:23], v[14:15] neg_lo:[0,1] neg_hi:[0,1]
	v_cmp_eq_f32_e32 vcc, s10, v30
	v_add_f32_e32 v9, v10, v9
	v_add_f32_e32 v8, v8, v9
	;; [unrolled: 1-line block ×3, first 2 shown]
	v_mul_f32_e32 v10, v27, v9
	v_mul_f32_e32 v12, v25, v10
	v_fma_f32 v14, v10, v25, -v12
	v_fmac_f32_e32 v14, v10, v26
	v_sub_f32_e32 v13, v13, v9
	v_add_f32_e32 v25, v8, v13
	v_add_f32_e32 v8, v12, v14
	v_sub_f32_e32 v13, v9, v8
	v_pk_add_f32 v[22:23], v[8:9], v[12:13] neg_lo:[0,1] neg_hi:[0,1]
	v_mov_b32_e32 v15, v8
	v_pk_add_f32 v[8:9], v[22:23], v[14:15] neg_lo:[0,1] neg_hi:[0,1]
	s_or_b64 vcc, s[52:53], vcc
	v_add_f32_e32 v9, v25, v9
	v_add_f32_e32 v8, v8, v9
	;; [unrolled: 1-line block ×4, first 2 shown]
	v_sub_f32_e32 v12, v9, v28
	v_mul_f32_e32 v8, v27, v8
	v_sub_f32_e32 v10, v10, v12
	v_add_f32_e32 v10, v10, v8
	v_add_f32_e32 v12, v9, v10
	v_mul_f32_e32 v14, v12, v12
	v_fmamk_f32 v8, v14, 0x3e9b6dac, v40
	v_fmaak_f32 v43, v14, v8, 0x3f2aaada
	v_cvt_f32_i32_e32 v8, v24
	v_sub_f32_e32 v9, v12, v9
	v_sub_f32_e32 v9, v10, v9
	v_ldexp_f32 v10, v9, 1
	v_mul_f32_e32 v9, v12, v14
	v_pk_mul_f32 v[14:15], v[8:9], v[42:43]
	v_ldexp_f32 v13, v12, 1
	v_fma_f32 v12, v8, s56, -v14
	v_fmac_f32_e32 v12, 0xb102e308, v8
	v_pk_add_f32 v[8:9], v[14:15], v[12:13]
	v_mov_b32_e32 v22, v14
	v_sub_f32_e32 v13, v9, v13
	v_sub_f32_e32 v13, v15, v13
	v_add_f32_e32 v23, v10, v13
	v_pk_add_f32 v[14:15], v[8:9], v[14:15] neg_lo:[0,1] neg_hi:[0,1]
	v_pk_add_f32 v[24:25], v[8:9], v[22:23]
	v_mov_b32_e32 v13, v8
	v_mov_b32_e32 v15, v25
	v_pk_add_f32 v[26:27], v[12:13], v[14:15] neg_lo:[0,1] neg_hi:[0,1]
	v_pk_add_f32 v[12:13], v[12:13], v[14:15]
	s_nop 0
	v_mov_b32_e32 v10, v13
	v_pk_add_f32 v[14:15], v[10:11], v[8:9] neg_lo:[0,1] neg_hi:[0,1]
	v_mov_b32_e32 v12, v25
	v_mov_b32_e32 v15, v14
	v_pk_add_f32 v[28:29], v[24:25], v[14:15] neg_lo:[0,1] neg_hi:[0,1]
	v_mov_b32_e32 v24, v9
	v_mov_b32_e32 v25, v14
	;; [unrolled: 1-line block ×3, first 2 shown]
	v_pk_add_f32 v[12:13], v[12:13], v[24:25] neg_lo:[0,1] neg_hi:[0,1]
	v_mov_b32_e32 v14, v23
	v_mov_b32_e32 v15, v8
	v_pk_add_f32 v[8:9], v[14:15], v[12:13] neg_lo:[0,1] neg_hi:[0,1]
	v_mov_b32_e32 v28, v26
	v_pk_add_f32 v[12:13], v[28:29], v[8:9]
	s_nop 0
	v_mov_b32_e32 v14, v13
	v_pk_add_f32 v[14:15], v[12:13], v[14:15]
	s_nop 0
	v_pk_add_f32 v[22:23], v[10:11], v[14:15]
	v_mov_b32_e32 v9, v14
	v_mov_b32_e32 v13, v22
	v_pk_add_f32 v[24:25], v[12:13], v[26:27] neg_lo:[0,1] neg_hi:[0,1]
	s_nop 0
	v_sub_f32_e32 v10, v12, v24
	v_pk_add_f32 v[8:9], v[8:9], v[24:25] neg_lo:[0,1] neg_hi:[0,1]
	v_sub_f32_e32 v10, v26, v10
	v_add_f32_e32 v8, v8, v10
	v_add_f32_e32 v8, v8, v9
	;; [unrolled: 1-line block ×3, first 2 shown]
	v_cndmask_b32_e32 v94, v8, v30, vcc
.LBB82_103:                             ;   in Loop: Header=BB82_13 Depth=1
	s_or_b64 exec, exec, s[54:55]
	v_cvt_f32_f16_e32 v8, v11
	v_readlane_b32 s0, v95, 2
	s_nop 1
	v_add_f32_e32 v56, s0, v8
	v_cmp_ge_f32_e32 vcc, s6, v56
	s_and_b64 s[0:1], s[4:5], vcc
	s_and_saveexec_b64 s[54:55], s[0:1]
	s_cbranch_execz .LBB82_105
; %bb.104:                              ;   in Loop: Header=BB82_13 Depth=1
	v_mul_f32_e32 v8, 0x3fb8aa3b, v56
	v_rndne_f32_e32 v9, v8
	v_sub_f32_e32 v10, v8, v9
	v_fma_f32 v8, v56, s7, -v8
	v_fmac_f32_e32 v8, 0x32a5705f, v56
	v_add_f32_e32 v8, v10, v8
	v_cvt_i32_f32_e32 v9, v9
	v_exp_f32_e32 v8, v8
	v_cmp_ngt_f32_e32 vcc, s8, v56
	v_ldexp_f32 v8, v8, v9
	s_nop 0
	v_cndmask_b32_e32 v8, 0, v8, vcc
	v_cmp_nlt_f32_e32 vcc, s9, v56
	s_nop 1
	v_cndmask_b32_e32 v30, v41, v8, vcc
	v_add_f32_e32 v10, 1.0, v30
	v_add_f32_e32 v8, -1.0, v10
	v_sub_f32_e32 v9, v8, v10
	v_add_f32_e32 v9, 1.0, v9
	v_sub_f32_e32 v8, v30, v8
	v_add_f32_e32 v12, v8, v9
	v_frexp_mant_f32_e32 v13, v10
	v_cvt_f64_f32_e32 v[8:9], v10
	v_frexp_exp_i32_f64_e32 v8, v[8:9]
	v_cmp_gt_f32_e32 vcc, s11, v13
	v_cmp_gt_f32_e64 s[52:53], s57, v30
	s_nop 0
	v_subbrev_co_u32_e32 v24, vcc, 0, v8, vcc
	v_sub_u32_e32 v8, 0, v24
	v_ldexp_f32 v9, v10, v8
	v_add_f32_e32 v10, -1.0, v9
	v_add_f32_e32 v13, 1.0, v9
	v_ldexp_f32 v8, v12, v8
	v_add_f32_e32 v12, 1.0, v10
	v_add_f32_e32 v14, -1.0, v13
	v_sub_f32_e32 v12, v9, v12
	v_sub_f32_e32 v9, v9, v14
	v_add_f32_e32 v12, v8, v12
	v_add_f32_e32 v8, v8, v9
	;; [unrolled: 1-line block ×3, first 2 shown]
	v_rcp_f32_e32 v27, v25
	v_sub_f32_e32 v9, v13, v25
	v_add_f32_e32 v26, v8, v9
	v_add_f32_e32 v9, v10, v12
	v_sub_f32_e32 v8, v10, v9
	v_mul_f32_e32 v28, v9, v27
	v_add_f32_e32 v10, v12, v8
	v_mul_f32_e32 v12, v25, v28
	v_fma_f32 v14, v28, v25, -v12
	v_fmac_f32_e32 v14, v28, v26
	v_add_f32_e32 v8, v12, v14
	v_sub_f32_e32 v13, v9, v8
	v_pk_add_f32 v[22:23], v[8:9], v[12:13] neg_lo:[0,1] neg_hi:[0,1]
	v_mov_b32_e32 v15, v8
	v_pk_add_f32 v[8:9], v[22:23], v[14:15] neg_lo:[0,1] neg_hi:[0,1]
	v_cmp_eq_f32_e32 vcc, s10, v30
	v_add_f32_e32 v9, v10, v9
	v_add_f32_e32 v8, v8, v9
	;; [unrolled: 1-line block ×3, first 2 shown]
	v_mul_f32_e32 v10, v27, v9
	v_mul_f32_e32 v12, v25, v10
	v_fma_f32 v14, v10, v25, -v12
	v_fmac_f32_e32 v14, v10, v26
	v_sub_f32_e32 v13, v13, v9
	v_add_f32_e32 v25, v8, v13
	v_add_f32_e32 v8, v12, v14
	v_sub_f32_e32 v13, v9, v8
	v_pk_add_f32 v[22:23], v[8:9], v[12:13] neg_lo:[0,1] neg_hi:[0,1]
	v_mov_b32_e32 v15, v8
	v_pk_add_f32 v[8:9], v[22:23], v[14:15] neg_lo:[0,1] neg_hi:[0,1]
	s_or_b64 vcc, s[52:53], vcc
	v_add_f32_e32 v9, v25, v9
	v_add_f32_e32 v8, v8, v9
	;; [unrolled: 1-line block ×4, first 2 shown]
	v_sub_f32_e32 v12, v9, v28
	v_mul_f32_e32 v8, v27, v8
	v_sub_f32_e32 v10, v10, v12
	v_add_f32_e32 v10, v10, v8
	v_add_f32_e32 v12, v9, v10
	v_mul_f32_e32 v14, v12, v12
	v_fmamk_f32 v8, v14, 0x3e9b6dac, v40
	v_fmaak_f32 v43, v14, v8, 0x3f2aaada
	v_cvt_f32_i32_e32 v8, v24
	v_sub_f32_e32 v9, v12, v9
	v_sub_f32_e32 v9, v10, v9
	v_ldexp_f32 v10, v9, 1
	v_mul_f32_e32 v9, v12, v14
	v_pk_mul_f32 v[14:15], v[8:9], v[42:43]
	v_ldexp_f32 v13, v12, 1
	v_fma_f32 v12, v8, s56, -v14
	v_fmac_f32_e32 v12, 0xb102e308, v8
	v_pk_add_f32 v[8:9], v[14:15], v[12:13]
	v_mov_b32_e32 v22, v14
	v_sub_f32_e32 v13, v9, v13
	v_sub_f32_e32 v13, v15, v13
	v_add_f32_e32 v23, v10, v13
	v_pk_add_f32 v[14:15], v[8:9], v[14:15] neg_lo:[0,1] neg_hi:[0,1]
	v_pk_add_f32 v[24:25], v[8:9], v[22:23]
	v_mov_b32_e32 v13, v8
	v_mov_b32_e32 v15, v25
	v_pk_add_f32 v[26:27], v[12:13], v[14:15] neg_lo:[0,1] neg_hi:[0,1]
	v_pk_add_f32 v[12:13], v[12:13], v[14:15]
	s_nop 0
	v_mov_b32_e32 v10, v13
	v_pk_add_f32 v[14:15], v[10:11], v[8:9] neg_lo:[0,1] neg_hi:[0,1]
	v_mov_b32_e32 v12, v25
	v_mov_b32_e32 v15, v14
	v_pk_add_f32 v[28:29], v[24:25], v[14:15] neg_lo:[0,1] neg_hi:[0,1]
	v_mov_b32_e32 v24, v9
	v_mov_b32_e32 v25, v14
	;; [unrolled: 1-line block ×3, first 2 shown]
	v_pk_add_f32 v[12:13], v[12:13], v[24:25] neg_lo:[0,1] neg_hi:[0,1]
	v_mov_b32_e32 v14, v23
	v_mov_b32_e32 v15, v8
	v_pk_add_f32 v[8:9], v[14:15], v[12:13] neg_lo:[0,1] neg_hi:[0,1]
	v_mov_b32_e32 v28, v26
	v_pk_add_f32 v[12:13], v[28:29], v[8:9]
	s_nop 0
	v_mov_b32_e32 v14, v13
	v_pk_add_f32 v[14:15], v[12:13], v[14:15]
	s_nop 0
	v_pk_add_f32 v[22:23], v[10:11], v[14:15]
	v_mov_b32_e32 v9, v14
	v_mov_b32_e32 v13, v22
	v_pk_add_f32 v[24:25], v[12:13], v[26:27] neg_lo:[0,1] neg_hi:[0,1]
	s_nop 0
	v_sub_f32_e32 v10, v12, v24
	v_pk_add_f32 v[8:9], v[8:9], v[24:25] neg_lo:[0,1] neg_hi:[0,1]
	v_sub_f32_e32 v10, v26, v10
	v_add_f32_e32 v8, v8, v10
	v_add_f32_e32 v8, v8, v9
	;; [unrolled: 1-line block ×3, first 2 shown]
	v_cndmask_b32_e32 v56, v8, v30, vcc
.LBB82_105:                             ;   in Loop: Header=BB82_13 Depth=1
	s_or_b64 exec, exec, s[54:55]
	v_cvt_f32_f16_sdwa v8, v11 dst_sel:DWORD dst_unused:UNUSED_PAD src0_sel:WORD_1
	v_readlane_b32 s0, v95, 2
	s_nop 1
	v_add_f32_e32 v23, s0, v8
	v_cmp_ge_f32_e32 vcc, s6, v23
	s_and_b64 s[0:1], s[4:5], vcc
	s_and_saveexec_b64 s[54:55], s[0:1]
	s_cbranch_execz .LBB82_107
; %bb.106:                              ;   in Loop: Header=BB82_13 Depth=1
	v_mul_f32_e32 v8, 0x3fb8aa3b, v23
	v_rndne_f32_e32 v9, v8
	v_sub_f32_e32 v10, v8, v9
	v_fma_f32 v8, v23, s7, -v8
	v_fmac_f32_e32 v8, 0x32a5705f, v23
	v_add_f32_e32 v8, v10, v8
	v_cvt_i32_f32_e32 v9, v9
	v_exp_f32_e32 v8, v8
	v_cmp_ngt_f32_e32 vcc, s8, v23
	v_ldexp_f32 v8, v8, v9
	s_nop 0
	v_cndmask_b32_e32 v8, 0, v8, vcc
	v_cmp_nlt_f32_e32 vcc, s9, v23
	s_nop 1
	v_cndmask_b32_e32 v30, v41, v8, vcc
	v_add_f32_e32 v10, 1.0, v30
	v_add_f32_e32 v8, -1.0, v10
	v_sub_f32_e32 v9, v8, v10
	v_add_f32_e32 v9, 1.0, v9
	v_sub_f32_e32 v8, v30, v8
	v_add_f32_e32 v11, v8, v9
	v_frexp_mant_f32_e32 v12, v10
	v_cvt_f64_f32_e32 v[8:9], v10
	v_frexp_exp_i32_f64_e32 v8, v[8:9]
	v_cmp_gt_f32_e32 vcc, s11, v12
	v_cmp_gt_f32_e64 s[52:53], s57, v30
	s_nop 0
	v_subbrev_co_u32_e32 v22, vcc, 0, v8, vcc
	v_sub_u32_e32 v8, 0, v22
	v_ldexp_f32 v9, v10, v8
	v_add_f32_e32 v10, -1.0, v9
	v_add_f32_e32 v12, 1.0, v9
	v_ldexp_f32 v8, v11, v8
	v_add_f32_e32 v11, 1.0, v10
	v_add_f32_e32 v13, -1.0, v12
	v_sub_f32_e32 v11, v9, v11
	v_sub_f32_e32 v9, v9, v13
	v_add_f32_e32 v11, v8, v11
	v_add_f32_e32 v8, v8, v9
	;; [unrolled: 1-line block ×3, first 2 shown]
	v_rcp_f32_e32 v25, v23
	v_sub_f32_e32 v9, v12, v23
	v_add_f32_e32 v24, v8, v9
	v_add_f32_e32 v9, v10, v11
	v_mul_f32_e32 v27, v9, v25
	v_sub_f32_e32 v8, v10, v9
	v_mul_f32_e32 v10, v23, v27
	v_fma_f32 v12, v27, v23, -v10
	v_fmac_f32_e32 v12, v27, v24
	v_add_f32_e32 v26, v11, v8
	v_add_f32_e32 v8, v10, v12
	v_sub_f32_e32 v11, v9, v8
	v_pk_add_f32 v[14:15], v[8:9], v[10:11] neg_lo:[0,1] neg_hi:[0,1]
	v_mov_b32_e32 v13, v8
	v_pk_add_f32 v[8:9], v[14:15], v[12:13] neg_lo:[0,1] neg_hi:[0,1]
	v_cmp_eq_f32_e32 vcc, s10, v30
	v_add_f32_e32 v9, v26, v9
	v_add_f32_e32 v8, v8, v9
	;; [unrolled: 1-line block ×3, first 2 shown]
	v_mul_f32_e32 v26, v25, v9
	v_mul_f32_e32 v10, v23, v26
	v_fma_f32 v12, v26, v23, -v10
	v_fmac_f32_e32 v12, v26, v24
	v_sub_f32_e32 v11, v11, v9
	v_add_f32_e32 v23, v8, v11
	v_add_f32_e32 v8, v10, v12
	v_sub_f32_e32 v11, v9, v8
	v_pk_add_f32 v[14:15], v[8:9], v[10:11] neg_lo:[0,1] neg_hi:[0,1]
	v_mov_b32_e32 v13, v8
	v_pk_add_f32 v[8:9], v[14:15], v[12:13] neg_lo:[0,1] neg_hi:[0,1]
	s_or_b64 vcc, s[52:53], vcc
	v_add_f32_e32 v9, v23, v9
	v_add_f32_e32 v8, v8, v9
	;; [unrolled: 1-line block ×4, first 2 shown]
	v_sub_f32_e32 v10, v9, v27
	v_mul_f32_e32 v8, v25, v8
	v_sub_f32_e32 v10, v26, v10
	v_add_f32_e32 v10, v10, v8
	v_add_f32_e32 v12, v9, v10
	v_mul_f32_e32 v13, v12, v12
	v_fmamk_f32 v8, v13, 0x3e9b6dac, v40
	v_fmaak_f32 v43, v13, v8, 0x3f2aaada
	v_cvt_f32_i32_e32 v8, v22
	v_sub_f32_e32 v9, v12, v9
	v_sub_f32_e32 v9, v10, v9
	v_ldexp_f32 v14, v9, 1
	v_mul_f32_e32 v9, v12, v13
	v_ldexp_f32 v11, v12, 1
	v_pk_mul_f32 v[12:13], v[8:9], v[42:43]
	s_nop 0
	v_fma_f32 v10, v8, s56, -v12
	v_fmac_f32_e32 v10, 0xb102e308, v8
	v_pk_add_f32 v[8:9], v[12:13], v[10:11]
	s_nop 0
	v_sub_f32_e32 v11, v9, v11
	v_sub_f32_e32 v11, v13, v11
	v_add_f32_e32 v15, v14, v11
	v_mov_b32_e32 v14, v12
	v_pk_add_f32 v[12:13], v[8:9], v[12:13] neg_lo:[0,1] neg_hi:[0,1]
	v_pk_add_f32 v[22:23], v[8:9], v[14:15]
	v_mov_b32_e32 v11, v8
	v_mov_b32_e32 v13, v23
	v_pk_add_f32 v[24:25], v[10:11], v[12:13] neg_lo:[0,1] neg_hi:[0,1]
	v_pk_add_f32 v[10:11], v[10:11], v[12:13]
	v_mov_b32_e32 v14, v15
	v_mov_b32_e32 v12, v11
	v_pk_add_f32 v[26:27], v[12:13], v[8:9] neg_lo:[0,1] neg_hi:[0,1]
	v_mov_b32_e32 v10, v23
	v_mov_b32_e32 v13, v26
	v_pk_add_f32 v[28:29], v[22:23], v[12:13] neg_lo:[0,1] neg_hi:[0,1]
	v_mov_b32_e32 v22, v9
	v_mov_b32_e32 v23, v26
	;; [unrolled: 1-line block ×3, first 2 shown]
	v_pk_add_f32 v[10:11], v[10:11], v[22:23] neg_lo:[0,1] neg_hi:[0,1]
	v_mov_b32_e32 v15, v8
	v_pk_add_f32 v[8:9], v[14:15], v[10:11] neg_lo:[0,1] neg_hi:[0,1]
	v_mov_b32_e32 v28, v24
	v_pk_add_f32 v[10:11], v[28:29], v[8:9]
	s_nop 0
	v_mov_b32_e32 v14, v11
	v_pk_add_f32 v[14:15], v[10:11], v[14:15]
	s_nop 0
	v_pk_add_f32 v[12:13], v[12:13], v[14:15]
	v_mov_b32_e32 v9, v14
	v_mov_b32_e32 v11, v12
	v_pk_add_f32 v[22:23], v[10:11], v[24:25] neg_lo:[0,1] neg_hi:[0,1]
	s_nop 0
	v_sub_f32_e32 v10, v10, v22
	v_pk_add_f32 v[8:9], v[8:9], v[22:23] neg_lo:[0,1] neg_hi:[0,1]
	v_sub_f32_e32 v10, v24, v10
	v_add_f32_e32 v8, v8, v10
	v_add_f32_e32 v8, v8, v9
	;; [unrolled: 1-line block ×3, first 2 shown]
	v_cndmask_b32_e32 v23, v8, v30, vcc
.LBB82_107:                             ;   in Loop: Header=BB82_13 Depth=1
	s_or_b64 exec, exec, s[54:55]
	v_cvt_f32_f16_e32 v8, v7
	v_cvt_f32_f16_sdwa v9, v6 dst_sel:DWORD dst_unused:UNUSED_PAD src0_sel:WORD_1
	v_cvt_f32_f16_e32 v6, v6
	v_cvt_f32_f16_sdwa v11, v7 dst_sel:DWORD dst_unused:UNUSED_PAD src0_sel:WORD_1
	v_cvt_f32_f16_sdwa v7, v5 dst_sel:DWORD dst_unused:UNUSED_PAD src0_sel:WORD_1
	v_cvt_f32_f16_e32 v5, v5
	v_cvt_f32_f16_sdwa v10, v4 dst_sel:DWORD dst_unused:UNUSED_PAD src0_sel:WORD_1
	v_cvt_f32_f16_e32 v4, v4
	;; [unrolled: 2-line block ×6, first 2 shown]
	v_readlane_b32 s0, v95, 3
	s_waitcnt lgkmcnt(0)
	; wave barrier
	s_nop 0
	v_mul_f32_e32 v24, s0, v8
	v_mul_f32_e32 v27, s0, v9
	;; [unrolled: 1-line block ×16, first 2 shown]
	v_readlane_b32 s0, v95, 30
	v_readlane_b32 s1, v95, 31
	s_and_b64 vcc, exec, s[0:1]
	s_cbranch_vccz .LBB82_200
; %bb.108:                              ;   in Loop: Header=BB82_13 Depth=1
	v_mul_f32_e32 v78, v70, v0
	scratch_load_dword v0, off, off offset:248 ; 4-byte Folded Reload
	v_readlane_b32 s0, v95, 7
	v_readlane_b32 s1, v95, 8
	scratch_store_dwordx2 off, v[42:43], off offset:164 ; 8-byte Folded Spill
	v_mul_f32_e32 v8, v56, v8
	v_lshl_add_u64 v[40:41], s[0:1], 0, v[16:17]
	v_readlane_b32 s0, v95, 21
	v_readlane_b32 s1, v95, 22
	v_mul_f32_e32 v6, v93, v6
	v_mul_f32_e32 v5, v91, v5
	v_lshl_add_u64 v[42:43], s[0:1], 0, v[16:17]
	v_readlane_b32 s1, v95, 51
	s_cmp_lg_u32 s1, 0
	v_readlane_b32 s0, v95, 44
	s_cselect_b64 s[86:87], -1, 0
	s_cmp_eq_u32 s1, s0
	v_readlane_b32 s0, v95, 33
	v_readlane_b32 s1, v95, 34
	s_cselect_b64 s[90:91], -1, 0
	s_mov_b32 s92, 0
	v_mul_f32_e32 v11, v23, v11
	scratch_store_dword off, v8, off offset:72 ; 4-byte Folded Spill
	v_mul_f32_e32 v8, v94, v9
	scratch_store_dword off, v6, off offset:80 ; 4-byte Folded Spill
	;; [unrolled: 2-line block ×3, first 2 shown]
	v_mul_f32_e32 v5, v90, v10
	v_mul_f32_e32 v63, v89, v4
	v_mul_f32_e32 v64, v88, v12
	v_mul_f32_e32 v72, v67, v3
	v_mul_f32_e32 v73, v66, v13
	v_mul_f32_e32 v74, v18, v2
	v_mul_f32_e32 v75, v21, v14
	v_mul_f32_e32 v76, v20, v1
	v_mul_f32_e32 v77, v19, v15
	s_mov_b32 s96, s92
	s_mov_b32 s94, s92
	;; [unrolled: 1-line block ×3, first 2 shown]
	scratch_store_dword off, v11, off offset:68 ; 4-byte Folded Spill
	scratch_store_dword off, v8, off offset:76 ; 4-byte Folded Spill
	;; [unrolled: 1-line block ×4, first 2 shown]
	s_waitcnt vmcnt(8)
	v_cmp_gt_u32_e32 vcc, s82, v0
	scratch_load_dword v0, off, off offset:252 ; 4-byte Folded Reload
	s_or_b64 s[52:53], s[0:1], vcc
	s_waitcnt vmcnt(0)
	v_cmp_gt_u32_e32 vcc, s82, v0
	scratch_load_dword v0, off, off offset:256 ; 4-byte Folded Reload
	s_or_b64 s[54:55], s[0:1], vcc
	;; [unrolled: 4-line block ×15, first 2 shown]
	s_waitcnt vmcnt(0)
	v_cmp_gt_u32_e32 vcc, s82, v0
	s_or_b64 s[82:83], s[0:1], vcc
	v_readlane_b32 s0, v95, 29
	v_readlane_b32 s1, v95, 47
	s_branch .LBB82_110
.LBB82_109:                             ;   in Loop: Header=BB82_110 Depth=2
	s_or_b64 exec, exec, s[84:85]
	v_mul_f32_e32 v44, v79, v60
	v_fma_f32 v45, v79, v61, v8
	v_cndmask_b32_e64 v8, v45, v8, s[16:17]
	v_cndmask_b32_e64 v44, v44, v79, s[16:17]
	s_waitcnt lgkmcnt(0)
	v_fmac_f32_e32 v8, v54, v44
	v_fmac_f32_e32 v9, v8, v80
	;; [unrolled: 1-line block ×13, first 2 shown]
	v_readlane_b32 s4, v95, 23
	v_fmac_f32_e32 v47, v46, v16
	v_readlane_b32 s5, v95, 24
	v_readlane_b32 s6, v95, 25
	v_readlane_b32 s7, v95, 26
	v_fmac_f32_e32 v52, v47, v58
	s_add_i32 s98, s98, s6
	v_readlane_b32 s4, v95, 17
	v_fmac_f32_e32 v53, v52, v59
	v_cvt_f32_f16_sdwa v45, v4 dst_sel:DWORD dst_unused:UNUSED_PAD src0_sel:WORD_1
	v_cvt_f32_f16_sdwa v55, v5 dst_sel:DWORD dst_unused:UNUSED_PAD src0_sel:WORD_1
	v_cvt_f32_f16_e32 v44, v4
	v_cvt_f32_f16_e32 v54, v5
	v_cvt_f32_f16_sdwa v5, v6 dst_sel:DWORD dst_unused:UNUSED_PAD src0_sel:WORD_1
	v_cvt_f32_f16_sdwa v59, v7 dst_sel:DWORD dst_unused:UNUSED_PAD src0_sel:WORD_1
	v_cvt_f32_f16_e32 v4, v6
	v_cvt_f32_f16_e32 v58, v7
	;; [unrolled: 4-line block ×4, first 2 shown]
	v_readlane_b32 s5, v95, 18
	v_readlane_b32 s6, v95, 19
	;; [unrolled: 1-line block ×3, first 2 shown]
	s_add_i32 s94, s94, s4
	v_readlane_b32 s4, v95, 9
	v_readlane_b32 s5, v95, 10
	;; [unrolled: 1-line block ×3, first 2 shown]
	s_add_i32 s1, s1, 8
	s_add_i32 s0, s0, -1
	s_add_i32 s96, s96, s8
	s_add_i32 s92, s92, s5
	v_pk_fma_f32 v[36:37], v[10:11], v[54:55], v[36:37]
	v_pk_fma_f32 v[38:39], v[8:9], v[44:45], v[38:39]
	;; [unrolled: 1-line block ×7, first 2 shown]
	s_cmp_eq_u32 s0, 0
	v_pk_fma_f32 v[26:27], v[46:47], v[0:1], v[26:27]
	v_readlane_b32 s6, v95, 11
	v_readlane_b32 s7, v95, 12
	;; [unrolled: 1-line block ×5, first 2 shown]
	s_cbranch_scc1 .LBB82_199
.LBB82_110:                             ;   Parent Loop BB82_13 Depth=1
                                        ; =>  This Inner Loop Header: Depth=2
	s_lshl_b64 s[84:85], s[92:93], 2
	s_add_u32 s84, s99, s84
	v_readlane_b32 s4, v95, 6
	s_addc_u32 s85, s4, s85
	global_load_dword v46, v17, s[84:85]
	s_mov_b32 s97, s93
	v_lshl_add_u64 v[0:1], s[96:97], 1, v[40:41]
	v_mov_b32_e32 v2, 0
	v_mov_b32_e32 v3, 0
	s_and_saveexec_b64 s[84:85], s[18:19]
	s_cbranch_execnz .LBB82_146
; %bb.111:                              ;   in Loop: Header=BB82_110 Depth=2
	s_or_b64 exec, exec, s[84:85]
	s_and_saveexec_b64 s[84:85], s[20:21]
	s_cbranch_execnz .LBB82_147
.LBB82_112:                             ;   in Loop: Header=BB82_110 Depth=2
	s_or_b64 exec, exec, s[84:85]
	v_mov_b32_e32 v4, 0
	s_and_saveexec_b64 s[84:85], s[22:23]
	s_cbranch_execnz .LBB82_148
.LBB82_113:                             ;   in Loop: Header=BB82_110 Depth=2
	s_or_b64 exec, exec, s[84:85]
	s_and_saveexec_b64 s[84:85], s[24:25]
	s_cbranch_execnz .LBB82_149
.LBB82_114:                             ;   in Loop: Header=BB82_110 Depth=2
	s_or_b64 exec, exec, s[84:85]
	v_mov_b32_e32 v5, 0
	s_and_saveexec_b64 s[84:85], s[26:27]
	s_cbranch_execnz .LBB82_150
.LBB82_115:                             ;   in Loop: Header=BB82_110 Depth=2
	s_or_b64 exec, exec, s[84:85]
	s_and_saveexec_b64 s[84:85], s[28:29]
	s_cbranch_execnz .LBB82_151
.LBB82_116:                             ;   in Loop: Header=BB82_110 Depth=2
	s_or_b64 exec, exec, s[84:85]
	v_mov_b32_e32 v6, 0
	s_and_saveexec_b64 s[84:85], s[30:31]
	s_cbranch_execnz .LBB82_152
.LBB82_117:                             ;   in Loop: Header=BB82_110 Depth=2
	s_or_b64 exec, exec, s[84:85]
	s_and_saveexec_b64 s[84:85], s[34:35]
	s_cbranch_execnz .LBB82_153
.LBB82_118:                             ;   in Loop: Header=BB82_110 Depth=2
	s_or_b64 exec, exec, s[84:85]
	v_mov_b32_e32 v7, 0
	s_and_saveexec_b64 s[84:85], s[36:37]
	s_cbranch_execnz .LBB82_154
.LBB82_119:                             ;   in Loop: Header=BB82_110 Depth=2
	s_or_b64 exec, exec, s[84:85]
	s_and_saveexec_b64 s[84:85], s[38:39]
	s_cbranch_execnz .LBB82_155
.LBB82_120:                             ;   in Loop: Header=BB82_110 Depth=2
	s_or_b64 exec, exec, s[84:85]
	v_mov_b32_e32 v8, 0
	s_and_saveexec_b64 s[84:85], s[40:41]
	s_cbranch_execnz .LBB82_156
.LBB82_121:                             ;   in Loop: Header=BB82_110 Depth=2
	s_or_b64 exec, exec, s[84:85]
	s_and_saveexec_b64 s[84:85], s[42:43]
	s_cbranch_execnz .LBB82_157
.LBB82_122:                             ;   in Loop: Header=BB82_110 Depth=2
	s_or_b64 exec, exec, s[84:85]
	v_mov_b32_e32 v9, 0
	s_and_saveexec_b64 s[84:85], s[44:45]
	s_cbranch_execnz .LBB82_158
.LBB82_123:                             ;   in Loop: Header=BB82_110 Depth=2
	s_or_b64 exec, exec, s[84:85]
	s_and_saveexec_b64 s[84:85], s[46:47]
	s_cbranch_execnz .LBB82_159
.LBB82_124:                             ;   in Loop: Header=BB82_110 Depth=2
	s_or_b64 exec, exec, s[84:85]
	v_mov_b32_e32 v10, 0
	s_and_saveexec_b64 s[84:85], s[48:49]
	s_cbranch_execnz .LBB82_160
.LBB82_125:                             ;   in Loop: Header=BB82_110 Depth=2
	s_or_b64 exec, exec, s[84:85]
	s_and_saveexec_b64 s[84:85], s[50:51]
	s_cbranch_execz .LBB82_127
.LBB82_126:                             ;   in Loop: Header=BB82_110 Depth=2
	global_load_ushort v0, v[0:1], off offset:1920
	s_waitcnt vmcnt(0)
	v_lshl_or_b32 v10, v0, 16, v10
.LBB82_127:                             ;   in Loop: Header=BB82_110 Depth=2
	s_or_b64 exec, exec, s[84:85]
	scratch_load_dword v0, off, off offset:4 ; 4-byte Folded Reload
	s_mov_b32 s95, s93
	s_waitcnt vmcnt(0)
	ds_write_b16 v0, v3
	scratch_load_dword v0, off, off offset:8 ; 4-byte Folded Reload
	v_mov_b32_e32 v3, 0
	s_waitcnt vmcnt(0)
	ds_write_b16 v0, v2 offset:128
	scratch_load_dword v0, off, off offset:12 ; 4-byte Folded Reload
	v_mov_b32_e32 v2, 0
	s_waitcnt vmcnt(0)
	ds_write_b16 v0, v4 offset:256
	scratch_load_dword v0, off, off offset:16 ; 4-byte Folded Reload
	s_waitcnt vmcnt(0)
	ds_write_b16_d16_hi v0, v4 offset:384
	scratch_load_dword v0, off, off offset:20 ; 4-byte Folded Reload
	s_waitcnt vmcnt(0)
	ds_write_b16 v0, v5 offset:512
	scratch_load_dword v0, off, off offset:24 ; 4-byte Folded Reload
	s_waitcnt vmcnt(0)
	ds_write_b16_d16_hi v0, v5 offset:640
	scratch_load_dword v0, off, off offset:28 ; 4-byte Folded Reload
	;; [unrolled: 6-line block ×6, first 2 shown]
	s_waitcnt vmcnt(0)
	ds_write_b16 v0, v10 offset:1792
	scratch_load_dword v0, off, off offset:64 ; 4-byte Folded Reload
	s_waitcnt vmcnt(0)
	ds_write_b16_d16_hi v0, v10 offset:1920
	; wave barrier
	scratch_load_dword v0, off, off         ; 4-byte Folded Reload
	s_waitcnt vmcnt(0)
	ds_read_b128 v[12:15], v0
	ds_read_b128 v[8:11], v0 offset:16
	v_lshl_add_u64 v[0:1], s[94:95], 1, v[42:43]
	s_and_saveexec_b64 s[84:85], s[18:19]
	s_cbranch_execnz .LBB82_161
; %bb.128:                              ;   in Loop: Header=BB82_110 Depth=2
	s_or_b64 exec, exec, s[84:85]
	s_and_saveexec_b64 s[84:85], s[20:21]
	s_cbranch_execnz .LBB82_162
.LBB82_129:                             ;   in Loop: Header=BB82_110 Depth=2
	s_or_b64 exec, exec, s[84:85]
	v_mov_b32_e32 v4, 0
	s_and_saveexec_b64 s[84:85], s[22:23]
	s_cbranch_execnz .LBB82_163
.LBB82_130:                             ;   in Loop: Header=BB82_110 Depth=2
	s_or_b64 exec, exec, s[84:85]
	s_and_saveexec_b64 s[84:85], s[24:25]
	s_cbranch_execnz .LBB82_164
.LBB82_131:                             ;   in Loop: Header=BB82_110 Depth=2
	s_or_b64 exec, exec, s[84:85]
	v_mov_b32_e32 v5, 0
	s_and_saveexec_b64 s[84:85], s[26:27]
	s_cbranch_execnz .LBB82_165
.LBB82_132:                             ;   in Loop: Header=BB82_110 Depth=2
	s_or_b64 exec, exec, s[84:85]
	s_and_saveexec_b64 s[84:85], s[28:29]
	s_cbranch_execnz .LBB82_166
.LBB82_133:                             ;   in Loop: Header=BB82_110 Depth=2
	s_or_b64 exec, exec, s[84:85]
	v_mov_b32_e32 v6, 0
	s_and_saveexec_b64 s[84:85], s[30:31]
	s_cbranch_execnz .LBB82_167
.LBB82_134:                             ;   in Loop: Header=BB82_110 Depth=2
	s_or_b64 exec, exec, s[84:85]
	s_and_saveexec_b64 s[84:85], s[34:35]
	s_cbranch_execnz .LBB82_168
.LBB82_135:                             ;   in Loop: Header=BB82_110 Depth=2
	s_or_b64 exec, exec, s[84:85]
	v_mov_b32_e32 v7, 0
	s_and_saveexec_b64 s[84:85], s[36:37]
	s_cbranch_execnz .LBB82_169
.LBB82_136:                             ;   in Loop: Header=BB82_110 Depth=2
	s_or_b64 exec, exec, s[84:85]
	s_and_saveexec_b64 s[84:85], s[38:39]
	s_cbranch_execnz .LBB82_170
.LBB82_137:                             ;   in Loop: Header=BB82_110 Depth=2
	s_or_b64 exec, exec, s[84:85]
	v_mov_b32_e32 v16, 0
	s_and_saveexec_b64 s[84:85], s[40:41]
	s_cbranch_execnz .LBB82_171
.LBB82_138:                             ;   in Loop: Header=BB82_110 Depth=2
	s_or_b64 exec, exec, s[84:85]
	s_and_saveexec_b64 s[84:85], s[42:43]
	s_cbranch_execnz .LBB82_172
.LBB82_139:                             ;   in Loop: Header=BB82_110 Depth=2
	s_or_b64 exec, exec, s[84:85]
	v_mov_b32_e32 v22, 0
	s_and_saveexec_b64 s[84:85], s[44:45]
	s_cbranch_execnz .LBB82_173
.LBB82_140:                             ;   in Loop: Header=BB82_110 Depth=2
	s_or_b64 exec, exec, s[84:85]
	s_and_saveexec_b64 s[84:85], s[46:47]
	s_cbranch_execnz .LBB82_174
.LBB82_141:                             ;   in Loop: Header=BB82_110 Depth=2
	s_or_b64 exec, exec, s[84:85]
	v_mov_b32_e32 v44, 0
	s_and_saveexec_b64 s[84:85], s[48:49]
	s_cbranch_execnz .LBB82_175
.LBB82_142:                             ;   in Loop: Header=BB82_110 Depth=2
	s_or_b64 exec, exec, s[84:85]
	s_and_saveexec_b64 s[84:85], s[50:51]
	s_cbranch_execz .LBB82_144
.LBB82_143:                             ;   in Loop: Header=BB82_110 Depth=2
	global_load_ushort v0, v[0:1], off offset:1920
	s_waitcnt vmcnt(0)
	v_lshl_or_b32 v44, v0, 16, v44
.LBB82_144:                             ;   in Loop: Header=BB82_110 Depth=2
	s_or_b64 exec, exec, s[84:85]
	scratch_load_dword v0, off, off offset:4 ; 4-byte Folded Reload
	s_andn2_b64 vcc, exec, s[86:87]
	s_waitcnt vmcnt(0)
	ds_write_b16 v0, v3 offset:2112
	scratch_load_dword v0, off, off offset:96 ; 4-byte Folded Reload
	s_waitcnt vmcnt(0)
	ds_write_b16 v0, v2 offset:128
	scratch_load_dword v0, off, off offset:100 ; 4-byte Folded Reload
	;; [unrolled: 3-line block ×3, first 2 shown]
	s_waitcnt vmcnt(0)
	ds_write_b16_d16_hi v0, v4 offset:384
	scratch_load_dword v0, off, off offset:108 ; 4-byte Folded Reload
	s_waitcnt vmcnt(0)
	ds_write_b16 v0, v5 offset:512
	scratch_load_dword v0, off, off offset:112 ; 4-byte Folded Reload
	s_waitcnt vmcnt(0)
	ds_write_b16_d16_hi v0, v5 offset:640
	scratch_load_dword v0, off, off offset:116 ; 4-byte Folded Reload
	s_waitcnt vmcnt(0)
	ds_write_b16 v0, v6 offset:768
	scratch_load_dword v0, off, off offset:120 ; 4-byte Folded Reload
	s_waitcnt vmcnt(0)
	ds_write_b16_d16_hi v0, v6 offset:896
	scratch_load_dword v0, off, off offset:124 ; 4-byte Folded Reload
	s_waitcnt vmcnt(0)
	ds_write_b16 v0, v7 offset:1024
	scratch_load_dword v0, off, off offset:128 ; 4-byte Folded Reload
	s_waitcnt vmcnt(0)
	ds_write_b16_d16_hi v0, v7 offset:1152
	scratch_load_dword v0, off, off offset:132 ; 4-byte Folded Reload
	s_waitcnt vmcnt(0)
	ds_write_b16 v0, v16 offset:1280
	scratch_load_dword v0, off, off offset:136 ; 4-byte Folded Reload
	s_waitcnt vmcnt(0)
	ds_write_b16_d16_hi v0, v16 offset:1408
	scratch_load_dword v0, off, off offset:140 ; 4-byte Folded Reload
	s_waitcnt vmcnt(0)
	ds_write_b16 v0, v22 offset:1536
	scratch_load_dword v0, off, off offset:144 ; 4-byte Folded Reload
	s_waitcnt vmcnt(0)
	ds_write_b16_d16_hi v0, v22 offset:1664
	scratch_load_dword v0, off, off offset:148 ; 4-byte Folded Reload
	s_waitcnt vmcnt(0)
	ds_write_b16 v0, v44 offset:1792
	scratch_load_dword v0, off, off offset:152 ; 4-byte Folded Reload
	s_waitcnt vmcnt(0)
	ds_write_b16_d16_hi v0, v44 offset:1920
	; wave barrier
	scratch_load_dword v0, off, off         ; 4-byte Folded Reload
	s_waitcnt vmcnt(0)
	ds_read_b128 v[4:7], v0 offset:2112
	scratch_load_dword v0, off, off offset:156 ; 4-byte Folded Reload
	s_waitcnt vmcnt(0)
	ds_read_b128 v[0:3], v0 offset:16
	s_cbranch_vccnz .LBB82_176
; %bb.145:                              ;   in Loop: Header=BB82_110 Depth=2
	v_mov_b32_e32 v16, s1
	ds_read_b64 v[44:45], v16
	s_cbranch_execz .LBB82_177
	s_branch .LBB82_180
.LBB82_146:                             ;   in Loop: Header=BB82_110 Depth=2
	global_load_ushort v3, v[0:1], off
	s_or_b64 exec, exec, s[84:85]
	s_and_saveexec_b64 s[84:85], s[20:21]
	s_cbranch_execz .LBB82_112
.LBB82_147:                             ;   in Loop: Header=BB82_110 Depth=2
	global_load_ushort v2, v[0:1], off offset:128
	s_or_b64 exec, exec, s[84:85]
	v_mov_b32_e32 v4, 0
	s_and_saveexec_b64 s[84:85], s[22:23]
	s_cbranch_execz .LBB82_113
.LBB82_148:                             ;   in Loop: Header=BB82_110 Depth=2
	global_load_ushort v4, v[0:1], off offset:256
	s_or_b64 exec, exec, s[84:85]
	s_and_saveexec_b64 s[84:85], s[24:25]
	s_cbranch_execz .LBB82_114
.LBB82_149:                             ;   in Loop: Header=BB82_110 Depth=2
	global_load_ushort v5, v[0:1], off offset:384
	s_waitcnt vmcnt(0)
	v_lshl_or_b32 v4, v5, 16, v4
	s_or_b64 exec, exec, s[84:85]
	v_mov_b32_e32 v5, 0
	s_and_saveexec_b64 s[84:85], s[26:27]
	s_cbranch_execz .LBB82_115
.LBB82_150:                             ;   in Loop: Header=BB82_110 Depth=2
	global_load_ushort v5, v[0:1], off offset:512
	s_or_b64 exec, exec, s[84:85]
	s_and_saveexec_b64 s[84:85], s[28:29]
	s_cbranch_execz .LBB82_116
.LBB82_151:                             ;   in Loop: Header=BB82_110 Depth=2
	global_load_ushort v6, v[0:1], off offset:640
	s_waitcnt vmcnt(0)
	v_lshl_or_b32 v5, v6, 16, v5
	s_or_b64 exec, exec, s[84:85]
	v_mov_b32_e32 v6, 0
	s_and_saveexec_b64 s[84:85], s[30:31]
	s_cbranch_execz .LBB82_117
.LBB82_152:                             ;   in Loop: Header=BB82_110 Depth=2
	global_load_ushort v6, v[0:1], off offset:768
	s_or_b64 exec, exec, s[84:85]
	s_and_saveexec_b64 s[84:85], s[34:35]
	s_cbranch_execz .LBB82_118
.LBB82_153:                             ;   in Loop: Header=BB82_110 Depth=2
	global_load_ushort v7, v[0:1], off offset:896
	s_waitcnt vmcnt(0)
	v_lshl_or_b32 v6, v7, 16, v6
	s_or_b64 exec, exec, s[84:85]
	v_mov_b32_e32 v7, 0
	s_and_saveexec_b64 s[84:85], s[36:37]
	s_cbranch_execz .LBB82_119
.LBB82_154:                             ;   in Loop: Header=BB82_110 Depth=2
	global_load_ushort v7, v[0:1], off offset:1024
	s_or_b64 exec, exec, s[84:85]
	s_and_saveexec_b64 s[84:85], s[38:39]
	s_cbranch_execz .LBB82_120
.LBB82_155:                             ;   in Loop: Header=BB82_110 Depth=2
	global_load_ushort v8, v[0:1], off offset:1152
	s_waitcnt vmcnt(0)
	v_lshl_or_b32 v7, v8, 16, v7
	s_or_b64 exec, exec, s[84:85]
	v_mov_b32_e32 v8, 0
	s_and_saveexec_b64 s[84:85], s[40:41]
	s_cbranch_execz .LBB82_121
.LBB82_156:                             ;   in Loop: Header=BB82_110 Depth=2
	global_load_ushort v8, v[0:1], off offset:1280
	s_or_b64 exec, exec, s[84:85]
	s_and_saveexec_b64 s[84:85], s[42:43]
	s_cbranch_execz .LBB82_122
.LBB82_157:                             ;   in Loop: Header=BB82_110 Depth=2
	global_load_ushort v9, v[0:1], off offset:1408
	s_waitcnt vmcnt(0)
	v_lshl_or_b32 v8, v9, 16, v8
	s_or_b64 exec, exec, s[84:85]
	v_mov_b32_e32 v9, 0
	s_and_saveexec_b64 s[84:85], s[44:45]
	s_cbranch_execz .LBB82_123
.LBB82_158:                             ;   in Loop: Header=BB82_110 Depth=2
	global_load_ushort v9, v[0:1], off offset:1536
	s_or_b64 exec, exec, s[84:85]
	s_and_saveexec_b64 s[84:85], s[46:47]
	s_cbranch_execz .LBB82_124
.LBB82_159:                             ;   in Loop: Header=BB82_110 Depth=2
	global_load_ushort v10, v[0:1], off offset:1664
	s_waitcnt vmcnt(0)
	v_lshl_or_b32 v9, v10, 16, v9
	s_or_b64 exec, exec, s[84:85]
	v_mov_b32_e32 v10, 0
	s_and_saveexec_b64 s[84:85], s[48:49]
	s_cbranch_execz .LBB82_125
.LBB82_160:                             ;   in Loop: Header=BB82_110 Depth=2
	global_load_ushort v10, v[0:1], off offset:1792
	s_or_b64 exec, exec, s[84:85]
	s_and_saveexec_b64 s[84:85], s[50:51]
	s_cbranch_execnz .LBB82_126
	s_branch .LBB82_127
.LBB82_161:                             ;   in Loop: Header=BB82_110 Depth=2
	global_load_ushort v3, v[0:1], off
	s_or_b64 exec, exec, s[84:85]
	s_and_saveexec_b64 s[84:85], s[20:21]
	s_cbranch_execz .LBB82_129
.LBB82_162:                             ;   in Loop: Header=BB82_110 Depth=2
	global_load_ushort v2, v[0:1], off offset:128
	s_or_b64 exec, exec, s[84:85]
	v_mov_b32_e32 v4, 0
	s_and_saveexec_b64 s[84:85], s[22:23]
	s_cbranch_execz .LBB82_130
.LBB82_163:                             ;   in Loop: Header=BB82_110 Depth=2
	global_load_ushort v4, v[0:1], off offset:256
	s_or_b64 exec, exec, s[84:85]
	s_and_saveexec_b64 s[84:85], s[24:25]
	s_cbranch_execz .LBB82_131
.LBB82_164:                             ;   in Loop: Header=BB82_110 Depth=2
	global_load_ushort v5, v[0:1], off offset:384
	s_waitcnt vmcnt(0)
	v_lshl_or_b32 v4, v5, 16, v4
	s_or_b64 exec, exec, s[84:85]
	v_mov_b32_e32 v5, 0
	s_and_saveexec_b64 s[84:85], s[26:27]
	s_cbranch_execz .LBB82_132
.LBB82_165:                             ;   in Loop: Header=BB82_110 Depth=2
	global_load_ushort v5, v[0:1], off offset:512
	s_or_b64 exec, exec, s[84:85]
	s_and_saveexec_b64 s[84:85], s[28:29]
	s_cbranch_execz .LBB82_133
.LBB82_166:                             ;   in Loop: Header=BB82_110 Depth=2
	global_load_ushort v6, v[0:1], off offset:640
	s_waitcnt vmcnt(0)
	v_lshl_or_b32 v5, v6, 16, v5
	s_or_b64 exec, exec, s[84:85]
	v_mov_b32_e32 v6, 0
	s_and_saveexec_b64 s[84:85], s[30:31]
	s_cbranch_execz .LBB82_134
.LBB82_167:                             ;   in Loop: Header=BB82_110 Depth=2
	global_load_ushort v6, v[0:1], off offset:768
	s_or_b64 exec, exec, s[84:85]
	s_and_saveexec_b64 s[84:85], s[34:35]
	s_cbranch_execz .LBB82_135
.LBB82_168:                             ;   in Loop: Header=BB82_110 Depth=2
	global_load_ushort v7, v[0:1], off offset:896
	s_waitcnt vmcnt(0)
	v_lshl_or_b32 v6, v7, 16, v6
	s_or_b64 exec, exec, s[84:85]
	v_mov_b32_e32 v7, 0
	s_and_saveexec_b64 s[84:85], s[36:37]
	s_cbranch_execz .LBB82_136
.LBB82_169:                             ;   in Loop: Header=BB82_110 Depth=2
	global_load_ushort v7, v[0:1], off offset:1024
	s_or_b64 exec, exec, s[84:85]
	s_and_saveexec_b64 s[84:85], s[38:39]
	s_cbranch_execz .LBB82_137
.LBB82_170:                             ;   in Loop: Header=BB82_110 Depth=2
	global_load_ushort v16, v[0:1], off offset:1152
	s_waitcnt vmcnt(0)
	v_lshl_or_b32 v7, v16, 16, v7
	s_or_b64 exec, exec, s[84:85]
	v_mov_b32_e32 v16, 0
	s_and_saveexec_b64 s[84:85], s[40:41]
	s_cbranch_execz .LBB82_138
.LBB82_171:                             ;   in Loop: Header=BB82_110 Depth=2
	global_load_ushort v16, v[0:1], off offset:1280
	s_or_b64 exec, exec, s[84:85]
	s_and_saveexec_b64 s[84:85], s[42:43]
	s_cbranch_execz .LBB82_139
.LBB82_172:                             ;   in Loop: Header=BB82_110 Depth=2
	global_load_ushort v22, v[0:1], off offset:1408
	s_waitcnt vmcnt(0)
	v_lshl_or_b32 v16, v22, 16, v16
	s_or_b64 exec, exec, s[84:85]
	v_mov_b32_e32 v22, 0
	s_and_saveexec_b64 s[84:85], s[44:45]
	s_cbranch_execz .LBB82_140
.LBB82_173:                             ;   in Loop: Header=BB82_110 Depth=2
	global_load_ushort v22, v[0:1], off offset:1536
	s_or_b64 exec, exec, s[84:85]
	s_and_saveexec_b64 s[84:85], s[46:47]
	s_cbranch_execz .LBB82_141
.LBB82_174:                             ;   in Loop: Header=BB82_110 Depth=2
	global_load_ushort v44, v[0:1], off offset:1664
	s_waitcnt vmcnt(0)
	v_lshl_or_b32 v22, v44, 16, v22
	s_or_b64 exec, exec, s[84:85]
	v_mov_b32_e32 v44, 0
	s_and_saveexec_b64 s[84:85], s[48:49]
	s_cbranch_execz .LBB82_142
.LBB82_175:                             ;   in Loop: Header=BB82_110 Depth=2
	global_load_ushort v44, v[0:1], off offset:1792
	s_or_b64 exec, exec, s[84:85]
	s_and_saveexec_b64 s[84:85], s[50:51]
	s_cbranch_execnz .LBB82_143
	s_branch .LBB82_144
.LBB82_176:                             ;   in Loop: Header=BB82_110 Depth=2
                                        ; implicit-def: $vgpr45
.LBB82_177:                             ;   in Loop: Header=BB82_110 Depth=2
	v_readlane_b32 s84, v95, 0
	v_readlane_b32 s85, v95, 1
	s_andn2_b64 vcc, exec, s[84:85]
	s_waitcnt lgkmcnt(0)
	v_mov_b32_e32 v45, 0
	s_cbranch_vccnz .LBB82_179
; %bb.178:                              ;   in Loop: Header=BB82_110 Depth=2
	s_mov_b32 s99, s93
	s_lshl_b64 s[84:85], s[98:99], 1
	v_readlane_b32 s4, v95, 27
	s_add_u32 s84, s4, s84
	v_readlane_b32 s4, v95, 28
	s_addc_u32 s85, s4, s85
	global_load_ushort v16, v17, s[84:85]
	v_readlane_b32 s99, v95, 48
	s_waitcnt vmcnt(0)
	v_cvt_f32_f16_e32 v45, v16
.LBB82_179:                             ;   in Loop: Header=BB82_110 Depth=2
	v_mov_b32_e32 v44, 1.0
.LBB82_180:                             ;   in Loop: Header=BB82_110 Depth=2
	v_mul_f32_e32 v52, 0x3fb8aa3b, v46
	s_waitcnt lgkmcnt(14)
	v_cvt_f32_f16_e32 v49, v8
	v_cvt_f32_f16_sdwa v50, v8 dst_sel:DWORD dst_unused:UNUSED_PAD src0_sel:WORD_1
	v_mul_f32_e32 v8, v52, v70
	v_cmp_gt_f32_e32 vcc, s33, v8
	v_cvt_f32_f16_e32 v55, v10
	v_cvt_f32_f16_sdwa v58, v10 dst_sel:DWORD dst_unused:UNUSED_PAD src0_sel:WORD_1
	v_cndmask_b32_e32 v8, 0, v68, vcc
	v_mul_f32_e32 v10, v52, v19
	v_cvt_f32_f16_e32 v51, v9
	v_cvt_f32_f16_sdwa v54, v9 dst_sel:DWORD dst_unused:UNUSED_PAD src0_sel:WORD_1
	v_fmac_f32_e32 v8, v52, v70
	v_cndmask_b32_e32 v9, 1.0, v69, vcc
	v_cmp_gt_f32_e32 vcc, s33, v10
	v_exp_f32_e32 v8, v8
	v_cvt_f32_f16_e32 v16, v12
	v_cndmask_b32_e32 v10, 0, v68, vcc
	v_fmac_f32_e32 v10, v52, v19
	v_cvt_f32_f16_sdwa v12, v12 dst_sel:DWORD dst_unused:UNUSED_PAD src0_sel:WORD_1
	v_exp_f32_e32 v10, v10
	v_cvt_f32_f16_e32 v59, v11
	v_cvt_f32_f16_sdwa v53, v11 dst_sel:DWORD dst_unused:UNUSED_PAD src0_sel:WORD_1
	v_mul_f32_e32 v9, v8, v9
	v_mul_f32_e32 v11, v52, v20
	v_cndmask_b32_e64 v79, 1.0, v9, s[52:53]
	v_cndmask_b32_e32 v9, 1.0, v69, vcc
	v_cmp_gt_f32_e32 vcc, s33, v11
	v_mul_f32_e32 v10, v10, v9
	v_mul_f32_e32 v9, v77, v12
	v_cndmask_b32_e32 v11, 0, v68, vcc
	v_mul_f32_e32 v12, v52, v21
	v_fmac_f32_e32 v11, v52, v20
	v_cndmask_b32_e64 v80, 1.0, v10, s[54:55]
	v_cndmask_b32_e32 v10, 1.0, v69, vcc
	v_cmp_gt_f32_e32 vcc, s33, v12
	v_exp_f32_e32 v11, v11
	v_cvt_f32_f16_e32 v22, v13
	v_cndmask_b32_e32 v12, 0, v68, vcc
	v_fmac_f32_e32 v12, v52, v21
	v_cvt_f32_f16_sdwa v13, v13 dst_sel:DWORD dst_unused:UNUSED_PAD src0_sel:WORD_1
	v_exp_f32_e32 v12, v12
	v_mul_f32_e32 v11, v11, v10
	v_cndmask_b32_e64 v81, 1.0, v11, s[56:57]
	v_cndmask_b32_e32 v11, 1.0, v69, vcc
	v_mul_f32_e32 v12, v12, v11
	v_mul_f32_e32 v11, v75, v13
	;; [unrolled: 1-line block ×3, first 2 shown]
	v_cmp_gt_f32_e32 vcc, s33, v13
	v_mul_f32_e32 v8, v78, v16
	v_mul_f32_e32 v16, v52, v66
	v_cndmask_b32_e32 v13, 0, v68, vcc
	v_fmac_f32_e32 v13, v52, v18
	v_cndmask_b32_e64 v82, 1.0, v12, s[58:59]
	v_cndmask_b32_e32 v12, 1.0, v69, vcc
	v_cmp_gt_f32_e32 vcc, s33, v16
	v_exp_f32_e32 v13, v13
	v_cvt_f32_f16_e32 v47, v14
	v_cndmask_b32_e32 v16, 0, v68, vcc
	v_fmac_f32_e32 v16, v52, v66
	v_cvt_f32_f16_sdwa v14, v14 dst_sel:DWORD dst_unused:UNUSED_PAD src0_sel:WORD_1
	v_exp_f32_e32 v16, v16
	v_mul_f32_e32 v13, v13, v12
	v_cndmask_b32_e64 v83, 1.0, v13, s[60:61]
	v_cndmask_b32_e32 v13, 1.0, v69, vcc
	v_mul_f32_e32 v16, v16, v13
	v_mul_f32_e32 v13, v73, v14
	;; [unrolled: 1-line block ×3, first 2 shown]
	v_cmp_gt_f32_e32 vcc, s33, v14
	v_mul_f32_e32 v10, v76, v22
	v_mul_f32_e32 v22, v52, v88
	v_cndmask_b32_e32 v14, 0, v68, vcc
	v_fmac_f32_e32 v14, v52, v67
	v_cndmask_b32_e64 v84, 1.0, v16, s[62:63]
	v_cndmask_b32_e32 v16, 1.0, v69, vcc
	v_cmp_gt_f32_e32 vcc, s33, v22
	v_exp_f32_e32 v14, v14
	v_cvt_f32_f16_e32 v48, v15
	v_cndmask_b32_e32 v22, 0, v68, vcc
	v_fmac_f32_e32 v22, v52, v88
	v_exp_f32_e32 v22, v22
	v_mul_f32_e32 v16, v14, v16
	v_cndmask_b32_e64 v85, 1.0, v16, s[64:65]
	v_cndmask_b32_e32 v16, 1.0, v69, vcc
	v_mul_f32_e32 v16, v22, v16
	v_mul_f32_e32 v22, v52, v89
	v_cmp_gt_f32_e32 vcc, s33, v22
	v_cndmask_b32_e64 v86, 1.0, v16, s[66:67]
	v_mul_f32_e32 v14, v72, v48
	v_cndmask_b32_e32 v22, 0, v68, vcc
	v_fmac_f32_e32 v22, v52, v89
	v_exp_f32_e32 v22, v22
	v_cndmask_b32_e32 v16, 1.0, v69, vcc
	v_mul_f32_e32 v46, v52, v90
	v_cmp_gt_f32_e32 vcc, s33, v46
	v_mul_f32_e32 v16, v22, v16
	v_mul_f32_e32 v22, v63, v49
	v_cndmask_b32_e64 v48, 0, v22, s[68:69]
	scratch_load_dword v22, off, off offset:92 ; 4-byte Folded Reload
	v_cndmask_b32_e32 v46, 0, v68, vcc
	v_fmac_f32_e32 v46, v52, v90
	v_exp_f32_e32 v46, v46
	v_cndmask_b32_e64 v65, 1.0, v16, s[68:69]
	v_cndmask_b32_e32 v16, 1.0, v69, vcc
	v_mul_f32_e32 v12, v74, v47
	v_mul_f32_e32 v16, v46, v16
	;; [unrolled: 1-line block ×3, first 2 shown]
	v_cmp_gt_f32_e32 vcc, s33, v46
	v_cndmask_b32_e64 v71, 1.0, v16, s[70:71]
	v_mul_f32_e32 v47, v52, v93
	v_cndmask_b32_e32 v46, 0, v68, vcc
	v_fmac_f32_e32 v46, v52, v91
	v_exp_f32_e32 v46, v46
	v_cndmask_b32_e32 v16, 1.0, v69, vcc
	v_cndmask_b32_e64 v8, 0, v8, s[52:53]
	v_cndmask_b32_e64 v9, 0, v9, s[54:55]
	v_mul_f32_e32 v16, v46, v16
	v_mul_f32_e32 v46, v52, v92
	v_cmp_gt_f32_e32 vcc, s33, v46
	v_cvt_f32_f16_sdwa v15, v15 dst_sel:DWORD dst_unused:UNUSED_PAD src0_sel:WORD_1
	v_cndmask_b32_e64 v10, 0, v10, s[56:57]
	v_cndmask_b32_e32 v46, 0, v68, vcc
	v_fmac_f32_e32 v46, v52, v92
	v_exp_f32_e32 v46, v46
	v_cndmask_b32_e64 v11, 0, v11, s[58:59]
	v_cndmask_b32_e64 v12, 0, v12, s[60:61]
	;; [unrolled: 1-line block ×4, first 2 shown]
	v_mul_f32_e32 v15, v64, v15
	v_cndmask_b32_e64 v15, 0, v15, s[66:67]
	v_readlane_b32 s4, v95, 35
	v_readlane_b32 s5, v95, 36
	s_waitcnt vmcnt(0)
	v_mul_f32_e32 v22, v22, v50
	v_cndmask_b32_e64 v49, 0, v22, s[70:71]
	scratch_load_dword v22, off, off offset:88 ; 4-byte Folded Reload
	s_waitcnt vmcnt(0)
	v_mul_f32_e32 v22, v22, v51
	v_cndmask_b32_e64 v50, 0, v22, s[72:73]
	v_cndmask_b32_e64 v22, 1.0, v16, s[72:73]
	v_cndmask_b32_e32 v16, 1.0, v69, vcc
	v_mul_f32_e32 v16, v46, v16
	scratch_load_dword v46, off, off offset:84 ; 4-byte Folded Reload
	v_cmp_gt_f32_e32 vcc, s33, v47
	v_cndmask_b32_e64 v87, 1.0, v16, s[74:75]
	s_waitcnt vmcnt(0)
	v_mul_f32_e32 v46, v46, v54
	v_cndmask_b32_e64 v51, 0, v46, s[74:75]
	scratch_load_dword v46, off, off offset:80 ; 4-byte Folded Reload
	v_cndmask_b32_e32 v47, 0, v68, vcc
	v_fmac_f32_e32 v47, v52, v93
	v_exp_f32_e32 v47, v47
	v_cndmask_b32_e32 v16, 1.0, v69, vcc
	v_mul_f32_e32 v54, v52, v56
	v_mul_f32_e32 v16, v47, v16
	;; [unrolled: 1-line block ×3, first 2 shown]
	v_cmp_gt_f32_e32 vcc, s33, v47
	v_cndmask_b32_e64 v57, 1.0, v16, s[76:77]
	s_nop 0
	v_cndmask_b32_e32 v47, 0, v68, vcc
	v_fmac_f32_e32 v47, v52, v94
	v_cndmask_b32_e32 v16, 1.0, v69, vcc
	v_cmp_gt_f32_e32 vcc, s33, v54
	v_exp_f32_e32 v47, v47
	s_nop 0
	v_cndmask_b32_e32 v54, 0, v68, vcc
	v_fmac_f32_e32 v54, v52, v56
	v_exp_f32_e32 v54, v54
	v_mul_f32_e32 v16, v47, v16
	scratch_load_dword v47, off, off offset:76 ; 4-byte Folded Reload
	v_cndmask_b32_e64 v16, 1.0, v16, s[78:79]
	s_waitcnt vmcnt(1)
	v_mul_f32_e32 v46, v46, v55
	v_cndmask_b32_e32 v55, 1.0, v69, vcc
	v_mul_f32_e32 v54, v54, v55
	scratch_load_dword v55, off, off offset:72 ; 4-byte Folded Reload
	v_cndmask_b32_e64 v46, 0, v46, s[76:77]
	s_waitcnt vmcnt(1)
	v_mul_f32_e32 v47, v47, v58
	v_mul_f32_e32 v58, v52, v23
	v_cmp_gt_f32_e32 vcc, s33, v58
	v_cndmask_b32_e64 v47, 0, v47, s[78:79]
	s_waitcnt vmcnt(0)
	v_mul_f32_e32 v55, v55, v59
	v_cndmask_b32_e32 v58, 0, v68, vcc
	v_fmac_f32_e32 v58, v52, v23
	v_cndmask_b32_e64 v52, 0, v55, s[80:81]
	scratch_load_dword v55, off, off offset:68 ; 4-byte Folded Reload
	v_exp_f32_e32 v59, v58
	v_cndmask_b32_e64 v58, 1.0, v54, s[80:81]
	v_cndmask_b32_e32 v54, 1.0, v69, vcc
	v_mul_f32_e32 v54, v59, v54
	v_cndmask_b32_e64 v59, 1.0, v54, s[82:83]
	v_mul_f32_e32 v54, v80, v79
	v_mul_f32_e32 v54, v54, v81
	;; [unrolled: 1-line block ×15, first 2 shown]
	s_waitcnt vmcnt(0)
	v_mul_f32_e32 v53, v55, v53
	v_fma_f32 v55, v80, v8, v9
	v_fma_f32 v55, v55, v81, v10
	v_fma_f32 v55, v55, v82, v11
	v_fma_f32 v55, v55, v83, v12
	v_fma_f32 v55, v55, v84, v13
	v_fma_f32 v55, v55, v85, v14
	v_fma_f32 v55, v55, v86, v15
	v_fma_f32 v55, v55, v65, v48
	v_fma_f32 v55, v55, v71, v49
	v_fma_f32 v55, v55, v22, v50
	v_fma_f32 v55, v55, v87, v51
	v_fma_f32 v55, v55, v57, v46
	v_fma_f32 v55, v55, v16, v47
	v_cndmask_b32_e64 v53, 0, v53, s[82:83]
	v_fma_f32 v55, v55, v58, v52
	v_fma_f32 v62, v55, v59, v53
	v_mov_b32_dpp v61, v54 row_shr:1 row_mask:0xf bank_mask:0xf
	s_nop 0
	v_mov_b32_dpp v60, v62 row_shr:1 row_mask:0xf bank_mask:0xf
	s_and_saveexec_b64 s[84:85], s[4:5]
; %bb.181:                              ;   in Loop: Header=BB82_110 Depth=2
	v_mul_f32_e32 v61, v54, v61
	v_fmac_f32_e32 v62, v54, v60
	v_mov_b32_e32 v54, v61
; %bb.182:                              ;   in Loop: Header=BB82_110 Depth=2
	s_or_b64 exec, exec, s[84:85]
	v_readlane_b32 s4, v95, 37
	v_mov_b32_dpp v60, v54 row_shr:2 row_mask:0xf bank_mask:0xf
	v_mov_b32_dpp v61, v62 row_shr:2 row_mask:0xf bank_mask:0xf
	v_readlane_b32 s5, v95, 38
	s_and_saveexec_b64 s[84:85], s[4:5]
; %bb.183:                              ;   in Loop: Header=BB82_110 Depth=2
	v_fmac_f32_e32 v62, v54, v61
	v_mul_f32_e32 v54, v54, v60
; %bb.184:                              ;   in Loop: Header=BB82_110 Depth=2
	s_or_b64 exec, exec, s[84:85]
	s_nop 0
	v_mov_b32_dpp v60, v54 row_shr:4 row_mask:0xf bank_mask:0xf
	v_mov_b32_dpp v61, v62 row_shr:4 row_mask:0xf bank_mask:0xf
	s_and_saveexec_b64 s[84:85], s[2:3]
; %bb.185:                              ;   in Loop: Header=BB82_110 Depth=2
	v_fmac_f32_e32 v62, v54, v61
	v_mul_f32_e32 v54, v54, v60
; %bb.186:                              ;   in Loop: Header=BB82_110 Depth=2
	s_or_b64 exec, exec, s[84:85]
	v_readlane_b32 s4, v95, 39
	v_mov_b32_dpp v60, v54 row_shr:8 row_mask:0xf bank_mask:0xf
	v_mov_b32_dpp v61, v62 row_shr:8 row_mask:0xf bank_mask:0xf
	v_readlane_b32 s5, v95, 40
	s_and_saveexec_b64 s[84:85], s[4:5]
; %bb.187:                              ;   in Loop: Header=BB82_110 Depth=2
	v_fmac_f32_e32 v62, v54, v61
	v_mul_f32_e32 v54, v54, v60
; %bb.188:                              ;   in Loop: Header=BB82_110 Depth=2
	s_or_b64 exec, exec, s[84:85]
	v_readlane_b32 s4, v95, 41
	v_mov_b32_dpp v60, v54 row_bcast:15 row_mask:0xf bank_mask:0xf
	v_mov_b32_dpp v61, v62 row_bcast:15 row_mask:0xf bank_mask:0xf
	v_readlane_b32 s5, v95, 42
	s_and_saveexec_b64 s[84:85], s[4:5]
; %bb.189:                              ;   in Loop: Header=BB82_110 Depth=2
	v_fmac_f32_e32 v62, v54, v61
	v_mul_f32_e32 v54, v54, v60
; %bb.190:                              ;   in Loop: Header=BB82_110 Depth=2
	s_or_b64 exec, exec, s[84:85]
	s_nop 0
	v_mov_b32_dpp v60, v54 row_bcast:31 row_mask:0xf bank_mask:0xf
	v_mov_b32_dpp v61, v62 row_bcast:31 row_mask:0xf bank_mask:0xf
	v_mov_b32_e32 v55, v62
	v_mul_f32_e32 v60, v54, v60
	v_fmac_f32_e32 v55, v54, v61
	v_readlane_b32 s4, v95, 45
	v_cndmask_b32_e64 v54, v54, v60, s[12:13]
	v_cndmask_b32_e64 v55, v62, v55, s[12:13]
	v_readlane_b32 s5, v95, 46
	s_and_saveexec_b64 s[84:85], s[4:5]
	s_cbranch_execz .LBB82_192
; %bb.191:                              ;   in Loop: Header=BB82_110 Depth=2
	ds_write_b64 v17, v[54:55] offset:4224
.LBB82_192:                             ;   in Loop: Header=BB82_110 Depth=2
	s_or_b64 exec, exec, s[84:85]
	scratch_load_dword v61, off, off offset:160 ; 4-byte Folded Reload
	s_waitcnt lgkmcnt(0)
	; wave barrier
	s_waitcnt vmcnt(0) lgkmcnt(0)
	ds_bpermute_b32 v60, v61, v54
	ds_bpermute_b32 v61, v61, v55
	v_mov_b32_e32 v55, v45
	s_and_saveexec_b64 s[84:85], s[14:15]
	s_cbranch_execz .LBB82_196
; %bb.193:                              ;   in Loop: Header=BB82_110 Depth=2
	ds_read_b64 v[54:55], v17 offset:4224
	s_and_saveexec_b64 s[88:89], s[16:17]
	s_cbranch_execz .LBB82_195
; %bb.194:                              ;   in Loop: Header=BB82_110 Depth=2
	ds_write_b64 v17, v[44:45] offset:4224
.LBB82_195:                             ;   in Loop: Header=BB82_110 Depth=2
	s_or_b64 exec, exec, s[88:89]
	s_waitcnt lgkmcnt(0)
	v_fmac_f32_e32 v55, v45, v54
	v_mul_f32_e32 v44, v44, v54
	v_mov_b32_e32 v45, v55
.LBB82_196:                             ;   in Loop: Header=BB82_110 Depth=2
	s_or_b64 exec, exec, s[84:85]
	s_waitcnt lgkmcnt(0)
	; wave barrier
	s_waitcnt lgkmcnt(0)
	ds_read_b32 v54, v17 offset:4228
	s_and_saveexec_b64 s[84:85], s[16:17]
	s_cbranch_execz .LBB82_109
; %bb.197:                              ;   in Loop: Header=BB82_110 Depth=2
	v_mov_b32_e32 v62, s1
	s_andn2_b64 vcc, exec, s[90:91]
	ds_write_b64 v62, v[44:45]
	s_cbranch_vccnz .LBB82_109
; %bb.198:                              ;   in Loop: Header=BB82_110 Depth=2
	s_mov_b32 s99, s93
	v_cvt_f16_f32_e32 v44, v55
	s_lshl_b64 s[88:89], s[98:99], 1
	v_readlane_b32 s4, v95, 27
	s_add_u32 s88, s4, s88
	v_readlane_b32 s4, v95, 28
	v_readlane_b32 s99, v95, 48
	s_addc_u32 s89, s4, s89
	global_store_short v17, v44, s[88:89]
	s_branch .LBB82_109
.LBB82_199:                             ;   in Loop: Header=BB82_13 Depth=1
	scratch_load_dwordx2 v[42:43], off, off offset:164 ; 8-byte Folded Reload
	v_readlane_b32 s4, v95, 49
	v_readlane_b32 s5, v95, 50
	s_mov_b32 s6, 0x41a00000
	s_mov_b32 s7, 0x3fb8aa3b
	;; [unrolled: 1-line block ×8, first 2 shown]
	v_mov_b32_e32 v40, 0x3ecc95a3
	v_mov_b32_e32 v41, 0x7f800000
.LBB82_200:                             ;   in Loop: Header=BB82_13 Depth=1
	v_cvt_f16_f32_e32 v0, v39
	v_cvt_f16_f32_e32 v4, v38
	s_waitcnt lgkmcnt(0)
	; wave barrier
	v_cvt_f16_f32_e32 v1, v37
	v_pack_b32_f16 v0, v4, v0
	scratch_load_dword v4, off, off         ; 4-byte Folded Reload
	v_cvt_f16_f32_e32 v5, v36
	v_cvt_f16_f32_e32 v2, v35
	;; [unrolled: 1-line block ×13, first 2 shown]
	v_pack_b32_f16 v3, v7, v3
	v_pack_b32_f16 v2, v6, v2
	;; [unrolled: 1-line block ×3, first 2 shown]
	v_readlane_b32 s0, v95, 52
	v_readlane_b32 s1, v95, 53
	s_mov_b32 s1, s93
	s_waitcnt vmcnt(0)
	ds_write_b128 v4, v[0:3]
	v_pack_b32_f16 v3, v15, v14
	v_pack_b32_f16 v2, v13, v12
	;; [unrolled: 1-line block ×4, first 2 shown]
	ds_write_b128 v4, v[0:3] offset:16
	; wave barrier
	scratch_load_dword v0, off, off offset:8 ; 4-byte Folded Reload
	s_waitcnt vmcnt(0)
	ds_read_u16 v16, v0 offset:128
	scratch_load_dword v0, off, off offset:12 ; 4-byte Folded Reload
	s_waitcnt vmcnt(0)
	ds_read_u16 v15, v0 offset:256
	scratch_load_dword v0, off, off offset:16 ; 4-byte Folded Reload
	s_waitcnt vmcnt(0)
	ds_read_u16 v14, v0 offset:384
	scratch_load_dword v0, off, off offset:20 ; 4-byte Folded Reload
	s_waitcnt vmcnt(0)
	ds_read_u16 v13, v0 offset:512
	scratch_load_dword v0, off, off offset:24 ; 4-byte Folded Reload
	s_waitcnt vmcnt(0)
	ds_read_u16 v12, v0 offset:640
	scratch_load_dword v0, off, off offset:28 ; 4-byte Folded Reload
	s_waitcnt vmcnt(0)
	ds_read_u16 v11, v0 offset:768
	scratch_load_dword v0, off, off offset:32 ; 4-byte Folded Reload
	s_waitcnt vmcnt(0)
	ds_read_u16 v10, v0 offset:896
	scratch_load_dword v0, off, off offset:36 ; 4-byte Folded Reload
	s_waitcnt vmcnt(0)
	ds_read_u16 v9, v0 offset:1024
	scratch_load_dword v0, off, off offset:40 ; 4-byte Folded Reload
	s_waitcnt vmcnt(0)
	ds_read_u16 v8, v0 offset:1152
	scratch_load_dword v0, off, off offset:44 ; 4-byte Folded Reload
	s_waitcnt vmcnt(0)
	ds_read_u16 v7, v0 offset:1280
	scratch_load_dword v0, off, off offset:48 ; 4-byte Folded Reload
	s_waitcnt vmcnt(0)
	ds_read_u16 v6, v0 offset:1408
	scratch_load_dword v0, off, off offset:52 ; 4-byte Folded Reload
	s_waitcnt vmcnt(0)
	ds_read_u16 v5, v0 offset:1536
	scratch_load_dword v0, off, off offset:56 ; 4-byte Folded Reload
	s_waitcnt vmcnt(0)
	ds_read_u16 v4, v0 offset:1664
	scratch_load_dword v0, off, off offset:60 ; 4-byte Folded Reload
	s_waitcnt vmcnt(0)
	ds_read_u16 v3, v0 offset:1792
	scratch_load_dword v0, off, off offset:64 ; 4-byte Folded Reload
	s_waitcnt vmcnt(0)
	ds_read_u16 v2, v0 offset:1920
	scratch_load_dwordx2 v[0:1], off, off offset:240 ; 8-byte Folded Reload
	s_waitcnt vmcnt(0)
	v_lshl_add_u64 v[0:1], s[0:1], 1, v[0:1]
	s_and_saveexec_b64 s[52:53], s[18:19]
	s_cbranch_execnz .LBB82_218
; %bb.201:                              ;   in Loop: Header=BB82_13 Depth=1
	s_or_b64 exec, exec, s[52:53]
	s_and_saveexec_b64 s[18:19], s[20:21]
	s_cbranch_execnz .LBB82_219
.LBB82_202:                             ;   in Loop: Header=BB82_13 Depth=1
	s_or_b64 exec, exec, s[18:19]
	s_and_saveexec_b64 s[18:19], s[22:23]
	s_cbranch_execnz .LBB82_220
.LBB82_203:                             ;   in Loop: Header=BB82_13 Depth=1
	s_or_b64 exec, exec, s[18:19]
	s_and_saveexec_b64 s[18:19], s[24:25]
	s_cbranch_execnz .LBB82_221
.LBB82_204:                             ;   in Loop: Header=BB82_13 Depth=1
	s_or_b64 exec, exec, s[18:19]
	s_and_saveexec_b64 s[18:19], s[26:27]
	s_cbranch_execnz .LBB82_222
.LBB82_205:                             ;   in Loop: Header=BB82_13 Depth=1
	s_or_b64 exec, exec, s[18:19]
	s_and_saveexec_b64 s[18:19], s[28:29]
	s_cbranch_execnz .LBB82_223
.LBB82_206:                             ;   in Loop: Header=BB82_13 Depth=1
	s_or_b64 exec, exec, s[18:19]
	s_and_saveexec_b64 s[18:19], s[30:31]
	s_cbranch_execnz .LBB82_224
.LBB82_207:                             ;   in Loop: Header=BB82_13 Depth=1
	s_or_b64 exec, exec, s[18:19]
	s_and_saveexec_b64 s[18:19], s[34:35]
	s_cbranch_execnz .LBB82_225
.LBB82_208:                             ;   in Loop: Header=BB82_13 Depth=1
	s_or_b64 exec, exec, s[18:19]
	s_and_saveexec_b64 s[18:19], s[36:37]
	s_cbranch_execnz .LBB82_226
.LBB82_209:                             ;   in Loop: Header=BB82_13 Depth=1
	s_or_b64 exec, exec, s[18:19]
	s_and_saveexec_b64 s[18:19], s[38:39]
	s_cbranch_execnz .LBB82_227
.LBB82_210:                             ;   in Loop: Header=BB82_13 Depth=1
	s_or_b64 exec, exec, s[18:19]
	s_and_saveexec_b64 s[18:19], s[40:41]
	s_cbranch_execnz .LBB82_228
.LBB82_211:                             ;   in Loop: Header=BB82_13 Depth=1
	s_or_b64 exec, exec, s[18:19]
	s_and_saveexec_b64 s[18:19], s[42:43]
	s_cbranch_execnz .LBB82_229
.LBB82_212:                             ;   in Loop: Header=BB82_13 Depth=1
	s_or_b64 exec, exec, s[18:19]
	s_and_saveexec_b64 s[18:19], s[44:45]
	s_cbranch_execnz .LBB82_230
.LBB82_213:                             ;   in Loop: Header=BB82_13 Depth=1
	s_or_b64 exec, exec, s[18:19]
	s_and_saveexec_b64 s[18:19], s[46:47]
	s_cbranch_execnz .LBB82_231
.LBB82_214:                             ;   in Loop: Header=BB82_13 Depth=1
	s_or_b64 exec, exec, s[18:19]
	s_and_saveexec_b64 s[18:19], s[48:49]
	s_cbranch_execnz .LBB82_232
.LBB82_215:                             ;   in Loop: Header=BB82_13 Depth=1
	s_or_b64 exec, exec, s[18:19]
	s_and_saveexec_b64 s[18:19], s[50:51]
	s_cbranch_execz .LBB82_12
	s_branch .LBB82_233
.LBB82_216:                             ;   in Loop: Header=BB82_13 Depth=1
	global_load_ushort v26, v[8:9], off offset:1664
	s_or_b64 exec, exec, s[52:53]
	s_and_saveexec_b64 s[52:53], s[48:49]
	s_cbranch_execz .LBB82_73
.LBB82_217:                             ;   in Loop: Header=BB82_13 Depth=1
	global_load_ushort v25, v[8:9], off offset:1792
	s_or_b64 exec, exec, s[52:53]
	v_mov_b32_e32 v27, 0
	s_and_saveexec_b64 s[52:53], s[50:51]
	s_cbranch_execnz .LBB82_74
	s_branch .LBB82_75
.LBB82_218:                             ;   in Loop: Header=BB82_13 Depth=1
	scratch_load_dword v18, off, off offset:4 ; 4-byte Folded Reload
	s_waitcnt vmcnt(0)
	ds_read_u16 v18, v18
	s_waitcnt lgkmcnt(0)
	global_store_short v[0:1], v18, off
	s_or_b64 exec, exec, s[52:53]
	s_and_saveexec_b64 s[18:19], s[20:21]
	s_cbranch_execz .LBB82_202
.LBB82_219:                             ;   in Loop: Header=BB82_13 Depth=1
	s_waitcnt lgkmcnt(14)
	global_store_short v[0:1], v16, off offset:128
	s_or_b64 exec, exec, s[18:19]
	s_and_saveexec_b64 s[18:19], s[22:23]
	s_cbranch_execz .LBB82_203
.LBB82_220:                             ;   in Loop: Header=BB82_13 Depth=1
	s_waitcnt lgkmcnt(13)
	global_store_short v[0:1], v15, off offset:256
	s_or_b64 exec, exec, s[18:19]
	s_and_saveexec_b64 s[18:19], s[24:25]
	s_cbranch_execz .LBB82_204
.LBB82_221:                             ;   in Loop: Header=BB82_13 Depth=1
	s_waitcnt lgkmcnt(12)
	global_store_short v[0:1], v14, off offset:384
	s_or_b64 exec, exec, s[18:19]
	s_and_saveexec_b64 s[18:19], s[26:27]
	s_cbranch_execz .LBB82_205
.LBB82_222:                             ;   in Loop: Header=BB82_13 Depth=1
	s_waitcnt lgkmcnt(11)
	global_store_short v[0:1], v13, off offset:512
	s_or_b64 exec, exec, s[18:19]
	s_and_saveexec_b64 s[18:19], s[28:29]
	s_cbranch_execz .LBB82_206
.LBB82_223:                             ;   in Loop: Header=BB82_13 Depth=1
	s_waitcnt lgkmcnt(10)
	global_store_short v[0:1], v12, off offset:640
	s_or_b64 exec, exec, s[18:19]
	s_and_saveexec_b64 s[18:19], s[30:31]
	s_cbranch_execz .LBB82_207
.LBB82_224:                             ;   in Loop: Header=BB82_13 Depth=1
	s_waitcnt lgkmcnt(9)
	global_store_short v[0:1], v11, off offset:768
	s_or_b64 exec, exec, s[18:19]
	s_and_saveexec_b64 s[18:19], s[34:35]
	s_cbranch_execz .LBB82_208
.LBB82_225:                             ;   in Loop: Header=BB82_13 Depth=1
	s_waitcnt lgkmcnt(8)
	global_store_short v[0:1], v10, off offset:896
	s_or_b64 exec, exec, s[18:19]
	s_and_saveexec_b64 s[18:19], s[36:37]
	s_cbranch_execz .LBB82_209
.LBB82_226:                             ;   in Loop: Header=BB82_13 Depth=1
	s_waitcnt lgkmcnt(7)
	global_store_short v[0:1], v9, off offset:1024
	s_or_b64 exec, exec, s[18:19]
	s_and_saveexec_b64 s[18:19], s[38:39]
	s_cbranch_execz .LBB82_210
.LBB82_227:                             ;   in Loop: Header=BB82_13 Depth=1
	s_waitcnt lgkmcnt(6)
	global_store_short v[0:1], v8, off offset:1152
	s_or_b64 exec, exec, s[18:19]
	s_and_saveexec_b64 s[18:19], s[40:41]
	s_cbranch_execz .LBB82_211
.LBB82_228:                             ;   in Loop: Header=BB82_13 Depth=1
	s_waitcnt lgkmcnt(5)
	global_store_short v[0:1], v7, off offset:1280
	s_or_b64 exec, exec, s[18:19]
	s_and_saveexec_b64 s[18:19], s[42:43]
	s_cbranch_execz .LBB82_212
.LBB82_229:                             ;   in Loop: Header=BB82_13 Depth=1
	s_waitcnt lgkmcnt(4)
	global_store_short v[0:1], v6, off offset:1408
	s_or_b64 exec, exec, s[18:19]
	s_and_saveexec_b64 s[18:19], s[44:45]
	s_cbranch_execz .LBB82_213
.LBB82_230:                             ;   in Loop: Header=BB82_13 Depth=1
	s_waitcnt lgkmcnt(3)
	global_store_short v[0:1], v5, off offset:1536
	s_or_b64 exec, exec, s[18:19]
	s_and_saveexec_b64 s[18:19], s[46:47]
	s_cbranch_execz .LBB82_214
.LBB82_231:                             ;   in Loop: Header=BB82_13 Depth=1
	s_waitcnt lgkmcnt(2)
	global_store_short v[0:1], v4, off offset:1664
	s_or_b64 exec, exec, s[18:19]
	s_and_saveexec_b64 s[18:19], s[48:49]
	s_cbranch_execz .LBB82_215
.LBB82_232:                             ;   in Loop: Header=BB82_13 Depth=1
	s_waitcnt lgkmcnt(1)
	global_store_short v[0:1], v3, off offset:1792
	s_or_b64 exec, exec, s[18:19]
	s_and_saveexec_b64 s[18:19], s[50:51]
	s_cbranch_execz .LBB82_12
.LBB82_233:                             ;   in Loop: Header=BB82_13 Depth=1
	s_waitcnt lgkmcnt(0)
	global_store_short v[0:1], v2, off offset:1920
	s_branch .LBB82_12
.LBB82_234:
	s_endpgm
	.section	.rodata,"a",@progbits
	.p2align	6, 0x0
	.amdhsa_kernel _Z25selective_scan_fwd_kernelI32Selective_Scan_fwd_kernel_traitsILi64ELi16ELi1ELb1ELb1ELb1ELb0ELb1EN3c104HalfEfS2_EEv13SSMParamsBase
		.amdhsa_group_segment_fixed_size 0
		.amdhsa_private_segment_fixed_size 316
		.amdhsa_kernarg_size 248
		.amdhsa_user_sgpr_count 2
		.amdhsa_user_sgpr_dispatch_ptr 0
		.amdhsa_user_sgpr_queue_ptr 0
		.amdhsa_user_sgpr_kernarg_segment_ptr 1
		.amdhsa_user_sgpr_dispatch_id 0
		.amdhsa_user_sgpr_kernarg_preload_length 0
		.amdhsa_user_sgpr_kernarg_preload_offset 0
		.amdhsa_user_sgpr_private_segment_size 0
		.amdhsa_uses_dynamic_stack 0
		.amdhsa_enable_private_segment 1
		.amdhsa_system_sgpr_workgroup_id_x 1
		.amdhsa_system_sgpr_workgroup_id_y 1
		.amdhsa_system_sgpr_workgroup_id_z 0
		.amdhsa_system_sgpr_workgroup_info 0
		.amdhsa_system_vgpr_workitem_id 0
		.amdhsa_next_free_vgpr 96
		.amdhsa_next_free_sgpr 100
		.amdhsa_accum_offset 96
		.amdhsa_reserve_vcc 1
		.amdhsa_float_round_mode_32 0
		.amdhsa_float_round_mode_16_64 0
		.amdhsa_float_denorm_mode_32 3
		.amdhsa_float_denorm_mode_16_64 3
		.amdhsa_dx10_clamp 1
		.amdhsa_ieee_mode 1
		.amdhsa_fp16_overflow 0
		.amdhsa_tg_split 0
		.amdhsa_exception_fp_ieee_invalid_op 0
		.amdhsa_exception_fp_denorm_src 0
		.amdhsa_exception_fp_ieee_div_zero 0
		.amdhsa_exception_fp_ieee_overflow 0
		.amdhsa_exception_fp_ieee_underflow 0
		.amdhsa_exception_fp_ieee_inexact 0
		.amdhsa_exception_int_div_zero 0
	.end_amdhsa_kernel
	.section	.text._Z25selective_scan_fwd_kernelI32Selective_Scan_fwd_kernel_traitsILi64ELi16ELi1ELb1ELb1ELb1ELb0ELb1EN3c104HalfEfS2_EEv13SSMParamsBase,"axG",@progbits,_Z25selective_scan_fwd_kernelI32Selective_Scan_fwd_kernel_traitsILi64ELi16ELi1ELb1ELb1ELb1ELb0ELb1EN3c104HalfEfS2_EEv13SSMParamsBase,comdat
.Lfunc_end82:
	.size	_Z25selective_scan_fwd_kernelI32Selective_Scan_fwd_kernel_traitsILi64ELi16ELi1ELb1ELb1ELb1ELb0ELb1EN3c104HalfEfS2_EEv13SSMParamsBase, .Lfunc_end82-_Z25selective_scan_fwd_kernelI32Selective_Scan_fwd_kernel_traitsILi64ELi16ELi1ELb1ELb1ELb1ELb0ELb1EN3c104HalfEfS2_EEv13SSMParamsBase
                                        ; -- End function
	.section	.AMDGPU.csdata,"",@progbits
; Kernel info:
; codeLenInByte = 22368
; NumSgprs: 106
; NumVgprs: 96
; NumAgprs: 0
; TotalNumVgprs: 96
; ScratchSize: 316
; MemoryBound: 0
; FloatMode: 240
; IeeeMode: 1
; LDSByteSize: 0 bytes/workgroup (compile time only)
; SGPRBlocks: 13
; VGPRBlocks: 11
; NumSGPRsForWavesPerEU: 106
; NumVGPRsForWavesPerEU: 96
; AccumOffset: 96
; Occupancy: 5
; WaveLimiterHint : 1
; COMPUTE_PGM_RSRC2:SCRATCH_EN: 1
; COMPUTE_PGM_RSRC2:USER_SGPR: 2
; COMPUTE_PGM_RSRC2:TRAP_HANDLER: 0
; COMPUTE_PGM_RSRC2:TGID_X_EN: 1
; COMPUTE_PGM_RSRC2:TGID_Y_EN: 1
; COMPUTE_PGM_RSRC2:TGID_Z_EN: 0
; COMPUTE_PGM_RSRC2:TIDIG_COMP_CNT: 0
; COMPUTE_PGM_RSRC3_GFX90A:ACCUM_OFFSET: 23
; COMPUTE_PGM_RSRC3_GFX90A:TG_SPLIT: 0
	.section	.text._Z25selective_scan_fwd_kernelI32Selective_Scan_fwd_kernel_traitsILi64ELi16ELi1ELb1ELb1ELb1ELb0ELb0EN3c104HalfEfS2_EEv13SSMParamsBase,"axG",@progbits,_Z25selective_scan_fwd_kernelI32Selective_Scan_fwd_kernel_traitsILi64ELi16ELi1ELb1ELb1ELb1ELb0ELb0EN3c104HalfEfS2_EEv13SSMParamsBase,comdat
	.protected	_Z25selective_scan_fwd_kernelI32Selective_Scan_fwd_kernel_traitsILi64ELi16ELi1ELb1ELb1ELb1ELb0ELb0EN3c104HalfEfS2_EEv13SSMParamsBase ; -- Begin function _Z25selective_scan_fwd_kernelI32Selective_Scan_fwd_kernel_traitsILi64ELi16ELi1ELb1ELb1ELb1ELb0ELb0EN3c104HalfEfS2_EEv13SSMParamsBase
	.globl	_Z25selective_scan_fwd_kernelI32Selective_Scan_fwd_kernel_traitsILi64ELi16ELi1ELb1ELb1ELb1ELb0ELb0EN3c104HalfEfS2_EEv13SSMParamsBase
	.p2align	8
	.type	_Z25selective_scan_fwd_kernelI32Selective_Scan_fwd_kernel_traitsILi64ELi16ELi1ELb1ELb1ELb1ELb0ELb0EN3c104HalfEfS2_EEv13SSMParamsBase,@function
_Z25selective_scan_fwd_kernelI32Selective_Scan_fwd_kernel_traitsILi64ELi16ELi1ELb1ELb1ELb1ELb0ELb0EN3c104HalfEfS2_EEv13SSMParamsBase: ; @_Z25selective_scan_fwd_kernelI32Selective_Scan_fwd_kernel_traitsILi64ELi16ELi1ELb1ELb1ELb1ELb0ELb0EN3c104HalfEfS2_EEv13SSMParamsBase
; %bb.0:
	s_load_dword s27, s[0:1], 0x18
	s_load_dwordx4 s[4:7], s[0:1], 0xe8
	s_mov_b32 s22, s3
	s_waitcnt lgkmcnt(0)
	s_abs_i32 s26, s27
	v_cvt_f32_u32_e32 v1, s26
	s_cmp_eq_u64 s[6:7], 0
	v_rcp_iflag_f32_e32 v1, v1
	s_nop 0
	v_mul_f32_e32 v1, 0x4f7ffffe, v1
	v_cvt_u32_f32_e32 v1, v1
	s_nop 0
	v_readfirstlane_b32 s24, v1
	s_cbranch_scc1 .LBB83_3
; %bb.1:
	s_ashr_i32 s3, s2, 31
	s_add_u32 s6, s6, s2
	s_addc_u32 s7, s7, s3
	v_mov_b32_e32 v1, 0
	global_load_ubyte v1, v1, s[6:7]
	s_waitcnt vmcnt(0)
	v_and_b32_e32 v1, 1, v1
	v_cmp_eq_u32_e64 s[72:73], 1, v1
	s_load_dwordx2 s[6:7], s[0:1], 0x20
	s_cmp_eq_u64 s[4:5], 0
	s_cbranch_scc1 .LBB83_4
.LBB83_2:
	s_ashr_i32 s3, s2, 31
	s_lshl_b64 s[8:9], s[2:3], 2
	s_add_u32 s4, s4, s8
	s_addc_u32 s5, s5, s9
	s_load_dword s20, s[4:5], 0x0
	s_waitcnt lgkmcnt(0)
	s_ashr_i32 s21, s20, 31
	s_cmp_eq_u64 s[6:7], s[20:21]
	s_cbranch_scc0 .LBB83_5
	s_branch .LBB83_81
.LBB83_3:
	s_mov_b64 s[72:73], 0
	s_load_dwordx2 s[6:7], s[0:1], 0x20
	s_cmp_eq_u64 s[4:5], 0
	s_cbranch_scc0 .LBB83_2
.LBB83_4:
	s_mov_b32 s20, s2
	s_ashr_i32 s21, s20, 31
	s_waitcnt lgkmcnt(0)
	s_cmp_eq_u64 s[6:7], s[20:21]
	s_cbranch_scc1 .LBB83_81
.LBB83_5:
	s_load_dwordx16 s[4:19], s[0:1], 0x88
	s_load_dwordx2 s[30:31], s[0:1], 0x8
	s_mov_b32 s33, 0
	s_mov_b32 s74, 0
	s_waitcnt lgkmcnt(0)
	s_cmp_eq_u64 s[10:11], 0
	s_cbranch_scc1 .LBB83_7
; %bb.6:
	s_ashr_i32 s23, s22, 31
	s_lshl_b64 s[28:29], s[22:23], 2
	s_add_u32 s10, s10, s28
	s_addc_u32 s11, s11, s29
	s_load_dword s74, s[10:11], 0x0
.LBB83_7:
	s_cmp_eq_u64 s[16:17], 0
	s_cbranch_scc1 .LBB83_9
; %bb.8:
	s_ashr_i32 s23, s22, 31
	s_lshl_b64 s[10:11], s[22:23], 2
	s_add_u32 s10, s16, s10
	s_addc_u32 s11, s17, s11
	s_load_dword s33, s[10:11], 0x0
.LBB83_9:
	s_cmp_lt_i32 s30, 1
	s_cbranch_scc1 .LBB83_81
; %bb.10:
	s_sub_i32 s3, 0, s26
	s_mul_i32 s3, s3, s24
	s_mul_hi_u32 s3, s24, s3
	s_abs_i32 s21, s22
	s_add_i32 s3, s24, s3
	s_load_dwordx8 s[60:67], s[0:1], 0x2c
	s_load_dwordx2 s[10:11], s[0:1], 0x5c
	s_load_dwordx4 s[68:71], s[0:1], 0x4c
	s_load_dwordx4 s[56:59], s[0:1], 0x7c
	s_load_dwordx2 s[24:25], s[0:1], 0x6c
	s_load_dwordx2 s[16:17], s[0:1], 0xc8
	s_mul_hi_u32 s3, s21, s3
	s_load_dword s23, s[0:1], 0x28
	s_ashr_i32 s0, s22, 31
	s_ashr_i32 s1, s27, 31
	s_xor_b32 s0, s0, s1
	s_mul_i32 s1, s3, s26
	s_sub_i32 s1, s21, s1
	s_add_i32 s21, s3, 1
	s_sub_i32 s27, s1, s26
	s_cmp_ge_u32 s1, s26
	s_cselect_b32 s3, s21, s3
	s_cselect_b32 s1, s27, s1
	s_add_i32 s21, s3, 1
	s_cmp_ge_u32 s1, s26
	s_cselect_b32 s1, s21, s3
	s_xor_b32 s1, s1, s0
	s_waitcnt lgkmcnt(0)
	s_mul_i32 s76, s70, s2
	s_mov_b32 s77, 0
	s_sub_i32 s3, s1, s0
	s_lshl_b64 s[0:1], s[76:77], 1
	s_add_u32 s12, s12, s0
	s_mul_i32 s76, s71, s22
	s_addc_u32 s13, s13, s1
	s_lshl_b64 s[0:1], s[76:77], 1
	s_add_u32 s70, s12, s0
	s_mul_i32 s76, s10, s2
	s_addc_u32 s71, s13, s1
	;; [unrolled: 4-line block ×10, first 2 shown]
	s_lshl_b64 s[0:1], s[76:77], 1
	s_add_u32 s65, s3, s0
	s_addc_u32 s69, s4, s1
	s_add_i32 s0, s30, 0x7ff
	v_mbcnt_lo_u32_b32 v1, -1, 0
	s_lshr_b32 s1, s0, 11
	v_mbcnt_hi_u32_b32 v2, -1, v1
	s_movk_i32 s0, 0x80
	v_cmp_gt_u32_e64 s[4:5], s0, v2
                                        ; implicit-def: $vgpr95 : SGPR spill to VGPR lane
	v_add_u32_e32 v1, 64, v2
	v_lshrrev_b32_e32 v3, 5, v2
	v_writelane_b32 v95, s4, 0
	v_add_u32_e32 v3, v3, v2
	s_bitcmp1_b32 s23, 0
	v_writelane_b32 v95, s5, 1
	v_cmp_gt_u32_e64 s[4:5], s0, v1
	v_lshrrev_b32_e32 v1, 5, v1
	v_lshl_add_u32 v3, v3, 4, 0
	v_writelane_b32 v95, s4, 2
	v_add_lshl_u32 v1, v1, v2, 4
	s_cselect_b64 s[80:81], -1, 0
	s_cmp_gt_i32 s31, 0
	v_writelane_b32 v95, s5, 3
	scratch_store_dword off, v3, off        ; 4-byte Folded Spill
	v_add_u32_e32 v3, 0, v1
	s_cselect_b64 s[4:5], -1, 0
	scratch_store_dword off, v3, off offset:4 ; 4-byte Folded Spill
	v_lshlrev_b32_e32 v3, 1, v2
	v_bfe_u32 v4, v2, 4, 27
	v_writelane_b32 v95, s4, 4
	s_add_i32 s0, 0, 0x840
	v_add_lshl_u32 v3, v4, v3, 4
	v_writelane_b32 v95, s5, 5
	v_add_u32_e32 v1, s0, v1
	scratch_store_dword off, v1, off offset:44 ; 4-byte Folded Spill
	v_add_u32_e32 v1, s0, v3
	v_writelane_b32 v95, s30, 6
	s_and_b32 s0, s30, 0x3ff
	s_cmp_eq_u32 s0, 0
	v_writelane_b32 v95, s31, 7
	scratch_store_dword off, v1, off offset:48 ; 4-byte Folded Spill
	s_cselect_b64 s[84:85], -1, 0
	v_and_b32_e32 v1, 15, v2
	v_writelane_b32 v95, s1, 8
	s_add_i32 s0, s1, -1
	s_mul_i32 s76, s24, s2
	v_cmp_ne_u32_e64 s[4:5], 0, v1
	v_cmp_lt_u32_e64 s[6:7], 1, v1
	v_cmp_lt_u32_e64 s[8:9], 3, v1
	;; [unrolled: 1-line block ×3, first 2 shown]
	v_and_b32_e32 v1, 16, v2
	v_writelane_b32 v95, s0, 9
	s_lshl_b64 s[0:1], s[76:77], 1
	v_add_u32_e32 v4, 0, v3
	s_add_u32 s2, s18, s0
	v_cmp_ne_u32_e64 s[12:13], 0, v1
	v_add_u32_e32 v1, -1, v2
	v_and_b32_e32 v3, 64, v2
	s_mul_i32 s76, s25, s22
	s_addc_u32 s3, s19, s1
	v_cmp_lt_i32_e32 vcc, v1, v3
	s_lshl_b64 s[0:1], s[76:77], 1
	s_add_u32 s0, s2, s0
	v_cndmask_b32_e32 v1, v1, v2, vcc
	v_mov_b32_e32 v33, 0
	v_lshlrev_b32_e32 v1, 2, v1
	s_addc_u32 s1, s3, s1
	v_lshlrev_b32_e32 v32, 4, v2
	scratch_store_dword off, v4, off offset:8 ; 4-byte Folded Spill
	v_lshlrev_b32_e32 v4, 4, v0
	v_cmp_eq_u32_e64 s[16:17], 63, v0
	scratch_store_dword off, v1, off offset:52 ; 4-byte Folded Spill
	v_cmp_gt_u32_e64 s[18:19], 64, v0
	v_cmp_eq_u32_e64 s[20:21], 0, v0
	v_lshl_add_u64 v[0:1], s[0:1], 0, v[32:33]
	scratch_store_dwordx2 off, v[0:1], off offset:128 ; 8-byte Folded Spill
	v_or_b32_e32 v0, 1, v4
	scratch_store_dword off, v0, off offset:140 ; 4-byte Folded Spill
	v_or_b32_e32 v0, 2, v4
	scratch_store_dword off, v0, off offset:144 ; 4-byte Folded Spill
	;; [unrolled: 2-line block ×14, first 2 shown]
	scratch_store_dword off, v4, off offset:136 ; 4-byte Folded Spill
	v_or_b32_e32 v0, 15, v4
	scratch_store_dword off, v0, off offset:196 ; 4-byte Folded Spill
                                        ; implicit-def: $vgpr0
	s_add_i32 s0, 0, 0x1088
	v_cmp_lt_u32_e64 s[14:15], 31, v2
	v_lshlrev_b32_e32 v32, 4, v2
	s_mov_b32 s82, 0x41a00000
	s_mov_b32 s56, 0x3f2aaaab
	;; [unrolled: 1-line block ×4, first 2 shown]
	v_writelane_b32 v95, s0, 10
	s_mov_b32 s75, 0xc2fc0000
	v_mov_b32_e32 v0, 0x3f317218
	v_mov_b32_e32 v94, 0x42800000
	;; [unrolled: 1-line block ×3, first 2 shown]
	s_mov_b32 s0, 0
	scratch_store_dwordx2 off, v[0:1], off offset:56 ; 8-byte Folded Spill
                                        ; implicit-def: $vgpr0_vgpr1
	scratch_store_dwordx4 off, v[0:3], off offset:64 ; 16-byte Folded Spill
                                        ; implicit-def: $vgpr18_vgpr19
                                        ; implicit-def: $vgpr26_vgpr27
                                        ; implicit-def: $vgpr22_vgpr23
	s_branch .LBB83_13
.LBB83_11:                              ;   in Loop: Header=BB83_13 Depth=1
	scratch_load_dwordx4 v[18:21], off, off offset:80 ; 16-byte Folded Reload
	scratch_load_dwordx4 v[22:25], off, off offset:96 ; 16-byte Folded Reload
	;; [unrolled: 1-line block ×3, first 2 shown]
.LBB83_12:                              ;   in Loop: Header=BB83_13 Depth=1
	v_cvt_f16_f32_e32 v0, v53
	v_cvt_f16_f32_e32 v4, v52
	s_waitcnt lgkmcnt(0)
	; wave barrier
	v_cvt_f16_f32_e32 v1, v51
	v_pack_b32_f16 v0, v4, v0
	scratch_load_dword v4, off, off offset:8 ; 4-byte Folded Reload
	v_cvt_f16_f32_e32 v5, v50
	v_cvt_f16_f32_e32 v2, v49
	;; [unrolled: 1-line block ×13, first 2 shown]
	v_pack_b32_f16 v3, v7, v3
	v_pack_b32_f16 v2, v6, v2
	v_pack_b32_f16 v1, v5, v1
	s_add_u32 s78, s78, 0x800
	s_addc_u32 s79, s79, 0
	s_add_u32 s70, s70, 0x800
	s_addc_u32 s71, s71, 0
	s_add_u32 s62, s62, 0x800
	s_addc_u32 s63, s63, 0
	s_add_u32 s66, s66, 0x800
	s_mov_b32 s3, s77
	s_addc_u32 s67, s67, 0
	s_add_i32 s0, s0, 1
	v_readlane_b32 s1, v95, 8
	s_cmp_eq_u32 s0, s1
	s_waitcnt vmcnt(0)
	ds_write_b128 v4, v[0:3]
	v_pack_b32_f16 v3, v15, v14
	v_pack_b32_f16 v2, v13, v12
	;; [unrolled: 1-line block ×4, first 2 shown]
	ds_write_b128 v4, v[0:3] offset:16
	; wave barrier
	scratch_load_dword v0, off, off         ; 4-byte Folded Reload
	scratch_load_dword v4, off, off offset:4 ; 4-byte Folded Reload
	scratch_load_dwordx2 v[8:9], off, off offset:128 ; 8-byte Folded Reload
	s_waitcnt vmcnt(2)
	ds_read_b128 v[0:3], v0
	s_waitcnt vmcnt(1)
	ds_read_b128 v[4:7], v4 offset:1024
	s_waitcnt vmcnt(0)
	v_lshl_add_u64 v[8:9], s[2:3], 1, v[8:9]
	s_waitcnt lgkmcnt(1)
	v_lshrrev_b32_e32 v12, 16, v3
	global_store_short v[8:9], v0, off
	v_alignbit_b32 v11, v2, v1, 16
	v_alignbit_b32 v10, v1, v0, 16
	v_alignbit_b32 v0, v3, v2, 16
	global_store_short v[8:9], v12, off offset:14
	global_store_dword v[8:9], v0, off offset:10
	global_store_dwordx2 v[8:9], v[10:11], off offset:2
	s_waitcnt lgkmcnt(0)
	global_store_dwordx4 v[8:9], v[4:7], off offset:1024
	s_cbranch_scc1 .LBB83_81
.LBB83_13:                              ; =>This Loop Header: Depth=1
                                        ;     Child Loop BB83_56 Depth 2
	v_lshl_add_u64 v[16:17], s[70:71], 0, v[32:33]
	s_waitcnt lgkmcnt(0)
	; wave barrier
	s_mov_b64 s[2:3], exec
	v_readlane_b32 s22, v95, 0
	v_readlane_b32 s23, v95, 1
	s_and_b64 s[22:23], s[2:3], s[22:23]
	s_mov_b64 exec, s[22:23]
	s_cbranch_execz .LBB83_15
; %bb.14:                               ;   in Loop: Header=BB83_13 Depth=1
	global_load_dwordx4 v[26:29], v[16:17], off
.LBB83_15:                              ;   in Loop: Header=BB83_13 Depth=1
	s_or_b64 exec, exec, s[2:3]
	s_mov_b64 s[2:3], exec
	v_readlane_b32 s22, v95, 2
	v_readlane_b32 s23, v95, 3
	s_and_b64 s[22:23], s[2:3], s[22:23]
	s_mov_b64 exec, s[22:23]
	s_cbranch_execz .LBB83_17
; %bb.16:                               ;   in Loop: Header=BB83_13 Depth=1
	global_load_dwordx4 v[22:25], v[16:17], off offset:1024
.LBB83_17:                              ;   in Loop: Header=BB83_13 Depth=1
	s_or_b64 exec, exec, s[2:3]
	scratch_load_dword v0, off, off         ; 4-byte Folded Reload
	v_lshl_add_u64 v[16:17], s[78:79], 0, v[32:33]
	s_waitcnt vmcnt(0)
	ds_write_b128 v0, v[26:29]
	scratch_load_dword v0, off, off offset:4 ; 4-byte Folded Reload
	s_waitcnt vmcnt(0)
	ds_write_b128 v0, v[22:25] offset:1024
	; wave barrier
	scratch_load_dword v0, off, off offset:8 ; 4-byte Folded Reload
	s_waitcnt vmcnt(0)
	ds_read_b128 v[26:29], v0
	ds_read_b128 v[22:25], v0 offset:16
	s_waitcnt lgkmcnt(0)
	; wave barrier
	s_waitcnt lgkmcnt(0)
	s_mov_b64 s[2:3], exec
	v_readlane_b32 s22, v95, 0
	v_readlane_b32 s23, v95, 1
	s_and_b64 s[22:23], s[2:3], s[22:23]
	s_mov_b64 exec, s[22:23]
	s_cbranch_execz .LBB83_19
; %bb.18:                               ;   in Loop: Header=BB83_13 Depth=1
	global_load_dwordx4 v[0:3], v[16:17], off
	s_waitcnt vmcnt(0)
	scratch_store_dwordx4 off, v[0:3], off offset:64 ; 16-byte Folded Spill
.LBB83_19:                              ;   in Loop: Header=BB83_13 Depth=1
	s_or_b64 exec, exec, s[2:3]
	s_mov_b64 s[2:3], exec
	v_readlane_b32 s22, v95, 2
	v_readlane_b32 s23, v95, 3
	s_and_b64 s[22:23], s[2:3], s[22:23]
	s_mov_b64 exec, s[22:23]
	s_cbranch_execz .LBB83_21
; %bb.20:                               ;   in Loop: Header=BB83_13 Depth=1
	global_load_dwordx4 v[18:21], v[16:17], off offset:1024
.LBB83_21:                              ;   in Loop: Header=BB83_13 Depth=1
	s_or_b64 exec, exec, s[2:3]
	scratch_load_dword v0, off, off         ; 4-byte Folded Reload
	scratch_load_dwordx4 v[2:5], off, off offset:64 ; 16-byte Folded Reload
	s_waitcnt vmcnt(0)
	ds_write_b128 v0, v[2:5]
	scratch_load_dword v0, off, off offset:4 ; 4-byte Folded Reload
	s_waitcnt vmcnt(0)
	ds_write_b128 v0, v[18:21] offset:1024
	; wave barrier
	scratch_load_dword v0, off, off offset:8 ; 4-byte Folded Reload
	s_waitcnt vmcnt(0)
	ds_read_b128 v[2:5], v0
	ds_read_b128 v[18:21], v0 offset:16
	s_waitcnt lgkmcnt(1)
	v_cvt_f32_f16_e32 v0, v2
	scratch_store_dwordx4 off, v[2:5], off offset:64 ; 16-byte Folded Spill
	v_add_f32_e32 v78, s33, v0
	v_cmp_ge_f32_e32 vcc, s82, v78
	s_and_b64 s[2:3], s[80:81], vcc
	s_and_saveexec_b64 s[22:23], s[2:3]
	s_cbranch_execz .LBB83_23
; %bb.22:                               ;   in Loop: Header=BB83_13 Depth=1
	v_mul_f32_e32 v0, 0x3fb8aa3b, v78
	v_rndne_f32_e32 v1, v0
	s_mov_b32 s1, 0x3fb8aa3b
	v_sub_f32_e32 v2, v0, v1
	v_fma_f32 v0, v78, s1, -v0
	v_fmac_f32_e32 v0, 0x32a5705f, v78
	v_add_f32_e32 v0, v2, v0
	v_cvt_i32_f32_e32 v1, v1
	v_exp_f32_e32 v0, v0
	s_mov_b32 s1, 0xc2ce8ed0
	v_cmp_ngt_f32_e32 vcc, s1, v78
	s_mov_b32 s1, 0x42b17218
	v_ldexp_f32 v0, v0, v1
	v_cndmask_b32_e32 v0, 0, v0, vcc
	v_cmp_nlt_f32_e32 vcc, s1, v78
	v_mov_b32_e32 v1, 0x7f800000
	s_mov_b32 s1, 0x7f800000
	v_cndmask_b32_e32 v16, v1, v0, vcc
	v_add_f32_e32 v2, 1.0, v16
	v_add_f32_e32 v0, -1.0, v2
	v_sub_f32_e32 v1, v0, v2
	v_add_f32_e32 v1, 1.0, v1
	v_sub_f32_e32 v0, v16, v0
	v_add_f32_e32 v3, v0, v1
	v_frexp_mant_f32_e32 v4, v2
	v_cvt_f64_f32_e32 v[0:1], v2
	v_frexp_exp_i32_f64_e32 v0, v[0:1]
	v_cmp_gt_f32_e32 vcc, s56, v4
	v_cmp_gt_f32_e64 s[2:3], s83, v16
	s_nop 0
	v_subbrev_co_u32_e32 v8, vcc, 0, v0, vcc
	v_sub_u32_e32 v0, 0, v8
	v_ldexp_f32 v1, v2, v0
	v_add_f32_e32 v2, -1.0, v1
	v_add_f32_e32 v4, 1.0, v1
	v_ldexp_f32 v0, v3, v0
	v_add_f32_e32 v3, 1.0, v2
	v_add_f32_e32 v5, -1.0, v4
	v_sub_f32_e32 v3, v1, v3
	v_sub_f32_e32 v1, v1, v5
	v_add_f32_e32 v3, v0, v3
	v_add_f32_e32 v0, v0, v1
	;; [unrolled: 1-line block ×3, first 2 shown]
	v_rcp_f32_e32 v11, v9
	v_sub_f32_e32 v1, v4, v9
	v_add_f32_e32 v10, v0, v1
	v_add_f32_e32 v1, v2, v3
	v_mul_f32_e32 v13, v1, v11
	v_sub_f32_e32 v0, v2, v1
	v_mul_f32_e32 v2, v9, v13
	v_fma_f32 v4, v13, v9, -v2
	v_fmac_f32_e32 v4, v13, v10
	v_add_f32_e32 v12, v3, v0
	v_add_f32_e32 v0, v2, v4
	v_sub_f32_e32 v3, v1, v0
	v_pk_add_f32 v[6:7], v[0:1], v[2:3] neg_lo:[0,1] neg_hi:[0,1]
	v_mov_b32_e32 v5, v0
	v_pk_add_f32 v[0:1], v[6:7], v[4:5] neg_lo:[0,1] neg_hi:[0,1]
	v_cmp_eq_f32_e32 vcc, s1, v16
	v_add_f32_e32 v1, v12, v1
	v_add_f32_e32 v0, v0, v1
	;; [unrolled: 1-line block ×3, first 2 shown]
	v_mul_f32_e32 v12, v11, v1
	v_mul_f32_e32 v2, v9, v12
	v_fma_f32 v4, v12, v9, -v2
	v_fmac_f32_e32 v4, v12, v10
	v_sub_f32_e32 v3, v3, v1
	v_add_f32_e32 v9, v0, v3
	v_add_f32_e32 v0, v2, v4
	v_sub_f32_e32 v3, v1, v0
	v_pk_add_f32 v[6:7], v[0:1], v[2:3] neg_lo:[0,1] neg_hi:[0,1]
	v_mov_b32_e32 v5, v0
	v_pk_add_f32 v[0:1], v[6:7], v[4:5] neg_lo:[0,1] neg_hi:[0,1]
	scratch_load_dwordx2 v[6:7], off, off offset:56 ; 8-byte Folded Reload
	v_add_f32_e32 v1, v9, v1
	v_add_f32_e32 v0, v0, v1
	;; [unrolled: 1-line block ×4, first 2 shown]
	v_sub_f32_e32 v2, v1, v13
	v_mul_f32_e32 v0, v11, v0
	v_sub_f32_e32 v2, v12, v2
	v_add_f32_e32 v2, v2, v0
	v_add_f32_e32 v4, v1, v2
	v_mul_f32_e32 v5, v4, v4
	v_mov_b32_e32 v0, 0x3ecc95a3
	v_fmamk_f32 v0, v5, 0x3e9b6dac, v0
	v_fmaak_f32 v11, v5, v0, 0x3f2aaada
	v_cvt_f32_i32_e32 v0, v8
	v_sub_f32_e32 v1, v4, v1
	v_sub_f32_e32 v1, v2, v1
	v_ldexp_f32 v3, v4, 1
	s_or_b64 vcc, s[2:3], vcc
	s_waitcnt vmcnt(0)
	v_mov_b32_e32 v10, v6
	v_ldexp_f32 v6, v1, 1
	v_mul_f32_e32 v1, v4, v5
	v_mov_b32_e32 v2, v10
	v_pk_mul_f32 v[4:5], v[0:1], v[10:11]
	scratch_store_dwordx2 off, v[2:3], off offset:56 ; 8-byte Folded Spill
	v_fma_f32 v2, v0, s57, -v4
	v_fmac_f32_e32 v2, 0xb102e308, v0
	v_pk_add_f32 v[0:1], v[4:5], v[2:3]
	s_nop 0
	v_sub_f32_e32 v3, v1, v3
	v_sub_f32_e32 v3, v5, v3
	v_add_f32_e32 v7, v6, v3
	v_mov_b32_e32 v6, v4
	v_pk_add_f32 v[4:5], v[0:1], v[4:5] neg_lo:[0,1] neg_hi:[0,1]
	v_pk_add_f32 v[8:9], v[0:1], v[6:7]
	v_mov_b32_e32 v3, v0
	v_mov_b32_e32 v5, v9
	v_pk_add_f32 v[10:11], v[2:3], v[4:5] neg_lo:[0,1] neg_hi:[0,1]
	v_pk_add_f32 v[2:3], v[2:3], v[4:5]
	v_mov_b32_e32 v6, v7
	v_mov_b32_e32 v4, v3
	v_pk_add_f32 v[12:13], v[4:5], v[0:1] neg_lo:[0,1] neg_hi:[0,1]
	v_mov_b32_e32 v2, v9
	v_mov_b32_e32 v5, v12
	v_pk_add_f32 v[14:15], v[8:9], v[4:5] neg_lo:[0,1] neg_hi:[0,1]
	v_mov_b32_e32 v8, v1
	v_mov_b32_e32 v9, v12
	;; [unrolled: 1-line block ×3, first 2 shown]
	v_pk_add_f32 v[2:3], v[2:3], v[8:9] neg_lo:[0,1] neg_hi:[0,1]
	v_mov_b32_e32 v7, v0
	v_pk_add_f32 v[0:1], v[6:7], v[2:3] neg_lo:[0,1] neg_hi:[0,1]
	v_mov_b32_e32 v14, v10
	v_pk_add_f32 v[2:3], v[14:15], v[0:1]
	s_nop 0
	v_mov_b32_e32 v6, v3
	v_pk_add_f32 v[6:7], v[2:3], v[6:7]
	s_nop 0
	v_pk_add_f32 v[4:5], v[4:5], v[6:7]
	v_mov_b32_e32 v1, v6
	v_mov_b32_e32 v3, v4
	v_pk_add_f32 v[8:9], v[2:3], v[10:11] neg_lo:[0,1] neg_hi:[0,1]
	s_nop 0
	v_sub_f32_e32 v2, v2, v8
	v_pk_add_f32 v[0:1], v[0:1], v[8:9] neg_lo:[0,1] neg_hi:[0,1]
	v_sub_f32_e32 v2, v10, v2
	v_add_f32_e32 v0, v0, v2
	v_add_f32_e32 v0, v0, v1
	;; [unrolled: 1-line block ×3, first 2 shown]
	v_cndmask_b32_e32 v78, v0, v16, vcc
.LBB83_23:                              ;   in Loop: Header=BB83_13 Depth=1
	s_or_b64 exec, exec, s[22:23]
	scratch_load_dwordx4 v[0:3], off, off offset:64 ; 16-byte Folded Reload
	s_waitcnt vmcnt(0)
	v_cvt_f32_f16_sdwa v0, v0 dst_sel:DWORD dst_unused:UNUSED_PAD src0_sel:WORD_1
	v_add_f32_e32 v79, s33, v0
	v_cmp_ge_f32_e32 vcc, s82, v79
	s_and_b64 s[2:3], s[80:81], vcc
	s_and_saveexec_b64 s[22:23], s[2:3]
	s_cbranch_execz .LBB83_25
; %bb.24:                               ;   in Loop: Header=BB83_13 Depth=1
	v_mul_f32_e32 v0, 0x3fb8aa3b, v79
	v_rndne_f32_e32 v1, v0
	s_mov_b32 s1, 0x3fb8aa3b
	v_sub_f32_e32 v2, v0, v1
	v_fma_f32 v0, v79, s1, -v0
	v_fmac_f32_e32 v0, 0x32a5705f, v79
	v_add_f32_e32 v0, v2, v0
	v_cvt_i32_f32_e32 v1, v1
	v_exp_f32_e32 v0, v0
	s_mov_b32 s1, 0xc2ce8ed0
	v_cmp_ngt_f32_e32 vcc, s1, v79
	s_mov_b32 s1, 0x42b17218
	v_ldexp_f32 v0, v0, v1
	v_cndmask_b32_e32 v0, 0, v0, vcc
	v_cmp_nlt_f32_e32 vcc, s1, v79
	v_mov_b32_e32 v1, 0x7f800000
	s_mov_b32 s1, 0x7f800000
	v_cndmask_b32_e32 v16, v1, v0, vcc
	v_add_f32_e32 v2, 1.0, v16
	v_add_f32_e32 v0, -1.0, v2
	v_sub_f32_e32 v1, v0, v2
	v_add_f32_e32 v1, 1.0, v1
	v_sub_f32_e32 v0, v16, v0
	v_add_f32_e32 v3, v0, v1
	v_frexp_mant_f32_e32 v4, v2
	v_cvt_f64_f32_e32 v[0:1], v2
	v_frexp_exp_i32_f64_e32 v0, v[0:1]
	v_cmp_gt_f32_e32 vcc, s56, v4
	v_cmp_gt_f32_e64 s[2:3], s83, v16
	s_nop 0
	v_subbrev_co_u32_e32 v8, vcc, 0, v0, vcc
	v_sub_u32_e32 v0, 0, v8
	v_ldexp_f32 v1, v2, v0
	v_add_f32_e32 v2, -1.0, v1
	v_add_f32_e32 v4, 1.0, v1
	v_ldexp_f32 v0, v3, v0
	v_add_f32_e32 v3, 1.0, v2
	v_add_f32_e32 v5, -1.0, v4
	v_sub_f32_e32 v3, v1, v3
	v_sub_f32_e32 v1, v1, v5
	v_add_f32_e32 v3, v0, v3
	v_add_f32_e32 v0, v0, v1
	;; [unrolled: 1-line block ×3, first 2 shown]
	v_rcp_f32_e32 v11, v9
	v_sub_f32_e32 v1, v4, v9
	v_add_f32_e32 v10, v0, v1
	v_add_f32_e32 v1, v2, v3
	v_mul_f32_e32 v13, v1, v11
	v_sub_f32_e32 v0, v2, v1
	v_mul_f32_e32 v2, v9, v13
	v_fma_f32 v4, v13, v9, -v2
	v_fmac_f32_e32 v4, v13, v10
	v_add_f32_e32 v12, v3, v0
	v_add_f32_e32 v0, v2, v4
	v_sub_f32_e32 v3, v1, v0
	v_pk_add_f32 v[6:7], v[0:1], v[2:3] neg_lo:[0,1] neg_hi:[0,1]
	v_mov_b32_e32 v5, v0
	v_pk_add_f32 v[0:1], v[6:7], v[4:5] neg_lo:[0,1] neg_hi:[0,1]
	v_cmp_eq_f32_e32 vcc, s1, v16
	v_add_f32_e32 v1, v12, v1
	v_add_f32_e32 v0, v0, v1
	;; [unrolled: 1-line block ×3, first 2 shown]
	v_mul_f32_e32 v12, v11, v1
	v_mul_f32_e32 v2, v9, v12
	v_fma_f32 v4, v12, v9, -v2
	v_fmac_f32_e32 v4, v12, v10
	v_sub_f32_e32 v3, v3, v1
	v_add_f32_e32 v9, v0, v3
	v_add_f32_e32 v0, v2, v4
	v_sub_f32_e32 v3, v1, v0
	v_pk_add_f32 v[6:7], v[0:1], v[2:3] neg_lo:[0,1] neg_hi:[0,1]
	v_mov_b32_e32 v5, v0
	v_pk_add_f32 v[0:1], v[6:7], v[4:5] neg_lo:[0,1] neg_hi:[0,1]
	scratch_load_dwordx2 v[6:7], off, off offset:56 ; 8-byte Folded Reload
	v_add_f32_e32 v1, v9, v1
	v_add_f32_e32 v0, v0, v1
	;; [unrolled: 1-line block ×4, first 2 shown]
	v_sub_f32_e32 v2, v1, v13
	v_mul_f32_e32 v0, v11, v0
	v_sub_f32_e32 v2, v12, v2
	v_add_f32_e32 v2, v2, v0
	v_add_f32_e32 v4, v1, v2
	v_mul_f32_e32 v5, v4, v4
	v_mov_b32_e32 v0, 0x3ecc95a3
	v_fmamk_f32 v0, v5, 0x3e9b6dac, v0
	v_fmaak_f32 v11, v5, v0, 0x3f2aaada
	v_cvt_f32_i32_e32 v0, v8
	v_sub_f32_e32 v1, v4, v1
	v_sub_f32_e32 v1, v2, v1
	v_ldexp_f32 v3, v4, 1
	s_or_b64 vcc, s[2:3], vcc
	s_waitcnt vmcnt(0)
	v_mov_b32_e32 v10, v6
	v_ldexp_f32 v6, v1, 1
	v_mul_f32_e32 v1, v4, v5
	v_mov_b32_e32 v2, v10
	v_pk_mul_f32 v[4:5], v[0:1], v[10:11]
	scratch_store_dwordx2 off, v[2:3], off offset:56 ; 8-byte Folded Spill
	v_fma_f32 v2, v0, s57, -v4
	v_fmac_f32_e32 v2, 0xb102e308, v0
	v_pk_add_f32 v[0:1], v[4:5], v[2:3]
	s_nop 0
	v_sub_f32_e32 v3, v1, v3
	v_sub_f32_e32 v3, v5, v3
	v_add_f32_e32 v7, v6, v3
	v_mov_b32_e32 v6, v4
	v_pk_add_f32 v[4:5], v[0:1], v[4:5] neg_lo:[0,1] neg_hi:[0,1]
	v_pk_add_f32 v[8:9], v[0:1], v[6:7]
	v_mov_b32_e32 v3, v0
	v_mov_b32_e32 v5, v9
	v_pk_add_f32 v[10:11], v[2:3], v[4:5] neg_lo:[0,1] neg_hi:[0,1]
	v_pk_add_f32 v[2:3], v[2:3], v[4:5]
	v_mov_b32_e32 v6, v7
	v_mov_b32_e32 v4, v3
	v_pk_add_f32 v[12:13], v[4:5], v[0:1] neg_lo:[0,1] neg_hi:[0,1]
	v_mov_b32_e32 v2, v9
	v_mov_b32_e32 v5, v12
	v_pk_add_f32 v[14:15], v[8:9], v[4:5] neg_lo:[0,1] neg_hi:[0,1]
	v_mov_b32_e32 v8, v1
	v_mov_b32_e32 v9, v12
	;; [unrolled: 1-line block ×3, first 2 shown]
	v_pk_add_f32 v[2:3], v[2:3], v[8:9] neg_lo:[0,1] neg_hi:[0,1]
	v_mov_b32_e32 v7, v0
	v_pk_add_f32 v[0:1], v[6:7], v[2:3] neg_lo:[0,1] neg_hi:[0,1]
	v_mov_b32_e32 v14, v10
	v_pk_add_f32 v[2:3], v[14:15], v[0:1]
	s_nop 0
	v_mov_b32_e32 v6, v3
	v_pk_add_f32 v[6:7], v[2:3], v[6:7]
	s_nop 0
	v_pk_add_f32 v[4:5], v[4:5], v[6:7]
	v_mov_b32_e32 v1, v6
	v_mov_b32_e32 v3, v4
	v_pk_add_f32 v[8:9], v[2:3], v[10:11] neg_lo:[0,1] neg_hi:[0,1]
	s_nop 0
	v_sub_f32_e32 v2, v2, v8
	v_pk_add_f32 v[0:1], v[0:1], v[8:9] neg_lo:[0,1] neg_hi:[0,1]
	v_sub_f32_e32 v2, v10, v2
	v_add_f32_e32 v0, v0, v2
	v_add_f32_e32 v0, v0, v1
	;; [unrolled: 1-line block ×3, first 2 shown]
	v_cndmask_b32_e32 v79, v0, v16, vcc
.LBB83_25:                              ;   in Loop: Header=BB83_13 Depth=1
	s_or_b64 exec, exec, s[22:23]
	scratch_load_dwordx4 v[0:3], off, off offset:64 ; 16-byte Folded Reload
	s_waitcnt vmcnt(0)
	v_cvt_f32_f16_e32 v0, v1
	v_add_f32_e32 v80, s33, v0
	v_cmp_ge_f32_e32 vcc, s82, v80
	s_and_b64 s[2:3], s[80:81], vcc
	s_and_saveexec_b64 s[22:23], s[2:3]
	s_cbranch_execz .LBB83_27
; %bb.26:                               ;   in Loop: Header=BB83_13 Depth=1
	v_mul_f32_e32 v0, 0x3fb8aa3b, v80
	v_rndne_f32_e32 v1, v0
	s_mov_b32 s1, 0x3fb8aa3b
	v_sub_f32_e32 v2, v0, v1
	v_fma_f32 v0, v80, s1, -v0
	v_fmac_f32_e32 v0, 0x32a5705f, v80
	v_add_f32_e32 v0, v2, v0
	v_cvt_i32_f32_e32 v1, v1
	v_exp_f32_e32 v0, v0
	s_mov_b32 s1, 0xc2ce8ed0
	v_cmp_ngt_f32_e32 vcc, s1, v80
	s_mov_b32 s1, 0x42b17218
	v_ldexp_f32 v0, v0, v1
	v_cndmask_b32_e32 v0, 0, v0, vcc
	v_cmp_nlt_f32_e32 vcc, s1, v80
	v_mov_b32_e32 v1, 0x7f800000
	s_mov_b32 s1, 0x7f800000
	v_cndmask_b32_e32 v16, v1, v0, vcc
	v_add_f32_e32 v2, 1.0, v16
	v_add_f32_e32 v0, -1.0, v2
	v_sub_f32_e32 v1, v0, v2
	v_add_f32_e32 v1, 1.0, v1
	v_sub_f32_e32 v0, v16, v0
	v_add_f32_e32 v3, v0, v1
	v_frexp_mant_f32_e32 v4, v2
	v_cvt_f64_f32_e32 v[0:1], v2
	v_frexp_exp_i32_f64_e32 v0, v[0:1]
	v_cmp_gt_f32_e32 vcc, s56, v4
	v_cmp_gt_f32_e64 s[2:3], s83, v16
	s_nop 0
	v_subbrev_co_u32_e32 v8, vcc, 0, v0, vcc
	v_sub_u32_e32 v0, 0, v8
	v_ldexp_f32 v1, v2, v0
	v_add_f32_e32 v2, -1.0, v1
	v_add_f32_e32 v4, 1.0, v1
	v_ldexp_f32 v0, v3, v0
	v_add_f32_e32 v3, 1.0, v2
	v_add_f32_e32 v5, -1.0, v4
	v_sub_f32_e32 v3, v1, v3
	v_sub_f32_e32 v1, v1, v5
	v_add_f32_e32 v3, v0, v3
	v_add_f32_e32 v0, v0, v1
	;; [unrolled: 1-line block ×3, first 2 shown]
	v_rcp_f32_e32 v11, v9
	v_sub_f32_e32 v1, v4, v9
	v_add_f32_e32 v10, v0, v1
	v_add_f32_e32 v1, v2, v3
	v_mul_f32_e32 v13, v1, v11
	v_sub_f32_e32 v0, v2, v1
	v_mul_f32_e32 v2, v9, v13
	v_fma_f32 v4, v13, v9, -v2
	v_fmac_f32_e32 v4, v13, v10
	v_add_f32_e32 v12, v3, v0
	v_add_f32_e32 v0, v2, v4
	v_sub_f32_e32 v3, v1, v0
	v_pk_add_f32 v[6:7], v[0:1], v[2:3] neg_lo:[0,1] neg_hi:[0,1]
	v_mov_b32_e32 v5, v0
	v_pk_add_f32 v[0:1], v[6:7], v[4:5] neg_lo:[0,1] neg_hi:[0,1]
	v_cmp_eq_f32_e32 vcc, s1, v16
	v_add_f32_e32 v1, v12, v1
	v_add_f32_e32 v0, v0, v1
	;; [unrolled: 1-line block ×3, first 2 shown]
	v_mul_f32_e32 v12, v11, v1
	v_mul_f32_e32 v2, v9, v12
	v_fma_f32 v4, v12, v9, -v2
	v_fmac_f32_e32 v4, v12, v10
	v_sub_f32_e32 v3, v3, v1
	v_add_f32_e32 v9, v0, v3
	v_add_f32_e32 v0, v2, v4
	v_sub_f32_e32 v3, v1, v0
	v_pk_add_f32 v[6:7], v[0:1], v[2:3] neg_lo:[0,1] neg_hi:[0,1]
	v_mov_b32_e32 v5, v0
	v_pk_add_f32 v[0:1], v[6:7], v[4:5] neg_lo:[0,1] neg_hi:[0,1]
	scratch_load_dwordx2 v[6:7], off, off offset:56 ; 8-byte Folded Reload
	v_add_f32_e32 v1, v9, v1
	v_add_f32_e32 v0, v0, v1
	;; [unrolled: 1-line block ×4, first 2 shown]
	v_sub_f32_e32 v2, v1, v13
	v_mul_f32_e32 v0, v11, v0
	v_sub_f32_e32 v2, v12, v2
	v_add_f32_e32 v2, v2, v0
	v_add_f32_e32 v4, v1, v2
	v_mul_f32_e32 v5, v4, v4
	v_mov_b32_e32 v0, 0x3ecc95a3
	v_fmamk_f32 v0, v5, 0x3e9b6dac, v0
	v_fmaak_f32 v11, v5, v0, 0x3f2aaada
	v_cvt_f32_i32_e32 v0, v8
	v_sub_f32_e32 v1, v4, v1
	v_sub_f32_e32 v1, v2, v1
	v_ldexp_f32 v3, v4, 1
	s_or_b64 vcc, s[2:3], vcc
	s_waitcnt vmcnt(0)
	v_mov_b32_e32 v10, v6
	v_ldexp_f32 v6, v1, 1
	v_mul_f32_e32 v1, v4, v5
	v_mov_b32_e32 v2, v10
	v_pk_mul_f32 v[4:5], v[0:1], v[10:11]
	scratch_store_dwordx2 off, v[2:3], off offset:56 ; 8-byte Folded Spill
	v_fma_f32 v2, v0, s57, -v4
	v_fmac_f32_e32 v2, 0xb102e308, v0
	v_pk_add_f32 v[0:1], v[4:5], v[2:3]
	s_nop 0
	v_sub_f32_e32 v3, v1, v3
	v_sub_f32_e32 v3, v5, v3
	v_add_f32_e32 v7, v6, v3
	v_mov_b32_e32 v6, v4
	v_pk_add_f32 v[4:5], v[0:1], v[4:5] neg_lo:[0,1] neg_hi:[0,1]
	v_pk_add_f32 v[8:9], v[0:1], v[6:7]
	v_mov_b32_e32 v3, v0
	v_mov_b32_e32 v5, v9
	v_pk_add_f32 v[10:11], v[2:3], v[4:5] neg_lo:[0,1] neg_hi:[0,1]
	v_pk_add_f32 v[2:3], v[2:3], v[4:5]
	v_mov_b32_e32 v6, v7
	v_mov_b32_e32 v4, v3
	v_pk_add_f32 v[12:13], v[4:5], v[0:1] neg_lo:[0,1] neg_hi:[0,1]
	v_mov_b32_e32 v2, v9
	v_mov_b32_e32 v5, v12
	v_pk_add_f32 v[14:15], v[8:9], v[4:5] neg_lo:[0,1] neg_hi:[0,1]
	v_mov_b32_e32 v8, v1
	v_mov_b32_e32 v9, v12
	;; [unrolled: 1-line block ×3, first 2 shown]
	v_pk_add_f32 v[2:3], v[2:3], v[8:9] neg_lo:[0,1] neg_hi:[0,1]
	v_mov_b32_e32 v7, v0
	v_pk_add_f32 v[0:1], v[6:7], v[2:3] neg_lo:[0,1] neg_hi:[0,1]
	v_mov_b32_e32 v14, v10
	v_pk_add_f32 v[2:3], v[14:15], v[0:1]
	s_nop 0
	v_mov_b32_e32 v6, v3
	v_pk_add_f32 v[6:7], v[2:3], v[6:7]
	s_nop 0
	v_pk_add_f32 v[4:5], v[4:5], v[6:7]
	v_mov_b32_e32 v1, v6
	v_mov_b32_e32 v3, v4
	v_pk_add_f32 v[8:9], v[2:3], v[10:11] neg_lo:[0,1] neg_hi:[0,1]
	s_nop 0
	v_sub_f32_e32 v2, v2, v8
	v_pk_add_f32 v[0:1], v[0:1], v[8:9] neg_lo:[0,1] neg_hi:[0,1]
	v_sub_f32_e32 v2, v10, v2
	v_add_f32_e32 v0, v0, v2
	v_add_f32_e32 v0, v0, v1
	v_add_f32_e32 v0, v4, v0
	v_cndmask_b32_e32 v80, v0, v16, vcc
.LBB83_27:                              ;   in Loop: Header=BB83_13 Depth=1
	s_or_b64 exec, exec, s[22:23]
	scratch_load_dwordx4 v[0:3], off, off offset:64 ; 16-byte Folded Reload
	s_waitcnt vmcnt(0)
	v_cvt_f32_f16_sdwa v0, v1 dst_sel:DWORD dst_unused:UNUSED_PAD src0_sel:WORD_1
	v_add_f32_e32 v81, s33, v0
	v_cmp_ge_f32_e32 vcc, s82, v81
	s_and_b64 s[2:3], s[80:81], vcc
	s_and_saveexec_b64 s[22:23], s[2:3]
	s_cbranch_execz .LBB83_29
; %bb.28:                               ;   in Loop: Header=BB83_13 Depth=1
	v_mul_f32_e32 v0, 0x3fb8aa3b, v81
	v_rndne_f32_e32 v1, v0
	s_mov_b32 s1, 0x3fb8aa3b
	v_sub_f32_e32 v2, v0, v1
	v_fma_f32 v0, v81, s1, -v0
	v_fmac_f32_e32 v0, 0x32a5705f, v81
	v_add_f32_e32 v0, v2, v0
	v_cvt_i32_f32_e32 v1, v1
	v_exp_f32_e32 v0, v0
	s_mov_b32 s1, 0xc2ce8ed0
	v_cmp_ngt_f32_e32 vcc, s1, v81
	s_mov_b32 s1, 0x42b17218
	v_ldexp_f32 v0, v0, v1
	v_cndmask_b32_e32 v0, 0, v0, vcc
	v_cmp_nlt_f32_e32 vcc, s1, v81
	v_mov_b32_e32 v1, 0x7f800000
	s_mov_b32 s1, 0x7f800000
	v_cndmask_b32_e32 v16, v1, v0, vcc
	v_add_f32_e32 v2, 1.0, v16
	v_add_f32_e32 v0, -1.0, v2
	v_sub_f32_e32 v1, v0, v2
	v_add_f32_e32 v1, 1.0, v1
	v_sub_f32_e32 v0, v16, v0
	v_add_f32_e32 v3, v0, v1
	v_frexp_mant_f32_e32 v4, v2
	v_cvt_f64_f32_e32 v[0:1], v2
	v_frexp_exp_i32_f64_e32 v0, v[0:1]
	v_cmp_gt_f32_e32 vcc, s56, v4
	v_cmp_gt_f32_e64 s[2:3], s83, v16
	s_nop 0
	v_subbrev_co_u32_e32 v8, vcc, 0, v0, vcc
	v_sub_u32_e32 v0, 0, v8
	v_ldexp_f32 v1, v2, v0
	v_add_f32_e32 v2, -1.0, v1
	v_add_f32_e32 v4, 1.0, v1
	v_ldexp_f32 v0, v3, v0
	v_add_f32_e32 v3, 1.0, v2
	v_add_f32_e32 v5, -1.0, v4
	v_sub_f32_e32 v3, v1, v3
	v_sub_f32_e32 v1, v1, v5
	v_add_f32_e32 v3, v0, v3
	v_add_f32_e32 v0, v0, v1
	;; [unrolled: 1-line block ×3, first 2 shown]
	v_rcp_f32_e32 v11, v9
	v_sub_f32_e32 v1, v4, v9
	v_add_f32_e32 v10, v0, v1
	v_add_f32_e32 v1, v2, v3
	v_mul_f32_e32 v13, v1, v11
	v_sub_f32_e32 v0, v2, v1
	v_mul_f32_e32 v2, v9, v13
	v_fma_f32 v4, v13, v9, -v2
	v_fmac_f32_e32 v4, v13, v10
	v_add_f32_e32 v12, v3, v0
	v_add_f32_e32 v0, v2, v4
	v_sub_f32_e32 v3, v1, v0
	v_pk_add_f32 v[6:7], v[0:1], v[2:3] neg_lo:[0,1] neg_hi:[0,1]
	v_mov_b32_e32 v5, v0
	v_pk_add_f32 v[0:1], v[6:7], v[4:5] neg_lo:[0,1] neg_hi:[0,1]
	v_cmp_eq_f32_e32 vcc, s1, v16
	v_add_f32_e32 v1, v12, v1
	v_add_f32_e32 v0, v0, v1
	;; [unrolled: 1-line block ×3, first 2 shown]
	v_mul_f32_e32 v12, v11, v1
	v_mul_f32_e32 v2, v9, v12
	v_fma_f32 v4, v12, v9, -v2
	v_fmac_f32_e32 v4, v12, v10
	v_sub_f32_e32 v3, v3, v1
	v_add_f32_e32 v9, v0, v3
	v_add_f32_e32 v0, v2, v4
	v_sub_f32_e32 v3, v1, v0
	v_pk_add_f32 v[6:7], v[0:1], v[2:3] neg_lo:[0,1] neg_hi:[0,1]
	v_mov_b32_e32 v5, v0
	v_pk_add_f32 v[0:1], v[6:7], v[4:5] neg_lo:[0,1] neg_hi:[0,1]
	scratch_load_dwordx2 v[6:7], off, off offset:56 ; 8-byte Folded Reload
	v_add_f32_e32 v1, v9, v1
	v_add_f32_e32 v0, v0, v1
	;; [unrolled: 1-line block ×4, first 2 shown]
	v_sub_f32_e32 v2, v1, v13
	v_mul_f32_e32 v0, v11, v0
	v_sub_f32_e32 v2, v12, v2
	v_add_f32_e32 v2, v2, v0
	v_add_f32_e32 v4, v1, v2
	v_mul_f32_e32 v5, v4, v4
	v_mov_b32_e32 v0, 0x3ecc95a3
	v_fmamk_f32 v0, v5, 0x3e9b6dac, v0
	v_fmaak_f32 v11, v5, v0, 0x3f2aaada
	v_cvt_f32_i32_e32 v0, v8
	v_sub_f32_e32 v1, v4, v1
	v_sub_f32_e32 v1, v2, v1
	v_ldexp_f32 v3, v4, 1
	s_or_b64 vcc, s[2:3], vcc
	s_waitcnt vmcnt(0)
	v_mov_b32_e32 v10, v6
	v_ldexp_f32 v6, v1, 1
	v_mul_f32_e32 v1, v4, v5
	v_mov_b32_e32 v2, v10
	v_pk_mul_f32 v[4:5], v[0:1], v[10:11]
	scratch_store_dwordx2 off, v[2:3], off offset:56 ; 8-byte Folded Spill
	v_fma_f32 v2, v0, s57, -v4
	v_fmac_f32_e32 v2, 0xb102e308, v0
	v_pk_add_f32 v[0:1], v[4:5], v[2:3]
	s_nop 0
	v_sub_f32_e32 v3, v1, v3
	v_sub_f32_e32 v3, v5, v3
	v_add_f32_e32 v7, v6, v3
	v_mov_b32_e32 v6, v4
	v_pk_add_f32 v[4:5], v[0:1], v[4:5] neg_lo:[0,1] neg_hi:[0,1]
	v_pk_add_f32 v[8:9], v[0:1], v[6:7]
	v_mov_b32_e32 v3, v0
	v_mov_b32_e32 v5, v9
	v_pk_add_f32 v[10:11], v[2:3], v[4:5] neg_lo:[0,1] neg_hi:[0,1]
	v_pk_add_f32 v[2:3], v[2:3], v[4:5]
	v_mov_b32_e32 v6, v7
	v_mov_b32_e32 v4, v3
	v_pk_add_f32 v[12:13], v[4:5], v[0:1] neg_lo:[0,1] neg_hi:[0,1]
	v_mov_b32_e32 v2, v9
	v_mov_b32_e32 v5, v12
	v_pk_add_f32 v[14:15], v[8:9], v[4:5] neg_lo:[0,1] neg_hi:[0,1]
	v_mov_b32_e32 v8, v1
	v_mov_b32_e32 v9, v12
	;; [unrolled: 1-line block ×3, first 2 shown]
	v_pk_add_f32 v[2:3], v[2:3], v[8:9] neg_lo:[0,1] neg_hi:[0,1]
	v_mov_b32_e32 v7, v0
	v_pk_add_f32 v[0:1], v[6:7], v[2:3] neg_lo:[0,1] neg_hi:[0,1]
	v_mov_b32_e32 v14, v10
	v_pk_add_f32 v[2:3], v[14:15], v[0:1]
	s_nop 0
	v_mov_b32_e32 v6, v3
	v_pk_add_f32 v[6:7], v[2:3], v[6:7]
	s_nop 0
	v_pk_add_f32 v[4:5], v[4:5], v[6:7]
	v_mov_b32_e32 v1, v6
	v_mov_b32_e32 v3, v4
	v_pk_add_f32 v[8:9], v[2:3], v[10:11] neg_lo:[0,1] neg_hi:[0,1]
	s_nop 0
	v_sub_f32_e32 v2, v2, v8
	v_pk_add_f32 v[0:1], v[0:1], v[8:9] neg_lo:[0,1] neg_hi:[0,1]
	v_sub_f32_e32 v2, v10, v2
	v_add_f32_e32 v0, v0, v2
	v_add_f32_e32 v0, v0, v1
	;; [unrolled: 1-line block ×3, first 2 shown]
	v_cndmask_b32_e32 v81, v0, v16, vcc
.LBB83_29:                              ;   in Loop: Header=BB83_13 Depth=1
	s_or_b64 exec, exec, s[22:23]
	scratch_load_dwordx4 v[0:3], off, off offset:64 ; 16-byte Folded Reload
	s_waitcnt vmcnt(0)
	v_cvt_f32_f16_e32 v0, v2
	v_add_f32_e32 v82, s33, v0
	v_cmp_ge_f32_e32 vcc, s82, v82
	s_and_b64 s[2:3], s[80:81], vcc
	s_and_saveexec_b64 s[22:23], s[2:3]
	s_cbranch_execz .LBB83_31
; %bb.30:                               ;   in Loop: Header=BB83_13 Depth=1
	v_mul_f32_e32 v0, 0x3fb8aa3b, v82
	v_rndne_f32_e32 v1, v0
	s_mov_b32 s1, 0x3fb8aa3b
	v_sub_f32_e32 v2, v0, v1
	v_fma_f32 v0, v82, s1, -v0
	v_fmac_f32_e32 v0, 0x32a5705f, v82
	v_add_f32_e32 v0, v2, v0
	v_cvt_i32_f32_e32 v1, v1
	v_exp_f32_e32 v0, v0
	s_mov_b32 s1, 0xc2ce8ed0
	v_cmp_ngt_f32_e32 vcc, s1, v82
	s_mov_b32 s1, 0x42b17218
	v_ldexp_f32 v0, v0, v1
	v_cndmask_b32_e32 v0, 0, v0, vcc
	v_cmp_nlt_f32_e32 vcc, s1, v82
	v_mov_b32_e32 v1, 0x7f800000
	s_mov_b32 s1, 0x7f800000
	v_cndmask_b32_e32 v16, v1, v0, vcc
	v_add_f32_e32 v2, 1.0, v16
	v_add_f32_e32 v0, -1.0, v2
	v_sub_f32_e32 v1, v0, v2
	v_add_f32_e32 v1, 1.0, v1
	v_sub_f32_e32 v0, v16, v0
	v_add_f32_e32 v3, v0, v1
	v_frexp_mant_f32_e32 v4, v2
	v_cvt_f64_f32_e32 v[0:1], v2
	v_frexp_exp_i32_f64_e32 v0, v[0:1]
	v_cmp_gt_f32_e32 vcc, s56, v4
	v_cmp_gt_f32_e64 s[2:3], s83, v16
	s_nop 0
	v_subbrev_co_u32_e32 v8, vcc, 0, v0, vcc
	v_sub_u32_e32 v0, 0, v8
	v_ldexp_f32 v1, v2, v0
	v_add_f32_e32 v2, -1.0, v1
	v_add_f32_e32 v4, 1.0, v1
	v_ldexp_f32 v0, v3, v0
	v_add_f32_e32 v3, 1.0, v2
	v_add_f32_e32 v5, -1.0, v4
	v_sub_f32_e32 v3, v1, v3
	v_sub_f32_e32 v1, v1, v5
	v_add_f32_e32 v3, v0, v3
	v_add_f32_e32 v0, v0, v1
	;; [unrolled: 1-line block ×3, first 2 shown]
	v_rcp_f32_e32 v11, v9
	v_sub_f32_e32 v1, v4, v9
	v_add_f32_e32 v10, v0, v1
	v_add_f32_e32 v1, v2, v3
	v_mul_f32_e32 v13, v1, v11
	v_sub_f32_e32 v0, v2, v1
	v_mul_f32_e32 v2, v9, v13
	v_fma_f32 v4, v13, v9, -v2
	v_fmac_f32_e32 v4, v13, v10
	v_add_f32_e32 v12, v3, v0
	v_add_f32_e32 v0, v2, v4
	v_sub_f32_e32 v3, v1, v0
	v_pk_add_f32 v[6:7], v[0:1], v[2:3] neg_lo:[0,1] neg_hi:[0,1]
	v_mov_b32_e32 v5, v0
	v_pk_add_f32 v[0:1], v[6:7], v[4:5] neg_lo:[0,1] neg_hi:[0,1]
	v_cmp_eq_f32_e32 vcc, s1, v16
	v_add_f32_e32 v1, v12, v1
	v_add_f32_e32 v0, v0, v1
	;; [unrolled: 1-line block ×3, first 2 shown]
	v_mul_f32_e32 v12, v11, v1
	v_mul_f32_e32 v2, v9, v12
	v_fma_f32 v4, v12, v9, -v2
	v_fmac_f32_e32 v4, v12, v10
	v_sub_f32_e32 v3, v3, v1
	v_add_f32_e32 v9, v0, v3
	v_add_f32_e32 v0, v2, v4
	v_sub_f32_e32 v3, v1, v0
	v_pk_add_f32 v[6:7], v[0:1], v[2:3] neg_lo:[0,1] neg_hi:[0,1]
	v_mov_b32_e32 v5, v0
	v_pk_add_f32 v[0:1], v[6:7], v[4:5] neg_lo:[0,1] neg_hi:[0,1]
	scratch_load_dwordx2 v[6:7], off, off offset:56 ; 8-byte Folded Reload
	v_add_f32_e32 v1, v9, v1
	v_add_f32_e32 v0, v0, v1
	v_add_f32_e32 v1, v13, v12
	v_add_f32_e32 v0, v3, v0
	v_sub_f32_e32 v2, v1, v13
	v_mul_f32_e32 v0, v11, v0
	v_sub_f32_e32 v2, v12, v2
	v_add_f32_e32 v2, v2, v0
	v_add_f32_e32 v4, v1, v2
	v_mul_f32_e32 v5, v4, v4
	v_mov_b32_e32 v0, 0x3ecc95a3
	v_fmamk_f32 v0, v5, 0x3e9b6dac, v0
	v_fmaak_f32 v11, v5, v0, 0x3f2aaada
	v_cvt_f32_i32_e32 v0, v8
	v_sub_f32_e32 v1, v4, v1
	v_sub_f32_e32 v1, v2, v1
	v_ldexp_f32 v3, v4, 1
	s_or_b64 vcc, s[2:3], vcc
	s_waitcnt vmcnt(0)
	v_mov_b32_e32 v10, v6
	v_ldexp_f32 v6, v1, 1
	v_mul_f32_e32 v1, v4, v5
	v_mov_b32_e32 v2, v10
	v_pk_mul_f32 v[4:5], v[0:1], v[10:11]
	scratch_store_dwordx2 off, v[2:3], off offset:56 ; 8-byte Folded Spill
	v_fma_f32 v2, v0, s57, -v4
	v_fmac_f32_e32 v2, 0xb102e308, v0
	v_pk_add_f32 v[0:1], v[4:5], v[2:3]
	s_nop 0
	v_sub_f32_e32 v3, v1, v3
	v_sub_f32_e32 v3, v5, v3
	v_add_f32_e32 v7, v6, v3
	v_mov_b32_e32 v6, v4
	v_pk_add_f32 v[4:5], v[0:1], v[4:5] neg_lo:[0,1] neg_hi:[0,1]
	v_pk_add_f32 v[8:9], v[0:1], v[6:7]
	v_mov_b32_e32 v3, v0
	v_mov_b32_e32 v5, v9
	v_pk_add_f32 v[10:11], v[2:3], v[4:5] neg_lo:[0,1] neg_hi:[0,1]
	v_pk_add_f32 v[2:3], v[2:3], v[4:5]
	v_mov_b32_e32 v6, v7
	v_mov_b32_e32 v4, v3
	v_pk_add_f32 v[12:13], v[4:5], v[0:1] neg_lo:[0,1] neg_hi:[0,1]
	v_mov_b32_e32 v2, v9
	v_mov_b32_e32 v5, v12
	v_pk_add_f32 v[14:15], v[8:9], v[4:5] neg_lo:[0,1] neg_hi:[0,1]
	v_mov_b32_e32 v8, v1
	v_mov_b32_e32 v9, v12
	;; [unrolled: 1-line block ×3, first 2 shown]
	v_pk_add_f32 v[2:3], v[2:3], v[8:9] neg_lo:[0,1] neg_hi:[0,1]
	v_mov_b32_e32 v7, v0
	v_pk_add_f32 v[0:1], v[6:7], v[2:3] neg_lo:[0,1] neg_hi:[0,1]
	v_mov_b32_e32 v14, v10
	v_pk_add_f32 v[2:3], v[14:15], v[0:1]
	s_nop 0
	v_mov_b32_e32 v6, v3
	v_pk_add_f32 v[6:7], v[2:3], v[6:7]
	s_nop 0
	v_pk_add_f32 v[4:5], v[4:5], v[6:7]
	v_mov_b32_e32 v1, v6
	v_mov_b32_e32 v3, v4
	v_pk_add_f32 v[8:9], v[2:3], v[10:11] neg_lo:[0,1] neg_hi:[0,1]
	s_nop 0
	v_sub_f32_e32 v2, v2, v8
	v_pk_add_f32 v[0:1], v[0:1], v[8:9] neg_lo:[0,1] neg_hi:[0,1]
	v_sub_f32_e32 v2, v10, v2
	v_add_f32_e32 v0, v0, v2
	v_add_f32_e32 v0, v0, v1
	;; [unrolled: 1-line block ×3, first 2 shown]
	v_cndmask_b32_e32 v82, v0, v16, vcc
.LBB83_31:                              ;   in Loop: Header=BB83_13 Depth=1
	s_or_b64 exec, exec, s[22:23]
	scratch_load_dwordx4 v[0:3], off, off offset:64 ; 16-byte Folded Reload
	s_waitcnt vmcnt(0)
	v_cvt_f32_f16_sdwa v0, v2 dst_sel:DWORD dst_unused:UNUSED_PAD src0_sel:WORD_1
	v_add_f32_e32 v83, s33, v0
	v_cmp_ge_f32_e32 vcc, s82, v83
	s_and_b64 s[2:3], s[80:81], vcc
	s_and_saveexec_b64 s[22:23], s[2:3]
	s_cbranch_execz .LBB83_33
; %bb.32:                               ;   in Loop: Header=BB83_13 Depth=1
	v_mul_f32_e32 v0, 0x3fb8aa3b, v83
	v_rndne_f32_e32 v1, v0
	s_mov_b32 s1, 0x3fb8aa3b
	v_sub_f32_e32 v2, v0, v1
	v_fma_f32 v0, v83, s1, -v0
	v_fmac_f32_e32 v0, 0x32a5705f, v83
	v_add_f32_e32 v0, v2, v0
	v_cvt_i32_f32_e32 v1, v1
	v_exp_f32_e32 v0, v0
	s_mov_b32 s1, 0xc2ce8ed0
	v_cmp_ngt_f32_e32 vcc, s1, v83
	s_mov_b32 s1, 0x42b17218
	v_ldexp_f32 v0, v0, v1
	v_cndmask_b32_e32 v0, 0, v0, vcc
	v_cmp_nlt_f32_e32 vcc, s1, v83
	v_mov_b32_e32 v1, 0x7f800000
	s_mov_b32 s1, 0x7f800000
	v_cndmask_b32_e32 v16, v1, v0, vcc
	v_add_f32_e32 v2, 1.0, v16
	v_add_f32_e32 v0, -1.0, v2
	v_sub_f32_e32 v1, v0, v2
	v_add_f32_e32 v1, 1.0, v1
	v_sub_f32_e32 v0, v16, v0
	v_add_f32_e32 v3, v0, v1
	v_frexp_mant_f32_e32 v4, v2
	v_cvt_f64_f32_e32 v[0:1], v2
	v_frexp_exp_i32_f64_e32 v0, v[0:1]
	v_cmp_gt_f32_e32 vcc, s56, v4
	v_cmp_gt_f32_e64 s[2:3], s83, v16
	s_nop 0
	v_subbrev_co_u32_e32 v8, vcc, 0, v0, vcc
	v_sub_u32_e32 v0, 0, v8
	v_ldexp_f32 v1, v2, v0
	v_add_f32_e32 v2, -1.0, v1
	v_add_f32_e32 v4, 1.0, v1
	v_ldexp_f32 v0, v3, v0
	v_add_f32_e32 v3, 1.0, v2
	v_add_f32_e32 v5, -1.0, v4
	v_sub_f32_e32 v3, v1, v3
	v_sub_f32_e32 v1, v1, v5
	v_add_f32_e32 v3, v0, v3
	v_add_f32_e32 v0, v0, v1
	;; [unrolled: 1-line block ×3, first 2 shown]
	v_rcp_f32_e32 v11, v9
	v_sub_f32_e32 v1, v4, v9
	v_add_f32_e32 v10, v0, v1
	v_add_f32_e32 v1, v2, v3
	v_mul_f32_e32 v13, v1, v11
	v_sub_f32_e32 v0, v2, v1
	v_mul_f32_e32 v2, v9, v13
	v_fma_f32 v4, v13, v9, -v2
	v_fmac_f32_e32 v4, v13, v10
	v_add_f32_e32 v12, v3, v0
	v_add_f32_e32 v0, v2, v4
	v_sub_f32_e32 v3, v1, v0
	v_pk_add_f32 v[6:7], v[0:1], v[2:3] neg_lo:[0,1] neg_hi:[0,1]
	v_mov_b32_e32 v5, v0
	v_pk_add_f32 v[0:1], v[6:7], v[4:5] neg_lo:[0,1] neg_hi:[0,1]
	v_cmp_eq_f32_e32 vcc, s1, v16
	v_add_f32_e32 v1, v12, v1
	v_add_f32_e32 v0, v0, v1
	;; [unrolled: 1-line block ×3, first 2 shown]
	v_mul_f32_e32 v12, v11, v1
	v_mul_f32_e32 v2, v9, v12
	v_fma_f32 v4, v12, v9, -v2
	v_fmac_f32_e32 v4, v12, v10
	v_sub_f32_e32 v3, v3, v1
	v_add_f32_e32 v9, v0, v3
	v_add_f32_e32 v0, v2, v4
	v_sub_f32_e32 v3, v1, v0
	v_pk_add_f32 v[6:7], v[0:1], v[2:3] neg_lo:[0,1] neg_hi:[0,1]
	v_mov_b32_e32 v5, v0
	v_pk_add_f32 v[0:1], v[6:7], v[4:5] neg_lo:[0,1] neg_hi:[0,1]
	scratch_load_dwordx2 v[6:7], off, off offset:56 ; 8-byte Folded Reload
	v_add_f32_e32 v1, v9, v1
	v_add_f32_e32 v0, v0, v1
	;; [unrolled: 1-line block ×4, first 2 shown]
	v_sub_f32_e32 v2, v1, v13
	v_mul_f32_e32 v0, v11, v0
	v_sub_f32_e32 v2, v12, v2
	v_add_f32_e32 v2, v2, v0
	v_add_f32_e32 v4, v1, v2
	v_mul_f32_e32 v5, v4, v4
	v_mov_b32_e32 v0, 0x3ecc95a3
	v_fmamk_f32 v0, v5, 0x3e9b6dac, v0
	v_fmaak_f32 v11, v5, v0, 0x3f2aaada
	v_cvt_f32_i32_e32 v0, v8
	v_sub_f32_e32 v1, v4, v1
	v_sub_f32_e32 v1, v2, v1
	v_ldexp_f32 v3, v4, 1
	s_or_b64 vcc, s[2:3], vcc
	s_waitcnt vmcnt(0)
	v_mov_b32_e32 v10, v6
	v_ldexp_f32 v6, v1, 1
	v_mul_f32_e32 v1, v4, v5
	v_mov_b32_e32 v2, v10
	v_pk_mul_f32 v[4:5], v[0:1], v[10:11]
	scratch_store_dwordx2 off, v[2:3], off offset:56 ; 8-byte Folded Spill
	v_fma_f32 v2, v0, s57, -v4
	v_fmac_f32_e32 v2, 0xb102e308, v0
	v_pk_add_f32 v[0:1], v[4:5], v[2:3]
	s_nop 0
	v_sub_f32_e32 v3, v1, v3
	v_sub_f32_e32 v3, v5, v3
	v_add_f32_e32 v7, v6, v3
	v_mov_b32_e32 v6, v4
	v_pk_add_f32 v[4:5], v[0:1], v[4:5] neg_lo:[0,1] neg_hi:[0,1]
	v_pk_add_f32 v[8:9], v[0:1], v[6:7]
	v_mov_b32_e32 v3, v0
	v_mov_b32_e32 v5, v9
	v_pk_add_f32 v[10:11], v[2:3], v[4:5] neg_lo:[0,1] neg_hi:[0,1]
	v_pk_add_f32 v[2:3], v[2:3], v[4:5]
	v_mov_b32_e32 v6, v7
	v_mov_b32_e32 v4, v3
	v_pk_add_f32 v[12:13], v[4:5], v[0:1] neg_lo:[0,1] neg_hi:[0,1]
	v_mov_b32_e32 v2, v9
	v_mov_b32_e32 v5, v12
	v_pk_add_f32 v[14:15], v[8:9], v[4:5] neg_lo:[0,1] neg_hi:[0,1]
	v_mov_b32_e32 v8, v1
	v_mov_b32_e32 v9, v12
	;; [unrolled: 1-line block ×3, first 2 shown]
	v_pk_add_f32 v[2:3], v[2:3], v[8:9] neg_lo:[0,1] neg_hi:[0,1]
	v_mov_b32_e32 v7, v0
	v_pk_add_f32 v[0:1], v[6:7], v[2:3] neg_lo:[0,1] neg_hi:[0,1]
	v_mov_b32_e32 v14, v10
	v_pk_add_f32 v[2:3], v[14:15], v[0:1]
	s_nop 0
	v_mov_b32_e32 v6, v3
	v_pk_add_f32 v[6:7], v[2:3], v[6:7]
	s_nop 0
	v_pk_add_f32 v[4:5], v[4:5], v[6:7]
	v_mov_b32_e32 v1, v6
	v_mov_b32_e32 v3, v4
	v_pk_add_f32 v[8:9], v[2:3], v[10:11] neg_lo:[0,1] neg_hi:[0,1]
	s_nop 0
	v_sub_f32_e32 v2, v2, v8
	v_pk_add_f32 v[0:1], v[0:1], v[8:9] neg_lo:[0,1] neg_hi:[0,1]
	v_sub_f32_e32 v2, v10, v2
	v_add_f32_e32 v0, v0, v2
	v_add_f32_e32 v0, v0, v1
	v_add_f32_e32 v0, v4, v0
	v_cndmask_b32_e32 v83, v0, v16, vcc
.LBB83_33:                              ;   in Loop: Header=BB83_13 Depth=1
	s_or_b64 exec, exec, s[22:23]
	scratch_load_dwordx4 v[0:3], off, off offset:64 ; 16-byte Folded Reload
	s_waitcnt vmcnt(0)
	v_cvt_f32_f16_e32 v0, v3
	v_add_f32_e32 v84, s33, v0
	v_cmp_ge_f32_e32 vcc, s82, v84
	s_and_b64 s[2:3], s[80:81], vcc
	s_and_saveexec_b64 s[22:23], s[2:3]
	s_cbranch_execz .LBB83_35
; %bb.34:                               ;   in Loop: Header=BB83_13 Depth=1
	v_mul_f32_e32 v0, 0x3fb8aa3b, v84
	v_rndne_f32_e32 v1, v0
	s_mov_b32 s1, 0x3fb8aa3b
	v_sub_f32_e32 v2, v0, v1
	v_fma_f32 v0, v84, s1, -v0
	v_fmac_f32_e32 v0, 0x32a5705f, v84
	v_add_f32_e32 v0, v2, v0
	v_cvt_i32_f32_e32 v1, v1
	v_exp_f32_e32 v0, v0
	s_mov_b32 s1, 0xc2ce8ed0
	v_cmp_ngt_f32_e32 vcc, s1, v84
	s_mov_b32 s1, 0x42b17218
	v_ldexp_f32 v0, v0, v1
	v_cndmask_b32_e32 v0, 0, v0, vcc
	v_cmp_nlt_f32_e32 vcc, s1, v84
	v_mov_b32_e32 v1, 0x7f800000
	s_mov_b32 s1, 0x7f800000
	v_cndmask_b32_e32 v16, v1, v0, vcc
	v_add_f32_e32 v2, 1.0, v16
	v_add_f32_e32 v0, -1.0, v2
	v_sub_f32_e32 v1, v0, v2
	v_add_f32_e32 v1, 1.0, v1
	v_sub_f32_e32 v0, v16, v0
	v_add_f32_e32 v3, v0, v1
	v_frexp_mant_f32_e32 v4, v2
	v_cvt_f64_f32_e32 v[0:1], v2
	v_frexp_exp_i32_f64_e32 v0, v[0:1]
	v_cmp_gt_f32_e32 vcc, s56, v4
	v_cmp_gt_f32_e64 s[2:3], s83, v16
	s_nop 0
	v_subbrev_co_u32_e32 v8, vcc, 0, v0, vcc
	v_sub_u32_e32 v0, 0, v8
	v_ldexp_f32 v1, v2, v0
	v_add_f32_e32 v2, -1.0, v1
	v_add_f32_e32 v4, 1.0, v1
	v_ldexp_f32 v0, v3, v0
	v_add_f32_e32 v3, 1.0, v2
	v_add_f32_e32 v5, -1.0, v4
	v_sub_f32_e32 v3, v1, v3
	v_sub_f32_e32 v1, v1, v5
	v_add_f32_e32 v3, v0, v3
	v_add_f32_e32 v0, v0, v1
	v_add_f32_e32 v9, v4, v0
	v_rcp_f32_e32 v11, v9
	v_sub_f32_e32 v1, v4, v9
	v_add_f32_e32 v10, v0, v1
	v_add_f32_e32 v1, v2, v3
	v_mul_f32_e32 v13, v1, v11
	v_sub_f32_e32 v0, v2, v1
	v_mul_f32_e32 v2, v9, v13
	v_fma_f32 v4, v13, v9, -v2
	v_fmac_f32_e32 v4, v13, v10
	v_add_f32_e32 v12, v3, v0
	v_add_f32_e32 v0, v2, v4
	v_sub_f32_e32 v3, v1, v0
	v_pk_add_f32 v[6:7], v[0:1], v[2:3] neg_lo:[0,1] neg_hi:[0,1]
	v_mov_b32_e32 v5, v0
	v_pk_add_f32 v[0:1], v[6:7], v[4:5] neg_lo:[0,1] neg_hi:[0,1]
	v_cmp_eq_f32_e32 vcc, s1, v16
	v_add_f32_e32 v1, v12, v1
	v_add_f32_e32 v0, v0, v1
	;; [unrolled: 1-line block ×3, first 2 shown]
	v_mul_f32_e32 v12, v11, v1
	v_mul_f32_e32 v2, v9, v12
	v_fma_f32 v4, v12, v9, -v2
	v_fmac_f32_e32 v4, v12, v10
	v_sub_f32_e32 v3, v3, v1
	v_add_f32_e32 v9, v0, v3
	v_add_f32_e32 v0, v2, v4
	v_sub_f32_e32 v3, v1, v0
	v_pk_add_f32 v[6:7], v[0:1], v[2:3] neg_lo:[0,1] neg_hi:[0,1]
	v_mov_b32_e32 v5, v0
	v_pk_add_f32 v[0:1], v[6:7], v[4:5] neg_lo:[0,1] neg_hi:[0,1]
	scratch_load_dwordx2 v[6:7], off, off offset:56 ; 8-byte Folded Reload
	v_add_f32_e32 v1, v9, v1
	v_add_f32_e32 v0, v0, v1
	;; [unrolled: 1-line block ×4, first 2 shown]
	v_sub_f32_e32 v2, v1, v13
	v_mul_f32_e32 v0, v11, v0
	v_sub_f32_e32 v2, v12, v2
	v_add_f32_e32 v2, v2, v0
	v_add_f32_e32 v4, v1, v2
	v_mul_f32_e32 v5, v4, v4
	v_mov_b32_e32 v0, 0x3ecc95a3
	v_fmamk_f32 v0, v5, 0x3e9b6dac, v0
	v_fmaak_f32 v11, v5, v0, 0x3f2aaada
	v_cvt_f32_i32_e32 v0, v8
	v_sub_f32_e32 v1, v4, v1
	v_sub_f32_e32 v1, v2, v1
	v_ldexp_f32 v3, v4, 1
	s_or_b64 vcc, s[2:3], vcc
	s_waitcnt vmcnt(0)
	v_mov_b32_e32 v10, v6
	v_ldexp_f32 v6, v1, 1
	v_mul_f32_e32 v1, v4, v5
	v_mov_b32_e32 v2, v10
	v_pk_mul_f32 v[4:5], v[0:1], v[10:11]
	scratch_store_dwordx2 off, v[2:3], off offset:56 ; 8-byte Folded Spill
	v_fma_f32 v2, v0, s57, -v4
	v_fmac_f32_e32 v2, 0xb102e308, v0
	v_pk_add_f32 v[0:1], v[4:5], v[2:3]
	s_nop 0
	v_sub_f32_e32 v3, v1, v3
	v_sub_f32_e32 v3, v5, v3
	v_add_f32_e32 v7, v6, v3
	v_mov_b32_e32 v6, v4
	v_pk_add_f32 v[4:5], v[0:1], v[4:5] neg_lo:[0,1] neg_hi:[0,1]
	v_pk_add_f32 v[8:9], v[0:1], v[6:7]
	v_mov_b32_e32 v3, v0
	v_mov_b32_e32 v5, v9
	v_pk_add_f32 v[10:11], v[2:3], v[4:5] neg_lo:[0,1] neg_hi:[0,1]
	v_pk_add_f32 v[2:3], v[2:3], v[4:5]
	v_mov_b32_e32 v6, v7
	v_mov_b32_e32 v4, v3
	v_pk_add_f32 v[12:13], v[4:5], v[0:1] neg_lo:[0,1] neg_hi:[0,1]
	v_mov_b32_e32 v2, v9
	v_mov_b32_e32 v5, v12
	v_pk_add_f32 v[14:15], v[8:9], v[4:5] neg_lo:[0,1] neg_hi:[0,1]
	v_mov_b32_e32 v8, v1
	v_mov_b32_e32 v9, v12
	;; [unrolled: 1-line block ×3, first 2 shown]
	v_pk_add_f32 v[2:3], v[2:3], v[8:9] neg_lo:[0,1] neg_hi:[0,1]
	v_mov_b32_e32 v7, v0
	v_pk_add_f32 v[0:1], v[6:7], v[2:3] neg_lo:[0,1] neg_hi:[0,1]
	v_mov_b32_e32 v14, v10
	v_pk_add_f32 v[2:3], v[14:15], v[0:1]
	s_nop 0
	v_mov_b32_e32 v6, v3
	v_pk_add_f32 v[6:7], v[2:3], v[6:7]
	s_nop 0
	v_pk_add_f32 v[4:5], v[4:5], v[6:7]
	v_mov_b32_e32 v1, v6
	v_mov_b32_e32 v3, v4
	v_pk_add_f32 v[8:9], v[2:3], v[10:11] neg_lo:[0,1] neg_hi:[0,1]
	s_nop 0
	v_sub_f32_e32 v2, v2, v8
	v_pk_add_f32 v[0:1], v[0:1], v[8:9] neg_lo:[0,1] neg_hi:[0,1]
	v_sub_f32_e32 v2, v10, v2
	v_add_f32_e32 v0, v0, v2
	v_add_f32_e32 v0, v0, v1
	v_add_f32_e32 v0, v4, v0
	v_cndmask_b32_e32 v84, v0, v16, vcc
.LBB83_35:                              ;   in Loop: Header=BB83_13 Depth=1
	s_or_b64 exec, exec, s[22:23]
	scratch_load_dwordx4 v[0:3], off, off offset:64 ; 16-byte Folded Reload
	s_waitcnt vmcnt(0)
	v_cvt_f32_f16_sdwa v0, v3 dst_sel:DWORD dst_unused:UNUSED_PAD src0_sel:WORD_1
	v_add_f32_e32 v85, s33, v0
	v_cmp_ge_f32_e32 vcc, s82, v85
	s_and_b64 s[2:3], s[80:81], vcc
	s_and_saveexec_b64 s[22:23], s[2:3]
	s_cbranch_execz .LBB83_37
; %bb.36:                               ;   in Loop: Header=BB83_13 Depth=1
	v_mul_f32_e32 v0, 0x3fb8aa3b, v85
	v_rndne_f32_e32 v1, v0
	s_mov_b32 s1, 0x3fb8aa3b
	v_sub_f32_e32 v2, v0, v1
	v_fma_f32 v0, v85, s1, -v0
	v_fmac_f32_e32 v0, 0x32a5705f, v85
	v_add_f32_e32 v0, v2, v0
	v_cvt_i32_f32_e32 v1, v1
	v_exp_f32_e32 v0, v0
	s_mov_b32 s1, 0xc2ce8ed0
	v_cmp_ngt_f32_e32 vcc, s1, v85
	s_mov_b32 s1, 0x42b17218
	v_ldexp_f32 v0, v0, v1
	v_cndmask_b32_e32 v0, 0, v0, vcc
	v_cmp_nlt_f32_e32 vcc, s1, v85
	v_mov_b32_e32 v1, 0x7f800000
	s_mov_b32 s1, 0x7f800000
	v_cndmask_b32_e32 v16, v1, v0, vcc
	v_add_f32_e32 v2, 1.0, v16
	v_add_f32_e32 v0, -1.0, v2
	v_sub_f32_e32 v1, v0, v2
	v_add_f32_e32 v1, 1.0, v1
	v_sub_f32_e32 v0, v16, v0
	v_add_f32_e32 v3, v0, v1
	v_frexp_mant_f32_e32 v4, v2
	v_cvt_f64_f32_e32 v[0:1], v2
	v_frexp_exp_i32_f64_e32 v0, v[0:1]
	v_cmp_gt_f32_e32 vcc, s56, v4
	v_cmp_gt_f32_e64 s[2:3], s83, v16
	s_nop 0
	v_subbrev_co_u32_e32 v8, vcc, 0, v0, vcc
	v_sub_u32_e32 v0, 0, v8
	v_ldexp_f32 v1, v2, v0
	v_add_f32_e32 v2, -1.0, v1
	v_add_f32_e32 v4, 1.0, v1
	v_ldexp_f32 v0, v3, v0
	v_add_f32_e32 v3, 1.0, v2
	v_add_f32_e32 v5, -1.0, v4
	v_sub_f32_e32 v3, v1, v3
	v_sub_f32_e32 v1, v1, v5
	v_add_f32_e32 v3, v0, v3
	v_add_f32_e32 v0, v0, v1
	v_add_f32_e32 v9, v4, v0
	v_rcp_f32_e32 v11, v9
	v_sub_f32_e32 v1, v4, v9
	v_add_f32_e32 v10, v0, v1
	v_add_f32_e32 v1, v2, v3
	v_mul_f32_e32 v13, v1, v11
	v_sub_f32_e32 v0, v2, v1
	v_mul_f32_e32 v2, v9, v13
	v_fma_f32 v4, v13, v9, -v2
	v_fmac_f32_e32 v4, v13, v10
	v_add_f32_e32 v12, v3, v0
	v_add_f32_e32 v0, v2, v4
	v_sub_f32_e32 v3, v1, v0
	v_pk_add_f32 v[6:7], v[0:1], v[2:3] neg_lo:[0,1] neg_hi:[0,1]
	v_mov_b32_e32 v5, v0
	v_pk_add_f32 v[0:1], v[6:7], v[4:5] neg_lo:[0,1] neg_hi:[0,1]
	v_cmp_eq_f32_e32 vcc, s1, v16
	v_add_f32_e32 v1, v12, v1
	v_add_f32_e32 v0, v0, v1
	;; [unrolled: 1-line block ×3, first 2 shown]
	v_mul_f32_e32 v12, v11, v1
	v_mul_f32_e32 v2, v9, v12
	v_fma_f32 v4, v12, v9, -v2
	v_fmac_f32_e32 v4, v12, v10
	v_sub_f32_e32 v3, v3, v1
	v_add_f32_e32 v9, v0, v3
	v_add_f32_e32 v0, v2, v4
	v_sub_f32_e32 v3, v1, v0
	v_pk_add_f32 v[6:7], v[0:1], v[2:3] neg_lo:[0,1] neg_hi:[0,1]
	v_mov_b32_e32 v5, v0
	v_pk_add_f32 v[0:1], v[6:7], v[4:5] neg_lo:[0,1] neg_hi:[0,1]
	scratch_load_dwordx2 v[6:7], off, off offset:56 ; 8-byte Folded Reload
	v_add_f32_e32 v1, v9, v1
	v_add_f32_e32 v0, v0, v1
	v_add_f32_e32 v1, v13, v12
	v_add_f32_e32 v0, v3, v0
	v_sub_f32_e32 v2, v1, v13
	v_mul_f32_e32 v0, v11, v0
	v_sub_f32_e32 v2, v12, v2
	v_add_f32_e32 v2, v2, v0
	v_add_f32_e32 v4, v1, v2
	v_mul_f32_e32 v5, v4, v4
	v_mov_b32_e32 v0, 0x3ecc95a3
	v_fmamk_f32 v0, v5, 0x3e9b6dac, v0
	v_fmaak_f32 v11, v5, v0, 0x3f2aaada
	v_cvt_f32_i32_e32 v0, v8
	v_sub_f32_e32 v1, v4, v1
	v_sub_f32_e32 v1, v2, v1
	v_ldexp_f32 v3, v4, 1
	s_or_b64 vcc, s[2:3], vcc
	s_waitcnt vmcnt(0)
	v_mov_b32_e32 v10, v6
	v_ldexp_f32 v6, v1, 1
	v_mul_f32_e32 v1, v4, v5
	v_mov_b32_e32 v2, v10
	v_pk_mul_f32 v[4:5], v[0:1], v[10:11]
	scratch_store_dwordx2 off, v[2:3], off offset:56 ; 8-byte Folded Spill
	v_fma_f32 v2, v0, s57, -v4
	v_fmac_f32_e32 v2, 0xb102e308, v0
	v_pk_add_f32 v[0:1], v[4:5], v[2:3]
	s_nop 0
	v_sub_f32_e32 v3, v1, v3
	v_sub_f32_e32 v3, v5, v3
	v_add_f32_e32 v7, v6, v3
	v_mov_b32_e32 v6, v4
	v_pk_add_f32 v[4:5], v[0:1], v[4:5] neg_lo:[0,1] neg_hi:[0,1]
	v_pk_add_f32 v[8:9], v[0:1], v[6:7]
	v_mov_b32_e32 v3, v0
	v_mov_b32_e32 v5, v9
	v_pk_add_f32 v[10:11], v[2:3], v[4:5] neg_lo:[0,1] neg_hi:[0,1]
	v_pk_add_f32 v[2:3], v[2:3], v[4:5]
	v_mov_b32_e32 v6, v7
	v_mov_b32_e32 v4, v3
	v_pk_add_f32 v[12:13], v[4:5], v[0:1] neg_lo:[0,1] neg_hi:[0,1]
	v_mov_b32_e32 v2, v9
	v_mov_b32_e32 v5, v12
	v_pk_add_f32 v[14:15], v[8:9], v[4:5] neg_lo:[0,1] neg_hi:[0,1]
	v_mov_b32_e32 v8, v1
	v_mov_b32_e32 v9, v12
	v_mov_b32_e32 v11, v3
	v_pk_add_f32 v[2:3], v[2:3], v[8:9] neg_lo:[0,1] neg_hi:[0,1]
	v_mov_b32_e32 v7, v0
	v_pk_add_f32 v[0:1], v[6:7], v[2:3] neg_lo:[0,1] neg_hi:[0,1]
	v_mov_b32_e32 v14, v10
	v_pk_add_f32 v[2:3], v[14:15], v[0:1]
	s_nop 0
	v_mov_b32_e32 v6, v3
	v_pk_add_f32 v[6:7], v[2:3], v[6:7]
	s_nop 0
	v_pk_add_f32 v[4:5], v[4:5], v[6:7]
	v_mov_b32_e32 v1, v6
	v_mov_b32_e32 v3, v4
	v_pk_add_f32 v[8:9], v[2:3], v[10:11] neg_lo:[0,1] neg_hi:[0,1]
	s_nop 0
	v_sub_f32_e32 v2, v2, v8
	v_pk_add_f32 v[0:1], v[0:1], v[8:9] neg_lo:[0,1] neg_hi:[0,1]
	v_sub_f32_e32 v2, v10, v2
	v_add_f32_e32 v0, v0, v2
	v_add_f32_e32 v0, v0, v1
	;; [unrolled: 1-line block ×3, first 2 shown]
	v_cndmask_b32_e32 v85, v0, v16, vcc
.LBB83_37:                              ;   in Loop: Header=BB83_13 Depth=1
	s_or_b64 exec, exec, s[22:23]
	s_waitcnt lgkmcnt(0)
	v_cvt_f32_f16_e32 v0, v18
	v_add_f32_e32 v86, s33, v0
	v_cmp_ge_f32_e32 vcc, s82, v86
	s_and_b64 s[2:3], s[80:81], vcc
	s_and_saveexec_b64 s[22:23], s[2:3]
	s_cbranch_execz .LBB83_39
; %bb.38:                               ;   in Loop: Header=BB83_13 Depth=1
	v_mul_f32_e32 v0, 0x3fb8aa3b, v86
	v_rndne_f32_e32 v1, v0
	s_mov_b32 s1, 0x3fb8aa3b
	v_sub_f32_e32 v2, v0, v1
	v_fma_f32 v0, v86, s1, -v0
	v_fmac_f32_e32 v0, 0x32a5705f, v86
	v_add_f32_e32 v0, v2, v0
	v_cvt_i32_f32_e32 v1, v1
	v_exp_f32_e32 v0, v0
	s_mov_b32 s1, 0xc2ce8ed0
	v_cmp_ngt_f32_e32 vcc, s1, v86
	s_mov_b32 s1, 0x42b17218
	v_ldexp_f32 v0, v0, v1
	v_cndmask_b32_e32 v0, 0, v0, vcc
	v_cmp_nlt_f32_e32 vcc, s1, v86
	v_mov_b32_e32 v1, 0x7f800000
	s_mov_b32 s1, 0x7f800000
	v_cndmask_b32_e32 v16, v1, v0, vcc
	v_add_f32_e32 v2, 1.0, v16
	v_add_f32_e32 v0, -1.0, v2
	v_sub_f32_e32 v1, v0, v2
	v_add_f32_e32 v1, 1.0, v1
	v_sub_f32_e32 v0, v16, v0
	v_add_f32_e32 v3, v0, v1
	v_frexp_mant_f32_e32 v4, v2
	v_cvt_f64_f32_e32 v[0:1], v2
	v_frexp_exp_i32_f64_e32 v0, v[0:1]
	v_cmp_gt_f32_e32 vcc, s56, v4
	v_cmp_gt_f32_e64 s[2:3], s83, v16
	s_nop 0
	v_subbrev_co_u32_e32 v8, vcc, 0, v0, vcc
	v_sub_u32_e32 v0, 0, v8
	v_ldexp_f32 v1, v2, v0
	v_add_f32_e32 v2, -1.0, v1
	v_add_f32_e32 v4, 1.0, v1
	v_ldexp_f32 v0, v3, v0
	v_add_f32_e32 v3, 1.0, v2
	v_add_f32_e32 v5, -1.0, v4
	v_sub_f32_e32 v3, v1, v3
	v_sub_f32_e32 v1, v1, v5
	v_add_f32_e32 v3, v0, v3
	v_add_f32_e32 v0, v0, v1
	;; [unrolled: 1-line block ×3, first 2 shown]
	v_rcp_f32_e32 v11, v9
	v_sub_f32_e32 v1, v4, v9
	v_add_f32_e32 v10, v0, v1
	v_add_f32_e32 v1, v2, v3
	v_mul_f32_e32 v13, v1, v11
	v_sub_f32_e32 v0, v2, v1
	v_mul_f32_e32 v2, v9, v13
	v_fma_f32 v4, v13, v9, -v2
	v_fmac_f32_e32 v4, v13, v10
	v_add_f32_e32 v12, v3, v0
	v_add_f32_e32 v0, v2, v4
	v_sub_f32_e32 v3, v1, v0
	v_pk_add_f32 v[6:7], v[0:1], v[2:3] neg_lo:[0,1] neg_hi:[0,1]
	v_mov_b32_e32 v5, v0
	v_pk_add_f32 v[0:1], v[6:7], v[4:5] neg_lo:[0,1] neg_hi:[0,1]
	v_cmp_eq_f32_e32 vcc, s1, v16
	v_add_f32_e32 v1, v12, v1
	v_add_f32_e32 v0, v0, v1
	;; [unrolled: 1-line block ×3, first 2 shown]
	v_mul_f32_e32 v12, v11, v1
	v_mul_f32_e32 v2, v9, v12
	v_fma_f32 v4, v12, v9, -v2
	v_fmac_f32_e32 v4, v12, v10
	v_sub_f32_e32 v3, v3, v1
	v_add_f32_e32 v9, v0, v3
	v_add_f32_e32 v0, v2, v4
	v_sub_f32_e32 v3, v1, v0
	v_pk_add_f32 v[6:7], v[0:1], v[2:3] neg_lo:[0,1] neg_hi:[0,1]
	v_mov_b32_e32 v5, v0
	v_pk_add_f32 v[0:1], v[6:7], v[4:5] neg_lo:[0,1] neg_hi:[0,1]
	scratch_load_dwordx2 v[6:7], off, off offset:56 ; 8-byte Folded Reload
	v_add_f32_e32 v1, v9, v1
	v_add_f32_e32 v0, v0, v1
	;; [unrolled: 1-line block ×4, first 2 shown]
	v_sub_f32_e32 v2, v1, v13
	v_mul_f32_e32 v0, v11, v0
	v_sub_f32_e32 v2, v12, v2
	v_add_f32_e32 v2, v2, v0
	v_add_f32_e32 v4, v1, v2
	v_mul_f32_e32 v5, v4, v4
	v_mov_b32_e32 v0, 0x3ecc95a3
	v_fmamk_f32 v0, v5, 0x3e9b6dac, v0
	v_fmaak_f32 v11, v5, v0, 0x3f2aaada
	v_cvt_f32_i32_e32 v0, v8
	v_sub_f32_e32 v1, v4, v1
	v_sub_f32_e32 v1, v2, v1
	v_ldexp_f32 v3, v4, 1
	s_or_b64 vcc, s[2:3], vcc
	s_waitcnt vmcnt(0)
	v_mov_b32_e32 v10, v6
	v_ldexp_f32 v6, v1, 1
	v_mul_f32_e32 v1, v4, v5
	v_mov_b32_e32 v2, v10
	v_pk_mul_f32 v[4:5], v[0:1], v[10:11]
	scratch_store_dwordx2 off, v[2:3], off offset:56 ; 8-byte Folded Spill
	v_fma_f32 v2, v0, s57, -v4
	v_fmac_f32_e32 v2, 0xb102e308, v0
	v_pk_add_f32 v[0:1], v[4:5], v[2:3]
	s_nop 0
	v_sub_f32_e32 v3, v1, v3
	v_sub_f32_e32 v3, v5, v3
	v_add_f32_e32 v7, v6, v3
	v_mov_b32_e32 v6, v4
	v_pk_add_f32 v[4:5], v[0:1], v[4:5] neg_lo:[0,1] neg_hi:[0,1]
	v_pk_add_f32 v[8:9], v[0:1], v[6:7]
	v_mov_b32_e32 v3, v0
	v_mov_b32_e32 v5, v9
	v_pk_add_f32 v[10:11], v[2:3], v[4:5] neg_lo:[0,1] neg_hi:[0,1]
	v_pk_add_f32 v[2:3], v[2:3], v[4:5]
	v_mov_b32_e32 v6, v7
	v_mov_b32_e32 v4, v3
	v_pk_add_f32 v[12:13], v[4:5], v[0:1] neg_lo:[0,1] neg_hi:[0,1]
	v_mov_b32_e32 v2, v9
	v_mov_b32_e32 v5, v12
	v_pk_add_f32 v[14:15], v[8:9], v[4:5] neg_lo:[0,1] neg_hi:[0,1]
	v_mov_b32_e32 v8, v1
	v_mov_b32_e32 v9, v12
	;; [unrolled: 1-line block ×3, first 2 shown]
	v_pk_add_f32 v[2:3], v[2:3], v[8:9] neg_lo:[0,1] neg_hi:[0,1]
	v_mov_b32_e32 v7, v0
	v_pk_add_f32 v[0:1], v[6:7], v[2:3] neg_lo:[0,1] neg_hi:[0,1]
	v_mov_b32_e32 v14, v10
	v_pk_add_f32 v[2:3], v[14:15], v[0:1]
	s_nop 0
	v_mov_b32_e32 v6, v3
	v_pk_add_f32 v[6:7], v[2:3], v[6:7]
	s_nop 0
	v_pk_add_f32 v[4:5], v[4:5], v[6:7]
	v_mov_b32_e32 v1, v6
	v_mov_b32_e32 v3, v4
	v_pk_add_f32 v[8:9], v[2:3], v[10:11] neg_lo:[0,1] neg_hi:[0,1]
	s_nop 0
	v_sub_f32_e32 v2, v2, v8
	v_pk_add_f32 v[0:1], v[0:1], v[8:9] neg_lo:[0,1] neg_hi:[0,1]
	v_sub_f32_e32 v2, v10, v2
	v_add_f32_e32 v0, v0, v2
	v_add_f32_e32 v0, v0, v1
	v_add_f32_e32 v0, v4, v0
	v_cndmask_b32_e32 v86, v0, v16, vcc
.LBB83_39:                              ;   in Loop: Header=BB83_13 Depth=1
	s_or_b64 exec, exec, s[22:23]
	v_cvt_f32_f16_sdwa v0, v18 dst_sel:DWORD dst_unused:UNUSED_PAD src0_sel:WORD_1
	v_add_f32_e32 v87, s33, v0
	v_cmp_ge_f32_e32 vcc, s82, v87
	s_and_b64 s[2:3], s[80:81], vcc
	s_and_saveexec_b64 s[22:23], s[2:3]
	s_cbranch_execz .LBB83_41
; %bb.40:                               ;   in Loop: Header=BB83_13 Depth=1
	v_mul_f32_e32 v0, 0x3fb8aa3b, v87
	v_rndne_f32_e32 v1, v0
	s_mov_b32 s1, 0x3fb8aa3b
	v_sub_f32_e32 v2, v0, v1
	v_fma_f32 v0, v87, s1, -v0
	v_fmac_f32_e32 v0, 0x32a5705f, v87
	v_add_f32_e32 v0, v2, v0
	v_cvt_i32_f32_e32 v1, v1
	v_exp_f32_e32 v0, v0
	s_mov_b32 s1, 0xc2ce8ed0
	v_cmp_ngt_f32_e32 vcc, s1, v87
	s_mov_b32 s1, 0x42b17218
	v_ldexp_f32 v0, v0, v1
	v_cndmask_b32_e32 v0, 0, v0, vcc
	v_cmp_nlt_f32_e32 vcc, s1, v87
	v_mov_b32_e32 v1, 0x7f800000
	s_mov_b32 s1, 0x7f800000
	v_cndmask_b32_e32 v16, v1, v0, vcc
	v_add_f32_e32 v2, 1.0, v16
	v_add_f32_e32 v0, -1.0, v2
	v_sub_f32_e32 v1, v0, v2
	v_add_f32_e32 v1, 1.0, v1
	v_sub_f32_e32 v0, v16, v0
	v_add_f32_e32 v3, v0, v1
	v_frexp_mant_f32_e32 v4, v2
	v_cvt_f64_f32_e32 v[0:1], v2
	v_frexp_exp_i32_f64_e32 v0, v[0:1]
	v_cmp_gt_f32_e32 vcc, s56, v4
	v_cmp_gt_f32_e64 s[2:3], s83, v16
	s_nop 0
	v_subbrev_co_u32_e32 v8, vcc, 0, v0, vcc
	v_sub_u32_e32 v0, 0, v8
	v_ldexp_f32 v1, v2, v0
	v_add_f32_e32 v2, -1.0, v1
	v_add_f32_e32 v4, 1.0, v1
	v_ldexp_f32 v0, v3, v0
	v_add_f32_e32 v3, 1.0, v2
	v_add_f32_e32 v5, -1.0, v4
	v_sub_f32_e32 v3, v1, v3
	v_sub_f32_e32 v1, v1, v5
	v_add_f32_e32 v3, v0, v3
	v_add_f32_e32 v0, v0, v1
	;; [unrolled: 1-line block ×3, first 2 shown]
	v_rcp_f32_e32 v11, v9
	v_sub_f32_e32 v1, v4, v9
	v_add_f32_e32 v10, v0, v1
	v_add_f32_e32 v1, v2, v3
	v_mul_f32_e32 v13, v1, v11
	v_sub_f32_e32 v0, v2, v1
	v_mul_f32_e32 v2, v9, v13
	v_fma_f32 v4, v13, v9, -v2
	v_fmac_f32_e32 v4, v13, v10
	v_add_f32_e32 v12, v3, v0
	v_add_f32_e32 v0, v2, v4
	v_sub_f32_e32 v3, v1, v0
	v_pk_add_f32 v[6:7], v[0:1], v[2:3] neg_lo:[0,1] neg_hi:[0,1]
	v_mov_b32_e32 v5, v0
	v_pk_add_f32 v[0:1], v[6:7], v[4:5] neg_lo:[0,1] neg_hi:[0,1]
	v_cmp_eq_f32_e32 vcc, s1, v16
	v_add_f32_e32 v1, v12, v1
	v_add_f32_e32 v0, v0, v1
	;; [unrolled: 1-line block ×3, first 2 shown]
	v_mul_f32_e32 v12, v11, v1
	v_mul_f32_e32 v2, v9, v12
	v_fma_f32 v4, v12, v9, -v2
	v_fmac_f32_e32 v4, v12, v10
	v_sub_f32_e32 v3, v3, v1
	v_add_f32_e32 v9, v0, v3
	v_add_f32_e32 v0, v2, v4
	v_sub_f32_e32 v3, v1, v0
	v_pk_add_f32 v[6:7], v[0:1], v[2:3] neg_lo:[0,1] neg_hi:[0,1]
	v_mov_b32_e32 v5, v0
	v_pk_add_f32 v[0:1], v[6:7], v[4:5] neg_lo:[0,1] neg_hi:[0,1]
	scratch_load_dwordx2 v[6:7], off, off offset:56 ; 8-byte Folded Reload
	v_add_f32_e32 v1, v9, v1
	v_add_f32_e32 v0, v0, v1
	;; [unrolled: 1-line block ×4, first 2 shown]
	v_sub_f32_e32 v2, v1, v13
	v_mul_f32_e32 v0, v11, v0
	v_sub_f32_e32 v2, v12, v2
	v_add_f32_e32 v2, v2, v0
	v_add_f32_e32 v4, v1, v2
	v_mul_f32_e32 v5, v4, v4
	v_mov_b32_e32 v0, 0x3ecc95a3
	v_fmamk_f32 v0, v5, 0x3e9b6dac, v0
	v_fmaak_f32 v11, v5, v0, 0x3f2aaada
	v_cvt_f32_i32_e32 v0, v8
	v_sub_f32_e32 v1, v4, v1
	v_sub_f32_e32 v1, v2, v1
	v_ldexp_f32 v3, v4, 1
	s_or_b64 vcc, s[2:3], vcc
	s_waitcnt vmcnt(0)
	v_mov_b32_e32 v10, v6
	v_ldexp_f32 v6, v1, 1
	v_mul_f32_e32 v1, v4, v5
	v_mov_b32_e32 v2, v10
	v_pk_mul_f32 v[4:5], v[0:1], v[10:11]
	scratch_store_dwordx2 off, v[2:3], off offset:56 ; 8-byte Folded Spill
	v_fma_f32 v2, v0, s57, -v4
	v_fmac_f32_e32 v2, 0xb102e308, v0
	v_pk_add_f32 v[0:1], v[4:5], v[2:3]
	s_nop 0
	v_sub_f32_e32 v3, v1, v3
	v_sub_f32_e32 v3, v5, v3
	v_add_f32_e32 v7, v6, v3
	v_mov_b32_e32 v6, v4
	v_pk_add_f32 v[4:5], v[0:1], v[4:5] neg_lo:[0,1] neg_hi:[0,1]
	v_pk_add_f32 v[8:9], v[0:1], v[6:7]
	v_mov_b32_e32 v3, v0
	v_mov_b32_e32 v5, v9
	v_pk_add_f32 v[10:11], v[2:3], v[4:5] neg_lo:[0,1] neg_hi:[0,1]
	v_pk_add_f32 v[2:3], v[2:3], v[4:5]
	v_mov_b32_e32 v6, v7
	v_mov_b32_e32 v4, v3
	v_pk_add_f32 v[12:13], v[4:5], v[0:1] neg_lo:[0,1] neg_hi:[0,1]
	v_mov_b32_e32 v2, v9
	v_mov_b32_e32 v5, v12
	v_pk_add_f32 v[14:15], v[8:9], v[4:5] neg_lo:[0,1] neg_hi:[0,1]
	v_mov_b32_e32 v8, v1
	v_mov_b32_e32 v9, v12
	;; [unrolled: 1-line block ×3, first 2 shown]
	v_pk_add_f32 v[2:3], v[2:3], v[8:9] neg_lo:[0,1] neg_hi:[0,1]
	v_mov_b32_e32 v7, v0
	v_pk_add_f32 v[0:1], v[6:7], v[2:3] neg_lo:[0,1] neg_hi:[0,1]
	v_mov_b32_e32 v14, v10
	v_pk_add_f32 v[2:3], v[14:15], v[0:1]
	s_nop 0
	v_mov_b32_e32 v6, v3
	v_pk_add_f32 v[6:7], v[2:3], v[6:7]
	s_nop 0
	v_pk_add_f32 v[4:5], v[4:5], v[6:7]
	v_mov_b32_e32 v1, v6
	v_mov_b32_e32 v3, v4
	v_pk_add_f32 v[8:9], v[2:3], v[10:11] neg_lo:[0,1] neg_hi:[0,1]
	s_nop 0
	v_sub_f32_e32 v2, v2, v8
	v_pk_add_f32 v[0:1], v[0:1], v[8:9] neg_lo:[0,1] neg_hi:[0,1]
	v_sub_f32_e32 v2, v10, v2
	v_add_f32_e32 v0, v0, v2
	v_add_f32_e32 v0, v0, v1
	;; [unrolled: 1-line block ×3, first 2 shown]
	v_cndmask_b32_e32 v87, v0, v16, vcc
.LBB83_41:                              ;   in Loop: Header=BB83_13 Depth=1
	s_or_b64 exec, exec, s[22:23]
	v_cvt_f32_f16_e32 v0, v19
	v_add_f32_e32 v88, s33, v0
	v_cmp_ge_f32_e32 vcc, s82, v88
	s_and_b64 s[2:3], s[80:81], vcc
	s_and_saveexec_b64 s[22:23], s[2:3]
	s_cbranch_execz .LBB83_43
; %bb.42:                               ;   in Loop: Header=BB83_13 Depth=1
	v_mul_f32_e32 v0, 0x3fb8aa3b, v88
	v_rndne_f32_e32 v1, v0
	s_mov_b32 s1, 0x3fb8aa3b
	v_sub_f32_e32 v2, v0, v1
	v_fma_f32 v0, v88, s1, -v0
	v_fmac_f32_e32 v0, 0x32a5705f, v88
	v_add_f32_e32 v0, v2, v0
	v_cvt_i32_f32_e32 v1, v1
	v_exp_f32_e32 v0, v0
	s_mov_b32 s1, 0xc2ce8ed0
	v_cmp_ngt_f32_e32 vcc, s1, v88
	s_mov_b32 s1, 0x42b17218
	v_ldexp_f32 v0, v0, v1
	v_cndmask_b32_e32 v0, 0, v0, vcc
	v_cmp_nlt_f32_e32 vcc, s1, v88
	v_mov_b32_e32 v1, 0x7f800000
	s_mov_b32 s1, 0x7f800000
	v_cndmask_b32_e32 v16, v1, v0, vcc
	v_add_f32_e32 v2, 1.0, v16
	v_add_f32_e32 v0, -1.0, v2
	v_sub_f32_e32 v1, v0, v2
	v_add_f32_e32 v1, 1.0, v1
	v_sub_f32_e32 v0, v16, v0
	v_add_f32_e32 v3, v0, v1
	v_frexp_mant_f32_e32 v4, v2
	v_cvt_f64_f32_e32 v[0:1], v2
	v_frexp_exp_i32_f64_e32 v0, v[0:1]
	v_cmp_gt_f32_e32 vcc, s56, v4
	v_cmp_gt_f32_e64 s[2:3], s83, v16
	s_nop 0
	v_subbrev_co_u32_e32 v8, vcc, 0, v0, vcc
	v_sub_u32_e32 v0, 0, v8
	v_ldexp_f32 v1, v2, v0
	v_add_f32_e32 v2, -1.0, v1
	v_add_f32_e32 v4, 1.0, v1
	v_ldexp_f32 v0, v3, v0
	v_add_f32_e32 v3, 1.0, v2
	v_add_f32_e32 v5, -1.0, v4
	v_sub_f32_e32 v3, v1, v3
	v_sub_f32_e32 v1, v1, v5
	v_add_f32_e32 v3, v0, v3
	v_add_f32_e32 v0, v0, v1
	;; [unrolled: 1-line block ×3, first 2 shown]
	v_rcp_f32_e32 v11, v9
	v_sub_f32_e32 v1, v4, v9
	v_add_f32_e32 v10, v0, v1
	v_add_f32_e32 v1, v2, v3
	v_mul_f32_e32 v13, v1, v11
	v_sub_f32_e32 v0, v2, v1
	v_mul_f32_e32 v2, v9, v13
	v_fma_f32 v4, v13, v9, -v2
	v_fmac_f32_e32 v4, v13, v10
	v_add_f32_e32 v12, v3, v0
	v_add_f32_e32 v0, v2, v4
	v_sub_f32_e32 v3, v1, v0
	v_pk_add_f32 v[6:7], v[0:1], v[2:3] neg_lo:[0,1] neg_hi:[0,1]
	v_mov_b32_e32 v5, v0
	v_pk_add_f32 v[0:1], v[6:7], v[4:5] neg_lo:[0,1] neg_hi:[0,1]
	v_cmp_eq_f32_e32 vcc, s1, v16
	v_add_f32_e32 v1, v12, v1
	v_add_f32_e32 v0, v0, v1
	v_add_f32_e32 v1, v3, v0
	v_mul_f32_e32 v12, v11, v1
	v_mul_f32_e32 v2, v9, v12
	v_fma_f32 v4, v12, v9, -v2
	v_fmac_f32_e32 v4, v12, v10
	v_sub_f32_e32 v3, v3, v1
	v_add_f32_e32 v9, v0, v3
	v_add_f32_e32 v0, v2, v4
	v_sub_f32_e32 v3, v1, v0
	v_pk_add_f32 v[6:7], v[0:1], v[2:3] neg_lo:[0,1] neg_hi:[0,1]
	v_mov_b32_e32 v5, v0
	v_pk_add_f32 v[0:1], v[6:7], v[4:5] neg_lo:[0,1] neg_hi:[0,1]
	scratch_load_dwordx2 v[6:7], off, off offset:56 ; 8-byte Folded Reload
	v_add_f32_e32 v1, v9, v1
	v_add_f32_e32 v0, v0, v1
	;; [unrolled: 1-line block ×4, first 2 shown]
	v_sub_f32_e32 v2, v1, v13
	v_mul_f32_e32 v0, v11, v0
	v_sub_f32_e32 v2, v12, v2
	v_add_f32_e32 v2, v2, v0
	v_add_f32_e32 v4, v1, v2
	v_mul_f32_e32 v5, v4, v4
	v_mov_b32_e32 v0, 0x3ecc95a3
	v_fmamk_f32 v0, v5, 0x3e9b6dac, v0
	v_fmaak_f32 v11, v5, v0, 0x3f2aaada
	v_cvt_f32_i32_e32 v0, v8
	v_sub_f32_e32 v1, v4, v1
	v_sub_f32_e32 v1, v2, v1
	v_ldexp_f32 v3, v4, 1
	s_or_b64 vcc, s[2:3], vcc
	s_waitcnt vmcnt(0)
	v_mov_b32_e32 v10, v6
	v_ldexp_f32 v6, v1, 1
	v_mul_f32_e32 v1, v4, v5
	v_mov_b32_e32 v2, v10
	v_pk_mul_f32 v[4:5], v[0:1], v[10:11]
	scratch_store_dwordx2 off, v[2:3], off offset:56 ; 8-byte Folded Spill
	v_fma_f32 v2, v0, s57, -v4
	v_fmac_f32_e32 v2, 0xb102e308, v0
	v_pk_add_f32 v[0:1], v[4:5], v[2:3]
	s_nop 0
	v_sub_f32_e32 v3, v1, v3
	v_sub_f32_e32 v3, v5, v3
	v_add_f32_e32 v7, v6, v3
	v_mov_b32_e32 v6, v4
	v_pk_add_f32 v[4:5], v[0:1], v[4:5] neg_lo:[0,1] neg_hi:[0,1]
	v_pk_add_f32 v[8:9], v[0:1], v[6:7]
	v_mov_b32_e32 v3, v0
	v_mov_b32_e32 v5, v9
	v_pk_add_f32 v[10:11], v[2:3], v[4:5] neg_lo:[0,1] neg_hi:[0,1]
	v_pk_add_f32 v[2:3], v[2:3], v[4:5]
	v_mov_b32_e32 v6, v7
	v_mov_b32_e32 v4, v3
	v_pk_add_f32 v[12:13], v[4:5], v[0:1] neg_lo:[0,1] neg_hi:[0,1]
	v_mov_b32_e32 v2, v9
	v_mov_b32_e32 v5, v12
	v_pk_add_f32 v[14:15], v[8:9], v[4:5] neg_lo:[0,1] neg_hi:[0,1]
	v_mov_b32_e32 v8, v1
	v_mov_b32_e32 v9, v12
	;; [unrolled: 1-line block ×3, first 2 shown]
	v_pk_add_f32 v[2:3], v[2:3], v[8:9] neg_lo:[0,1] neg_hi:[0,1]
	v_mov_b32_e32 v7, v0
	v_pk_add_f32 v[0:1], v[6:7], v[2:3] neg_lo:[0,1] neg_hi:[0,1]
	v_mov_b32_e32 v14, v10
	v_pk_add_f32 v[2:3], v[14:15], v[0:1]
	s_nop 0
	v_mov_b32_e32 v6, v3
	v_pk_add_f32 v[6:7], v[2:3], v[6:7]
	s_nop 0
	v_pk_add_f32 v[4:5], v[4:5], v[6:7]
	v_mov_b32_e32 v1, v6
	v_mov_b32_e32 v3, v4
	v_pk_add_f32 v[8:9], v[2:3], v[10:11] neg_lo:[0,1] neg_hi:[0,1]
	s_nop 0
	v_sub_f32_e32 v2, v2, v8
	v_pk_add_f32 v[0:1], v[0:1], v[8:9] neg_lo:[0,1] neg_hi:[0,1]
	v_sub_f32_e32 v2, v10, v2
	v_add_f32_e32 v0, v0, v2
	v_add_f32_e32 v0, v0, v1
	;; [unrolled: 1-line block ×3, first 2 shown]
	v_cndmask_b32_e32 v88, v0, v16, vcc
.LBB83_43:                              ;   in Loop: Header=BB83_13 Depth=1
	s_or_b64 exec, exec, s[22:23]
	v_cvt_f32_f16_sdwa v0, v19 dst_sel:DWORD dst_unused:UNUSED_PAD src0_sel:WORD_1
	v_add_f32_e32 v89, s33, v0
	v_cmp_ge_f32_e32 vcc, s82, v89
	s_and_b64 s[2:3], s[80:81], vcc
	s_and_saveexec_b64 s[22:23], s[2:3]
	s_cbranch_execz .LBB83_45
; %bb.44:                               ;   in Loop: Header=BB83_13 Depth=1
	v_mul_f32_e32 v0, 0x3fb8aa3b, v89
	v_rndne_f32_e32 v1, v0
	s_mov_b32 s1, 0x3fb8aa3b
	v_sub_f32_e32 v2, v0, v1
	v_fma_f32 v0, v89, s1, -v0
	v_fmac_f32_e32 v0, 0x32a5705f, v89
	v_add_f32_e32 v0, v2, v0
	v_cvt_i32_f32_e32 v1, v1
	v_exp_f32_e32 v0, v0
	s_mov_b32 s1, 0xc2ce8ed0
	v_cmp_ngt_f32_e32 vcc, s1, v89
	s_mov_b32 s1, 0x42b17218
	v_ldexp_f32 v0, v0, v1
	v_cndmask_b32_e32 v0, 0, v0, vcc
	v_cmp_nlt_f32_e32 vcc, s1, v89
	v_mov_b32_e32 v1, 0x7f800000
	s_mov_b32 s1, 0x7f800000
	v_cndmask_b32_e32 v16, v1, v0, vcc
	v_add_f32_e32 v2, 1.0, v16
	v_add_f32_e32 v0, -1.0, v2
	v_sub_f32_e32 v1, v0, v2
	v_add_f32_e32 v1, 1.0, v1
	v_sub_f32_e32 v0, v16, v0
	v_add_f32_e32 v3, v0, v1
	v_frexp_mant_f32_e32 v4, v2
	v_cvt_f64_f32_e32 v[0:1], v2
	v_frexp_exp_i32_f64_e32 v0, v[0:1]
	v_cmp_gt_f32_e32 vcc, s56, v4
	v_cmp_gt_f32_e64 s[2:3], s83, v16
	s_nop 0
	v_subbrev_co_u32_e32 v8, vcc, 0, v0, vcc
	v_sub_u32_e32 v0, 0, v8
	v_ldexp_f32 v1, v2, v0
	v_add_f32_e32 v2, -1.0, v1
	v_add_f32_e32 v4, 1.0, v1
	v_ldexp_f32 v0, v3, v0
	v_add_f32_e32 v3, 1.0, v2
	v_add_f32_e32 v5, -1.0, v4
	v_sub_f32_e32 v3, v1, v3
	v_sub_f32_e32 v1, v1, v5
	v_add_f32_e32 v3, v0, v3
	v_add_f32_e32 v0, v0, v1
	;; [unrolled: 1-line block ×3, first 2 shown]
	v_rcp_f32_e32 v11, v9
	v_sub_f32_e32 v1, v4, v9
	v_add_f32_e32 v10, v0, v1
	v_add_f32_e32 v1, v2, v3
	v_mul_f32_e32 v13, v1, v11
	v_sub_f32_e32 v0, v2, v1
	v_mul_f32_e32 v2, v9, v13
	v_fma_f32 v4, v13, v9, -v2
	v_fmac_f32_e32 v4, v13, v10
	v_add_f32_e32 v12, v3, v0
	v_add_f32_e32 v0, v2, v4
	v_sub_f32_e32 v3, v1, v0
	v_pk_add_f32 v[6:7], v[0:1], v[2:3] neg_lo:[0,1] neg_hi:[0,1]
	v_mov_b32_e32 v5, v0
	v_pk_add_f32 v[0:1], v[6:7], v[4:5] neg_lo:[0,1] neg_hi:[0,1]
	v_cmp_eq_f32_e32 vcc, s1, v16
	v_add_f32_e32 v1, v12, v1
	v_add_f32_e32 v0, v0, v1
	;; [unrolled: 1-line block ×3, first 2 shown]
	v_mul_f32_e32 v12, v11, v1
	v_mul_f32_e32 v2, v9, v12
	v_fma_f32 v4, v12, v9, -v2
	v_fmac_f32_e32 v4, v12, v10
	v_sub_f32_e32 v3, v3, v1
	v_add_f32_e32 v9, v0, v3
	v_add_f32_e32 v0, v2, v4
	v_sub_f32_e32 v3, v1, v0
	v_pk_add_f32 v[6:7], v[0:1], v[2:3] neg_lo:[0,1] neg_hi:[0,1]
	v_mov_b32_e32 v5, v0
	v_pk_add_f32 v[0:1], v[6:7], v[4:5] neg_lo:[0,1] neg_hi:[0,1]
	scratch_load_dwordx2 v[6:7], off, off offset:56 ; 8-byte Folded Reload
	v_add_f32_e32 v1, v9, v1
	v_add_f32_e32 v0, v0, v1
	;; [unrolled: 1-line block ×4, first 2 shown]
	v_sub_f32_e32 v2, v1, v13
	v_mul_f32_e32 v0, v11, v0
	v_sub_f32_e32 v2, v12, v2
	v_add_f32_e32 v2, v2, v0
	v_add_f32_e32 v4, v1, v2
	v_mul_f32_e32 v5, v4, v4
	v_mov_b32_e32 v0, 0x3ecc95a3
	v_fmamk_f32 v0, v5, 0x3e9b6dac, v0
	v_fmaak_f32 v11, v5, v0, 0x3f2aaada
	v_cvt_f32_i32_e32 v0, v8
	v_sub_f32_e32 v1, v4, v1
	v_sub_f32_e32 v1, v2, v1
	v_ldexp_f32 v3, v4, 1
	s_or_b64 vcc, s[2:3], vcc
	s_waitcnt vmcnt(0)
	v_mov_b32_e32 v10, v6
	v_ldexp_f32 v6, v1, 1
	v_mul_f32_e32 v1, v4, v5
	v_mov_b32_e32 v2, v10
	v_pk_mul_f32 v[4:5], v[0:1], v[10:11]
	scratch_store_dwordx2 off, v[2:3], off offset:56 ; 8-byte Folded Spill
	v_fma_f32 v2, v0, s57, -v4
	v_fmac_f32_e32 v2, 0xb102e308, v0
	v_pk_add_f32 v[0:1], v[4:5], v[2:3]
	s_nop 0
	v_sub_f32_e32 v3, v1, v3
	v_sub_f32_e32 v3, v5, v3
	v_add_f32_e32 v7, v6, v3
	v_mov_b32_e32 v6, v4
	v_pk_add_f32 v[4:5], v[0:1], v[4:5] neg_lo:[0,1] neg_hi:[0,1]
	v_pk_add_f32 v[8:9], v[0:1], v[6:7]
	v_mov_b32_e32 v3, v0
	v_mov_b32_e32 v5, v9
	v_pk_add_f32 v[10:11], v[2:3], v[4:5] neg_lo:[0,1] neg_hi:[0,1]
	v_pk_add_f32 v[2:3], v[2:3], v[4:5]
	v_mov_b32_e32 v6, v7
	v_mov_b32_e32 v4, v3
	v_pk_add_f32 v[12:13], v[4:5], v[0:1] neg_lo:[0,1] neg_hi:[0,1]
	v_mov_b32_e32 v2, v9
	v_mov_b32_e32 v5, v12
	v_pk_add_f32 v[14:15], v[8:9], v[4:5] neg_lo:[0,1] neg_hi:[0,1]
	v_mov_b32_e32 v8, v1
	v_mov_b32_e32 v9, v12
	;; [unrolled: 1-line block ×3, first 2 shown]
	v_pk_add_f32 v[2:3], v[2:3], v[8:9] neg_lo:[0,1] neg_hi:[0,1]
	v_mov_b32_e32 v7, v0
	v_pk_add_f32 v[0:1], v[6:7], v[2:3] neg_lo:[0,1] neg_hi:[0,1]
	v_mov_b32_e32 v14, v10
	v_pk_add_f32 v[2:3], v[14:15], v[0:1]
	s_nop 0
	v_mov_b32_e32 v6, v3
	v_pk_add_f32 v[6:7], v[2:3], v[6:7]
	s_nop 0
	v_pk_add_f32 v[4:5], v[4:5], v[6:7]
	v_mov_b32_e32 v1, v6
	v_mov_b32_e32 v3, v4
	v_pk_add_f32 v[8:9], v[2:3], v[10:11] neg_lo:[0,1] neg_hi:[0,1]
	s_nop 0
	v_sub_f32_e32 v2, v2, v8
	v_pk_add_f32 v[0:1], v[0:1], v[8:9] neg_lo:[0,1] neg_hi:[0,1]
	v_sub_f32_e32 v2, v10, v2
	v_add_f32_e32 v0, v0, v2
	v_add_f32_e32 v0, v0, v1
	v_add_f32_e32 v0, v4, v0
	v_cndmask_b32_e32 v89, v0, v16, vcc
.LBB83_45:                              ;   in Loop: Header=BB83_13 Depth=1
	s_or_b64 exec, exec, s[22:23]
	v_cvt_f32_f16_e32 v0, v20
	v_add_f32_e32 v90, s33, v0
	v_cmp_ge_f32_e32 vcc, s82, v90
	s_and_b64 s[2:3], s[80:81], vcc
	s_and_saveexec_b64 s[22:23], s[2:3]
	s_cbranch_execz .LBB83_47
; %bb.46:                               ;   in Loop: Header=BB83_13 Depth=1
	v_mul_f32_e32 v0, 0x3fb8aa3b, v90
	v_rndne_f32_e32 v1, v0
	s_mov_b32 s1, 0x3fb8aa3b
	v_sub_f32_e32 v2, v0, v1
	v_fma_f32 v0, v90, s1, -v0
	v_fmac_f32_e32 v0, 0x32a5705f, v90
	v_add_f32_e32 v0, v2, v0
	v_cvt_i32_f32_e32 v1, v1
	v_exp_f32_e32 v0, v0
	s_mov_b32 s1, 0xc2ce8ed0
	v_cmp_ngt_f32_e32 vcc, s1, v90
	s_mov_b32 s1, 0x42b17218
	v_ldexp_f32 v0, v0, v1
	v_cndmask_b32_e32 v0, 0, v0, vcc
	v_cmp_nlt_f32_e32 vcc, s1, v90
	v_mov_b32_e32 v1, 0x7f800000
	s_mov_b32 s1, 0x7f800000
	v_cndmask_b32_e32 v16, v1, v0, vcc
	v_add_f32_e32 v2, 1.0, v16
	v_add_f32_e32 v0, -1.0, v2
	v_sub_f32_e32 v1, v0, v2
	v_add_f32_e32 v1, 1.0, v1
	v_sub_f32_e32 v0, v16, v0
	v_add_f32_e32 v3, v0, v1
	v_frexp_mant_f32_e32 v4, v2
	v_cvt_f64_f32_e32 v[0:1], v2
	v_frexp_exp_i32_f64_e32 v0, v[0:1]
	v_cmp_gt_f32_e32 vcc, s56, v4
	v_cmp_gt_f32_e64 s[2:3], s83, v16
	s_nop 0
	v_subbrev_co_u32_e32 v8, vcc, 0, v0, vcc
	v_sub_u32_e32 v0, 0, v8
	v_ldexp_f32 v1, v2, v0
	v_add_f32_e32 v2, -1.0, v1
	v_add_f32_e32 v4, 1.0, v1
	v_ldexp_f32 v0, v3, v0
	v_add_f32_e32 v3, 1.0, v2
	v_add_f32_e32 v5, -1.0, v4
	v_sub_f32_e32 v3, v1, v3
	v_sub_f32_e32 v1, v1, v5
	v_add_f32_e32 v3, v0, v3
	v_add_f32_e32 v0, v0, v1
	;; [unrolled: 1-line block ×3, first 2 shown]
	v_rcp_f32_e32 v11, v9
	v_sub_f32_e32 v1, v4, v9
	v_add_f32_e32 v10, v0, v1
	v_add_f32_e32 v1, v2, v3
	v_mul_f32_e32 v13, v1, v11
	v_sub_f32_e32 v0, v2, v1
	v_mul_f32_e32 v2, v9, v13
	v_fma_f32 v4, v13, v9, -v2
	v_fmac_f32_e32 v4, v13, v10
	v_add_f32_e32 v12, v3, v0
	v_add_f32_e32 v0, v2, v4
	v_sub_f32_e32 v3, v1, v0
	v_pk_add_f32 v[6:7], v[0:1], v[2:3] neg_lo:[0,1] neg_hi:[0,1]
	v_mov_b32_e32 v5, v0
	v_pk_add_f32 v[0:1], v[6:7], v[4:5] neg_lo:[0,1] neg_hi:[0,1]
	v_cmp_eq_f32_e32 vcc, s1, v16
	v_add_f32_e32 v1, v12, v1
	v_add_f32_e32 v0, v0, v1
	;; [unrolled: 1-line block ×3, first 2 shown]
	v_mul_f32_e32 v12, v11, v1
	v_mul_f32_e32 v2, v9, v12
	v_fma_f32 v4, v12, v9, -v2
	v_fmac_f32_e32 v4, v12, v10
	v_sub_f32_e32 v3, v3, v1
	v_add_f32_e32 v9, v0, v3
	v_add_f32_e32 v0, v2, v4
	v_sub_f32_e32 v3, v1, v0
	v_pk_add_f32 v[6:7], v[0:1], v[2:3] neg_lo:[0,1] neg_hi:[0,1]
	v_mov_b32_e32 v5, v0
	v_pk_add_f32 v[0:1], v[6:7], v[4:5] neg_lo:[0,1] neg_hi:[0,1]
	scratch_load_dwordx2 v[6:7], off, off offset:56 ; 8-byte Folded Reload
	v_add_f32_e32 v1, v9, v1
	v_add_f32_e32 v0, v0, v1
	;; [unrolled: 1-line block ×4, first 2 shown]
	v_sub_f32_e32 v2, v1, v13
	v_mul_f32_e32 v0, v11, v0
	v_sub_f32_e32 v2, v12, v2
	v_add_f32_e32 v2, v2, v0
	v_add_f32_e32 v4, v1, v2
	v_mul_f32_e32 v5, v4, v4
	v_mov_b32_e32 v0, 0x3ecc95a3
	v_fmamk_f32 v0, v5, 0x3e9b6dac, v0
	v_fmaak_f32 v11, v5, v0, 0x3f2aaada
	v_cvt_f32_i32_e32 v0, v8
	v_sub_f32_e32 v1, v4, v1
	v_sub_f32_e32 v1, v2, v1
	v_ldexp_f32 v3, v4, 1
	s_or_b64 vcc, s[2:3], vcc
	s_waitcnt vmcnt(0)
	v_mov_b32_e32 v10, v6
	v_ldexp_f32 v6, v1, 1
	v_mul_f32_e32 v1, v4, v5
	v_mov_b32_e32 v2, v10
	v_pk_mul_f32 v[4:5], v[0:1], v[10:11]
	scratch_store_dwordx2 off, v[2:3], off offset:56 ; 8-byte Folded Spill
	v_fma_f32 v2, v0, s57, -v4
	v_fmac_f32_e32 v2, 0xb102e308, v0
	v_pk_add_f32 v[0:1], v[4:5], v[2:3]
	s_nop 0
	v_sub_f32_e32 v3, v1, v3
	v_sub_f32_e32 v3, v5, v3
	v_add_f32_e32 v7, v6, v3
	v_mov_b32_e32 v6, v4
	v_pk_add_f32 v[4:5], v[0:1], v[4:5] neg_lo:[0,1] neg_hi:[0,1]
	v_pk_add_f32 v[8:9], v[0:1], v[6:7]
	v_mov_b32_e32 v3, v0
	v_mov_b32_e32 v5, v9
	v_pk_add_f32 v[10:11], v[2:3], v[4:5] neg_lo:[0,1] neg_hi:[0,1]
	v_pk_add_f32 v[2:3], v[2:3], v[4:5]
	v_mov_b32_e32 v6, v7
	v_mov_b32_e32 v4, v3
	v_pk_add_f32 v[12:13], v[4:5], v[0:1] neg_lo:[0,1] neg_hi:[0,1]
	v_mov_b32_e32 v2, v9
	v_mov_b32_e32 v5, v12
	v_pk_add_f32 v[14:15], v[8:9], v[4:5] neg_lo:[0,1] neg_hi:[0,1]
	v_mov_b32_e32 v8, v1
	v_mov_b32_e32 v9, v12
	;; [unrolled: 1-line block ×3, first 2 shown]
	v_pk_add_f32 v[2:3], v[2:3], v[8:9] neg_lo:[0,1] neg_hi:[0,1]
	v_mov_b32_e32 v7, v0
	v_pk_add_f32 v[0:1], v[6:7], v[2:3] neg_lo:[0,1] neg_hi:[0,1]
	v_mov_b32_e32 v14, v10
	v_pk_add_f32 v[2:3], v[14:15], v[0:1]
	s_nop 0
	v_mov_b32_e32 v6, v3
	v_pk_add_f32 v[6:7], v[2:3], v[6:7]
	s_nop 0
	v_pk_add_f32 v[4:5], v[4:5], v[6:7]
	v_mov_b32_e32 v1, v6
	v_mov_b32_e32 v3, v4
	v_pk_add_f32 v[8:9], v[2:3], v[10:11] neg_lo:[0,1] neg_hi:[0,1]
	s_nop 0
	v_sub_f32_e32 v2, v2, v8
	v_pk_add_f32 v[0:1], v[0:1], v[8:9] neg_lo:[0,1] neg_hi:[0,1]
	v_sub_f32_e32 v2, v10, v2
	v_add_f32_e32 v0, v0, v2
	v_add_f32_e32 v0, v0, v1
	;; [unrolled: 1-line block ×3, first 2 shown]
	v_cndmask_b32_e32 v90, v0, v16, vcc
.LBB83_47:                              ;   in Loop: Header=BB83_13 Depth=1
	s_or_b64 exec, exec, s[22:23]
	v_cvt_f32_f16_sdwa v0, v20 dst_sel:DWORD dst_unused:UNUSED_PAD src0_sel:WORD_1
	v_add_f32_e32 v91, s33, v0
	v_cmp_ge_f32_e32 vcc, s82, v91
	s_and_b64 s[2:3], s[80:81], vcc
	s_and_saveexec_b64 s[22:23], s[2:3]
	s_cbranch_execz .LBB83_49
; %bb.48:                               ;   in Loop: Header=BB83_13 Depth=1
	v_mul_f32_e32 v0, 0x3fb8aa3b, v91
	v_rndne_f32_e32 v1, v0
	s_mov_b32 s1, 0x3fb8aa3b
	v_sub_f32_e32 v2, v0, v1
	v_fma_f32 v0, v91, s1, -v0
	v_fmac_f32_e32 v0, 0x32a5705f, v91
	v_add_f32_e32 v0, v2, v0
	v_cvt_i32_f32_e32 v1, v1
	v_exp_f32_e32 v0, v0
	s_mov_b32 s1, 0xc2ce8ed0
	v_cmp_ngt_f32_e32 vcc, s1, v91
	s_mov_b32 s1, 0x42b17218
	v_ldexp_f32 v0, v0, v1
	v_cndmask_b32_e32 v0, 0, v0, vcc
	v_cmp_nlt_f32_e32 vcc, s1, v91
	v_mov_b32_e32 v1, 0x7f800000
	s_mov_b32 s1, 0x7f800000
	v_cndmask_b32_e32 v16, v1, v0, vcc
	v_add_f32_e32 v2, 1.0, v16
	v_add_f32_e32 v0, -1.0, v2
	v_sub_f32_e32 v1, v0, v2
	v_add_f32_e32 v1, 1.0, v1
	v_sub_f32_e32 v0, v16, v0
	v_add_f32_e32 v3, v0, v1
	v_frexp_mant_f32_e32 v4, v2
	v_cvt_f64_f32_e32 v[0:1], v2
	v_frexp_exp_i32_f64_e32 v0, v[0:1]
	v_cmp_gt_f32_e32 vcc, s56, v4
	v_cmp_gt_f32_e64 s[2:3], s83, v16
	s_nop 0
	v_subbrev_co_u32_e32 v8, vcc, 0, v0, vcc
	v_sub_u32_e32 v0, 0, v8
	v_ldexp_f32 v1, v2, v0
	v_add_f32_e32 v2, -1.0, v1
	v_add_f32_e32 v4, 1.0, v1
	v_ldexp_f32 v0, v3, v0
	v_add_f32_e32 v3, 1.0, v2
	v_add_f32_e32 v5, -1.0, v4
	v_sub_f32_e32 v3, v1, v3
	v_sub_f32_e32 v1, v1, v5
	v_add_f32_e32 v3, v0, v3
	v_add_f32_e32 v0, v0, v1
	;; [unrolled: 1-line block ×3, first 2 shown]
	v_rcp_f32_e32 v11, v9
	v_sub_f32_e32 v1, v4, v9
	v_add_f32_e32 v10, v0, v1
	v_add_f32_e32 v1, v2, v3
	v_mul_f32_e32 v13, v1, v11
	v_sub_f32_e32 v0, v2, v1
	v_mul_f32_e32 v2, v9, v13
	v_fma_f32 v4, v13, v9, -v2
	v_fmac_f32_e32 v4, v13, v10
	v_add_f32_e32 v12, v3, v0
	v_add_f32_e32 v0, v2, v4
	v_sub_f32_e32 v3, v1, v0
	v_pk_add_f32 v[6:7], v[0:1], v[2:3] neg_lo:[0,1] neg_hi:[0,1]
	v_mov_b32_e32 v5, v0
	v_pk_add_f32 v[0:1], v[6:7], v[4:5] neg_lo:[0,1] neg_hi:[0,1]
	v_cmp_eq_f32_e32 vcc, s1, v16
	v_add_f32_e32 v1, v12, v1
	v_add_f32_e32 v0, v0, v1
	v_add_f32_e32 v1, v3, v0
	v_mul_f32_e32 v12, v11, v1
	v_mul_f32_e32 v2, v9, v12
	v_fma_f32 v4, v12, v9, -v2
	v_fmac_f32_e32 v4, v12, v10
	v_sub_f32_e32 v3, v3, v1
	v_add_f32_e32 v9, v0, v3
	v_add_f32_e32 v0, v2, v4
	v_sub_f32_e32 v3, v1, v0
	v_pk_add_f32 v[6:7], v[0:1], v[2:3] neg_lo:[0,1] neg_hi:[0,1]
	v_mov_b32_e32 v5, v0
	v_pk_add_f32 v[0:1], v[6:7], v[4:5] neg_lo:[0,1] neg_hi:[0,1]
	scratch_load_dwordx2 v[6:7], off, off offset:56 ; 8-byte Folded Reload
	v_add_f32_e32 v1, v9, v1
	v_add_f32_e32 v0, v0, v1
	;; [unrolled: 1-line block ×4, first 2 shown]
	v_sub_f32_e32 v2, v1, v13
	v_mul_f32_e32 v0, v11, v0
	v_sub_f32_e32 v2, v12, v2
	v_add_f32_e32 v2, v2, v0
	v_add_f32_e32 v4, v1, v2
	v_mul_f32_e32 v5, v4, v4
	v_mov_b32_e32 v0, 0x3ecc95a3
	v_fmamk_f32 v0, v5, 0x3e9b6dac, v0
	v_fmaak_f32 v11, v5, v0, 0x3f2aaada
	v_cvt_f32_i32_e32 v0, v8
	v_sub_f32_e32 v1, v4, v1
	v_sub_f32_e32 v1, v2, v1
	v_ldexp_f32 v3, v4, 1
	s_or_b64 vcc, s[2:3], vcc
	s_waitcnt vmcnt(0)
	v_mov_b32_e32 v10, v6
	v_ldexp_f32 v6, v1, 1
	v_mul_f32_e32 v1, v4, v5
	v_mov_b32_e32 v2, v10
	v_pk_mul_f32 v[4:5], v[0:1], v[10:11]
	scratch_store_dwordx2 off, v[2:3], off offset:56 ; 8-byte Folded Spill
	v_fma_f32 v2, v0, s57, -v4
	v_fmac_f32_e32 v2, 0xb102e308, v0
	v_pk_add_f32 v[0:1], v[4:5], v[2:3]
	s_nop 0
	v_sub_f32_e32 v3, v1, v3
	v_sub_f32_e32 v3, v5, v3
	v_add_f32_e32 v7, v6, v3
	v_mov_b32_e32 v6, v4
	v_pk_add_f32 v[4:5], v[0:1], v[4:5] neg_lo:[0,1] neg_hi:[0,1]
	v_pk_add_f32 v[8:9], v[0:1], v[6:7]
	v_mov_b32_e32 v3, v0
	v_mov_b32_e32 v5, v9
	v_pk_add_f32 v[10:11], v[2:3], v[4:5] neg_lo:[0,1] neg_hi:[0,1]
	v_pk_add_f32 v[2:3], v[2:3], v[4:5]
	v_mov_b32_e32 v6, v7
	v_mov_b32_e32 v4, v3
	v_pk_add_f32 v[12:13], v[4:5], v[0:1] neg_lo:[0,1] neg_hi:[0,1]
	v_mov_b32_e32 v2, v9
	v_mov_b32_e32 v5, v12
	v_pk_add_f32 v[14:15], v[8:9], v[4:5] neg_lo:[0,1] neg_hi:[0,1]
	v_mov_b32_e32 v8, v1
	v_mov_b32_e32 v9, v12
	v_mov_b32_e32 v11, v3
	v_pk_add_f32 v[2:3], v[2:3], v[8:9] neg_lo:[0,1] neg_hi:[0,1]
	v_mov_b32_e32 v7, v0
	v_pk_add_f32 v[0:1], v[6:7], v[2:3] neg_lo:[0,1] neg_hi:[0,1]
	v_mov_b32_e32 v14, v10
	v_pk_add_f32 v[2:3], v[14:15], v[0:1]
	s_nop 0
	v_mov_b32_e32 v6, v3
	v_pk_add_f32 v[6:7], v[2:3], v[6:7]
	s_nop 0
	v_pk_add_f32 v[4:5], v[4:5], v[6:7]
	v_mov_b32_e32 v1, v6
	v_mov_b32_e32 v3, v4
	v_pk_add_f32 v[8:9], v[2:3], v[10:11] neg_lo:[0,1] neg_hi:[0,1]
	s_nop 0
	v_sub_f32_e32 v2, v2, v8
	v_pk_add_f32 v[0:1], v[0:1], v[8:9] neg_lo:[0,1] neg_hi:[0,1]
	v_sub_f32_e32 v2, v10, v2
	v_add_f32_e32 v0, v0, v2
	v_add_f32_e32 v0, v0, v1
	;; [unrolled: 1-line block ×3, first 2 shown]
	v_cndmask_b32_e32 v91, v0, v16, vcc
.LBB83_49:                              ;   in Loop: Header=BB83_13 Depth=1
	s_or_b64 exec, exec, s[22:23]
	v_cvt_f32_f16_e32 v0, v21
	v_add_f32_e32 v75, s33, v0
	v_cmp_ge_f32_e32 vcc, s82, v75
	s_and_b64 s[2:3], s[80:81], vcc
	s_and_saveexec_b64 s[22:23], s[2:3]
	s_cbranch_execz .LBB83_51
; %bb.50:                               ;   in Loop: Header=BB83_13 Depth=1
	v_mul_f32_e32 v0, 0x3fb8aa3b, v75
	v_rndne_f32_e32 v1, v0
	s_mov_b32 s1, 0x3fb8aa3b
	v_sub_f32_e32 v2, v0, v1
	v_fma_f32 v0, v75, s1, -v0
	v_fmac_f32_e32 v0, 0x32a5705f, v75
	v_add_f32_e32 v0, v2, v0
	v_cvt_i32_f32_e32 v1, v1
	v_exp_f32_e32 v0, v0
	s_mov_b32 s1, 0xc2ce8ed0
	v_cmp_ngt_f32_e32 vcc, s1, v75
	s_mov_b32 s1, 0x42b17218
	v_ldexp_f32 v0, v0, v1
	v_cndmask_b32_e32 v0, 0, v0, vcc
	v_cmp_nlt_f32_e32 vcc, s1, v75
	v_mov_b32_e32 v1, 0x7f800000
	s_mov_b32 s1, 0x7f800000
	v_cndmask_b32_e32 v16, v1, v0, vcc
	v_add_f32_e32 v2, 1.0, v16
	v_add_f32_e32 v0, -1.0, v2
	v_sub_f32_e32 v1, v0, v2
	v_add_f32_e32 v1, 1.0, v1
	v_sub_f32_e32 v0, v16, v0
	v_add_f32_e32 v3, v0, v1
	v_frexp_mant_f32_e32 v4, v2
	v_cvt_f64_f32_e32 v[0:1], v2
	v_frexp_exp_i32_f64_e32 v0, v[0:1]
	v_cmp_gt_f32_e32 vcc, s56, v4
	v_cmp_gt_f32_e64 s[2:3], s83, v16
	s_nop 0
	v_subbrev_co_u32_e32 v8, vcc, 0, v0, vcc
	v_sub_u32_e32 v0, 0, v8
	v_ldexp_f32 v1, v2, v0
	v_add_f32_e32 v2, -1.0, v1
	v_add_f32_e32 v4, 1.0, v1
	v_ldexp_f32 v0, v3, v0
	v_add_f32_e32 v3, 1.0, v2
	v_add_f32_e32 v5, -1.0, v4
	v_sub_f32_e32 v3, v1, v3
	v_sub_f32_e32 v1, v1, v5
	v_add_f32_e32 v3, v0, v3
	v_add_f32_e32 v0, v0, v1
	;; [unrolled: 1-line block ×3, first 2 shown]
	v_rcp_f32_e32 v11, v9
	v_sub_f32_e32 v1, v4, v9
	v_add_f32_e32 v10, v0, v1
	v_add_f32_e32 v1, v2, v3
	v_mul_f32_e32 v13, v1, v11
	v_sub_f32_e32 v0, v2, v1
	v_mul_f32_e32 v2, v9, v13
	v_fma_f32 v4, v13, v9, -v2
	v_fmac_f32_e32 v4, v13, v10
	v_add_f32_e32 v12, v3, v0
	v_add_f32_e32 v0, v2, v4
	v_sub_f32_e32 v3, v1, v0
	v_pk_add_f32 v[6:7], v[0:1], v[2:3] neg_lo:[0,1] neg_hi:[0,1]
	v_mov_b32_e32 v5, v0
	v_pk_add_f32 v[0:1], v[6:7], v[4:5] neg_lo:[0,1] neg_hi:[0,1]
	v_cmp_eq_f32_e32 vcc, s1, v16
	v_add_f32_e32 v1, v12, v1
	v_add_f32_e32 v0, v0, v1
	;; [unrolled: 1-line block ×3, first 2 shown]
	v_mul_f32_e32 v12, v11, v1
	v_mul_f32_e32 v2, v9, v12
	v_fma_f32 v4, v12, v9, -v2
	v_fmac_f32_e32 v4, v12, v10
	v_sub_f32_e32 v3, v3, v1
	v_add_f32_e32 v9, v0, v3
	v_add_f32_e32 v0, v2, v4
	v_sub_f32_e32 v3, v1, v0
	v_pk_add_f32 v[6:7], v[0:1], v[2:3] neg_lo:[0,1] neg_hi:[0,1]
	v_mov_b32_e32 v5, v0
	v_pk_add_f32 v[0:1], v[6:7], v[4:5] neg_lo:[0,1] neg_hi:[0,1]
	scratch_load_dwordx2 v[6:7], off, off offset:56 ; 8-byte Folded Reload
	v_add_f32_e32 v1, v9, v1
	v_add_f32_e32 v0, v0, v1
	;; [unrolled: 1-line block ×4, first 2 shown]
	v_sub_f32_e32 v2, v1, v13
	v_mul_f32_e32 v0, v11, v0
	v_sub_f32_e32 v2, v12, v2
	v_add_f32_e32 v2, v2, v0
	v_add_f32_e32 v4, v1, v2
	v_mul_f32_e32 v5, v4, v4
	v_mov_b32_e32 v0, 0x3ecc95a3
	v_fmamk_f32 v0, v5, 0x3e9b6dac, v0
	v_fmaak_f32 v11, v5, v0, 0x3f2aaada
	v_cvt_f32_i32_e32 v0, v8
	v_sub_f32_e32 v1, v4, v1
	v_sub_f32_e32 v1, v2, v1
	v_ldexp_f32 v3, v4, 1
	s_or_b64 vcc, s[2:3], vcc
	s_waitcnt vmcnt(0)
	v_mov_b32_e32 v10, v6
	v_ldexp_f32 v6, v1, 1
	v_mul_f32_e32 v1, v4, v5
	v_mov_b32_e32 v2, v10
	v_pk_mul_f32 v[4:5], v[0:1], v[10:11]
	scratch_store_dwordx2 off, v[2:3], off offset:56 ; 8-byte Folded Spill
	v_fma_f32 v2, v0, s57, -v4
	v_fmac_f32_e32 v2, 0xb102e308, v0
	v_pk_add_f32 v[0:1], v[4:5], v[2:3]
	s_nop 0
	v_sub_f32_e32 v3, v1, v3
	v_sub_f32_e32 v3, v5, v3
	v_add_f32_e32 v7, v6, v3
	v_mov_b32_e32 v6, v4
	v_pk_add_f32 v[4:5], v[0:1], v[4:5] neg_lo:[0,1] neg_hi:[0,1]
	v_pk_add_f32 v[8:9], v[0:1], v[6:7]
	v_mov_b32_e32 v3, v0
	v_mov_b32_e32 v5, v9
	v_pk_add_f32 v[10:11], v[2:3], v[4:5] neg_lo:[0,1] neg_hi:[0,1]
	v_pk_add_f32 v[2:3], v[2:3], v[4:5]
	v_mov_b32_e32 v6, v7
	v_mov_b32_e32 v4, v3
	v_pk_add_f32 v[12:13], v[4:5], v[0:1] neg_lo:[0,1] neg_hi:[0,1]
	v_mov_b32_e32 v2, v9
	v_mov_b32_e32 v5, v12
	v_pk_add_f32 v[14:15], v[8:9], v[4:5] neg_lo:[0,1] neg_hi:[0,1]
	v_mov_b32_e32 v8, v1
	v_mov_b32_e32 v9, v12
	;; [unrolled: 1-line block ×3, first 2 shown]
	v_pk_add_f32 v[2:3], v[2:3], v[8:9] neg_lo:[0,1] neg_hi:[0,1]
	v_mov_b32_e32 v7, v0
	v_pk_add_f32 v[0:1], v[6:7], v[2:3] neg_lo:[0,1] neg_hi:[0,1]
	v_mov_b32_e32 v14, v10
	v_pk_add_f32 v[2:3], v[14:15], v[0:1]
	s_nop 0
	v_mov_b32_e32 v6, v3
	v_pk_add_f32 v[6:7], v[2:3], v[6:7]
	s_nop 0
	v_pk_add_f32 v[4:5], v[4:5], v[6:7]
	v_mov_b32_e32 v1, v6
	v_mov_b32_e32 v3, v4
	v_pk_add_f32 v[8:9], v[2:3], v[10:11] neg_lo:[0,1] neg_hi:[0,1]
	s_nop 0
	v_sub_f32_e32 v2, v2, v8
	v_pk_add_f32 v[0:1], v[0:1], v[8:9] neg_lo:[0,1] neg_hi:[0,1]
	v_sub_f32_e32 v2, v10, v2
	v_add_f32_e32 v0, v0, v2
	v_add_f32_e32 v0, v0, v1
	;; [unrolled: 1-line block ×3, first 2 shown]
	v_cndmask_b32_e32 v75, v0, v16, vcc
.LBB83_51:                              ;   in Loop: Header=BB83_13 Depth=1
	s_or_b64 exec, exec, s[22:23]
	v_cvt_f32_f16_sdwa v0, v21 dst_sel:DWORD dst_unused:UNUSED_PAD src0_sel:WORD_1
	v_add_f32_e32 v37, s33, v0
	v_cmp_ge_f32_e32 vcc, s82, v37
	s_and_b64 s[2:3], s[80:81], vcc
	s_and_saveexec_b64 s[22:23], s[2:3]
	s_cbranch_execz .LBB83_53
; %bb.52:                               ;   in Loop: Header=BB83_13 Depth=1
	v_mul_f32_e32 v0, 0x3fb8aa3b, v37
	v_rndne_f32_e32 v1, v0
	s_mov_b32 s1, 0x3fb8aa3b
	v_sub_f32_e32 v2, v0, v1
	v_fma_f32 v0, v37, s1, -v0
	v_fmac_f32_e32 v0, 0x32a5705f, v37
	v_add_f32_e32 v0, v2, v0
	v_cvt_i32_f32_e32 v1, v1
	v_exp_f32_e32 v0, v0
	s_mov_b32 s1, 0xc2ce8ed0
	v_cmp_ngt_f32_e32 vcc, s1, v37
	s_mov_b32 s1, 0x42b17218
	v_ldexp_f32 v0, v0, v1
	v_cndmask_b32_e32 v0, 0, v0, vcc
	v_cmp_nlt_f32_e32 vcc, s1, v37
	v_mov_b32_e32 v1, 0x7f800000
	s_mov_b32 s1, 0x7f800000
	v_cndmask_b32_e32 v16, v1, v0, vcc
	v_add_f32_e32 v2, 1.0, v16
	v_add_f32_e32 v0, -1.0, v2
	v_sub_f32_e32 v1, v0, v2
	v_add_f32_e32 v1, 1.0, v1
	v_sub_f32_e32 v0, v16, v0
	v_add_f32_e32 v3, v0, v1
	v_frexp_mant_f32_e32 v4, v2
	v_cvt_f64_f32_e32 v[0:1], v2
	v_frexp_exp_i32_f64_e32 v0, v[0:1]
	v_cmp_gt_f32_e32 vcc, s56, v4
	v_cmp_gt_f32_e64 s[2:3], s83, v16
	s_nop 0
	v_subbrev_co_u32_e32 v8, vcc, 0, v0, vcc
	v_sub_u32_e32 v0, 0, v8
	v_ldexp_f32 v1, v2, v0
	v_add_f32_e32 v2, -1.0, v1
	v_add_f32_e32 v4, 1.0, v1
	v_ldexp_f32 v0, v3, v0
	v_add_f32_e32 v3, 1.0, v2
	v_add_f32_e32 v5, -1.0, v4
	v_sub_f32_e32 v3, v1, v3
	v_sub_f32_e32 v1, v1, v5
	v_add_f32_e32 v3, v0, v3
	v_add_f32_e32 v0, v0, v1
	;; [unrolled: 1-line block ×3, first 2 shown]
	v_rcp_f32_e32 v11, v9
	v_sub_f32_e32 v1, v4, v9
	v_add_f32_e32 v10, v0, v1
	v_add_f32_e32 v1, v2, v3
	v_mul_f32_e32 v13, v1, v11
	v_sub_f32_e32 v0, v2, v1
	v_mul_f32_e32 v2, v9, v13
	v_fma_f32 v4, v13, v9, -v2
	v_fmac_f32_e32 v4, v13, v10
	v_add_f32_e32 v12, v3, v0
	v_add_f32_e32 v0, v2, v4
	v_sub_f32_e32 v3, v1, v0
	v_pk_add_f32 v[6:7], v[0:1], v[2:3] neg_lo:[0,1] neg_hi:[0,1]
	v_mov_b32_e32 v5, v0
	v_pk_add_f32 v[0:1], v[6:7], v[4:5] neg_lo:[0,1] neg_hi:[0,1]
	v_cmp_eq_f32_e32 vcc, s1, v16
	v_add_f32_e32 v1, v12, v1
	v_add_f32_e32 v0, v0, v1
	;; [unrolled: 1-line block ×3, first 2 shown]
	v_mul_f32_e32 v12, v11, v1
	v_mul_f32_e32 v2, v9, v12
	v_fma_f32 v4, v12, v9, -v2
	v_fmac_f32_e32 v4, v12, v10
	v_sub_f32_e32 v3, v3, v1
	v_add_f32_e32 v9, v0, v3
	v_add_f32_e32 v0, v2, v4
	v_sub_f32_e32 v3, v1, v0
	v_pk_add_f32 v[6:7], v[0:1], v[2:3] neg_lo:[0,1] neg_hi:[0,1]
	v_mov_b32_e32 v5, v0
	v_pk_add_f32 v[0:1], v[6:7], v[4:5] neg_lo:[0,1] neg_hi:[0,1]
	scratch_load_dwordx2 v[6:7], off, off offset:56 ; 8-byte Folded Reload
	v_add_f32_e32 v1, v9, v1
	v_add_f32_e32 v0, v0, v1
	;; [unrolled: 1-line block ×4, first 2 shown]
	v_sub_f32_e32 v2, v1, v13
	v_mul_f32_e32 v0, v11, v0
	v_sub_f32_e32 v2, v12, v2
	v_add_f32_e32 v2, v2, v0
	v_add_f32_e32 v4, v1, v2
	v_mul_f32_e32 v5, v4, v4
	v_mov_b32_e32 v0, 0x3ecc95a3
	v_fmamk_f32 v0, v5, 0x3e9b6dac, v0
	v_fmaak_f32 v11, v5, v0, 0x3f2aaada
	v_cvt_f32_i32_e32 v0, v8
	v_sub_f32_e32 v1, v4, v1
	v_sub_f32_e32 v1, v2, v1
	v_ldexp_f32 v3, v4, 1
	s_or_b64 vcc, s[2:3], vcc
	s_waitcnt vmcnt(0)
	v_mov_b32_e32 v10, v6
	v_ldexp_f32 v6, v1, 1
	v_mul_f32_e32 v1, v4, v5
	v_mov_b32_e32 v2, v10
	v_pk_mul_f32 v[4:5], v[0:1], v[10:11]
	scratch_store_dwordx2 off, v[2:3], off offset:56 ; 8-byte Folded Spill
	v_fma_f32 v2, v0, s57, -v4
	v_fmac_f32_e32 v2, 0xb102e308, v0
	v_pk_add_f32 v[0:1], v[4:5], v[2:3]
	s_nop 0
	v_sub_f32_e32 v3, v1, v3
	v_sub_f32_e32 v3, v5, v3
	v_add_f32_e32 v7, v6, v3
	v_mov_b32_e32 v6, v4
	v_pk_add_f32 v[4:5], v[0:1], v[4:5] neg_lo:[0,1] neg_hi:[0,1]
	v_pk_add_f32 v[8:9], v[0:1], v[6:7]
	v_mov_b32_e32 v3, v0
	v_mov_b32_e32 v5, v9
	v_pk_add_f32 v[10:11], v[2:3], v[4:5] neg_lo:[0,1] neg_hi:[0,1]
	v_pk_add_f32 v[2:3], v[2:3], v[4:5]
	v_mov_b32_e32 v6, v7
	v_mov_b32_e32 v4, v3
	v_pk_add_f32 v[12:13], v[4:5], v[0:1] neg_lo:[0,1] neg_hi:[0,1]
	v_mov_b32_e32 v2, v9
	v_mov_b32_e32 v5, v12
	v_pk_add_f32 v[14:15], v[8:9], v[4:5] neg_lo:[0,1] neg_hi:[0,1]
	v_mov_b32_e32 v8, v1
	v_mov_b32_e32 v9, v12
	;; [unrolled: 1-line block ×3, first 2 shown]
	v_pk_add_f32 v[2:3], v[2:3], v[8:9] neg_lo:[0,1] neg_hi:[0,1]
	v_mov_b32_e32 v7, v0
	v_pk_add_f32 v[0:1], v[6:7], v[2:3] neg_lo:[0,1] neg_hi:[0,1]
	v_mov_b32_e32 v14, v10
	v_pk_add_f32 v[2:3], v[14:15], v[0:1]
	s_nop 0
	v_mov_b32_e32 v6, v3
	v_pk_add_f32 v[6:7], v[2:3], v[6:7]
	s_nop 0
	v_pk_add_f32 v[4:5], v[4:5], v[6:7]
	v_mov_b32_e32 v1, v6
	v_mov_b32_e32 v3, v4
	v_pk_add_f32 v[8:9], v[2:3], v[10:11] neg_lo:[0,1] neg_hi:[0,1]
	s_nop 0
	v_sub_f32_e32 v2, v2, v8
	v_pk_add_f32 v[0:1], v[0:1], v[8:9] neg_lo:[0,1] neg_hi:[0,1]
	v_sub_f32_e32 v2, v10, v2
	v_add_f32_e32 v0, v0, v2
	v_add_f32_e32 v0, v0, v1
	;; [unrolled: 1-line block ×3, first 2 shown]
	v_cndmask_b32_e32 v37, v0, v16, vcc
.LBB83_53:                              ;   in Loop: Header=BB83_13 Depth=1
	s_or_b64 exec, exec, s[22:23]
	v_cvt_f32_f16_e32 v0, v25
	v_cvt_f32_f16_sdwa v1, v24 dst_sel:DWORD dst_unused:UNUSED_PAD src0_sel:WORD_1
	v_cvt_f32_f16_e32 v2, v24
	v_cvt_f32_f16_sdwa v7, v25 dst_sel:DWORD dst_unused:UNUSED_PAD src0_sel:WORD_1
	v_cvt_f32_f16_sdwa v3, v23 dst_sel:DWORD dst_unused:UNUSED_PAD src0_sel:WORD_1
	v_cvt_f32_f16_e32 v4, v23
	v_cvt_f32_f16_sdwa v5, v22 dst_sel:DWORD dst_unused:UNUSED_PAD src0_sel:WORD_1
	v_cvt_f32_f16_e32 v6, v22
	;; [unrolled: 2-line block ×6, first 2 shown]
	v_readlane_b32 s22, v95, 4
	v_readlane_b32 s23, v95, 5
	v_mul_f32_e32 v38, s74, v0
	v_mul_f32_e32 v41, s74, v1
	;; [unrolled: 1-line block ×15, first 2 shown]
	s_lshl_b32 s2, s0, 10
	v_mul_f32_e32 v39, s74, v7
	s_and_b64 vcc, exec, s[22:23]
	s_waitcnt lgkmcnt(0)
	; wave barrier
	s_cbranch_vccz .LBB83_12
; %bb.54:                               ;   in Loop: Header=BB83_13 Depth=1
	v_mul_f32_e32 v0, v75, v0
	scratch_store_dwordx4 off, v[26:29], off offset:112 ; 16-byte Folded Spill
	scratch_store_dwordx4 off, v[22:25], off offset:96 ; 16-byte Folded Spill
	;; [unrolled: 1-line block ×3, first 2 shown]
	scratch_store_dword off, v0, off offset:16 ; 4-byte Folded Spill
	v_mul_f32_e32 v0, v91, v1
	scratch_store_dword off, v0, off offset:20 ; 4-byte Folded Spill
	v_mul_f32_e32 v0, v90, v2
	;; [unrolled: 2-line block ×6, first 2 shown]
	scratch_store_dword off, v0, off offset:40 ; 4-byte Folded Spill
	scratch_load_dword v0, off, off offset:136 ; 4-byte Folded Reload
	v_readlane_b32 s90, v95, 6
	s_sub_i32 s1, s90, s2
	s_cmp_lg_u32 s0, 0
	v_readlane_b32 s3, v95, 9
	s_cselect_b64 s[86:87], -1, 0
	s_cmp_eq_u32 s0, s3
	s_cselect_b64 s[88:89], -1, 0
	v_mul_f32_e32 v7, v37, v7
	v_readlane_b32 s91, v95, 7
	s_mov_b32 s76, 0
	scratch_store_dword off, v7, off offset:12 ; 4-byte Folded Spill
	v_lshl_add_u64 v[54:55], s[62:63], 0, v[32:33]
	v_lshl_add_u64 v[56:57], s[66:67], 0, v[32:33]
	v_mul_f32_e32 v2, v85, v8
	v_mul_f32_e32 v3, v84, v9
	;; [unrolled: 1-line block ×8, first 2 shown]
	s_mov_b32 s90, s76
	s_mov_b32 s92, s76
	;; [unrolled: 1-line block ×4, first 2 shown]
	s_waitcnt vmcnt(1)
	v_cmp_gt_u32_e32 vcc, s1, v0
	scratch_load_dword v0, off, off offset:140 ; 4-byte Folded Reload
	s_or_b64 s[22:23], s[84:85], vcc
	s_waitcnt vmcnt(0)
	v_cmp_gt_u32_e32 vcc, s1, v0
	scratch_load_dword v0, off, off offset:144 ; 4-byte Folded Reload
	s_or_b64 s[24:25], s[84:85], vcc
	;; [unrolled: 4-line block ×15, first 2 shown]
	s_waitcnt vmcnt(0)
	v_cmp_gt_u32_e32 vcc, s1, v0
	s_or_b64 s[54:55], s[84:85], vcc
	v_readlane_b32 s1, v95, 10
	s_branch .LBB83_56
.LBB83_55:                              ;   in Loop: Header=BB83_56 Depth=2
	s_or_b64 exec, exec, s[96:97]
	v_mul_f32_e32 v1, v11, v24
	v_fma_f32 v0, v11, v0, v10
	v_cndmask_b32_e64 v24, v0, v10, s[20:21]
	v_cndmask_b32_e64 v0, v1, v11, s[20:21]
	s_waitcnt lgkmcnt(0)
	v_fmac_f32_e32 v24, v68, v0
	v_fmac_f32_e32 v25, v24, v12
	v_fmac_f32_e32 v26, v25, v13
	v_fmac_f32_e32 v27, v26, v14
	v_fmac_f32_e32 v28, v27, v15
	v_fmac_f32_e32 v29, v28, v71
	v_fmac_f32_e32 v30, v29, v76
	v_fmac_f32_e32 v31, v30, v70
	v_fmac_f32_e32 v60, v31, v36
	v_fmac_f32_e32 v61, v60, v72
	v_fmac_f32_e32 v64, v61, v34
	v_fmac_f32_e32 v65, v64, v35
	v_fmac_f32_e32 v62, v65, v92
	v_cvt_f32_f16_sdwa v11, v20 dst_sel:DWORD dst_unused:UNUSED_PAD src0_sel:WORD_1
	v_cvt_f32_f16_sdwa v13, v21 dst_sel:DWORD dst_unused:UNUSED_PAD src0_sel:WORD_1
	v_cvt_f32_f16_e32 v10, v20
	v_cvt_f32_f16_e32 v12, v21
	v_cvt_f32_f16_sdwa v15, v22 dst_sel:DWORD dst_unused:UNUSED_PAD src0_sel:WORD_1
	v_cvt_f32_f16_sdwa v21, v23 dst_sel:DWORD dst_unused:UNUSED_PAD src0_sel:WORD_1
	v_cvt_f32_f16_e32 v14, v22
	v_cvt_f32_f16_e32 v20, v23
	;; [unrolled: 4-line block ×4, first 2 shown]
	v_fmac_f32_e32 v63, v62, v93
	v_fmac_f32_e32 v66, v63, v73
	;; [unrolled: 1-line block ×3, first 2 shown]
	s_add_i32 s1, s1, 8
	s_add_i32 s3, s3, -1
	s_add_i32 s94, s94, s58
	s_add_i32 s92, s92, s68
	;; [unrolled: 1-line block ×4, first 2 shown]
	v_pk_fma_f32 v[50:51], v[26:27], v[12:13], v[50:51]
	v_pk_fma_f32 v[52:53], v[24:25], v[10:11], v[52:53]
	;; [unrolled: 1-line block ×7, first 2 shown]
	s_cmp_eq_u32 s3, 0
	v_pk_fma_f32 v[40:41], v[62:63], v[16:17], v[40:41]
	s_cbranch_scc1 .LBB83_11
.LBB83_56:                              ;   Parent Loop BB83_13 Depth=1
                                        ; =>  This Inner Loop Header: Depth=2
	s_lshl_b64 s[96:97], s[76:77], 2
	s_add_u32 s96, s59, s96
	s_mov_b32 s91, s77
	s_addc_u32 s97, s60, s97
	v_lshl_add_u64 v[16:17], s[90:91], 1, v[54:55]
	global_load_dword v10, v33, s[96:97]
	global_load_dwordx4 v[12:15], v[16:17], off
	scratch_load_dword v0, off, off         ; 4-byte Folded Reload
	s_mov_b32 s93, s77
	s_andn2_b64 vcc, exec, s[86:87]
	s_waitcnt vmcnt(0)
	ds_write_b128 v0, v[12:15]
	global_load_dwordx4 v[12:15], v[16:17], off offset:1024
	scratch_load_dword v1, off, off offset:4 ; 4-byte Folded Reload
	v_lshl_add_u64 v[16:17], s[92:93], 1, v[56:57]
	s_waitcnt vmcnt(0)
	ds_write_b128 v1, v[12:15] offset:1024
	; wave barrier
	scratch_load_dword v1, off, off offset:8 ; 4-byte Folded Reload
	s_waitcnt vmcnt(0)
	ds_read_b128 v[28:31], v1
	ds_read_b128 v[24:27], v1 offset:16
	global_load_dwordx4 v[12:15], v[16:17], off
	s_waitcnt vmcnt(0)
	ds_write_b128 v0, v[12:15] offset:2112
	global_load_dwordx4 v[12:15], v[16:17], off offset:1024
	scratch_load_dword v0, off, off offset:44 ; 4-byte Folded Reload
	s_waitcnt vmcnt(0)
	ds_write_b128 v0, v[12:15] offset:1024
	; wave barrier
	scratch_load_dword v0, off, off offset:48 ; 4-byte Folded Reload
	ds_read_b128 v[20:23], v1 offset:2112
	s_waitcnt vmcnt(0)
	ds_read_b128 v[16:19], v0 offset:16
	s_cbranch_vccnz .LBB83_58
; %bb.57:                               ;   in Loop: Header=BB83_56 Depth=2
	v_mov_b32_e32 v0, s1
	ds_read_b64 v[58:59], v0
	s_cbranch_execz .LBB83_59
	s_branch .LBB83_62
.LBB83_58:                              ;   in Loop: Header=BB83_56 Depth=2
                                        ; implicit-def: $vgpr59
.LBB83_59:                              ;   in Loop: Header=BB83_56 Depth=2
	s_andn2_b64 vcc, exec, s[72:73]
	s_waitcnt lgkmcnt(0)
	v_mov_b32_e32 v59, 0
	s_cbranch_vccnz .LBB83_61
; %bb.60:                               ;   in Loop: Header=BB83_56 Depth=2
	s_mov_b32 s95, s77
	s_lshl_b64 s[96:97], s[94:95], 1
	s_add_u32 s96, s65, s96
	s_addc_u32 s97, s69, s97
	global_load_ushort v0, v33, s[96:97]
	s_waitcnt vmcnt(0)
	v_cvt_f32_f16_e32 v59, v0
.LBB83_61:                              ;   in Loop: Header=BB83_56 Depth=2
	v_mov_b32_e32 v58, 1.0
.LBB83_62:                              ;   in Loop: Header=BB83_56 Depth=2
	scratch_load_dword v1, off, off offset:40 ; 4-byte Folded Reload
	s_waitcnt lgkmcnt(4)
	v_cvt_f32_f16_e32 v34, v24
	v_cvt_f32_f16_sdwa v35, v24 dst_sel:DWORD dst_unused:UNUSED_PAD src0_sel:WORD_1
	v_mul_f32_e32 v66, 0x3fb8aa3b, v10
	v_mul_f32_e32 v10, v66, v78
	v_cmp_gt_f32_e32 vcc, s75, v10
	v_cvt_f32_f16_e32 v0, v28
	v_cvt_f32_f16_e32 v62, v25
	v_cndmask_b32_e32 v10, 0, v94, vcc
	v_fmac_f32_e32 v10, v66, v78
	v_exp_f32_e32 v10, v10
	v_cndmask_b32_e32 v11, 1.0, v77, vcc
	v_cvt_f32_f16_sdwa v63, v25 dst_sel:DWORD dst_unused:UNUSED_PAD src0_sel:WORD_1
	v_mul_f32_e32 v0, v9, v0
	v_mul_f32_e32 v11, v10, v11
	;; [unrolled: 1-line block ×3, first 2 shown]
	v_cmp_gt_f32_e32 vcc, s75, v10
	v_cvt_f32_f16_sdwa v12, v28 dst_sel:DWORD dst_unused:UNUSED_PAD src0_sel:WORD_1
	v_cvt_f32_f16_e32 v67, v26
	v_cndmask_b32_e32 v10, 0, v94, vcc
	v_fmac_f32_e32 v10, v66, v79
	v_exp_f32_e32 v25, v10
	v_cndmask_b32_e64 v10, 0, v0, s[22:23]
	v_cndmask_b32_e32 v0, 1.0, v77, vcc
	v_cvt_f32_f16_sdwa v68, v26 dst_sel:DWORD dst_unused:UNUSED_PAD src0_sel:WORD_1
	v_mul_f32_e32 v0, v25, v0
	v_mul_f32_e32 v25, v66, v80
	v_cmp_gt_f32_e32 vcc, s75, v25
	v_mul_f32_e32 v12, v8, v12
	v_cvt_f32_f16_e32 v13, v29
	v_cndmask_b32_e32 v25, 0, v94, vcc
	v_fmac_f32_e32 v25, v66, v80
	v_exp_f32_e32 v26, v25
	v_cndmask_b32_e64 v25, 0, v12, s[24:25]
	v_cndmask_b32_e64 v12, 1.0, v0, s[24:25]
	v_cndmask_b32_e32 v0, 1.0, v77, vcc
	v_mul_f32_e32 v0, v26, v0
	v_mul_f32_e32 v26, v66, v81
	v_cmp_gt_f32_e32 vcc, s75, v26
	v_cvt_f32_f16_e32 v69, v27
	v_cvt_f32_f16_sdwa v24, v27 dst_sel:DWORD dst_unused:UNUSED_PAD src0_sel:WORD_1
	v_cndmask_b32_e32 v26, 0, v94, vcc
	v_fmac_f32_e32 v26, v66, v81
	v_exp_f32_e32 v27, v26
	v_mul_f32_e32 v13, v7, v13
	v_cndmask_b32_e64 v26, 0, v13, s[26:27]
	v_cndmask_b32_e64 v13, 1.0, v0, s[26:27]
	v_cndmask_b32_e32 v0, 1.0, v77, vcc
	v_mul_f32_e32 v0, v27, v0
	v_mul_f32_e32 v27, v66, v82
	v_cmp_gt_f32_e32 vcc, s75, v27
	v_cvt_f32_f16_sdwa v14, v29 dst_sel:DWORD dst_unused:UNUSED_PAD src0_sel:WORD_1
	v_cvt_f32_f16_e32 v15, v30
	v_cndmask_b32_e32 v27, 0, v94, vcc
	v_fmac_f32_e32 v27, v66, v82
	v_exp_f32_e32 v28, v27
	v_mul_f32_e32 v14, v6, v14
	v_cndmask_b32_e64 v27, 0, v14, s[28:29]
	v_cndmask_b32_e64 v14, 1.0, v0, s[28:29]
	v_cndmask_b32_e32 v0, 1.0, v77, vcc
	v_mul_f32_e32 v0, v28, v0
	v_mul_f32_e32 v28, v66, v83
	v_cmp_gt_f32_e32 vcc, s75, v28
	v_mul_f32_e32 v15, v5, v15
	v_cvt_f32_f16_sdwa v29, v30 dst_sel:DWORD dst_unused:UNUSED_PAD src0_sel:WORD_1
	v_cndmask_b32_e32 v28, 0, v94, vcc
	v_fmac_f32_e32 v28, v66, v83
	v_exp_f32_e32 v36, v28
	v_cndmask_b32_e64 v28, 0, v15, s[30:31]
	v_cndmask_b32_e64 v15, 1.0, v0, s[30:31]
	v_cndmask_b32_e32 v0, 1.0, v77, vcc
	v_mul_f32_e32 v0, v36, v0
	v_mul_f32_e32 v36, v66, v84
	v_cmp_gt_f32_e32 vcc, s75, v36
	v_cndmask_b32_e64 v71, 1.0, v0, s[34:35]
	v_cvt_f32_f16_e32 v30, v31
	v_cndmask_b32_e32 v36, 0, v94, vcc
	v_fmac_f32_e32 v36, v66, v84
	v_exp_f32_e32 v36, v36
	v_cndmask_b32_e32 v0, 1.0, v77, vcc
	s_waitcnt vmcnt(0)
	v_mul_f32_e32 v34, v1, v34
	scratch_load_dword v1, off, off offset:36 ; 4-byte Folded Reload
	v_cndmask_b32_e64 v60, 0, v34, s[40:41]
	v_mul_f32_e32 v0, v36, v0
	v_mul_f32_e32 v36, v66, v85
	v_cmp_gt_f32_e32 vcc, s75, v36
	v_cndmask_b32_e64 v76, 1.0, v0, s[36:37]
	v_cndmask_b32_e64 v11, 1.0, v11, s[22:23]
	v_cndmask_b32_e32 v36, 0, v94, vcc
	v_fmac_f32_e32 v36, v66, v85
	v_exp_f32_e32 v36, v36
	v_cndmask_b32_e32 v0, 1.0, v77, vcc
	v_cvt_f32_f16_sdwa v31, v31 dst_sel:DWORD dst_unused:UNUSED_PAD src0_sel:WORD_1
	v_mul_f32_e32 v29, v4, v29
	v_mul_f32_e32 v0, v36, v0
	;; [unrolled: 1-line block ×3, first 2 shown]
	v_cmp_gt_f32_e32 vcc, s75, v36
	v_cndmask_b32_e64 v70, 1.0, v0, s[38:39]
	v_cndmask_b32_e64 v29, 0, v29, s[34:35]
	v_cndmask_b32_e32 v36, 0, v94, vcc
	v_fmac_f32_e32 v36, v66, v86
	v_exp_f32_e32 v36, v36
	v_cndmask_b32_e32 v0, 1.0, v77, vcc
	v_mul_f32_e32 v30, v3, v30
	v_cndmask_b32_e64 v30, 0, v30, s[36:37]
	v_mul_f32_e32 v0, v36, v0
	v_mul_f32_e32 v36, v66, v87
	v_cmp_gt_f32_e32 vcc, s75, v36
	v_mul_f32_e32 v31, v2, v31
	v_cndmask_b32_e64 v31, 0, v31, s[38:39]
	v_cndmask_b32_e32 v36, 0, v94, vcc
	v_fmac_f32_e32 v36, v66, v87
	v_exp_f32_e32 v61, v36
	v_cndmask_b32_e64 v36, 1.0, v0, s[40:41]
	v_cndmask_b32_e32 v0, 1.0, v77, vcc
	v_mul_f32_e32 v0, v61, v0
	v_cndmask_b32_e64 v72, 1.0, v0, s[42:43]
	s_waitcnt vmcnt(0)
	v_mul_f32_e32 v34, v1, v35
	scratch_load_dword v1, off, off offset:32 ; 4-byte Folded Reload
	v_cndmask_b32_e64 v61, 0, v34, s[42:43]
	v_mul_f32_e32 v35, v66, v88
	v_cmp_gt_f32_e32 vcc, s75, v35
	s_waitcnt vmcnt(0)
	v_mul_f32_e32 v34, v1, v62
	scratch_load_dword v1, off, off offset:28 ; 4-byte Folded Reload
	v_cndmask_b32_e32 v35, 0, v94, vcc
	v_fmac_f32_e32 v35, v66, v88
	v_exp_f32_e32 v35, v35
	v_cndmask_b32_e32 v0, 1.0, v77, vcc
	v_cndmask_b32_e64 v64, 0, v34, s[44:45]
	v_mul_f32_e32 v62, v66, v90
	v_mul_f32_e32 v0, v35, v0
	;; [unrolled: 1-line block ×3, first 2 shown]
	v_cmp_gt_f32_e32 vcc, s75, v35
	v_cndmask_b32_e64 v34, 1.0, v0, s[44:45]
	s_nop 0
	v_cndmask_b32_e32 v35, 0, v94, vcc
	v_fmac_f32_e32 v35, v66, v89
	v_exp_f32_e32 v35, v35
	v_cndmask_b32_e32 v0, 1.0, v77, vcc
	v_cmp_gt_f32_e32 vcc, s75, v62
	v_mul_f32_e32 v0, v35, v0
	s_nop 0
	v_cndmask_b32_e32 v62, 0, v94, vcc
	v_fmac_f32_e32 v62, v66, v90
	v_exp_f32_e32 v62, v62
	s_waitcnt vmcnt(0)
	v_mul_f32_e32 v35, v1, v63
	scratch_load_dword v1, off, off offset:24 ; 4-byte Folded Reload
	v_cndmask_b32_e64 v65, 0, v35, s[46:47]
	v_cndmask_b32_e64 v35, 1.0, v0, s[46:47]
	v_cndmask_b32_e32 v0, 1.0, v77, vcc
	v_mul_f32_e32 v0, v62, v0
	v_mul_f32_e32 v63, v66, v91
	v_cmp_gt_f32_e32 vcc, s75, v63
	v_cndmask_b32_e64 v92, 1.0, v0, s[48:49]
	s_waitcnt vmcnt(0)
	v_mul_f32_e32 v62, v1, v67
	scratch_load_dword v1, off, off offset:20 ; 4-byte Folded Reload
	v_cndmask_b32_e32 v63, 0, v94, vcc
	v_fmac_f32_e32 v63, v66, v91
	v_exp_f32_e32 v63, v63
	v_cndmask_b32_e32 v0, 1.0, v77, vcc
	v_mul_f32_e32 v67, v66, v75
	v_cmp_gt_f32_e32 vcc, s75, v67
	v_mul_f32_e32 v0, v63, v0
	v_cndmask_b32_e64 v93, 1.0, v0, s[50:51]
	v_cndmask_b32_e32 v67, 0, v94, vcc
	v_fmac_f32_e32 v67, v66, v75
	v_exp_f32_e32 v67, v67
	v_cndmask_b32_e32 v0, 1.0, v77, vcc
	v_cndmask_b32_e64 v62, 0, v62, s[48:49]
	v_mul_f32_e32 v0, v67, v0
	v_cndmask_b32_e64 v73, 1.0, v0, s[52:53]
	s_waitcnt vmcnt(0)
	v_mul_f32_e32 v63, v1, v68
	scratch_load_dword v1, off, off offset:16 ; 4-byte Folded Reload
	v_mul_f32_e32 v68, v66, v37
	v_cmp_gt_f32_e32 vcc, s75, v68
	v_cndmask_b32_e64 v63, 0, v63, s[50:51]
	s_waitcnt vmcnt(0)
	v_mul_f32_e32 v67, v1, v69
	scratch_load_dword v1, off, off offset:12 ; 4-byte Folded Reload
	v_cndmask_b32_e32 v68, 0, v94, vcc
	v_fmac_f32_e32 v68, v66, v37
	v_exp_f32_e32 v68, v68
	v_cndmask_b32_e32 v0, 1.0, v77, vcc
	v_cndmask_b32_e64 v66, 0, v67, s[52:53]
	v_mul_f32_e32 v0, v68, v0
	v_cndmask_b32_e64 v74, 1.0, v0, s[54:55]
	v_mul_f32_e32 v0, v12, v11
	v_mul_f32_e32 v0, v0, v13
	;; [unrolled: 1-line block ×15, first 2 shown]
	s_waitcnt vmcnt(0)
	v_mul_f32_e32 v24, v1, v24
	v_cndmask_b32_e64 v67, 0, v24, s[54:55]
	v_fma_f32 v24, v12, v10, v25
	v_fma_f32 v24, v24, v13, v26
	;; [unrolled: 1-line block ×15, first 2 shown]
	v_mov_b32_dpp v69, v68 row_shr:1 row_mask:0xf bank_mask:0xf
	s_nop 0
	v_mov_b32_dpp v0, v1 row_shr:1 row_mask:0xf bank_mask:0xf
	s_and_saveexec_b64 s[96:97], s[4:5]
; %bb.63:                               ;   in Loop: Header=BB83_56 Depth=2
	v_mul_f32_e32 v69, v68, v69
	v_fmac_f32_e32 v1, v68, v0
	v_mov_b32_e32 v68, v69
; %bb.64:                               ;   in Loop: Header=BB83_56 Depth=2
	s_or_b64 exec, exec, s[96:97]
	s_nop 0
	v_mov_b32_dpp v0, v68 row_shr:2 row_mask:0xf bank_mask:0xf
	v_mov_b32_dpp v69, v1 row_shr:2 row_mask:0xf bank_mask:0xf
	s_and_saveexec_b64 s[96:97], s[6:7]
; %bb.65:                               ;   in Loop: Header=BB83_56 Depth=2
	v_fmac_f32_e32 v1, v68, v69
	v_mul_f32_e32 v68, v68, v0
; %bb.66:                               ;   in Loop: Header=BB83_56 Depth=2
	s_or_b64 exec, exec, s[96:97]
	s_nop 0
	v_mov_b32_dpp v0, v68 row_shr:4 row_mask:0xf bank_mask:0xf
	v_mov_b32_dpp v69, v1 row_shr:4 row_mask:0xf bank_mask:0xf
	s_and_saveexec_b64 s[96:97], s[8:9]
; %bb.67:                               ;   in Loop: Header=BB83_56 Depth=2
	v_fmac_f32_e32 v1, v68, v69
	v_mul_f32_e32 v68, v68, v0
	;; [unrolled: 9-line block ×3, first 2 shown]
; %bb.70:                               ;   in Loop: Header=BB83_56 Depth=2
	s_or_b64 exec, exec, s[96:97]
	s_nop 0
	v_mov_b32_dpp v0, v68 row_bcast:15 row_mask:0xf bank_mask:0xf
	v_mov_b32_dpp v69, v1 row_bcast:15 row_mask:0xf bank_mask:0xf
	s_and_saveexec_b64 s[96:97], s[12:13]
; %bb.71:                               ;   in Loop: Header=BB83_56 Depth=2
	v_fmac_f32_e32 v1, v68, v69
	v_mul_f32_e32 v68, v68, v0
; %bb.72:                               ;   in Loop: Header=BB83_56 Depth=2
	s_or_b64 exec, exec, s[96:97]
	s_nop 0
	v_mov_b32_dpp v0, v68 row_bcast:31 row_mask:0xf bank_mask:0xf
	v_mov_b32_dpp v69, v1 row_bcast:31 row_mask:0xf bank_mask:0xf
	v_mov_b32_e32 v24, v1
	v_mul_f32_e32 v0, v68, v0
	v_fmac_f32_e32 v24, v68, v69
	v_cndmask_b32_e64 v68, v68, v0, s[14:15]
	v_cndmask_b32_e64 v69, v1, v24, s[14:15]
	s_and_saveexec_b64 s[96:97], s[16:17]
	s_cbranch_execz .LBB83_74
; %bb.73:                               ;   in Loop: Header=BB83_56 Depth=2
	ds_write_b64 v33, v[68:69] offset:4224
.LBB83_74:                              ;   in Loop: Header=BB83_56 Depth=2
	s_or_b64 exec, exec, s[96:97]
	scratch_load_dword v0, off, off offset:52 ; 4-byte Folded Reload
	s_waitcnt lgkmcnt(0)
	; wave barrier
	s_waitcnt vmcnt(0) lgkmcnt(0)
	ds_bpermute_b32 v24, v0, v68
	ds_bpermute_b32 v0, v0, v69
	v_mov_b32_e32 v69, v59
	s_and_saveexec_b64 s[96:97], s[18:19]
	s_cbranch_execz .LBB83_78
; %bb.75:                               ;   in Loop: Header=BB83_56 Depth=2
	ds_read_b64 v[68:69], v33 offset:4224
	s_and_saveexec_b64 s[98:99], s[20:21]
	s_cbranch_execz .LBB83_77
; %bb.76:                               ;   in Loop: Header=BB83_56 Depth=2
	ds_write_b64 v33, v[58:59] offset:4224
.LBB83_77:                              ;   in Loop: Header=BB83_56 Depth=2
	s_or_b64 exec, exec, s[98:99]
	s_waitcnt lgkmcnt(0)
	v_fmac_f32_e32 v69, v59, v68
	v_mul_f32_e32 v58, v58, v68
	v_mov_b32_e32 v59, v69
.LBB83_78:                              ;   in Loop: Header=BB83_56 Depth=2
	s_or_b64 exec, exec, s[96:97]
	s_waitcnt lgkmcnt(0)
	; wave barrier
	s_waitcnt lgkmcnt(0)
	ds_read_b32 v68, v33 offset:4228
	s_and_saveexec_b64 s[96:97], s[20:21]
	s_cbranch_execz .LBB83_55
; %bb.79:                               ;   in Loop: Header=BB83_56 Depth=2
	v_mov_b32_e32 v1, s1
	s_andn2_b64 vcc, exec, s[88:89]
	ds_write_b64 v1, v[58:59]
	s_cbranch_vccnz .LBB83_55
; %bb.80:                               ;   in Loop: Header=BB83_56 Depth=2
	s_mov_b32 s95, s77
	v_cvt_f16_f32_e32 v1, v69
	s_lshl_b64 s[98:99], s[94:95], 1
	s_add_u32 s98, s65, s98
	s_addc_u32 s99, s69, s99
	global_store_short v33, v1, s[98:99]
	s_branch .LBB83_55
.LBB83_81:
	s_endpgm
	.section	.rodata,"a",@progbits
	.p2align	6, 0x0
	.amdhsa_kernel _Z25selective_scan_fwd_kernelI32Selective_Scan_fwd_kernel_traitsILi64ELi16ELi1ELb1ELb1ELb1ELb0ELb0EN3c104HalfEfS2_EEv13SSMParamsBase
		.amdhsa_group_segment_fixed_size 0
		.amdhsa_private_segment_fixed_size 204
		.amdhsa_kernarg_size 248
		.amdhsa_user_sgpr_count 2
		.amdhsa_user_sgpr_dispatch_ptr 0
		.amdhsa_user_sgpr_queue_ptr 0
		.amdhsa_user_sgpr_kernarg_segment_ptr 1
		.amdhsa_user_sgpr_dispatch_id 0
		.amdhsa_user_sgpr_kernarg_preload_length 0
		.amdhsa_user_sgpr_kernarg_preload_offset 0
		.amdhsa_user_sgpr_private_segment_size 0
		.amdhsa_uses_dynamic_stack 0
		.amdhsa_enable_private_segment 1
		.amdhsa_system_sgpr_workgroup_id_x 1
		.amdhsa_system_sgpr_workgroup_id_y 1
		.amdhsa_system_sgpr_workgroup_id_z 0
		.amdhsa_system_sgpr_workgroup_info 0
		.amdhsa_system_vgpr_workitem_id 0
		.amdhsa_next_free_vgpr 96
		.amdhsa_next_free_sgpr 100
		.amdhsa_accum_offset 96
		.amdhsa_reserve_vcc 1
		.amdhsa_float_round_mode_32 0
		.amdhsa_float_round_mode_16_64 0
		.amdhsa_float_denorm_mode_32 3
		.amdhsa_float_denorm_mode_16_64 3
		.amdhsa_dx10_clamp 1
		.amdhsa_ieee_mode 1
		.amdhsa_fp16_overflow 0
		.amdhsa_tg_split 0
		.amdhsa_exception_fp_ieee_invalid_op 0
		.amdhsa_exception_fp_denorm_src 0
		.amdhsa_exception_fp_ieee_div_zero 0
		.amdhsa_exception_fp_ieee_overflow 0
		.amdhsa_exception_fp_ieee_underflow 0
		.amdhsa_exception_fp_ieee_inexact 0
		.amdhsa_exception_int_div_zero 0
	.end_amdhsa_kernel
	.section	.text._Z25selective_scan_fwd_kernelI32Selective_Scan_fwd_kernel_traitsILi64ELi16ELi1ELb1ELb1ELb1ELb0ELb0EN3c104HalfEfS2_EEv13SSMParamsBase,"axG",@progbits,_Z25selective_scan_fwd_kernelI32Selective_Scan_fwd_kernel_traitsILi64ELi16ELi1ELb1ELb1ELb1ELb0ELb0EN3c104HalfEfS2_EEv13SSMParamsBase,comdat
.Lfunc_end83:
	.size	_Z25selective_scan_fwd_kernelI32Selective_Scan_fwd_kernel_traitsILi64ELi16ELi1ELb1ELb1ELb1ELb0ELb0EN3c104HalfEfS2_EEv13SSMParamsBase, .Lfunc_end83-_Z25selective_scan_fwd_kernelI32Selective_Scan_fwd_kernel_traitsILi64ELi16ELi1ELb1ELb1ELb1ELb0ELb0EN3c104HalfEfS2_EEv13SSMParamsBase
                                        ; -- End function
	.section	.AMDGPU.csdata,"",@progbits
; Kernel info:
; codeLenInByte = 17464
; NumSgprs: 106
; NumVgprs: 96
; NumAgprs: 0
; TotalNumVgprs: 96
; ScratchSize: 204
; MemoryBound: 1
; FloatMode: 240
; IeeeMode: 1
; LDSByteSize: 0 bytes/workgroup (compile time only)
; SGPRBlocks: 13
; VGPRBlocks: 11
; NumSGPRsForWavesPerEU: 106
; NumVGPRsForWavesPerEU: 96
; AccumOffset: 96
; Occupancy: 5
; WaveLimiterHint : 1
; COMPUTE_PGM_RSRC2:SCRATCH_EN: 1
; COMPUTE_PGM_RSRC2:USER_SGPR: 2
; COMPUTE_PGM_RSRC2:TRAP_HANDLER: 0
; COMPUTE_PGM_RSRC2:TGID_X_EN: 1
; COMPUTE_PGM_RSRC2:TGID_Y_EN: 1
; COMPUTE_PGM_RSRC2:TGID_Z_EN: 0
; COMPUTE_PGM_RSRC2:TIDIG_COMP_CNT: 0
; COMPUTE_PGM_RSRC3_GFX90A:ACCUM_OFFSET: 23
; COMPUTE_PGM_RSRC3_GFX90A:TG_SPLIT: 0
	.section	.text._Z25selective_scan_fwd_kernelI32Selective_Scan_fwd_kernel_traitsILi64ELi16ELi1ELb0ELb1ELb1ELb1ELb1EN3c104HalfEfS2_EEv13SSMParamsBase,"axG",@progbits,_Z25selective_scan_fwd_kernelI32Selective_Scan_fwd_kernel_traitsILi64ELi16ELi1ELb0ELb1ELb1ELb1ELb1EN3c104HalfEfS2_EEv13SSMParamsBase,comdat
	.protected	_Z25selective_scan_fwd_kernelI32Selective_Scan_fwd_kernel_traitsILi64ELi16ELi1ELb0ELb1ELb1ELb1ELb1EN3c104HalfEfS2_EEv13SSMParamsBase ; -- Begin function _Z25selective_scan_fwd_kernelI32Selective_Scan_fwd_kernel_traitsILi64ELi16ELi1ELb0ELb1ELb1ELb1ELb1EN3c104HalfEfS2_EEv13SSMParamsBase
	.globl	_Z25selective_scan_fwd_kernelI32Selective_Scan_fwd_kernel_traitsILi64ELi16ELi1ELb0ELb1ELb1ELb1ELb1EN3c104HalfEfS2_EEv13SSMParamsBase
	.p2align	8
	.type	_Z25selective_scan_fwd_kernelI32Selective_Scan_fwd_kernel_traitsILi64ELi16ELi1ELb0ELb1ELb1ELb1ELb1EN3c104HalfEfS2_EEv13SSMParamsBase,@function
_Z25selective_scan_fwd_kernelI32Selective_Scan_fwd_kernel_traitsILi64ELi16ELi1ELb0ELb1ELb1ELb1ELb1EN3c104HalfEfS2_EEv13SSMParamsBase: ; @_Z25selective_scan_fwd_kernelI32Selective_Scan_fwd_kernel_traitsILi64ELi16ELi1ELb0ELb1ELb1ELb1ELb1EN3c104HalfEfS2_EEv13SSMParamsBase
; %bb.0:
	s_load_dword s36, s[0:1], 0x18
	s_load_dwordx4 s[4:7], s[0:1], 0xe8
	s_load_dwordx8 s[20:27], s[0:1], 0xc8
	s_mov_b32 s34, s3
	s_ashr_i32 s3, s2, 31
	s_lshl_b64 s[8:9], s[2:3], 2
	s_waitcnt lgkmcnt(0)
	s_abs_i32 s33, s36
	v_cvt_f32_u32_e32 v1, s33
	s_add_u32 s28, s26, s8
	s_addc_u32 s29, s27, s9
	s_cmp_eq_u64 s[6:7], 0
	v_rcp_iflag_f32_e32 v1, v1
                                        ; implicit-def: $vgpr95 : SGPR spill to VGPR lane
	s_nop 0
	v_mul_f32_e32 v1, 0x4f7ffffe, v1
	v_cvt_u32_f32_e32 v1, v1
	s_nop 0
	v_readfirstlane_b32 s37, v1
	s_cbranch_scc1 .LBB84_2
; %bb.1:
	s_add_u32 s6, s6, s2
	s_addc_u32 s7, s7, s3
	v_mov_b32_e32 v1, 0
	global_load_ubyte v1, v1, s[6:7]
	s_waitcnt vmcnt(0)
	v_and_b32_e32 v1, 1, v1
	v_cmp_eq_u32_e64 s[6:7], 1, v1
	s_branch .LBB84_3
.LBB84_2:
	s_mov_b64 s[6:7], 0
.LBB84_3:
	s_nop 0
	v_writelane_b32 v95, s6, 0
	s_cmp_eq_u64 s[4:5], 0
	s_nop 0
	v_writelane_b32 v95, s7, 1
	s_load_dwordx2 s[6:7], s[0:1], 0x20
	s_cbranch_scc1 .LBB84_5
; %bb.4:
	s_add_u32 s2, s4, s8
	s_addc_u32 s3, s5, s9
	s_load_dword s2, s[2:3], 0x0
	s_waitcnt lgkmcnt(0)
	s_ashr_i32 s3, s2, 31
.LBB84_5:
	s_waitcnt lgkmcnt(0)
	s_cmp_eq_u64 s[6:7], s[2:3]
	s_cbranch_scc1 .LBB84_298
; %bb.6:
	s_load_dwordx16 s[4:19], s[0:1], 0x88
	s_load_dwordx2 s[26:27], s[28:29], 0x0
	s_mov_b32 s3, 0
	v_writelane_b32 v95, s3, 2
	v_writelane_b32 v95, s3, 3
	s_waitcnt lgkmcnt(0)
	s_cmp_eq_u64 s[10:11], 0
	s_cbranch_scc1 .LBB84_8
; %bb.7:
	s_ashr_i32 s35, s34, 31
	s_lshl_b64 s[28:29], s[34:35], 2
	s_add_u32 s10, s10, s28
	s_addc_u32 s11, s11, s29
	s_load_dword s3, s[10:11], 0x0
	s_waitcnt lgkmcnt(0)
	v_writelane_b32 v95, s3, 3
.LBB84_8:
	s_cmp_eq_u64 s[16:17], 0
	s_cbranch_scc1 .LBB84_10
; %bb.9:
	s_ashr_i32 s35, s34, 31
	s_lshl_b64 s[10:11], s[34:35], 2
	s_add_u32 s10, s16, s10
	s_addc_u32 s11, s17, s11
	s_load_dword s3, s[10:11], 0x0
	s_waitcnt lgkmcnt(0)
	v_writelane_b32 v95, s3, 2
.LBB84_10:
	s_sub_i32 s35, s27, s26
	s_cmp_lt_i32 s35, 1
	s_cbranch_scc1 .LBB84_298
; %bb.11:
	v_mbcnt_lo_u32_b32 v1, -1, 0
	v_mbcnt_hi_u32_b32 v20, -1, v1
	s_sub_i32 s3, 0, s33
	v_lshrrev_b32_e32 v1, 5, v20
	s_mul_i32 s3, s3, s37
	v_and_b32_e32 v1, 2, v1
	s_mul_hi_u32 s3, s37, s3
	v_add_u32_e32 v1, v1, v20
	s_abs_i32 s16, s34
	s_add_i32 s37, s37, s3
	v_add_u32_e32 v2, 64, v20
	v_lshl_add_u32 v1, v1, 1, 0
	s_load_dwordx8 s[40:47], s[0:1], 0x2c
	s_load_dwordx2 s[10:11], s[0:1], 0x7c
	s_load_dwordx4 s[28:31], s[0:1], 0x6c
	s_load_dwordx8 s[48:55], s[0:1], 0x4c
	s_mul_hi_u32 s3, s16, s37
	s_load_dword s37, s[0:1], 0xc
	s_load_dword s17, s[0:1], 0x28
	scratch_store_dword off, v1, off        ; 4-byte Folded Spill
	scratch_store_dword off, v2, off offset:180 ; 4-byte Folded Spill
	v_lshrrev_b32_e32 v1, 5, v2
	v_and_b32_e32 v1, 6, v1
	v_add_lshl_u32 v1, v1, v20, 1
	v_or_b32_e32 v3, 0x80, v20
	v_add_u32_e32 v2, 0, v1
	scratch_store_dword off, v2, off offset:8 ; 4-byte Folded Spill
	scratch_store_dword off, v3, off offset:184 ; 4-byte Folded Spill
	v_lshrrev_b32_e32 v2, 5, v3
	v_and_b32_e32 v2, 6, v2
	s_load_dword s97, s[0:1], 0x84
	s_ashr_i32 s0, s34, 31
	s_ashr_i32 s1, s36, 31
	v_add_lshl_u32 v2, v2, v20, 1
	s_xor_b32 s0, s0, s1
	s_mul_i32 s1, s3, s33
	v_add_u32_e32 v4, 0xc0, v20
	v_add_u32_e32 v3, 0, v2
	s_sub_i32 s1, s16, s1
	scratch_store_dword off, v3, off offset:12 ; 4-byte Folded Spill
	scratch_store_dword off, v4, off offset:188 ; 4-byte Folded Spill
	v_lshrrev_b32_e32 v3, 5, v4
	s_add_i32 s16, s3, 1
	s_sub_i32 s27, s1, s33
	v_and_b32_e32 v3, 14, v3
	s_cmp_ge_u32 s1, s33
	v_add_lshl_u32 v3, v3, v20, 1
	s_cselect_b32 s3, s16, s3
	v_or_b32_e32 v5, 0x100, v20
	v_add_u32_e32 v4, 0, v3
	s_cselect_b32 s1, s27, s1
	s_add_i32 s16, s3, 1
	scratch_store_dword off, v4, off offset:16 ; 4-byte Folded Spill
	scratch_store_dword off, v5, off offset:192 ; 4-byte Folded Spill
	v_lshrrev_b32_e32 v4, 5, v5
	s_cmp_ge_u32 s1, s33
	v_and_b32_e32 v4, 10, v4
	s_cselect_b32 s1, s16, s3
	v_add_lshl_u32 v4, v4, v20, 1
	s_xor_b32 s1, s1, s0
	s_waitcnt lgkmcnt(0)
	s_mul_i32 s98, s26, s50
	s_mov_b32 s99, 0
	v_add_u32_e32 v6, 0x140, v20
	v_add_u32_e32 v5, 0, v4
	s_sub_i32 s3, s1, s0
	s_lshl_b64 s[0:1], s[98:99], 1
	scratch_store_dword off, v5, off offset:20 ; 4-byte Folded Spill
	scratch_store_dword off, v6, off offset:196 ; 4-byte Folded Spill
	v_lshrrev_b32_e32 v5, 5, v6
	s_add_u32 s12, s12, s0
	s_mul_i32 s98, s51, s34
	v_and_b32_e32 v5, 14, v5
	s_addc_u32 s13, s13, s1
	s_lshl_b64 s[0:1], s[98:99], 1
	v_add_lshl_u32 v5, v5, v20, 1
	s_add_u32 s38, s12, s0
	s_mul_i32 s98, s26, s52
	v_or_b32_e32 v7, 0x180, v20
	v_add_u32_e32 v6, 0, v5
	s_addc_u32 s39, s13, s1
	s_lshl_b64 s[0:1], s[98:99], 1
	scratch_store_dword off, v6, off offset:24 ; 4-byte Folded Spill
	scratch_store_dword off, v7, off offset:200 ; 4-byte Folded Spill
	v_lshrrev_b32_e32 v6, 5, v7
	s_add_u32 s12, s14, s0
	s_mul_i32 s98, s53, s34
	v_and_b32_e32 v6, 14, v6
	s_addc_u32 s13, s15, s1
	s_lshl_b64 s[0:1], s[98:99], 1
	v_add_lshl_u32 v6, v6, v20, 1
	s_add_u32 s0, s12, s0
	v_add_u32_e32 v8, 0x1c0, v20
	v_add_u32_e32 v7, 0, v6
	s_addc_u32 s1, s13, s1
	scratch_store_dword off, v7, off offset:28 ; 4-byte Folded Spill
	scratch_store_dword off, v8, off offset:204 ; 4-byte Folded Spill
	v_lshrrev_b32_e32 v7, 5, v8
	v_writelane_b32 v95, s0, 4
	s_mul_i32 s98, s40, s34
	v_and_b32_e32 v7, 30, v7
	v_writelane_b32 v95, s1, 5
	s_lshl_b64 s[0:1], s[98:99], 2
	v_add_lshl_u32 v7, v7, v20, 1
	s_add_u32 s0, s4, s0
	v_or_b32_e32 v9, 0x200, v20
	v_add_u32_e32 v8, 0, v7
	v_writelane_b32 v95, s0, 6
	s_addc_u32 s0, s5, s1
	s_mul_i32 s98, s26, s42
	scratch_store_dword off, v8, off offset:32 ; 4-byte Folded Spill
	scratch_store_dword off, v9, off offset:208 ; 4-byte Folded Spill
	v_lshrrev_b32_e32 v8, 5, v9
	v_writelane_b32 v95, s0, 7
	s_lshl_b64 s[0:1], s[98:99], 1
	v_and_b32_e32 v8, 18, v8
	s_add_u32 s4, s6, s0
	s_mul_i32 s98, s3, s45
	v_add_lshl_u32 v8, v8, v20, 1
	s_addc_u32 s5, s7, s1
	s_lshl_b64 s[0:1], s[98:99], 1
	v_add_u32_e32 v10, 0x240, v20
	v_add_u32_e32 v9, 0, v8
	s_add_u32 s0, s4, s0
	scratch_store_dword off, v9, off offset:36 ; 4-byte Folded Spill
	scratch_store_dword off, v10, off offset:212 ; 4-byte Folded Spill
	v_lshrrev_b32_e32 v9, 5, v10
	s_addc_u32 s1, s5, s1
	v_and_b32_e32 v9, 22, v9
	v_writelane_b32 v95, s0, 8
	v_add_lshl_u32 v9, v9, v20, 1
	v_or_b32_e32 v11, 0x280, v20
	v_writelane_b32 v95, s1, 9
	v_add_u32_e32 v10, 0, v9
	v_writelane_b32 v95, s40, 10
	scratch_store_dword off, v10, off offset:40 ; 4-byte Folded Spill
	scratch_store_dword off, v11, off offset:216 ; 4-byte Folded Spill
	v_lshrrev_b32_e32 v10, 5, v11
	v_writelane_b32 v95, s41, 11
	v_and_b32_e32 v10, 22, v10
	v_writelane_b32 v95, s42, 12
	s_mul_i32 s98, s26, s46
	v_add_lshl_u32 v10, v10, v20, 1
	v_writelane_b32 v95, s43, 13
	s_lshl_b64 s[0:1], s[98:99], 1
	v_add_u32_e32 v12, 0x2c0, v20
	v_add_u32_e32 v11, 0, v10
	v_writelane_b32 v95, s44, 14
	s_add_u32 s4, s8, s0
	s_mul_i32 s98, s3, s49
	scratch_store_dword off, v11, off offset:44 ; 4-byte Folded Spill
	scratch_store_dword off, v12, off offset:220 ; 4-byte Folded Spill
	v_lshrrev_b32_e32 v11, 5, v12
	v_writelane_b32 v95, s45, 15
	s_addc_u32 s5, s9, s1
	s_lshl_b64 s[0:1], s[98:99], 1
	v_and_b32_e32 v11, 30, v11
	v_writelane_b32 v95, s46, 16
	s_add_u32 s0, s4, s0
	v_add_lshl_u32 v11, v11, v20, 1
	v_writelane_b32 v95, s47, 17
	s_addc_u32 s1, s5, s1
	v_or_b32_e32 v13, 0x300, v20
	v_add_u32_e32 v12, 0, v11
	v_writelane_b32 v95, s0, 18
	s_mul_i32 s98, s2, s10
	scratch_store_dword off, v12, off offset:48 ; 4-byte Folded Spill
	scratch_store_dword off, v13, off offset:224 ; 4-byte Folded Spill
	v_lshrrev_b32_e32 v12, 5, v13
	v_writelane_b32 v95, s1, 19
	s_lshl_b64 s[0:1], s[98:99], 1
	v_and_b32_e32 v12, 26, v12
	s_add_u32 s2, s20, s0
	s_mul_i32 s98, s11, s34
	v_add_lshl_u32 v12, v12, v20, 1
	s_addc_u32 s3, s21, s1
	s_lshl_b64 s[0:1], s[98:99], 1
	v_add_u32_e32 v14, 0x340, v20
	v_add_u32_e32 v13, 0, v12
	s_add_u32 s0, s2, s0
	scratch_store_dword off, v13, off offset:52 ; 4-byte Folded Spill
	scratch_store_dword off, v14, off offset:228 ; 4-byte Folded Spill
	v_lshrrev_b32_e32 v13, 5, v14
	v_writelane_b32 v95, s0, 20
	s_addc_u32 s0, s3, s1
	v_and_b32_e32 v13, 30, v13
	v_writelane_b32 v95, s0, 21
	s_add_i32 s0, s35, 0x7ff
	v_add_lshl_u32 v13, v13, v20, 1
	s_lshr_b32 s1, s0, 11
	v_or_b32_e32 v15, 0x380, v20
	v_add_u32_e32 v14, 0, v13
	scratch_store_dword off, v14, off offset:56 ; 4-byte Folded Spill
	scratch_store_dword off, v15, off offset:232 ; 4-byte Folded Spill
	v_lshrrev_b32_e32 v14, 5, v15
	s_bitcmp1_b32 s17, 0
	v_and_b32_e32 v14, 30, v14
	s_cselect_b64 s[6:7], -1, 0
	s_cmp_gt_i32 s37, 0
	v_add_lshl_u32 v14, v14, v20, 1
	s_cselect_b64 s[2:3], -1, 0
	s_add_i32 s0, 0, 0x840
	v_add_u32_e32 v15, 0, v14
	v_add_u32_e32 v1, s0, v1
	;; [unrolled: 1-line block ×3, first 2 shown]
	scratch_store_dword off, v15, off offset:60 ; 4-byte Folded Spill
	scratch_store_dword off, v16, off offset:236 ; 4-byte Folded Spill
	;; [unrolled: 1-line block ×3, first 2 shown]
	v_add_u32_e32 v1, s0, v2
	scratch_store_dword off, v1, off offset:100 ; 4-byte Folded Spill
	v_add_u32_e32 v1, s0, v3
	scratch_store_dword off, v1, off offset:104 ; 4-byte Folded Spill
	;; [unrolled: 2-line block ×7, first 2 shown]
	v_add_u32_e32 v1, s0, v9
	v_lshrrev_b32_e32 v15, 5, v16
	scratch_store_dword off, v1, off offset:128 ; 4-byte Folded Spill
	v_add_u32_e32 v1, s0, v10
	v_and_b32_e32 v15, 62, v15
	scratch_store_dword off, v1, off offset:132 ; 4-byte Folded Spill
	v_add_u32_e32 v1, s0, v11
	v_add_lshl_u32 v15, v15, v20, 1
	scratch_store_dword off, v1, off offset:136 ; 4-byte Folded Spill
	v_add_u32_e32 v1, s0, v12
	v_add_u32_e32 v16, 0, v15
	v_lshrrev_b32_e32 v18, 1, v20
	scratch_store_dword off, v1, off offset:140 ; 4-byte Folded Spill
	v_add_u32_e32 v1, s0, v13
	scratch_store_dword off, v16, off offset:64 ; 4-byte Folded Spill
	v_lshlrev_b32_e32 v16, 4, v20
	v_and_b32_e32 v18, 62, v18
	scratch_store_dword off, v1, off offset:144 ; 4-byte Folded Spill
	v_add_u32_e32 v1, s0, v14
	v_add_lshl_u32 v16, v18, v16, 1
	v_writelane_b32 v95, s37, 22
	scratch_store_dword off, v1, off offset:148 ; 4-byte Folded Spill
	v_add_u32_e32 v1, s0, v15
	v_writelane_b32 v95, s2, 23
	scratch_store_dword off, v1, off offset:152 ; 4-byte Folded Spill
	v_add_u32_e32 v1, s0, v16
	s_and_b32 s0, s35, 0x3ff
	v_writelane_b32 v95, s3, 24
	s_cmp_eq_u32 s0, 0
	v_writelane_b32 v95, s35, 25
	s_cselect_b64 s[2:3], -1, 0
	v_writelane_b32 v95, s2, 26
	s_add_i32 s0, s1, -1
	s_mul_i32 s98, s26, s28
	v_writelane_b32 v95, s3, 27
	v_writelane_b32 v95, s1, 28
	;; [unrolled: 1-line block ×3, first 2 shown]
	s_lshl_b64 s[0:1], s[98:99], 1
	scratch_store_dword off, v1, off offset:156 ; 4-byte Folded Spill
	v_and_b32_e32 v1, 15, v20
	s_add_u32 s4, s18, s0
	s_addc_u32 s5, s19, s1
	v_cmp_ne_u32_e64 s[0:1], 0, v1
	v_cmp_lt_u32_e64 s[2:3], 3, v1
	s_mul_i32 s98, s29, s34
	v_writelane_b32 v95, s0, 30
	v_and_b32_e32 v2, 64, v20
	v_lshlrev_b32_e32 v19, 4, v0
	v_writelane_b32 v95, s1, 31
	v_cmp_lt_u32_e64 s[0:1], 1, v1
	v_cmp_eq_u32_e64 s[16:17], 0, v0
	v_add_u32_e32 v18, 0, v16
	v_writelane_b32 v95, s0, 32
	v_mov_b32_e32 v17, 0
	scratch_store_dword off, v18, off offset:4 ; 4-byte Folded Spill
	v_writelane_b32 v95, s1, 33
	v_cmp_lt_u32_e64 s[0:1], 7, v1
	v_and_b32_e32 v1, 16, v20
	v_lshlrev_b32_e32 v16, 1, v20
	v_writelane_b32 v95, s0, 34
	v_cmp_lt_u32_e64 s[12:13], 31, v20
	s_mov_b32 s8, 0xc2ce8ed0
	v_writelane_b32 v95, s1, 35
	v_cmp_ne_u32_e64 s[0:1], 0, v1
	v_add_u32_e32 v1, -1, v20
	v_cmp_lt_i32_e32 vcc, v1, v2
	v_writelane_b32 v95, s0, 36
	s_mov_b32 s9, 0x42b17218
	v_cndmask_b32_e32 v1, v1, v20, vcc
	v_writelane_b32 v95, s1, 37
	s_lshl_b64 s[0:1], s[98:99], 1
	s_add_u32 s0, s4, s0
	s_mul_i32 s98, s26, s54
	s_addc_u32 s1, s5, s1
	s_lshl_b64 s[4:5], s[98:99], 1
	s_add_u32 s14, s22, s4
	v_writelane_b32 v95, s48, 38
	s_mul_i32 s98, s55, s34
	s_addc_u32 s15, s23, s5
	s_lshl_b64 s[4:5], s[98:99], 1
	s_add_u32 s18, s14, s4
	s_mul_i32 s98, s26, s30
	s_addc_u32 s19, s15, s5
	s_lshl_b64 s[14:15], s[98:99], 1
	s_add_u32 s22, s24, s14
	v_cmp_eq_u32_e64 s[4:5], 63, v0
	v_lshlrev_b32_e32 v1, 2, v1
	s_addc_u32 s23, s25, s15
	v_cmp_gt_u32_e64 s[14:15], 64, v0
	v_mov_b32_e32 v0, v20
	scratch_store_dwordx2 off, v[0:1], off offset:172 ; 8-byte Folded Spill
	v_or_b32_e32 v0, 1, v19
	scratch_store_dword off, v0, off offset:268 ; 4-byte Folded Spill
	v_or_b32_e32 v0, 2, v19
	scratch_store_dword off, v0, off offset:272 ; 4-byte Folded Spill
	;; [unrolled: 2-line block ×6, first 2 shown]
                                        ; implicit-def: $vgpr0
	v_writelane_b32 v95, s49, 39
	v_or_b32_e32 v0, 7, v19
	v_writelane_b32 v95, s50, 40
	scratch_store_dword off, v0, off offset:292 ; 4-byte Folded Spill
	v_or_b32_e32 v0, 8, v19
	v_writelane_b32 v95, s51, 41
	scratch_store_dword off, v0, off offset:296 ; 4-byte Folded Spill
	;; [unrolled: 3-line block ×4, first 2 shown]
	v_or_b32_e32 v0, 11, v19
	v_writelane_b32 v95, s54, 44
	s_mul_i32 s98, s31, s34
	scratch_store_dword off, v0, off offset:308 ; 4-byte Folded Spill
	v_or_b32_e32 v0, 12, v19
	v_writelane_b32 v95, s55, 45
	s_lshl_b64 s[20:21], s[98:99], 1
	scratch_store_dword off, v0, off offset:312 ; 4-byte Folded Spill
	v_or_b32_e32 v0, 13, v19
	v_writelane_b32 v95, s4, 46
	s_add_u32 s20, s22, s20
	scratch_store_dword off, v0, off offset:316 ; 4-byte Folded Spill
	v_or_b32_e32 v0, 14, v19
	v_writelane_b32 v95, s5, 47
	scratch_store_dword off, v1, off offset:160 ; 4-byte Folded Spill
	s_addc_u32 s21, s23, s21
	s_add_i32 s22, 0, 0x1088
	scratch_store_dword off, v0, off offset:320 ; 4-byte Folded Spill
	scratch_store_dword off, v19, off offset:264 ; 4-byte Folded Spill
	v_or_b32_e32 v0, 15, v19
	v_writelane_b32 v95, s22, 48
	scratch_store_dword off, v0, off offset:324 ; 4-byte Folded Spill
	v_lshl_add_u64 v[0:1], s[0:1], 0, v[16:17]
	scratch_store_dwordx2 off, v[0:1], off offset:240 ; 8-byte Folded Spill
	v_lshl_add_u64 v[0:1], s[18:19], 0, v[16:17]
	v_writelane_b32 v95, s97, 49
	scratch_store_dwordx2 off, v[0:1], off offset:248 ; 8-byte Folded Spill
	v_lshl_add_u64 v[0:1], s[20:21], 0, v[16:17]
	v_writelane_b32 v95, s6, 50
	s_mov_b32 s4, 0x41a00000
	s_mov_b32 s5, 0x3fb8aa3b
	;; [unrolled: 1-line block ×7, first 2 shown]
	v_mov_b32_e32 v39, 0x7f800000
	v_mov_b32_e32 v20, 0x42800000
	v_mov_b32_e32 v21, 0x1f800000
	s_mov_b32 s1, 0
	scratch_store_dwordx2 off, v[0:1], off offset:256 ; 8-byte Folded Spill
	v_mov_b32_e32 v0, 0x3f317218
	v_writelane_b32 v95, s7, 51
	scratch_store_dwordx2 off, v[0:1], off offset:164 ; 8-byte Folded Spill
	s_branch .LBB84_13
.LBB84_12:                              ;   in Loop: Header=BB84_13 Depth=1
	s_or_b64 exec, exec, s[18:19]
	v_readlane_b32 s0, v95, 4
	v_readlane_b32 s1, v95, 5
	s_add_u32 s0, s0, 0x800
	s_addc_u32 s1, s1, 0
	v_writelane_b32 v95, s0, 4
	s_nop 1
	v_writelane_b32 v95, s1, 5
	s_nop 0
	v_readlane_b32 s38, v95, 55
	v_readlane_b32 s39, v95, 56
	s_add_u32 s38, s38, 0x800
	s_addc_u32 s39, s39, 0
	v_readlane_b32 s0, v95, 8
	v_readlane_b32 s1, v95, 9
	s_add_u32 s0, s0, 0x800
	s_addc_u32 s1, s1, 0
	v_writelane_b32 v95, s0, 8
	s_nop 1
	v_writelane_b32 v95, s1, 9
	s_nop 0
	v_readlane_b32 s0, v95, 18
	v_readlane_b32 s1, v95, 19
	s_add_u32 s0, s0, 0x800
	s_addc_u32 s1, s1, 0
	v_writelane_b32 v95, s0, 18
	s_nop 1
	v_writelane_b32 v95, s1, 19
	s_nop 0
	v_readlane_b32 s1, v95, 52
	s_add_i32 s1, s1, 1
	v_readlane_b32 s0, v95, 28
	s_cmp_lg_u32 s1, s0
	s_cbranch_scc0 .LBB84_298
.LBB84_13:                              ; =>This Loop Header: Depth=1
                                        ;     Child Loop BB84_110 Depth 2
	s_waitcnt lgkmcnt(0)
	; wave barrier
	s_waitcnt vmcnt(63) expcnt(7) lgkmcnt(15)
	scratch_load_dwordx2 v[0:1], off, off offset:172 ; 8-byte Folded Reload
	s_lshl_b32 s20, s1, 10
	v_writelane_b32 v95, s1, 52
	s_mov_b32 s18, s20
	v_readlane_b32 s0, v95, 25
	v_writelane_b32 v95, s18, 53
	s_sub_i32 s82, s0, s20
	s_waitcnt vmcnt(0) lgkmcnt(0)
	v_mov_b32_e32 v2, v0
	v_writelane_b32 v95, s19, 54
	v_lshlrev_b32_e32 v16, 1, v2
	v_writelane_b32 v95, s38, 55
	v_cmp_gt_u32_e64 s[18:19], s82, v2
	v_mov_b32_e32 v2, 0
	v_writelane_b32 v95, s39, 56
	v_lshl_add_u64 v[0:1], s[38:39], 0, v[16:17]
	s_and_saveexec_b64 s[20:21], s[18:19]
	s_cbranch_execz .LBB84_15
; %bb.14:                               ;   in Loop: Header=BB84_13 Depth=1
	global_load_ushort v2, v[0:1], off
.LBB84_15:                              ;   in Loop: Header=BB84_13 Depth=1
	s_or_b64 exec, exec, s[20:21]
	scratch_load_dword v3, off, off offset:180 ; 4-byte Folded Reload
	v_mov_b32_e32 v4, 0
	s_waitcnt vmcnt(0)
	v_cmp_gt_u32_e64 s[20:21], s82, v3
	v_mov_b32_e32 v3, 0
	s_and_saveexec_b64 s[22:23], s[20:21]
	s_cbranch_execz .LBB84_17
; %bb.16:                               ;   in Loop: Header=BB84_13 Depth=1
	global_load_ushort v4, v[0:1], off offset:128
.LBB84_17:                              ;   in Loop: Header=BB84_13 Depth=1
	s_or_b64 exec, exec, s[22:23]
	scratch_load_dword v5, off, off offset:184 ; 4-byte Folded Reload
	s_waitcnt vmcnt(0)
	v_cmp_gt_u32_e64 s[22:23], s82, v5
	s_and_saveexec_b64 s[24:25], s[22:23]
	s_cbranch_execz .LBB84_19
; %bb.18:                               ;   in Loop: Header=BB84_13 Depth=1
	global_load_ushort v3, v[0:1], off offset:256
.LBB84_19:                              ;   in Loop: Header=BB84_13 Depth=1
	s_or_b64 exec, exec, s[24:25]
	scratch_load_dword v5, off, off offset:188 ; 4-byte Folded Reload
	v_mov_b32_e32 v6, 0
	s_waitcnt vmcnt(0)
	v_cmp_gt_u32_e64 s[24:25], s82, v5
	v_mov_b32_e32 v5, 0
	s_and_saveexec_b64 s[26:27], s[24:25]
	s_cbranch_execz .LBB84_21
; %bb.20:                               ;   in Loop: Header=BB84_13 Depth=1
	global_load_ushort v6, v[0:1], off offset:384
.LBB84_21:                              ;   in Loop: Header=BB84_13 Depth=1
	s_or_b64 exec, exec, s[26:27]
	scratch_load_dword v7, off, off offset:192 ; 4-byte Folded Reload
	s_waitcnt vmcnt(0)
	v_cmp_gt_u32_e64 s[26:27], s82, v7
	s_and_saveexec_b64 s[28:29], s[26:27]
	s_cbranch_execz .LBB84_23
; %bb.22:                               ;   in Loop: Header=BB84_13 Depth=1
	global_load_ushort v5, v[0:1], off offset:512
.LBB84_23:                              ;   in Loop: Header=BB84_13 Depth=1
	;; [unrolled: 20-line block ×4, first 2 shown]
	s_or_b64 exec, exec, s[38:39]
	scratch_load_dword v10, off, off offset:212 ; 4-byte Folded Reload
	v_mov_b32_e32 v12, 0
	v_mov_b32_e32 v13, 0
	s_waitcnt vmcnt(0)
	v_cmp_gt_u32_e64 s[38:39], s82, v10
	s_and_saveexec_b64 s[40:41], s[38:39]
	s_cbranch_execz .LBB84_33
; %bb.32:                               ;   in Loop: Header=BB84_13 Depth=1
	global_load_ushort v13, v[0:1], off offset:1152
.LBB84_33:                              ;   in Loop: Header=BB84_13 Depth=1
	s_or_b64 exec, exec, s[40:41]
	scratch_load_dword v10, off, off offset:216 ; 4-byte Folded Reload
	s_waitcnt vmcnt(0)
	v_cmp_gt_u32_e64 s[40:41], s82, v10
	s_and_saveexec_b64 s[42:43], s[40:41]
	s_cbranch_execz .LBB84_35
; %bb.34:                               ;   in Loop: Header=BB84_13 Depth=1
	global_load_ushort v12, v[0:1], off offset:1280
.LBB84_35:                              ;   in Loop: Header=BB84_13 Depth=1
	s_or_b64 exec, exec, s[42:43]
	scratch_load_dword v10, off, off offset:220 ; 4-byte Folded Reload
	v_mov_b32_e32 v14, 0
	v_mov_b32_e32 v15, 0
	s_waitcnt vmcnt(0)
	v_cmp_gt_u32_e64 s[42:43], s82, v10
	s_and_saveexec_b64 s[44:45], s[42:43]
	s_cbranch_execz .LBB84_37
; %bb.36:                               ;   in Loop: Header=BB84_13 Depth=1
	global_load_ushort v15, v[0:1], off offset:1408
.LBB84_37:                              ;   in Loop: Header=BB84_13 Depth=1
	s_or_b64 exec, exec, s[44:45]
	scratch_load_dword v10, off, off offset:224 ; 4-byte Folded Reload
	s_waitcnt vmcnt(0)
	v_cmp_gt_u32_e64 s[44:45], s82, v10
	s_and_saveexec_b64 s[46:47], s[44:45]
	s_cbranch_execz .LBB84_39
; %bb.38:                               ;   in Loop: Header=BB84_13 Depth=1
	global_load_ushort v14, v[0:1], off offset:1536
.LBB84_39:                              ;   in Loop: Header=BB84_13 Depth=1
	;; [unrolled: 20-line block ×3, first 2 shown]
	s_or_b64 exec, exec, s[50:51]
	scratch_load_dword v10, off, off offset:236 ; 4-byte Folded Reload
	v_mov_b32_e32 v22, 0
	s_waitcnt vmcnt(0)
	v_cmp_gt_u32_e64 s[50:51], s82, v10
	v_mov_b32_e32 v10, 0
	s_and_saveexec_b64 s[52:53], s[50:51]
	s_cbranch_execz .LBB84_45
; %bb.44:                               ;   in Loop: Header=BB84_13 Depth=1
	global_load_ushort v22, v[0:1], off offset:1920
.LBB84_45:                              ;   in Loop: Header=BB84_13 Depth=1
	s_or_b64 exec, exec, s[52:53]
	scratch_load_dword v0, off, off         ; 4-byte Folded Reload
	v_readlane_b32 s0, v95, 4
	v_readlane_b32 s1, v95, 5
	s_waitcnt vmcnt(0)
	ds_write_b16 v0, v2
	scratch_load_dword v0, off, off offset:8 ; 4-byte Folded Reload
	s_waitcnt vmcnt(0)
	ds_write_b16 v0, v4 offset:128
	scratch_load_dword v0, off, off offset:12 ; 4-byte Folded Reload
	s_waitcnt vmcnt(0)
	ds_write_b16 v0, v3 offset:256
	;; [unrolled: 3-line block ×8, first 2 shown]
	scratch_load_dword v0, off, off offset:40 ; 4-byte Folded Reload
	v_lshl_add_u64 v[8:9], s[0:1], 0, v[16:17]
	s_waitcnt vmcnt(0)
	ds_write_b16 v0, v13 offset:1152
	scratch_load_dword v0, off, off offset:44 ; 4-byte Folded Reload
	s_waitcnt vmcnt(0)
	ds_write_b16 v0, v12 offset:1280
	scratch_load_dword v0, off, off offset:48 ; 4-byte Folded Reload
	;; [unrolled: 3-line block ×6, first 2 shown]
	s_waitcnt vmcnt(0)
	ds_write_b16 v0, v22 offset:1920
	; wave barrier
	scratch_load_dword v4, off, off offset:4 ; 4-byte Folded Reload
	s_waitcnt vmcnt(0)
	ds_read_b128 v[0:3], v4
	ds_read_b128 v[4:7], v4 offset:16
	s_waitcnt lgkmcnt(0)
	; wave barrier
	s_waitcnt lgkmcnt(0)
	s_and_saveexec_b64 s[52:53], s[18:19]
	s_cbranch_execz .LBB84_47
; %bb.46:                               ;   in Loop: Header=BB84_13 Depth=1
	global_load_ushort v10, v[8:9], off
.LBB84_47:                              ;   in Loop: Header=BB84_13 Depth=1
	s_or_b64 exec, exec, s[52:53]
	v_mov_b32_e32 v11, 0
	v_mov_b32_e32 v12, 0
	s_and_saveexec_b64 s[52:53], s[20:21]
	s_cbranch_execz .LBB84_49
; %bb.48:                               ;   in Loop: Header=BB84_13 Depth=1
	global_load_ushort v12, v[8:9], off offset:128
.LBB84_49:                              ;   in Loop: Header=BB84_13 Depth=1
	s_or_b64 exec, exec, s[52:53]
	s_and_saveexec_b64 s[52:53], s[22:23]
	s_cbranch_execz .LBB84_51
; %bb.50:                               ;   in Loop: Header=BB84_13 Depth=1
	global_load_ushort v11, v[8:9], off offset:256
.LBB84_51:                              ;   in Loop: Header=BB84_13 Depth=1
	s_or_b64 exec, exec, s[52:53]
	v_mov_b32_e32 v13, 0
	v_mov_b32_e32 v14, 0
	s_and_saveexec_b64 s[52:53], s[24:25]
	s_cbranch_execz .LBB84_53
; %bb.52:                               ;   in Loop: Header=BB84_13 Depth=1
	global_load_ushort v14, v[8:9], off offset:384
.LBB84_53:                              ;   in Loop: Header=BB84_13 Depth=1
	s_or_b64 exec, exec, s[52:53]
	s_and_saveexec_b64 s[52:53], s[26:27]
	s_cbranch_execz .LBB84_55
; %bb.54:                               ;   in Loop: Header=BB84_13 Depth=1
	global_load_ushort v13, v[8:9], off offset:512
.LBB84_55:                              ;   in Loop: Header=BB84_13 Depth=1
	;; [unrolled: 14-line block ×6, first 2 shown]
	s_or_b64 exec, exec, s[52:53]
	v_mov_b32_e32 v27, 0
	v_mov_b32_e32 v28, 0
	s_and_saveexec_b64 s[52:53], s[46:47]
	s_cbranch_execnz .LBB84_267
; %bb.72:                               ;   in Loop: Header=BB84_13 Depth=1
	s_or_b64 exec, exec, s[52:53]
	s_and_saveexec_b64 s[52:53], s[48:49]
	s_cbranch_execnz .LBB84_268
.LBB84_73:                              ;   in Loop: Header=BB84_13 Depth=1
	s_or_b64 exec, exec, s[52:53]
	v_mov_b32_e32 v29, 0
	s_and_saveexec_b64 s[52:53], s[50:51]
	s_cbranch_execz .LBB84_75
.LBB84_74:                              ;   in Loop: Header=BB84_13 Depth=1
	global_load_ushort v29, v[8:9], off offset:1920
.LBB84_75:                              ;   in Loop: Header=BB84_13 Depth=1
	s_or_b64 exec, exec, s[52:53]
	scratch_load_dword v8, off, off         ; 4-byte Folded Reload
	v_readlane_b32 s0, v95, 2
	s_waitcnt vmcnt(0)
	ds_write_b16 v8, v10
	scratch_load_dword v8, off, off offset:8 ; 4-byte Folded Reload
	s_waitcnt vmcnt(0)
	ds_write_b16 v8, v12 offset:128
	scratch_load_dword v8, off, off offset:12 ; 4-byte Folded Reload
	s_waitcnt vmcnt(0)
	ds_write_b16 v8, v11 offset:256
	;; [unrolled: 3-line block ×15, first 2 shown]
	; wave barrier
	scratch_load_dword v8, off, off offset:4 ; 4-byte Folded Reload
	s_waitcnt vmcnt(0)
	ds_read_b128 v[12:15], v8
	ds_read_b128 v[8:11], v8 offset:16
	s_waitcnt lgkmcnt(1)
	v_cvt_f32_f16_e32 v18, v12
	v_add_f32_e32 v22, s0, v18
	v_cmp_ge_f32_e32 vcc, s4, v22
	s_and_b64 s[0:1], s[6:7], vcc
	s_and_saveexec_b64 s[54:55], s[0:1]
	s_cbranch_execz .LBB84_77
; %bb.76:                               ;   in Loop: Header=BB84_13 Depth=1
	v_mul_f32_e32 v18, 0x3fb8aa3b, v22
	v_rndne_f32_e32 v19, v18
	v_sub_f32_e32 v23, v18, v19
	v_fma_f32 v18, v22, s5, -v18
	v_fmac_f32_e32 v18, 0x32a5705f, v22
	v_add_f32_e32 v18, v23, v18
	v_cvt_i32_f32_e32 v19, v19
	v_exp_f32_e32 v18, v18
	v_cmp_ngt_f32_e32 vcc, s8, v22
	v_ldexp_f32 v18, v18, v19
	s_nop 0
	v_cndmask_b32_e32 v18, 0, v18, vcc
	v_cmp_nlt_f32_e32 vcc, s9, v22
	s_nop 1
	v_cndmask_b32_e32 v36, v39, v18, vcc
	v_add_f32_e32 v22, 1.0, v36
	v_add_f32_e32 v18, -1.0, v22
	v_sub_f32_e32 v19, v18, v22
	v_add_f32_e32 v19, 1.0, v19
	v_sub_f32_e32 v18, v36, v18
	v_add_f32_e32 v23, v18, v19
	v_frexp_mant_f32_e32 v24, v22
	v_cvt_f64_f32_e32 v[18:19], v22
	v_frexp_exp_i32_f64_e32 v18, v[18:19]
	v_cmp_gt_f32_e32 vcc, s11, v24
	v_cmp_gt_f32_e64 s[52:53], s57, v36
	s_nop 0
	v_subbrev_co_u32_e32 v28, vcc, 0, v18, vcc
	v_sub_u32_e32 v18, 0, v28
	v_ldexp_f32 v19, v22, v18
	v_add_f32_e32 v22, -1.0, v19
	v_add_f32_e32 v24, 1.0, v19
	v_ldexp_f32 v18, v23, v18
	v_add_f32_e32 v23, 1.0, v22
	v_add_f32_e32 v25, -1.0, v24
	v_sub_f32_e32 v23, v19, v23
	v_sub_f32_e32 v19, v19, v25
	v_add_f32_e32 v23, v18, v23
	v_add_f32_e32 v18, v18, v19
	;; [unrolled: 1-line block ×3, first 2 shown]
	v_rcp_f32_e32 v31, v29
	v_sub_f32_e32 v19, v24, v29
	v_add_f32_e32 v30, v18, v19
	v_add_f32_e32 v19, v22, v23
	v_mul_f32_e32 v33, v19, v31
	v_sub_f32_e32 v18, v22, v19
	v_mul_f32_e32 v22, v29, v33
	v_fma_f32 v24, v33, v29, -v22
	v_fmac_f32_e32 v24, v33, v30
	v_add_f32_e32 v32, v23, v18
	v_add_f32_e32 v18, v22, v24
	v_sub_f32_e32 v23, v19, v18
	v_pk_add_f32 v[26:27], v[18:19], v[22:23] neg_lo:[0,1] neg_hi:[0,1]
	v_mov_b32_e32 v25, v18
	v_pk_add_f32 v[18:19], v[26:27], v[24:25] neg_lo:[0,1] neg_hi:[0,1]
	v_cmp_eq_f32_e32 vcc, s10, v36
	v_add_f32_e32 v19, v32, v19
	v_add_f32_e32 v18, v18, v19
	;; [unrolled: 1-line block ×3, first 2 shown]
	v_mul_f32_e32 v32, v31, v19
	v_mul_f32_e32 v22, v29, v32
	v_fma_f32 v24, v32, v29, -v22
	v_fmac_f32_e32 v24, v32, v30
	v_sub_f32_e32 v23, v23, v19
	v_add_f32_e32 v29, v18, v23
	v_add_f32_e32 v18, v22, v24
	v_sub_f32_e32 v23, v19, v18
	v_pk_add_f32 v[26:27], v[18:19], v[22:23] neg_lo:[0,1] neg_hi:[0,1]
	v_mov_b32_e32 v25, v18
	v_pk_add_f32 v[18:19], v[26:27], v[24:25] neg_lo:[0,1] neg_hi:[0,1]
	scratch_load_dwordx2 v[26:27], off, off offset:164 ; 8-byte Folded Reload
	v_add_f32_e32 v19, v29, v19
	v_add_f32_e32 v18, v18, v19
	;; [unrolled: 1-line block ×4, first 2 shown]
	v_sub_f32_e32 v22, v19, v33
	v_mul_f32_e32 v18, v31, v18
	v_sub_f32_e32 v22, v32, v22
	v_add_f32_e32 v22, v22, v18
	v_add_f32_e32 v24, v19, v22
	v_mul_f32_e32 v25, v24, v24
	v_mov_b32_e32 v18, 0x3ecc95a3
	v_fmamk_f32 v18, v25, 0x3e9b6dac, v18
	v_fmaak_f32 v31, v25, v18, 0x3f2aaada
	v_cvt_f32_i32_e32 v18, v28
	v_sub_f32_e32 v19, v24, v19
	v_sub_f32_e32 v19, v22, v19
	v_ldexp_f32 v23, v24, 1
	s_or_b64 vcc, s[52:53], vcc
	s_waitcnt vmcnt(0)
	v_mov_b32_e32 v30, v26
	v_ldexp_f32 v26, v19, 1
	v_mul_f32_e32 v19, v24, v25
	v_mov_b32_e32 v22, v30
	v_pk_mul_f32 v[24:25], v[18:19], v[30:31]
	scratch_store_dwordx2 off, v[22:23], off offset:164 ; 8-byte Folded Spill
	v_fma_f32 v22, v18, s56, -v24
	v_fmac_f32_e32 v22, 0xb102e308, v18
	v_pk_add_f32 v[18:19], v[24:25], v[22:23]
	s_nop 0
	v_sub_f32_e32 v23, v19, v23
	v_sub_f32_e32 v23, v25, v23
	v_add_f32_e32 v27, v26, v23
	v_mov_b32_e32 v26, v24
	v_pk_add_f32 v[24:25], v[18:19], v[24:25] neg_lo:[0,1] neg_hi:[0,1]
	v_pk_add_f32 v[28:29], v[18:19], v[26:27]
	v_mov_b32_e32 v23, v18
	v_mov_b32_e32 v25, v29
	v_pk_add_f32 v[30:31], v[22:23], v[24:25] neg_lo:[0,1] neg_hi:[0,1]
	v_pk_add_f32 v[22:23], v[22:23], v[24:25]
	v_mov_b32_e32 v26, v27
	v_mov_b32_e32 v24, v23
	v_pk_add_f32 v[32:33], v[24:25], v[18:19] neg_lo:[0,1] neg_hi:[0,1]
	v_mov_b32_e32 v22, v29
	v_mov_b32_e32 v25, v32
	v_pk_add_f32 v[34:35], v[28:29], v[24:25] neg_lo:[0,1] neg_hi:[0,1]
	v_mov_b32_e32 v28, v19
	v_mov_b32_e32 v29, v32
	;; [unrolled: 1-line block ×3, first 2 shown]
	v_pk_add_f32 v[22:23], v[22:23], v[28:29] neg_lo:[0,1] neg_hi:[0,1]
	v_mov_b32_e32 v27, v18
	v_pk_add_f32 v[18:19], v[26:27], v[22:23] neg_lo:[0,1] neg_hi:[0,1]
	v_mov_b32_e32 v34, v30
	v_pk_add_f32 v[22:23], v[34:35], v[18:19]
	s_nop 0
	v_mov_b32_e32 v26, v23
	v_pk_add_f32 v[26:27], v[22:23], v[26:27]
	s_nop 0
	v_pk_add_f32 v[24:25], v[24:25], v[26:27]
	v_mov_b32_e32 v19, v26
	v_mov_b32_e32 v23, v24
	v_pk_add_f32 v[28:29], v[22:23], v[30:31] neg_lo:[0,1] neg_hi:[0,1]
	s_nop 0
	v_sub_f32_e32 v22, v22, v28
	v_pk_add_f32 v[18:19], v[18:19], v[28:29] neg_lo:[0,1] neg_hi:[0,1]
	v_sub_f32_e32 v22, v30, v22
	v_add_f32_e32 v18, v18, v22
	v_add_f32_e32 v18, v18, v19
	;; [unrolled: 1-line block ×3, first 2 shown]
	v_cndmask_b32_e32 v22, v18, v36, vcc
.LBB84_77:                              ;   in Loop: Header=BB84_13 Depth=1
	s_or_b64 exec, exec, s[54:55]
	v_cvt_f32_f16_sdwa v12, v12 dst_sel:DWORD dst_unused:UNUSED_PAD src0_sel:WORD_1
	v_readlane_b32 s0, v95, 2
	s_nop 1
	v_add_f32_e32 v23, s0, v12
	v_cmp_ge_f32_e32 vcc, s4, v23
	s_and_b64 s[0:1], s[6:7], vcc
	s_and_saveexec_b64 s[54:55], s[0:1]
	s_cbranch_execz .LBB84_79
; %bb.78:                               ;   in Loop: Header=BB84_13 Depth=1
	v_mul_f32_e32 v12, 0x3fb8aa3b, v23
	v_rndne_f32_e32 v18, v12
	v_sub_f32_e32 v19, v12, v18
	v_fma_f32 v12, v23, s5, -v12
	v_fmac_f32_e32 v12, 0x32a5705f, v23
	v_add_f32_e32 v12, v19, v12
	v_cvt_i32_f32_e32 v18, v18
	v_exp_f32_e32 v12, v12
	v_cmp_ngt_f32_e32 vcc, s8, v23
	v_ldexp_f32 v12, v12, v18
	s_nop 0
	v_cndmask_b32_e32 v12, 0, v12, vcc
	v_cmp_nlt_f32_e32 vcc, s9, v23
	s_nop 1
	v_cndmask_b32_e32 v36, v39, v12, vcc
	v_add_f32_e32 v12, 1.0, v36
	v_add_f32_e32 v18, -1.0, v12
	v_sub_f32_e32 v19, v18, v12
	v_add_f32_e32 v19, 1.0, v19
	v_sub_f32_e32 v18, v36, v18
	v_add_f32_e32 v23, v18, v19
	v_frexp_mant_f32_e32 v24, v12
	v_cvt_f64_f32_e32 v[18:19], v12
	v_frexp_exp_i32_f64_e32 v18, v[18:19]
	v_cmp_gt_f32_e32 vcc, s11, v24
	v_cmp_gt_f32_e64 s[52:53], s57, v36
	s_nop 0
	v_subbrev_co_u32_e32 v30, vcc, 0, v18, vcc
	v_sub_u32_e32 v18, 0, v30
	v_ldexp_f32 v12, v12, v18
	v_ldexp_f32 v18, v23, v18
	v_add_f32_e32 v23, -1.0, v12
	v_add_f32_e32 v19, 1.0, v23
	v_sub_f32_e32 v19, v12, v19
	v_add_f32_e32 v24, v18, v19
	v_add_f32_e32 v19, 1.0, v12
	v_add_f32_e32 v25, -1.0, v19
	v_sub_f32_e32 v12, v12, v25
	v_add_f32_e32 v12, v18, v12
	v_add_f32_e32 v31, v19, v12
	v_rcp_f32_e32 v32, v31
	v_sub_f32_e32 v18, v19, v31
	v_add_f32_e32 v19, v23, v24
	v_add_f32_e32 v12, v12, v18
	v_sub_f32_e32 v18, v23, v19
	v_mul_f32_e32 v33, v19, v32
	v_add_f32_e32 v23, v24, v18
	v_mul_f32_e32 v24, v31, v33
	v_fma_f32 v26, v33, v31, -v24
	v_fmac_f32_e32 v26, v33, v12
	v_add_f32_e32 v18, v24, v26
	v_sub_f32_e32 v25, v19, v18
	v_pk_add_f32 v[28:29], v[18:19], v[24:25] neg_lo:[0,1] neg_hi:[0,1]
	v_mov_b32_e32 v27, v18
	v_pk_add_f32 v[18:19], v[28:29], v[26:27] neg_lo:[0,1] neg_hi:[0,1]
	v_cmp_eq_f32_e32 vcc, s10, v36
	v_add_f32_e32 v19, v23, v19
	v_add_f32_e32 v18, v18, v19
	;; [unrolled: 1-line block ×3, first 2 shown]
	v_mul_f32_e32 v23, v32, v19
	v_mul_f32_e32 v24, v31, v23
	v_fma_f32 v26, v23, v31, -v24
	v_fmac_f32_e32 v26, v23, v12
	v_sub_f32_e32 v12, v25, v19
	v_add_f32_e32 v12, v18, v12
	v_add_f32_e32 v18, v24, v26
	v_sub_f32_e32 v25, v19, v18
	v_pk_add_f32 v[28:29], v[18:19], v[24:25] neg_lo:[0,1] neg_hi:[0,1]
	v_mov_b32_e32 v27, v18
	v_pk_add_f32 v[18:19], v[28:29], v[26:27] neg_lo:[0,1] neg_hi:[0,1]
	scratch_load_dwordx2 v[26:27], off, off offset:164 ; 8-byte Folded Reload
	v_add_f32_e32 v12, v12, v19
	v_add_f32_e32 v12, v18, v12
	;; [unrolled: 1-line block ×4, first 2 shown]
	v_sub_f32_e32 v18, v19, v33
	v_mul_f32_e32 v12, v32, v12
	v_sub_f32_e32 v18, v23, v18
	v_add_f32_e32 v12, v18, v12
	v_add_f32_e32 v23, v19, v12
	v_mul_f32_e32 v24, v23, v23
	v_mov_b32_e32 v18, 0x3ecc95a3
	v_fmamk_f32 v18, v24, 0x3e9b6dac, v18
	s_waitcnt vmcnt(0)
	v_fmaak_f32 v27, v24, v18, 0x3f2aaada
	v_cvt_f32_i32_e32 v18, v30
	v_sub_f32_e32 v19, v23, v19
	v_sub_f32_e32 v12, v12, v19
	v_mul_f32_e32 v19, v23, v24
	v_ldexp_f32 v25, v23, 1
	v_ldexp_f32 v12, v12, 1
	s_or_b64 vcc, s[52:53], vcc
	v_mov_b32_e32 v24, v26
	v_pk_mul_f32 v[26:27], v[18:19], v[26:27]
	scratch_store_dwordx2 off, v[24:25], off offset:164 ; 8-byte Folded Spill
	v_fma_f32 v24, v18, s56, -v26
	v_fmac_f32_e32 v24, 0xb102e308, v18
	v_pk_add_f32 v[18:19], v[26:27], v[24:25]
	v_mov_b32_e32 v28, v26
	v_sub_f32_e32 v23, v19, v25
	v_sub_f32_e32 v23, v27, v23
	v_add_f32_e32 v29, v12, v23
	v_pk_add_f32 v[26:27], v[18:19], v[26:27] neg_lo:[0,1] neg_hi:[0,1]
	v_pk_add_f32 v[30:31], v[18:19], v[28:29]
	v_mov_b32_e32 v25, v18
	v_mov_b32_e32 v27, v31
	v_pk_add_f32 v[32:33], v[24:25], v[26:27] neg_lo:[0,1] neg_hi:[0,1]
	v_pk_add_f32 v[24:25], v[24:25], v[26:27]
	s_nop 0
	v_mov_b32_e32 v12, v25
	v_pk_add_f32 v[26:27], v[12:13], v[18:19] neg_lo:[0,1] neg_hi:[0,1]
	v_mov_b32_e32 v24, v31
	v_mov_b32_e32 v23, v26
	v_pk_add_f32 v[34:35], v[30:31], v[22:23] neg_lo:[0,1] neg_hi:[0,1]
	v_mov_b32_e32 v30, v19
	v_mov_b32_e32 v31, v26
	;; [unrolled: 1-line block ×3, first 2 shown]
	v_pk_add_f32 v[24:25], v[24:25], v[30:31] neg_lo:[0,1] neg_hi:[0,1]
	v_mov_b32_e32 v26, v29
	v_mov_b32_e32 v27, v18
	v_pk_add_f32 v[18:19], v[26:27], v[24:25] neg_lo:[0,1] neg_hi:[0,1]
	v_mov_b32_e32 v34, v32
	v_pk_add_f32 v[24:25], v[34:35], v[18:19]
	s_nop 0
	v_mov_b32_e32 v26, v25
	v_pk_add_f32 v[26:27], v[24:25], v[26:27]
	s_nop 0
	v_pk_add_f32 v[28:29], v[12:13], v[26:27]
	v_mov_b32_e32 v19, v26
	v_mov_b32_e32 v25, v28
	v_pk_add_f32 v[30:31], v[24:25], v[32:33] neg_lo:[0,1] neg_hi:[0,1]
	s_nop 0
	v_sub_f32_e32 v12, v24, v30
	v_pk_add_f32 v[18:19], v[18:19], v[30:31] neg_lo:[0,1] neg_hi:[0,1]
	v_sub_f32_e32 v12, v32, v12
	v_add_f32_e32 v12, v18, v12
	v_add_f32_e32 v12, v12, v19
	;; [unrolled: 1-line block ×3, first 2 shown]
	v_cndmask_b32_e32 v23, v12, v36, vcc
.LBB84_79:                              ;   in Loop: Header=BB84_13 Depth=1
	s_or_b64 exec, exec, s[54:55]
	v_cvt_f32_f16_e32 v12, v13
	v_readlane_b32 s0, v95, 2
	s_nop 1
	v_add_f32_e32 v24, s0, v12
	v_cmp_ge_f32_e32 vcc, s4, v24
	s_and_b64 s[0:1], s[6:7], vcc
	s_and_saveexec_b64 s[54:55], s[0:1]
	s_cbranch_execz .LBB84_81
; %bb.80:                               ;   in Loop: Header=BB84_13 Depth=1
	v_mul_f32_e32 v12, 0x3fb8aa3b, v24
	v_rndne_f32_e32 v18, v12
	v_sub_f32_e32 v19, v12, v18
	v_fma_f32 v12, v24, s5, -v12
	v_fmac_f32_e32 v12, 0x32a5705f, v24
	v_add_f32_e32 v12, v19, v12
	v_cvt_i32_f32_e32 v18, v18
	v_exp_f32_e32 v12, v12
	v_cmp_ngt_f32_e32 vcc, s8, v24
	v_ldexp_f32 v12, v12, v18
	s_nop 0
	v_cndmask_b32_e32 v12, 0, v12, vcc
	v_cmp_nlt_f32_e32 vcc, s9, v24
	s_nop 1
	v_cndmask_b32_e32 v36, v39, v12, vcc
	v_add_f32_e32 v12, 1.0, v36
	v_add_f32_e32 v18, -1.0, v12
	v_sub_f32_e32 v19, v18, v12
	v_add_f32_e32 v19, 1.0, v19
	v_sub_f32_e32 v18, v36, v18
	v_add_f32_e32 v24, v18, v19
	v_frexp_mant_f32_e32 v25, v12
	v_cvt_f64_f32_e32 v[18:19], v12
	v_frexp_exp_i32_f64_e32 v18, v[18:19]
	v_cmp_gt_f32_e32 vcc, s11, v25
	v_cmp_gt_f32_e64 s[52:53], s57, v36
	s_nop 0
	v_subbrev_co_u32_e32 v30, vcc, 0, v18, vcc
	v_sub_u32_e32 v18, 0, v30
	v_ldexp_f32 v12, v12, v18
	v_ldexp_f32 v18, v24, v18
	v_add_f32_e32 v24, -1.0, v12
	v_add_f32_e32 v19, 1.0, v24
	v_sub_f32_e32 v19, v12, v19
	v_add_f32_e32 v25, v18, v19
	v_add_f32_e32 v19, 1.0, v12
	v_add_f32_e32 v26, -1.0, v19
	v_sub_f32_e32 v12, v12, v26
	v_add_f32_e32 v12, v18, v12
	v_add_f32_e32 v31, v19, v12
	v_rcp_f32_e32 v32, v31
	v_sub_f32_e32 v18, v19, v31
	v_add_f32_e32 v19, v24, v25
	v_add_f32_e32 v12, v12, v18
	v_mul_f32_e32 v34, v19, v32
	v_sub_f32_e32 v18, v24, v19
	v_mul_f32_e32 v24, v31, v34
	v_fma_f32 v26, v34, v31, -v24
	v_fmac_f32_e32 v26, v34, v12
	v_add_f32_e32 v33, v25, v18
	v_add_f32_e32 v18, v24, v26
	v_sub_f32_e32 v25, v19, v18
	v_pk_add_f32 v[28:29], v[18:19], v[24:25] neg_lo:[0,1] neg_hi:[0,1]
	v_mov_b32_e32 v27, v18
	v_pk_add_f32 v[18:19], v[28:29], v[26:27] neg_lo:[0,1] neg_hi:[0,1]
	v_cmp_eq_f32_e32 vcc, s10, v36
	v_add_f32_e32 v19, v33, v19
	v_add_f32_e32 v18, v18, v19
	;; [unrolled: 1-line block ×3, first 2 shown]
	v_mul_f32_e32 v33, v32, v19
	v_mul_f32_e32 v24, v31, v33
	v_fma_f32 v26, v33, v31, -v24
	v_fmac_f32_e32 v26, v33, v12
	v_sub_f32_e32 v12, v25, v19
	v_add_f32_e32 v12, v18, v12
	v_add_f32_e32 v18, v24, v26
	v_sub_f32_e32 v25, v19, v18
	v_pk_add_f32 v[28:29], v[18:19], v[24:25] neg_lo:[0,1] neg_hi:[0,1]
	v_mov_b32_e32 v27, v18
	v_pk_add_f32 v[18:19], v[28:29], v[26:27] neg_lo:[0,1] neg_hi:[0,1]
	scratch_load_dwordx2 v[28:29], off, off offset:164 ; 8-byte Folded Reload
	v_add_f32_e32 v12, v12, v19
	v_add_f32_e32 v12, v18, v12
	;; [unrolled: 1-line block ×4, first 2 shown]
	v_sub_f32_e32 v18, v19, v34
	v_mul_f32_e32 v12, v32, v12
	v_sub_f32_e32 v18, v33, v18
	v_add_f32_e32 v12, v18, v12
	v_add_f32_e32 v24, v19, v12
	v_mul_f32_e32 v26, v24, v24
	v_mov_b32_e32 v18, 0x3ecc95a3
	v_fmamk_f32 v18, v26, 0x3e9b6dac, v18
	s_waitcnt vmcnt(0)
	v_fmaak_f32 v29, v26, v18, 0x3f2aaada
	v_cvt_f32_i32_e32 v18, v30
	v_sub_f32_e32 v19, v24, v19
	v_sub_f32_e32 v12, v12, v19
	v_mul_f32_e32 v19, v24, v26
	v_ldexp_f32 v25, v24, 1
	v_ldexp_f32 v12, v12, 1
	s_or_b64 vcc, s[52:53], vcc
	v_mov_b32_e32 v24, v28
	v_pk_mul_f32 v[26:27], v[18:19], v[28:29]
	scratch_store_dwordx2 off, v[24:25], off offset:164 ; 8-byte Folded Spill
	v_fma_f32 v24, v18, s56, -v26
	v_fmac_f32_e32 v24, 0xb102e308, v18
	v_pk_add_f32 v[18:19], v[26:27], v[24:25]
	v_mov_b32_e32 v28, v26
	v_sub_f32_e32 v25, v19, v25
	v_sub_f32_e32 v25, v27, v25
	v_add_f32_e32 v29, v12, v25
	v_pk_add_f32 v[26:27], v[18:19], v[26:27] neg_lo:[0,1] neg_hi:[0,1]
	v_pk_add_f32 v[30:31], v[18:19], v[28:29]
	v_mov_b32_e32 v25, v18
	v_mov_b32_e32 v27, v31
	v_pk_add_f32 v[32:33], v[24:25], v[26:27] neg_lo:[0,1] neg_hi:[0,1]
	v_pk_add_f32 v[24:25], v[24:25], v[26:27]
	s_nop 0
	v_mov_b32_e32 v12, v25
	v_pk_add_f32 v[26:27], v[12:13], v[18:19] neg_lo:[0,1] neg_hi:[0,1]
	v_mov_b32_e32 v24, v31
	v_mov_b32_e32 v27, v26
	v_pk_add_f32 v[34:35], v[30:31], v[26:27] neg_lo:[0,1] neg_hi:[0,1]
	v_mov_b32_e32 v30, v19
	v_mov_b32_e32 v31, v26
	;; [unrolled: 1-line block ×3, first 2 shown]
	v_pk_add_f32 v[24:25], v[24:25], v[30:31] neg_lo:[0,1] neg_hi:[0,1]
	v_mov_b32_e32 v26, v29
	v_mov_b32_e32 v27, v18
	v_pk_add_f32 v[18:19], v[26:27], v[24:25] neg_lo:[0,1] neg_hi:[0,1]
	v_mov_b32_e32 v34, v32
	v_pk_add_f32 v[24:25], v[34:35], v[18:19]
	s_nop 0
	v_mov_b32_e32 v26, v25
	v_pk_add_f32 v[26:27], v[24:25], v[26:27]
	s_nop 0
	v_pk_add_f32 v[28:29], v[12:13], v[26:27]
	v_mov_b32_e32 v19, v26
	v_mov_b32_e32 v25, v28
	v_pk_add_f32 v[30:31], v[24:25], v[32:33] neg_lo:[0,1] neg_hi:[0,1]
	s_nop 0
	v_sub_f32_e32 v12, v24, v30
	v_pk_add_f32 v[18:19], v[18:19], v[30:31] neg_lo:[0,1] neg_hi:[0,1]
	v_sub_f32_e32 v12, v32, v12
	v_add_f32_e32 v12, v18, v12
	v_add_f32_e32 v12, v12, v19
	v_add_f32_e32 v12, v28, v12
	v_cndmask_b32_e32 v24, v12, v36, vcc
.LBB84_81:                              ;   in Loop: Header=BB84_13 Depth=1
	s_or_b64 exec, exec, s[54:55]
	v_cvt_f32_f16_sdwa v12, v13 dst_sel:DWORD dst_unused:UNUSED_PAD src0_sel:WORD_1
	v_readlane_b32 s0, v95, 2
	s_nop 1
	v_add_f32_e32 v25, s0, v12
	v_cmp_ge_f32_e32 vcc, s4, v25
	s_and_b64 s[0:1], s[6:7], vcc
	s_and_saveexec_b64 s[54:55], s[0:1]
	s_cbranch_execz .LBB84_83
; %bb.82:                               ;   in Loop: Header=BB84_13 Depth=1
	v_mul_f32_e32 v12, 0x3fb8aa3b, v25
	v_rndne_f32_e32 v13, v12
	v_sub_f32_e32 v18, v12, v13
	v_fma_f32 v12, v25, s5, -v12
	v_fmac_f32_e32 v12, 0x32a5705f, v25
	v_add_f32_e32 v12, v18, v12
	v_cvt_i32_f32_e32 v13, v13
	v_exp_f32_e32 v12, v12
	v_cmp_ngt_f32_e32 vcc, s8, v25
	v_ldexp_f32 v12, v12, v13
	s_nop 0
	v_cndmask_b32_e32 v12, 0, v12, vcc
	v_cmp_nlt_f32_e32 vcc, s9, v25
	s_nop 1
	v_cndmask_b32_e32 v38, v39, v12, vcc
	v_add_f32_e32 v18, 1.0, v38
	v_add_f32_e32 v12, -1.0, v18
	v_sub_f32_e32 v13, v12, v18
	v_add_f32_e32 v13, 1.0, v13
	v_sub_f32_e32 v12, v38, v12
	v_add_f32_e32 v19, v12, v13
	v_frexp_mant_f32_e32 v25, v18
	v_cvt_f64_f32_e32 v[12:13], v18
	v_frexp_exp_i32_f64_e32 v12, v[12:13]
	v_cmp_gt_f32_e32 vcc, s11, v25
	v_cmp_gt_f32_e64 s[52:53], s57, v38
	s_nop 0
	v_subbrev_co_u32_e32 v25, vcc, 0, v12, vcc
	v_sub_u32_e32 v12, 0, v25
	v_ldexp_f32 v13, v18, v12
	v_add_f32_e32 v18, -1.0, v13
	v_add_f32_e32 v26, 1.0, v13
	v_ldexp_f32 v12, v19, v12
	v_add_f32_e32 v19, 1.0, v18
	v_add_f32_e32 v27, -1.0, v26
	v_sub_f32_e32 v19, v13, v19
	v_sub_f32_e32 v13, v13, v27
	v_add_f32_e32 v19, v12, v19
	v_add_f32_e32 v12, v12, v13
	;; [unrolled: 1-line block ×3, first 2 shown]
	v_rcp_f32_e32 v32, v30
	v_sub_f32_e32 v13, v26, v30
	v_add_f32_e32 v31, v12, v13
	v_add_f32_e32 v13, v18, v19
	v_mul_f32_e32 v34, v13, v32
	v_sub_f32_e32 v12, v18, v13
	v_mul_f32_e32 v18, v30, v34
	v_fma_f32 v26, v34, v30, -v18
	v_fmac_f32_e32 v26, v34, v31
	v_add_f32_e32 v33, v19, v12
	v_add_f32_e32 v12, v18, v26
	v_sub_f32_e32 v19, v13, v12
	v_pk_add_f32 v[28:29], v[12:13], v[18:19] neg_lo:[0,1] neg_hi:[0,1]
	v_mov_b32_e32 v27, v12
	v_pk_add_f32 v[12:13], v[28:29], v[26:27] neg_lo:[0,1] neg_hi:[0,1]
	v_cmp_eq_f32_e32 vcc, s10, v38
	v_add_f32_e32 v13, v33, v13
	v_add_f32_e32 v12, v12, v13
	;; [unrolled: 1-line block ×3, first 2 shown]
	v_mul_f32_e32 v33, v32, v13
	v_mul_f32_e32 v18, v30, v33
	v_fma_f32 v26, v33, v30, -v18
	v_fmac_f32_e32 v26, v33, v31
	v_sub_f32_e32 v19, v19, v13
	v_add_f32_e32 v30, v12, v19
	v_add_f32_e32 v12, v18, v26
	v_sub_f32_e32 v19, v13, v12
	v_pk_add_f32 v[28:29], v[12:13], v[18:19] neg_lo:[0,1] neg_hi:[0,1]
	v_mov_b32_e32 v27, v12
	v_pk_add_f32 v[12:13], v[28:29], v[26:27] neg_lo:[0,1] neg_hi:[0,1]
	scratch_load_dwordx2 v[28:29], off, off offset:164 ; 8-byte Folded Reload
	v_add_f32_e32 v13, v30, v13
	v_add_f32_e32 v12, v12, v13
	;; [unrolled: 1-line block ×4, first 2 shown]
	v_sub_f32_e32 v18, v13, v34
	v_mul_f32_e32 v12, v32, v12
	v_sub_f32_e32 v18, v33, v18
	v_add_f32_e32 v18, v18, v12
	v_add_f32_e32 v26, v13, v18
	v_mul_f32_e32 v27, v26, v26
	v_mov_b32_e32 v12, 0x3ecc95a3
	v_fmamk_f32 v12, v27, 0x3e9b6dac, v12
	s_waitcnt vmcnt(0)
	v_fmaak_f32 v29, v27, v12, 0x3f2aaada
	v_cvt_f32_i32_e32 v12, v25
	v_sub_f32_e32 v13, v26, v13
	v_sub_f32_e32 v13, v18, v13
	v_ldexp_f32 v25, v13, 1
	v_mul_f32_e32 v13, v26, v27
	v_ldexp_f32 v19, v26, 1
	s_or_b64 vcc, s[52:53], vcc
	v_mov_b32_e32 v18, v28
	v_pk_mul_f32 v[26:27], v[12:13], v[28:29]
	scratch_store_dwordx2 off, v[18:19], off offset:164 ; 8-byte Folded Spill
	v_fma_f32 v18, v12, s56, -v26
	v_fmac_f32_e32 v18, 0xb102e308, v12
	v_pk_add_f32 v[12:13], v[26:27], v[18:19]
	v_mov_b32_e32 v28, v26
	v_sub_f32_e32 v19, v13, v19
	v_sub_f32_e32 v19, v27, v19
	v_add_f32_e32 v29, v25, v19
	v_pk_add_f32 v[26:27], v[12:13], v[26:27] neg_lo:[0,1] neg_hi:[0,1]
	v_pk_add_f32 v[30:31], v[12:13], v[28:29]
	v_mov_b32_e32 v19, v12
	v_mov_b32_e32 v27, v31
	v_pk_add_f32 v[32:33], v[18:19], v[26:27] neg_lo:[0,1] neg_hi:[0,1]
	v_pk_add_f32 v[18:19], v[18:19], v[26:27]
	v_mov_b32_e32 v28, v29
	v_mov_b32_e32 v26, v19
	v_pk_add_f32 v[34:35], v[26:27], v[12:13] neg_lo:[0,1] neg_hi:[0,1]
	v_mov_b32_e32 v18, v31
	v_mov_b32_e32 v25, v34
	v_pk_add_f32 v[36:37], v[30:31], v[24:25] neg_lo:[0,1] neg_hi:[0,1]
	v_mov_b32_e32 v30, v13
	v_mov_b32_e32 v31, v34
	;; [unrolled: 1-line block ×3, first 2 shown]
	v_pk_add_f32 v[18:19], v[18:19], v[30:31] neg_lo:[0,1] neg_hi:[0,1]
	v_mov_b32_e32 v29, v12
	v_pk_add_f32 v[12:13], v[28:29], v[18:19] neg_lo:[0,1] neg_hi:[0,1]
	v_mov_b32_e32 v36, v32
	v_pk_add_f32 v[18:19], v[36:37], v[12:13]
	s_nop 0
	v_mov_b32_e32 v28, v19
	v_pk_add_f32 v[28:29], v[18:19], v[28:29]
	s_nop 0
	v_pk_add_f32 v[26:27], v[26:27], v[28:29]
	v_mov_b32_e32 v13, v28
	v_mov_b32_e32 v19, v26
	v_pk_add_f32 v[30:31], v[18:19], v[32:33] neg_lo:[0,1] neg_hi:[0,1]
	s_nop 0
	v_sub_f32_e32 v18, v18, v30
	v_pk_add_f32 v[12:13], v[12:13], v[30:31] neg_lo:[0,1] neg_hi:[0,1]
	v_sub_f32_e32 v18, v32, v18
	v_add_f32_e32 v12, v12, v18
	v_add_f32_e32 v12, v12, v13
	v_add_f32_e32 v12, v26, v12
	v_cndmask_b32_e32 v25, v12, v38, vcc
.LBB84_83:                              ;   in Loop: Header=BB84_13 Depth=1
	s_or_b64 exec, exec, s[54:55]
	v_cvt_f32_f16_e32 v12, v14
	v_readlane_b32 s0, v95, 2
	s_nop 1
	v_add_f32_e32 v18, s0, v12
	v_cmp_ge_f32_e32 vcc, s4, v18
	s_and_b64 s[0:1], s[6:7], vcc
	s_and_saveexec_b64 s[54:55], s[0:1]
	s_cbranch_execz .LBB84_85
; %bb.84:                               ;   in Loop: Header=BB84_13 Depth=1
	v_mul_f32_e32 v12, 0x3fb8aa3b, v18
	v_rndne_f32_e32 v13, v12
	v_sub_f32_e32 v19, v12, v13
	v_fma_f32 v12, v18, s5, -v12
	v_fmac_f32_e32 v12, 0x32a5705f, v18
	v_add_f32_e32 v12, v19, v12
	v_cvt_i32_f32_e32 v13, v13
	v_exp_f32_e32 v12, v12
	v_cmp_ngt_f32_e32 vcc, s8, v18
	v_ldexp_f32 v12, v12, v13
	s_nop 0
	v_cndmask_b32_e32 v12, 0, v12, vcc
	v_cmp_nlt_f32_e32 vcc, s9, v18
	s_nop 1
	v_cndmask_b32_e32 v38, v39, v12, vcc
	v_add_f32_e32 v18, 1.0, v38
	v_add_f32_e32 v12, -1.0, v18
	v_sub_f32_e32 v13, v12, v18
	v_add_f32_e32 v13, 1.0, v13
	v_sub_f32_e32 v12, v38, v12
	v_add_f32_e32 v19, v12, v13
	v_frexp_mant_f32_e32 v26, v18
	v_cvt_f64_f32_e32 v[12:13], v18
	v_frexp_exp_i32_f64_e32 v12, v[12:13]
	v_cmp_gt_f32_e32 vcc, s11, v26
	v_cmp_gt_f32_e64 s[52:53], s57, v38
	s_nop 0
	v_subbrev_co_u32_e32 v30, vcc, 0, v12, vcc
	v_sub_u32_e32 v12, 0, v30
	v_ldexp_f32 v13, v18, v12
	v_add_f32_e32 v18, -1.0, v13
	v_add_f32_e32 v26, 1.0, v13
	v_ldexp_f32 v12, v19, v12
	v_add_f32_e32 v19, 1.0, v18
	v_add_f32_e32 v27, -1.0, v26
	v_sub_f32_e32 v19, v13, v19
	v_sub_f32_e32 v13, v13, v27
	v_add_f32_e32 v19, v12, v19
	v_add_f32_e32 v12, v12, v13
	;; [unrolled: 1-line block ×3, first 2 shown]
	v_rcp_f32_e32 v33, v31
	v_sub_f32_e32 v13, v26, v31
	v_add_f32_e32 v32, v12, v13
	v_add_f32_e32 v13, v18, v19
	v_mul_f32_e32 v35, v13, v33
	v_sub_f32_e32 v12, v18, v13
	v_mul_f32_e32 v18, v31, v35
	v_fma_f32 v26, v35, v31, -v18
	v_fmac_f32_e32 v26, v35, v32
	v_add_f32_e32 v34, v19, v12
	v_add_f32_e32 v12, v18, v26
	v_sub_f32_e32 v19, v13, v12
	v_pk_add_f32 v[28:29], v[12:13], v[18:19] neg_lo:[0,1] neg_hi:[0,1]
	v_mov_b32_e32 v27, v12
	v_pk_add_f32 v[12:13], v[28:29], v[26:27] neg_lo:[0,1] neg_hi:[0,1]
	v_cmp_eq_f32_e32 vcc, s10, v38
	v_add_f32_e32 v13, v34, v13
	v_add_f32_e32 v12, v12, v13
	;; [unrolled: 1-line block ×3, first 2 shown]
	v_mul_f32_e32 v34, v33, v13
	v_mul_f32_e32 v18, v31, v34
	v_fma_f32 v26, v34, v31, -v18
	v_fmac_f32_e32 v26, v34, v32
	v_sub_f32_e32 v19, v19, v13
	v_add_f32_e32 v31, v12, v19
	v_add_f32_e32 v12, v18, v26
	v_sub_f32_e32 v19, v13, v12
	v_pk_add_f32 v[28:29], v[12:13], v[18:19] neg_lo:[0,1] neg_hi:[0,1]
	v_mov_b32_e32 v27, v12
	v_pk_add_f32 v[12:13], v[28:29], v[26:27] neg_lo:[0,1] neg_hi:[0,1]
	scratch_load_dwordx2 v[28:29], off, off offset:164 ; 8-byte Folded Reload
	v_add_f32_e32 v13, v31, v13
	v_add_f32_e32 v12, v12, v13
	;; [unrolled: 1-line block ×4, first 2 shown]
	v_sub_f32_e32 v18, v13, v35
	v_mul_f32_e32 v12, v33, v12
	v_sub_f32_e32 v18, v34, v18
	v_add_f32_e32 v18, v18, v12
	v_add_f32_e32 v26, v13, v18
	v_mul_f32_e32 v27, v26, v26
	v_mov_b32_e32 v12, 0x3ecc95a3
	v_fmamk_f32 v12, v27, 0x3e9b6dac, v12
	v_fmaak_f32 v33, v27, v12, 0x3f2aaada
	v_cvt_f32_i32_e32 v12, v30
	v_sub_f32_e32 v13, v26, v13
	v_sub_f32_e32 v13, v18, v13
	v_ldexp_f32 v19, v26, 1
	s_or_b64 vcc, s[52:53], vcc
	s_waitcnt vmcnt(0)
	v_mov_b32_e32 v32, v28
	v_ldexp_f32 v28, v13, 1
	v_mul_f32_e32 v13, v26, v27
	v_mov_b32_e32 v18, v32
	v_pk_mul_f32 v[26:27], v[12:13], v[32:33]
	scratch_store_dwordx2 off, v[18:19], off offset:164 ; 8-byte Folded Spill
	v_fma_f32 v18, v12, s56, -v26
	v_fmac_f32_e32 v18, 0xb102e308, v12
	v_pk_add_f32 v[12:13], v[26:27], v[18:19]
	s_nop 0
	v_sub_f32_e32 v19, v13, v19
	v_sub_f32_e32 v19, v27, v19
	v_add_f32_e32 v29, v28, v19
	v_mov_b32_e32 v28, v26
	v_pk_add_f32 v[26:27], v[12:13], v[26:27] neg_lo:[0,1] neg_hi:[0,1]
	v_pk_add_f32 v[30:31], v[12:13], v[28:29]
	v_mov_b32_e32 v19, v12
	v_mov_b32_e32 v27, v31
	v_pk_add_f32 v[32:33], v[18:19], v[26:27] neg_lo:[0,1] neg_hi:[0,1]
	v_pk_add_f32 v[18:19], v[18:19], v[26:27]
	v_mov_b32_e32 v28, v29
	v_mov_b32_e32 v26, v19
	v_pk_add_f32 v[34:35], v[26:27], v[12:13] neg_lo:[0,1] neg_hi:[0,1]
	v_mov_b32_e32 v18, v31
	v_mov_b32_e32 v27, v34
	v_pk_add_f32 v[36:37], v[30:31], v[26:27] neg_lo:[0,1] neg_hi:[0,1]
	v_mov_b32_e32 v30, v13
	v_mov_b32_e32 v31, v34
	v_mov_b32_e32 v33, v19
	v_pk_add_f32 v[18:19], v[18:19], v[30:31] neg_lo:[0,1] neg_hi:[0,1]
	v_mov_b32_e32 v29, v12
	v_pk_add_f32 v[12:13], v[28:29], v[18:19] neg_lo:[0,1] neg_hi:[0,1]
	v_mov_b32_e32 v36, v32
	v_pk_add_f32 v[18:19], v[36:37], v[12:13]
	s_nop 0
	v_mov_b32_e32 v28, v19
	v_pk_add_f32 v[28:29], v[18:19], v[28:29]
	s_nop 0
	v_pk_add_f32 v[26:27], v[26:27], v[28:29]
	v_mov_b32_e32 v13, v28
	v_mov_b32_e32 v19, v26
	v_pk_add_f32 v[30:31], v[18:19], v[32:33] neg_lo:[0,1] neg_hi:[0,1]
	s_nop 0
	v_sub_f32_e32 v18, v18, v30
	v_pk_add_f32 v[12:13], v[12:13], v[30:31] neg_lo:[0,1] neg_hi:[0,1]
	v_sub_f32_e32 v18, v32, v18
	v_add_f32_e32 v12, v12, v18
	v_add_f32_e32 v12, v12, v13
	;; [unrolled: 1-line block ×3, first 2 shown]
	v_cndmask_b32_e32 v18, v12, v38, vcc
.LBB84_85:                              ;   in Loop: Header=BB84_13 Depth=1
	s_or_b64 exec, exec, s[54:55]
	v_cvt_f32_f16_sdwa v12, v14 dst_sel:DWORD dst_unused:UNUSED_PAD src0_sel:WORD_1
	v_readlane_b32 s0, v95, 2
	s_nop 1
	v_add_f32_e32 v74, s0, v12
	v_cmp_ge_f32_e32 vcc, s4, v74
	s_and_b64 s[0:1], s[6:7], vcc
	s_and_saveexec_b64 s[54:55], s[0:1]
	s_cbranch_execz .LBB84_87
; %bb.86:                               ;   in Loop: Header=BB84_13 Depth=1
	v_mul_f32_e32 v12, 0x3fb8aa3b, v74
	v_rndne_f32_e32 v13, v12
	v_sub_f32_e32 v14, v12, v13
	v_fma_f32 v12, v74, s5, -v12
	v_fmac_f32_e32 v12, 0x32a5705f, v74
	v_add_f32_e32 v12, v14, v12
	v_cvt_i32_f32_e32 v13, v13
	v_exp_f32_e32 v12, v12
	v_cmp_ngt_f32_e32 vcc, s8, v74
	v_ldexp_f32 v12, v12, v13
	s_nop 0
	v_cndmask_b32_e32 v12, 0, v12, vcc
	v_cmp_nlt_f32_e32 vcc, s9, v74
	s_nop 1
	v_cndmask_b32_e32 v38, v39, v12, vcc
	v_add_f32_e32 v14, 1.0, v38
	v_add_f32_e32 v12, -1.0, v14
	v_sub_f32_e32 v13, v12, v14
	v_add_f32_e32 v13, 1.0, v13
	v_sub_f32_e32 v12, v38, v12
	v_add_f32_e32 v19, v12, v13
	v_frexp_mant_f32_e32 v26, v14
	v_cvt_f64_f32_e32 v[12:13], v14
	v_frexp_exp_i32_f64_e32 v12, v[12:13]
	v_cmp_gt_f32_e32 vcc, s11, v26
	v_cmp_gt_f32_e64 s[52:53], s57, v38
	s_nop 0
	v_subbrev_co_u32_e32 v32, vcc, 0, v12, vcc
	v_sub_u32_e32 v12, 0, v32
	v_ldexp_f32 v13, v14, v12
	v_add_f32_e32 v14, -1.0, v13
	v_add_f32_e32 v26, 1.0, v13
	v_ldexp_f32 v12, v19, v12
	v_add_f32_e32 v19, 1.0, v14
	v_add_f32_e32 v27, -1.0, v26
	v_sub_f32_e32 v19, v13, v19
	v_sub_f32_e32 v13, v13, v27
	v_add_f32_e32 v19, v12, v19
	v_add_f32_e32 v12, v12, v13
	;; [unrolled: 1-line block ×3, first 2 shown]
	v_rcp_f32_e32 v35, v33
	v_sub_f32_e32 v13, v26, v33
	v_add_f32_e32 v34, v12, v13
	v_add_f32_e32 v13, v14, v19
	v_sub_f32_e32 v12, v14, v13
	v_add_f32_e32 v14, v19, v12
	v_mul_f32_e32 v19, v13, v35
	v_mul_f32_e32 v26, v33, v19
	v_fma_f32 v28, v19, v33, -v26
	v_fmac_f32_e32 v28, v19, v34
	v_add_f32_e32 v12, v26, v28
	v_sub_f32_e32 v27, v13, v12
	v_pk_add_f32 v[30:31], v[12:13], v[26:27] neg_lo:[0,1] neg_hi:[0,1]
	v_mov_b32_e32 v29, v12
	v_pk_add_f32 v[12:13], v[30:31], v[28:29] neg_lo:[0,1] neg_hi:[0,1]
	v_cmp_eq_f32_e32 vcc, s10, v38
	v_add_f32_e32 v13, v14, v13
	v_add_f32_e32 v12, v12, v13
	v_add_f32_e32 v13, v27, v12
	v_mul_f32_e32 v14, v35, v13
	v_mul_f32_e32 v26, v33, v14
	v_fma_f32 v28, v14, v33, -v26
	v_fmac_f32_e32 v28, v14, v34
	v_sub_f32_e32 v27, v27, v13
	v_add_f32_e32 v33, v12, v27
	v_add_f32_e32 v12, v26, v28
	v_sub_f32_e32 v27, v13, v12
	v_pk_add_f32 v[30:31], v[12:13], v[26:27] neg_lo:[0,1] neg_hi:[0,1]
	v_mov_b32_e32 v29, v12
	v_pk_add_f32 v[12:13], v[30:31], v[28:29] neg_lo:[0,1] neg_hi:[0,1]
	scratch_load_dwordx2 v[28:29], off, off offset:164 ; 8-byte Folded Reload
	v_add_f32_e32 v13, v33, v13
	v_add_f32_e32 v12, v12, v13
	;; [unrolled: 1-line block ×4, first 2 shown]
	v_sub_f32_e32 v19, v13, v19
	v_mul_f32_e32 v12, v35, v12
	v_sub_f32_e32 v14, v14, v19
	v_add_f32_e32 v14, v14, v12
	v_add_f32_e32 v19, v13, v14
	v_mul_f32_e32 v26, v19, v19
	v_mov_b32_e32 v12, 0x3ecc95a3
	v_fmamk_f32 v12, v26, 0x3e9b6dac, v12
	s_waitcnt vmcnt(0)
	v_fmaak_f32 v29, v26, v12, 0x3f2aaada
	v_cvt_f32_i32_e32 v12, v32
	v_sub_f32_e32 v13, v19, v13
	v_sub_f32_e32 v13, v14, v13
	v_ldexp_f32 v14, v13, 1
	v_mul_f32_e32 v13, v19, v26
	v_ldexp_f32 v27, v19, 1
	s_or_b64 vcc, s[52:53], vcc
	v_mov_b32_e32 v26, v28
	v_pk_mul_f32 v[28:29], v[12:13], v[28:29]
	scratch_store_dwordx2 off, v[26:27], off offset:164 ; 8-byte Folded Spill
	v_fma_f32 v26, v12, s56, -v28
	v_fmac_f32_e32 v26, 0xb102e308, v12
	v_pk_add_f32 v[12:13], v[28:29], v[26:27]
	v_mov_b32_e32 v30, v28
	v_sub_f32_e32 v19, v13, v27
	v_sub_f32_e32 v19, v29, v19
	v_add_f32_e32 v31, v14, v19
	v_pk_add_f32 v[28:29], v[12:13], v[28:29] neg_lo:[0,1] neg_hi:[0,1]
	v_pk_add_f32 v[32:33], v[12:13], v[30:31]
	v_mov_b32_e32 v27, v12
	v_mov_b32_e32 v29, v33
	v_pk_add_f32 v[34:35], v[26:27], v[28:29] neg_lo:[0,1] neg_hi:[0,1]
	v_pk_add_f32 v[26:27], v[26:27], v[28:29]
	s_nop 0
	v_mov_b32_e32 v14, v27
	v_pk_add_f32 v[28:29], v[14:15], v[12:13] neg_lo:[0,1] neg_hi:[0,1]
	v_mov_b32_e32 v26, v33
	v_mov_b32_e32 v19, v28
	v_pk_add_f32 v[36:37], v[32:33], v[18:19] neg_lo:[0,1] neg_hi:[0,1]
	v_mov_b32_e32 v32, v13
	v_mov_b32_e32 v33, v28
	;; [unrolled: 1-line block ×3, first 2 shown]
	v_pk_add_f32 v[26:27], v[26:27], v[32:33] neg_lo:[0,1] neg_hi:[0,1]
	v_mov_b32_e32 v28, v31
	v_mov_b32_e32 v29, v12
	v_pk_add_f32 v[12:13], v[28:29], v[26:27] neg_lo:[0,1] neg_hi:[0,1]
	v_mov_b32_e32 v36, v34
	v_pk_add_f32 v[26:27], v[36:37], v[12:13]
	s_nop 0
	v_mov_b32_e32 v28, v27
	v_pk_add_f32 v[28:29], v[26:27], v[28:29]
	s_nop 0
	v_pk_add_f32 v[30:31], v[14:15], v[28:29]
	v_mov_b32_e32 v13, v28
	v_mov_b32_e32 v27, v30
	v_pk_add_f32 v[32:33], v[26:27], v[34:35] neg_lo:[0,1] neg_hi:[0,1]
	s_nop 0
	v_sub_f32_e32 v14, v26, v32
	v_pk_add_f32 v[12:13], v[12:13], v[32:33] neg_lo:[0,1] neg_hi:[0,1]
	v_sub_f32_e32 v14, v34, v14
	v_add_f32_e32 v12, v12, v14
	v_add_f32_e32 v12, v12, v13
	;; [unrolled: 1-line block ×3, first 2 shown]
	v_cndmask_b32_e32 v74, v12, v38, vcc
.LBB84_87:                              ;   in Loop: Header=BB84_13 Depth=1
	s_or_b64 exec, exec, s[54:55]
	v_cvt_f32_f16_e32 v12, v15
	v_readlane_b32 s0, v95, 2
	s_nop 1
	v_add_f32_e32 v92, s0, v12
	v_cmp_ge_f32_e32 vcc, s4, v92
	s_and_b64 s[0:1], s[6:7], vcc
	s_and_saveexec_b64 s[54:55], s[0:1]
	s_cbranch_execz .LBB84_89
; %bb.88:                               ;   in Loop: Header=BB84_13 Depth=1
	v_mul_f32_e32 v12, 0x3fb8aa3b, v92
	v_rndne_f32_e32 v13, v12
	v_sub_f32_e32 v14, v12, v13
	v_fma_f32 v12, v92, s5, -v12
	v_fmac_f32_e32 v12, 0x32a5705f, v92
	v_add_f32_e32 v12, v14, v12
	v_cvt_i32_f32_e32 v13, v13
	v_exp_f32_e32 v12, v12
	v_cmp_ngt_f32_e32 vcc, s8, v92
	v_ldexp_f32 v12, v12, v13
	s_nop 0
	v_cndmask_b32_e32 v12, 0, v12, vcc
	v_cmp_nlt_f32_e32 vcc, s9, v92
	s_nop 1
	v_cndmask_b32_e32 v38, v39, v12, vcc
	v_add_f32_e32 v14, 1.0, v38
	v_add_f32_e32 v12, -1.0, v14
	v_sub_f32_e32 v13, v12, v14
	v_add_f32_e32 v13, 1.0, v13
	v_sub_f32_e32 v12, v38, v12
	v_add_f32_e32 v19, v12, v13
	v_frexp_mant_f32_e32 v26, v14
	v_cvt_f64_f32_e32 v[12:13], v14
	v_frexp_exp_i32_f64_e32 v12, v[12:13]
	v_cmp_gt_f32_e32 vcc, s11, v26
	v_cmp_gt_f32_e64 s[52:53], s57, v38
	s_nop 0
	v_subbrev_co_u32_e32 v32, vcc, 0, v12, vcc
	v_sub_u32_e32 v12, 0, v32
	v_ldexp_f32 v13, v14, v12
	v_add_f32_e32 v14, -1.0, v13
	v_add_f32_e32 v26, 1.0, v13
	v_ldexp_f32 v12, v19, v12
	v_add_f32_e32 v19, 1.0, v14
	v_add_f32_e32 v27, -1.0, v26
	v_sub_f32_e32 v19, v13, v19
	v_sub_f32_e32 v13, v13, v27
	v_add_f32_e32 v19, v12, v19
	v_add_f32_e32 v12, v12, v13
	;; [unrolled: 1-line block ×3, first 2 shown]
	v_rcp_f32_e32 v35, v33
	v_sub_f32_e32 v13, v26, v33
	v_add_f32_e32 v34, v12, v13
	v_add_f32_e32 v13, v14, v19
	v_sub_f32_e32 v12, v14, v13
	v_add_f32_e32 v14, v19, v12
	v_mul_f32_e32 v19, v13, v35
	v_mul_f32_e32 v26, v33, v19
	v_fma_f32 v28, v19, v33, -v26
	v_fmac_f32_e32 v28, v19, v34
	v_add_f32_e32 v12, v26, v28
	v_sub_f32_e32 v27, v13, v12
	v_pk_add_f32 v[30:31], v[12:13], v[26:27] neg_lo:[0,1] neg_hi:[0,1]
	v_mov_b32_e32 v29, v12
	v_pk_add_f32 v[12:13], v[30:31], v[28:29] neg_lo:[0,1] neg_hi:[0,1]
	v_cmp_eq_f32_e32 vcc, s10, v38
	v_add_f32_e32 v13, v14, v13
	v_add_f32_e32 v12, v12, v13
	;; [unrolled: 1-line block ×3, first 2 shown]
	v_mul_f32_e32 v14, v35, v13
	v_mul_f32_e32 v26, v33, v14
	v_fma_f32 v28, v14, v33, -v26
	v_fmac_f32_e32 v28, v14, v34
	v_sub_f32_e32 v27, v27, v13
	v_add_f32_e32 v33, v12, v27
	v_add_f32_e32 v12, v26, v28
	v_sub_f32_e32 v27, v13, v12
	v_pk_add_f32 v[30:31], v[12:13], v[26:27] neg_lo:[0,1] neg_hi:[0,1]
	v_mov_b32_e32 v29, v12
	v_pk_add_f32 v[12:13], v[30:31], v[28:29] neg_lo:[0,1] neg_hi:[0,1]
	scratch_load_dwordx2 v[28:29], off, off offset:164 ; 8-byte Folded Reload
	v_add_f32_e32 v13, v33, v13
	v_add_f32_e32 v12, v12, v13
	;; [unrolled: 1-line block ×4, first 2 shown]
	v_sub_f32_e32 v19, v13, v19
	v_mul_f32_e32 v12, v35, v12
	v_sub_f32_e32 v14, v14, v19
	v_add_f32_e32 v14, v14, v12
	v_add_f32_e32 v19, v13, v14
	v_mul_f32_e32 v26, v19, v19
	v_mov_b32_e32 v12, 0x3ecc95a3
	v_fmamk_f32 v12, v26, 0x3e9b6dac, v12
	s_waitcnt vmcnt(0)
	v_fmaak_f32 v29, v26, v12, 0x3f2aaada
	v_cvt_f32_i32_e32 v12, v32
	v_sub_f32_e32 v13, v19, v13
	v_sub_f32_e32 v13, v14, v13
	v_ldexp_f32 v14, v13, 1
	v_mul_f32_e32 v13, v19, v26
	v_ldexp_f32 v27, v19, 1
	s_or_b64 vcc, s[52:53], vcc
	v_mov_b32_e32 v26, v28
	v_pk_mul_f32 v[28:29], v[12:13], v[28:29]
	scratch_store_dwordx2 off, v[26:27], off offset:164 ; 8-byte Folded Spill
	v_fma_f32 v26, v12, s56, -v28
	v_fmac_f32_e32 v26, 0xb102e308, v12
	v_pk_add_f32 v[12:13], v[28:29], v[26:27]
	v_mov_b32_e32 v30, v28
	v_sub_f32_e32 v19, v13, v27
	v_sub_f32_e32 v19, v29, v19
	v_add_f32_e32 v31, v14, v19
	v_pk_add_f32 v[28:29], v[12:13], v[28:29] neg_lo:[0,1] neg_hi:[0,1]
	v_pk_add_f32 v[32:33], v[12:13], v[30:31]
	v_mov_b32_e32 v27, v12
	v_mov_b32_e32 v29, v33
	v_pk_add_f32 v[34:35], v[26:27], v[28:29] neg_lo:[0,1] neg_hi:[0,1]
	v_pk_add_f32 v[26:27], v[26:27], v[28:29]
	s_nop 0
	v_mov_b32_e32 v14, v27
	v_pk_add_f32 v[28:29], v[14:15], v[12:13] neg_lo:[0,1] neg_hi:[0,1]
	v_mov_b32_e32 v26, v33
	v_mov_b32_e32 v19, v28
	v_pk_add_f32 v[36:37], v[32:33], v[18:19] neg_lo:[0,1] neg_hi:[0,1]
	v_mov_b32_e32 v32, v13
	v_mov_b32_e32 v33, v28
	;; [unrolled: 1-line block ×3, first 2 shown]
	v_pk_add_f32 v[26:27], v[26:27], v[32:33] neg_lo:[0,1] neg_hi:[0,1]
	v_mov_b32_e32 v28, v31
	v_mov_b32_e32 v29, v12
	v_pk_add_f32 v[12:13], v[28:29], v[26:27] neg_lo:[0,1] neg_hi:[0,1]
	v_mov_b32_e32 v36, v34
	v_pk_add_f32 v[26:27], v[36:37], v[12:13]
	s_nop 0
	v_mov_b32_e32 v28, v27
	v_pk_add_f32 v[28:29], v[26:27], v[28:29]
	s_nop 0
	v_pk_add_f32 v[30:31], v[14:15], v[28:29]
	v_mov_b32_e32 v13, v28
	v_mov_b32_e32 v27, v30
	v_pk_add_f32 v[32:33], v[26:27], v[34:35] neg_lo:[0,1] neg_hi:[0,1]
	s_nop 0
	v_sub_f32_e32 v14, v26, v32
	v_pk_add_f32 v[12:13], v[12:13], v[32:33] neg_lo:[0,1] neg_hi:[0,1]
	v_sub_f32_e32 v14, v34, v14
	v_add_f32_e32 v12, v12, v14
	v_add_f32_e32 v12, v12, v13
	;; [unrolled: 1-line block ×3, first 2 shown]
	v_cndmask_b32_e32 v92, v12, v38, vcc
.LBB84_89:                              ;   in Loop: Header=BB84_13 Depth=1
	s_or_b64 exec, exec, s[54:55]
	v_cvt_f32_f16_sdwa v12, v15 dst_sel:DWORD dst_unused:UNUSED_PAD src0_sel:WORD_1
	v_readlane_b32 s0, v95, 2
	s_nop 1
	v_add_f32_e32 v93, s0, v12
	v_cmp_ge_f32_e32 vcc, s4, v93
	s_and_b64 s[0:1], s[6:7], vcc
	s_and_saveexec_b64 s[54:55], s[0:1]
	s_cbranch_execz .LBB84_91
; %bb.90:                               ;   in Loop: Header=BB84_13 Depth=1
	v_mul_f32_e32 v12, 0x3fb8aa3b, v93
	v_rndne_f32_e32 v13, v12
	v_sub_f32_e32 v14, v12, v13
	v_fma_f32 v12, v93, s5, -v12
	v_fmac_f32_e32 v12, 0x32a5705f, v93
	v_add_f32_e32 v12, v14, v12
	v_cvt_i32_f32_e32 v13, v13
	v_exp_f32_e32 v12, v12
	v_cmp_ngt_f32_e32 vcc, s8, v93
	v_ldexp_f32 v12, v12, v13
	s_nop 0
	v_cndmask_b32_e32 v12, 0, v12, vcc
	v_cmp_nlt_f32_e32 vcc, s9, v93
	s_nop 1
	v_cndmask_b32_e32 v38, v39, v12, vcc
	v_add_f32_e32 v14, 1.0, v38
	v_add_f32_e32 v12, -1.0, v14
	v_sub_f32_e32 v13, v12, v14
	v_add_f32_e32 v13, 1.0, v13
	v_sub_f32_e32 v12, v38, v12
	v_add_f32_e32 v15, v12, v13
	v_frexp_mant_f32_e32 v19, v14
	v_cvt_f64_f32_e32 v[12:13], v14
	v_frexp_exp_i32_f64_e32 v12, v[12:13]
	v_cmp_gt_f32_e32 vcc, s11, v19
	v_cmp_gt_f32_e64 s[52:53], s57, v38
	s_nop 0
	v_subbrev_co_u32_e32 v19, vcc, 0, v12, vcc
	v_sub_u32_e32 v12, 0, v19
	v_ldexp_f32 v13, v14, v12
	v_add_f32_e32 v14, -1.0, v13
	v_add_f32_e32 v26, 1.0, v13
	v_ldexp_f32 v12, v15, v12
	v_add_f32_e32 v15, 1.0, v14
	v_add_f32_e32 v27, -1.0, v26
	v_sub_f32_e32 v15, v13, v15
	v_sub_f32_e32 v13, v13, v27
	v_add_f32_e32 v15, v12, v15
	v_add_f32_e32 v12, v12, v13
	;; [unrolled: 1-line block ×3, first 2 shown]
	v_rcp_f32_e32 v32, v30
	v_sub_f32_e32 v13, v26, v30
	v_add_f32_e32 v31, v12, v13
	v_add_f32_e32 v13, v14, v15
	v_mul_f32_e32 v34, v13, v32
	v_sub_f32_e32 v12, v14, v13
	v_mul_f32_e32 v14, v30, v34
	v_fma_f32 v26, v34, v30, -v14
	v_fmac_f32_e32 v26, v34, v31
	v_add_f32_e32 v33, v15, v12
	v_add_f32_e32 v12, v14, v26
	v_sub_f32_e32 v15, v13, v12
	v_pk_add_f32 v[28:29], v[12:13], v[14:15] neg_lo:[0,1] neg_hi:[0,1]
	v_mov_b32_e32 v27, v12
	v_pk_add_f32 v[12:13], v[28:29], v[26:27] neg_lo:[0,1] neg_hi:[0,1]
	v_cmp_eq_f32_e32 vcc, s10, v38
	v_add_f32_e32 v13, v33, v13
	v_add_f32_e32 v12, v12, v13
	;; [unrolled: 1-line block ×3, first 2 shown]
	v_mul_f32_e32 v33, v32, v13
	v_mul_f32_e32 v14, v30, v33
	v_fma_f32 v26, v33, v30, -v14
	v_fmac_f32_e32 v26, v33, v31
	v_sub_f32_e32 v15, v15, v13
	v_add_f32_e32 v30, v12, v15
	v_add_f32_e32 v12, v14, v26
	v_sub_f32_e32 v15, v13, v12
	v_pk_add_f32 v[28:29], v[12:13], v[14:15] neg_lo:[0,1] neg_hi:[0,1]
	v_mov_b32_e32 v27, v12
	v_pk_add_f32 v[12:13], v[28:29], v[26:27] neg_lo:[0,1] neg_hi:[0,1]
	scratch_load_dwordx2 v[28:29], off, off offset:164 ; 8-byte Folded Reload
	v_add_f32_e32 v13, v30, v13
	v_add_f32_e32 v12, v12, v13
	;; [unrolled: 1-line block ×4, first 2 shown]
	v_sub_f32_e32 v14, v13, v34
	v_mul_f32_e32 v12, v32, v12
	v_sub_f32_e32 v14, v33, v14
	v_add_f32_e32 v14, v14, v12
	v_add_f32_e32 v26, v13, v14
	v_mul_f32_e32 v27, v26, v26
	v_mov_b32_e32 v12, 0x3ecc95a3
	v_fmamk_f32 v12, v27, 0x3e9b6dac, v12
	s_waitcnt vmcnt(0)
	v_fmaak_f32 v29, v27, v12, 0x3f2aaada
	v_cvt_f32_i32_e32 v12, v19
	v_sub_f32_e32 v13, v26, v13
	v_sub_f32_e32 v13, v14, v13
	v_ldexp_f32 v19, v13, 1
	v_mul_f32_e32 v13, v26, v27
	v_ldexp_f32 v15, v26, 1
	s_or_b64 vcc, s[52:53], vcc
	v_mov_b32_e32 v14, v28
	v_pk_mul_f32 v[26:27], v[12:13], v[28:29]
	scratch_store_dwordx2 off, v[14:15], off offset:164 ; 8-byte Folded Spill
	v_fma_f32 v14, v12, s56, -v26
	v_fmac_f32_e32 v14, 0xb102e308, v12
	v_pk_add_f32 v[12:13], v[26:27], v[14:15]
	v_mov_b32_e32 v28, v26
	v_sub_f32_e32 v15, v13, v15
	v_sub_f32_e32 v15, v27, v15
	v_add_f32_e32 v29, v19, v15
	v_pk_add_f32 v[26:27], v[12:13], v[26:27] neg_lo:[0,1] neg_hi:[0,1]
	v_pk_add_f32 v[30:31], v[12:13], v[28:29]
	v_mov_b32_e32 v15, v12
	v_mov_b32_e32 v27, v31
	v_pk_add_f32 v[32:33], v[14:15], v[26:27] neg_lo:[0,1] neg_hi:[0,1]
	v_pk_add_f32 v[14:15], v[14:15], v[26:27]
	v_mov_b32_e32 v28, v29
	v_mov_b32_e32 v26, v15
	v_pk_add_f32 v[34:35], v[26:27], v[12:13] neg_lo:[0,1] neg_hi:[0,1]
	v_mov_b32_e32 v14, v31
	v_mov_b32_e32 v19, v34
	v_pk_add_f32 v[36:37], v[30:31], v[18:19] neg_lo:[0,1] neg_hi:[0,1]
	v_mov_b32_e32 v30, v13
	v_mov_b32_e32 v31, v34
	;; [unrolled: 1-line block ×3, first 2 shown]
	v_pk_add_f32 v[14:15], v[14:15], v[30:31] neg_lo:[0,1] neg_hi:[0,1]
	v_mov_b32_e32 v29, v12
	v_pk_add_f32 v[12:13], v[28:29], v[14:15] neg_lo:[0,1] neg_hi:[0,1]
	v_mov_b32_e32 v36, v32
	v_pk_add_f32 v[14:15], v[36:37], v[12:13]
	s_nop 0
	v_mov_b32_e32 v28, v15
	v_pk_add_f32 v[28:29], v[14:15], v[28:29]
	s_nop 0
	v_pk_add_f32 v[26:27], v[26:27], v[28:29]
	v_mov_b32_e32 v13, v28
	v_mov_b32_e32 v15, v26
	v_pk_add_f32 v[30:31], v[14:15], v[32:33] neg_lo:[0,1] neg_hi:[0,1]
	s_nop 0
	v_sub_f32_e32 v14, v14, v30
	v_pk_add_f32 v[12:13], v[12:13], v[30:31] neg_lo:[0,1] neg_hi:[0,1]
	v_sub_f32_e32 v14, v32, v14
	v_add_f32_e32 v12, v12, v14
	v_add_f32_e32 v12, v12, v13
	;; [unrolled: 1-line block ×3, first 2 shown]
	v_cndmask_b32_e32 v93, v12, v38, vcc
.LBB84_91:                              ;   in Loop: Header=BB84_13 Depth=1
	s_or_b64 exec, exec, s[54:55]
	s_waitcnt lgkmcnt(0)
	v_cvt_f32_f16_e32 v12, v8
	v_readlane_b32 s0, v95, 2
	s_nop 1
	v_add_f32_e32 v94, s0, v12
	v_cmp_ge_f32_e32 vcc, s4, v94
	s_and_b64 s[0:1], s[6:7], vcc
	s_and_saveexec_b64 s[54:55], s[0:1]
	s_cbranch_execz .LBB84_93
; %bb.92:                               ;   in Loop: Header=BB84_13 Depth=1
	v_mul_f32_e32 v12, 0x3fb8aa3b, v94
	v_rndne_f32_e32 v13, v12
	v_sub_f32_e32 v14, v12, v13
	v_fma_f32 v12, v94, s5, -v12
	v_fmac_f32_e32 v12, 0x32a5705f, v94
	v_add_f32_e32 v12, v14, v12
	v_cvt_i32_f32_e32 v13, v13
	v_exp_f32_e32 v12, v12
	v_cmp_ngt_f32_e32 vcc, s8, v94
	v_ldexp_f32 v12, v12, v13
	s_nop 0
	v_cndmask_b32_e32 v12, 0, v12, vcc
	v_cmp_nlt_f32_e32 vcc, s9, v94
	s_nop 1
	v_cndmask_b32_e32 v38, v39, v12, vcc
	v_add_f32_e32 v14, 1.0, v38
	v_add_f32_e32 v12, -1.0, v14
	v_sub_f32_e32 v13, v12, v14
	v_add_f32_e32 v13, 1.0, v13
	v_sub_f32_e32 v12, v38, v12
	v_add_f32_e32 v15, v12, v13
	v_frexp_mant_f32_e32 v19, v14
	v_cvt_f64_f32_e32 v[12:13], v14
	v_frexp_exp_i32_f64_e32 v12, v[12:13]
	v_cmp_gt_f32_e32 vcc, s11, v19
	v_cmp_gt_f32_e64 s[52:53], s57, v38
	s_nop 0
	v_subbrev_co_u32_e32 v19, vcc, 0, v12, vcc
	v_sub_u32_e32 v12, 0, v19
	v_ldexp_f32 v13, v14, v12
	v_add_f32_e32 v14, -1.0, v13
	v_add_f32_e32 v26, 1.0, v13
	v_ldexp_f32 v12, v15, v12
	v_add_f32_e32 v15, 1.0, v14
	v_add_f32_e32 v27, -1.0, v26
	v_sub_f32_e32 v15, v13, v15
	v_sub_f32_e32 v13, v13, v27
	v_add_f32_e32 v15, v12, v15
	v_add_f32_e32 v12, v12, v13
	;; [unrolled: 1-line block ×3, first 2 shown]
	v_rcp_f32_e32 v32, v30
	v_sub_f32_e32 v13, v26, v30
	v_add_f32_e32 v31, v12, v13
	v_add_f32_e32 v13, v14, v15
	v_mul_f32_e32 v34, v13, v32
	v_sub_f32_e32 v12, v14, v13
	v_mul_f32_e32 v14, v30, v34
	v_fma_f32 v26, v34, v30, -v14
	v_fmac_f32_e32 v26, v34, v31
	v_add_f32_e32 v33, v15, v12
	v_add_f32_e32 v12, v14, v26
	v_sub_f32_e32 v15, v13, v12
	v_pk_add_f32 v[28:29], v[12:13], v[14:15] neg_lo:[0,1] neg_hi:[0,1]
	v_mov_b32_e32 v27, v12
	v_pk_add_f32 v[12:13], v[28:29], v[26:27] neg_lo:[0,1] neg_hi:[0,1]
	v_cmp_eq_f32_e32 vcc, s10, v38
	v_add_f32_e32 v13, v33, v13
	v_add_f32_e32 v12, v12, v13
	;; [unrolled: 1-line block ×3, first 2 shown]
	v_mul_f32_e32 v33, v32, v13
	v_mul_f32_e32 v14, v30, v33
	v_fma_f32 v26, v33, v30, -v14
	v_fmac_f32_e32 v26, v33, v31
	v_sub_f32_e32 v15, v15, v13
	v_add_f32_e32 v30, v12, v15
	v_add_f32_e32 v12, v14, v26
	v_sub_f32_e32 v15, v13, v12
	v_pk_add_f32 v[28:29], v[12:13], v[14:15] neg_lo:[0,1] neg_hi:[0,1]
	v_mov_b32_e32 v27, v12
	v_pk_add_f32 v[12:13], v[28:29], v[26:27] neg_lo:[0,1] neg_hi:[0,1]
	scratch_load_dwordx2 v[28:29], off, off offset:164 ; 8-byte Folded Reload
	v_add_f32_e32 v13, v30, v13
	v_add_f32_e32 v12, v12, v13
	;; [unrolled: 1-line block ×4, first 2 shown]
	v_sub_f32_e32 v14, v13, v34
	v_mul_f32_e32 v12, v32, v12
	v_sub_f32_e32 v14, v33, v14
	v_add_f32_e32 v14, v14, v12
	v_add_f32_e32 v26, v13, v14
	v_mul_f32_e32 v27, v26, v26
	v_mov_b32_e32 v12, 0x3ecc95a3
	v_fmamk_f32 v12, v27, 0x3e9b6dac, v12
	s_waitcnt vmcnt(0)
	v_fmaak_f32 v29, v27, v12, 0x3f2aaada
	v_cvt_f32_i32_e32 v12, v19
	v_sub_f32_e32 v13, v26, v13
	v_sub_f32_e32 v13, v14, v13
	v_ldexp_f32 v19, v13, 1
	v_mul_f32_e32 v13, v26, v27
	v_ldexp_f32 v15, v26, 1
	s_or_b64 vcc, s[52:53], vcc
	v_mov_b32_e32 v14, v28
	v_pk_mul_f32 v[26:27], v[12:13], v[28:29]
	scratch_store_dwordx2 off, v[14:15], off offset:164 ; 8-byte Folded Spill
	v_fma_f32 v14, v12, s56, -v26
	v_fmac_f32_e32 v14, 0xb102e308, v12
	v_pk_add_f32 v[12:13], v[26:27], v[14:15]
	v_mov_b32_e32 v28, v26
	v_sub_f32_e32 v15, v13, v15
	v_sub_f32_e32 v15, v27, v15
	v_add_f32_e32 v29, v19, v15
	v_pk_add_f32 v[26:27], v[12:13], v[26:27] neg_lo:[0,1] neg_hi:[0,1]
	v_pk_add_f32 v[30:31], v[12:13], v[28:29]
	v_mov_b32_e32 v15, v12
	v_mov_b32_e32 v27, v31
	v_pk_add_f32 v[32:33], v[14:15], v[26:27] neg_lo:[0,1] neg_hi:[0,1]
	v_pk_add_f32 v[14:15], v[14:15], v[26:27]
	v_mov_b32_e32 v28, v29
	v_mov_b32_e32 v26, v15
	v_pk_add_f32 v[34:35], v[26:27], v[12:13] neg_lo:[0,1] neg_hi:[0,1]
	v_mov_b32_e32 v14, v31
	v_mov_b32_e32 v19, v34
	v_pk_add_f32 v[36:37], v[30:31], v[18:19] neg_lo:[0,1] neg_hi:[0,1]
	v_mov_b32_e32 v30, v13
	v_mov_b32_e32 v31, v34
	;; [unrolled: 1-line block ×3, first 2 shown]
	v_pk_add_f32 v[14:15], v[14:15], v[30:31] neg_lo:[0,1] neg_hi:[0,1]
	v_mov_b32_e32 v29, v12
	v_pk_add_f32 v[12:13], v[28:29], v[14:15] neg_lo:[0,1] neg_hi:[0,1]
	v_mov_b32_e32 v36, v32
	v_pk_add_f32 v[14:15], v[36:37], v[12:13]
	s_nop 0
	v_mov_b32_e32 v28, v15
	v_pk_add_f32 v[28:29], v[14:15], v[28:29]
	s_nop 0
	v_pk_add_f32 v[26:27], v[26:27], v[28:29]
	v_mov_b32_e32 v13, v28
	v_mov_b32_e32 v15, v26
	v_pk_add_f32 v[30:31], v[14:15], v[32:33] neg_lo:[0,1] neg_hi:[0,1]
	s_nop 0
	v_sub_f32_e32 v14, v14, v30
	v_pk_add_f32 v[12:13], v[12:13], v[30:31] neg_lo:[0,1] neg_hi:[0,1]
	v_sub_f32_e32 v14, v32, v14
	v_add_f32_e32 v12, v12, v14
	v_add_f32_e32 v12, v12, v13
	v_add_f32_e32 v12, v26, v12
	v_cndmask_b32_e32 v94, v12, v38, vcc
.LBB84_93:                              ;   in Loop: Header=BB84_13 Depth=1
	s_or_b64 exec, exec, s[54:55]
	v_cvt_f32_f16_sdwa v8, v8 dst_sel:DWORD dst_unused:UNUSED_PAD src0_sel:WORD_1
	v_readlane_b32 s0, v95, 2
	s_nop 1
	v_add_f32_e32 v60, s0, v8
	v_cmp_ge_f32_e32 vcc, s4, v60
	s_and_b64 s[0:1], s[6:7], vcc
	s_and_saveexec_b64 s[54:55], s[0:1]
	s_cbranch_execz .LBB84_95
; %bb.94:                               ;   in Loop: Header=BB84_13 Depth=1
	v_mul_f32_e32 v8, 0x3fb8aa3b, v60
	v_rndne_f32_e32 v12, v8
	v_sub_f32_e32 v13, v8, v12
	v_fma_f32 v8, v60, s5, -v8
	v_fmac_f32_e32 v8, 0x32a5705f, v60
	v_add_f32_e32 v8, v13, v8
	v_cvt_i32_f32_e32 v12, v12
	v_exp_f32_e32 v8, v8
	v_cmp_ngt_f32_e32 vcc, s8, v60
	v_ldexp_f32 v8, v8, v12
	s_nop 0
	v_cndmask_b32_e32 v8, 0, v8, vcc
	v_cmp_nlt_f32_e32 vcc, s9, v60
	s_nop 1
	v_cndmask_b32_e32 v36, v39, v8, vcc
	v_add_f32_e32 v8, 1.0, v36
	v_add_f32_e32 v12, -1.0, v8
	v_sub_f32_e32 v13, v12, v8
	v_add_f32_e32 v13, 1.0, v13
	v_sub_f32_e32 v12, v36, v12
	v_add_f32_e32 v14, v12, v13
	v_frexp_mant_f32_e32 v15, v8
	v_cvt_f64_f32_e32 v[12:13], v8
	v_frexp_exp_i32_f64_e32 v12, v[12:13]
	v_cmp_gt_f32_e32 vcc, s11, v15
	v_cmp_gt_f32_e64 s[52:53], s57, v36
	s_nop 0
	v_subbrev_co_u32_e32 v19, vcc, 0, v12, vcc
	v_sub_u32_e32 v12, 0, v19
	v_ldexp_f32 v8, v8, v12
	v_ldexp_f32 v12, v14, v12
	v_add_f32_e32 v14, -1.0, v8
	v_add_f32_e32 v13, 1.0, v14
	v_sub_f32_e32 v13, v8, v13
	v_add_f32_e32 v15, v12, v13
	v_add_f32_e32 v13, 1.0, v8
	v_add_f32_e32 v26, -1.0, v13
	v_sub_f32_e32 v8, v8, v26
	v_add_f32_e32 v8, v12, v8
	v_add_f32_e32 v30, v13, v8
	v_rcp_f32_e32 v31, v30
	v_sub_f32_e32 v12, v13, v30
	v_add_f32_e32 v13, v14, v15
	v_add_f32_e32 v8, v8, v12
	v_mul_f32_e32 v33, v13, v31
	v_sub_f32_e32 v12, v14, v13
	v_mul_f32_e32 v14, v30, v33
	v_fma_f32 v26, v33, v30, -v14
	v_fmac_f32_e32 v26, v33, v8
	v_add_f32_e32 v32, v15, v12
	v_add_f32_e32 v12, v14, v26
	v_sub_f32_e32 v15, v13, v12
	v_pk_add_f32 v[28:29], v[12:13], v[14:15] neg_lo:[0,1] neg_hi:[0,1]
	v_mov_b32_e32 v27, v12
	v_pk_add_f32 v[12:13], v[28:29], v[26:27] neg_lo:[0,1] neg_hi:[0,1]
	v_cmp_eq_f32_e32 vcc, s10, v36
	v_add_f32_e32 v13, v32, v13
	v_add_f32_e32 v12, v12, v13
	;; [unrolled: 1-line block ×3, first 2 shown]
	v_mul_f32_e32 v32, v31, v13
	v_mul_f32_e32 v14, v30, v32
	v_fma_f32 v26, v32, v30, -v14
	v_fmac_f32_e32 v26, v32, v8
	v_sub_f32_e32 v8, v15, v13
	v_add_f32_e32 v8, v12, v8
	v_add_f32_e32 v12, v14, v26
	v_sub_f32_e32 v15, v13, v12
	v_pk_add_f32 v[28:29], v[12:13], v[14:15] neg_lo:[0,1] neg_hi:[0,1]
	v_mov_b32_e32 v27, v12
	v_pk_add_f32 v[12:13], v[28:29], v[26:27] neg_lo:[0,1] neg_hi:[0,1]
	scratch_load_dwordx2 v[28:29], off, off offset:164 ; 8-byte Folded Reload
	v_add_f32_e32 v8, v8, v13
	v_add_f32_e32 v8, v12, v8
	;; [unrolled: 1-line block ×4, first 2 shown]
	v_sub_f32_e32 v12, v13, v33
	v_mul_f32_e32 v8, v31, v8
	v_sub_f32_e32 v12, v32, v12
	v_add_f32_e32 v8, v12, v8
	v_add_f32_e32 v14, v13, v8
	v_mul_f32_e32 v26, v14, v14
	v_mov_b32_e32 v12, 0x3ecc95a3
	v_fmamk_f32 v12, v26, 0x3e9b6dac, v12
	s_waitcnt vmcnt(0)
	v_fmaak_f32 v29, v26, v12, 0x3f2aaada
	v_cvt_f32_i32_e32 v12, v19
	v_sub_f32_e32 v13, v14, v13
	v_sub_f32_e32 v8, v8, v13
	v_mul_f32_e32 v13, v14, v26
	v_ldexp_f32 v15, v14, 1
	v_ldexp_f32 v8, v8, 1
	s_or_b64 vcc, s[52:53], vcc
	v_mov_b32_e32 v14, v28
	v_pk_mul_f32 v[26:27], v[12:13], v[28:29]
	scratch_store_dwordx2 off, v[14:15], off offset:164 ; 8-byte Folded Spill
	v_fma_f32 v14, v12, s56, -v26
	v_fmac_f32_e32 v14, 0xb102e308, v12
	v_pk_add_f32 v[12:13], v[26:27], v[14:15]
	v_mov_b32_e32 v28, v26
	v_sub_f32_e32 v15, v13, v15
	v_sub_f32_e32 v15, v27, v15
	v_add_f32_e32 v29, v8, v15
	v_pk_add_f32 v[26:27], v[12:13], v[26:27] neg_lo:[0,1] neg_hi:[0,1]
	v_pk_add_f32 v[30:31], v[12:13], v[28:29]
	v_mov_b32_e32 v15, v12
	v_mov_b32_e32 v27, v31
	v_pk_add_f32 v[32:33], v[14:15], v[26:27] neg_lo:[0,1] neg_hi:[0,1]
	v_pk_add_f32 v[14:15], v[14:15], v[26:27]
	s_nop 0
	v_mov_b32_e32 v8, v15
	v_pk_add_f32 v[26:27], v[8:9], v[12:13] neg_lo:[0,1] neg_hi:[0,1]
	v_mov_b32_e32 v14, v31
	v_mov_b32_e32 v19, v26
	v_pk_add_f32 v[34:35], v[30:31], v[18:19] neg_lo:[0,1] neg_hi:[0,1]
	v_mov_b32_e32 v30, v13
	v_mov_b32_e32 v31, v26
	;; [unrolled: 1-line block ×3, first 2 shown]
	v_pk_add_f32 v[14:15], v[14:15], v[30:31] neg_lo:[0,1] neg_hi:[0,1]
	v_mov_b32_e32 v26, v29
	v_mov_b32_e32 v27, v12
	v_pk_add_f32 v[12:13], v[26:27], v[14:15] neg_lo:[0,1] neg_hi:[0,1]
	v_mov_b32_e32 v34, v32
	v_pk_add_f32 v[14:15], v[34:35], v[12:13]
	s_nop 0
	v_mov_b32_e32 v26, v15
	v_pk_add_f32 v[26:27], v[14:15], v[26:27]
	s_nop 0
	v_pk_add_f32 v[28:29], v[8:9], v[26:27]
	v_mov_b32_e32 v13, v26
	v_mov_b32_e32 v15, v28
	v_pk_add_f32 v[30:31], v[14:15], v[32:33] neg_lo:[0,1] neg_hi:[0,1]
	s_nop 0
	v_sub_f32_e32 v8, v14, v30
	v_pk_add_f32 v[12:13], v[12:13], v[30:31] neg_lo:[0,1] neg_hi:[0,1]
	v_sub_f32_e32 v8, v32, v8
	v_add_f32_e32 v8, v12, v8
	v_add_f32_e32 v8, v8, v13
	;; [unrolled: 1-line block ×3, first 2 shown]
	v_cndmask_b32_e32 v60, v8, v36, vcc
.LBB84_95:                              ;   in Loop: Header=BB84_13 Depth=1
	s_or_b64 exec, exec, s[54:55]
	v_cvt_f32_f16_e32 v8, v9
	v_readlane_b32 s0, v95, 2
	s_nop 1
	v_add_f32_e32 v61, s0, v8
	v_cmp_ge_f32_e32 vcc, s4, v61
	s_and_b64 s[0:1], s[6:7], vcc
	s_and_saveexec_b64 s[54:55], s[0:1]
	s_cbranch_execz .LBB84_97
; %bb.96:                               ;   in Loop: Header=BB84_13 Depth=1
	v_mul_f32_e32 v8, 0x3fb8aa3b, v61
	v_rndne_f32_e32 v12, v8
	v_sub_f32_e32 v13, v8, v12
	v_fma_f32 v8, v61, s5, -v8
	v_fmac_f32_e32 v8, 0x32a5705f, v61
	v_add_f32_e32 v8, v13, v8
	v_cvt_i32_f32_e32 v12, v12
	v_exp_f32_e32 v8, v8
	v_cmp_ngt_f32_e32 vcc, s8, v61
	v_ldexp_f32 v8, v8, v12
	s_nop 0
	v_cndmask_b32_e32 v8, 0, v8, vcc
	v_cmp_nlt_f32_e32 vcc, s9, v61
	s_nop 1
	v_cndmask_b32_e32 v36, v39, v8, vcc
	v_add_f32_e32 v8, 1.0, v36
	v_add_f32_e32 v12, -1.0, v8
	v_sub_f32_e32 v13, v12, v8
	v_add_f32_e32 v13, 1.0, v13
	v_sub_f32_e32 v12, v36, v12
	v_add_f32_e32 v14, v12, v13
	v_frexp_mant_f32_e32 v15, v8
	v_cvt_f64_f32_e32 v[12:13], v8
	v_frexp_exp_i32_f64_e32 v12, v[12:13]
	v_cmp_gt_f32_e32 vcc, s11, v15
	v_cmp_gt_f32_e64 s[52:53], s57, v36
	s_nop 0
	v_subbrev_co_u32_e32 v19, vcc, 0, v12, vcc
	v_sub_u32_e32 v12, 0, v19
	v_ldexp_f32 v8, v8, v12
	v_ldexp_f32 v12, v14, v12
	v_add_f32_e32 v14, -1.0, v8
	v_add_f32_e32 v13, 1.0, v14
	v_sub_f32_e32 v13, v8, v13
	v_add_f32_e32 v15, v12, v13
	v_add_f32_e32 v13, 1.0, v8
	v_add_f32_e32 v26, -1.0, v13
	v_sub_f32_e32 v8, v8, v26
	v_add_f32_e32 v8, v12, v8
	v_add_f32_e32 v30, v13, v8
	v_rcp_f32_e32 v31, v30
	v_sub_f32_e32 v12, v13, v30
	v_add_f32_e32 v13, v14, v15
	v_add_f32_e32 v8, v8, v12
	v_mul_f32_e32 v33, v13, v31
	v_sub_f32_e32 v12, v14, v13
	v_mul_f32_e32 v14, v30, v33
	v_fma_f32 v26, v33, v30, -v14
	v_fmac_f32_e32 v26, v33, v8
	v_add_f32_e32 v32, v15, v12
	v_add_f32_e32 v12, v14, v26
	v_sub_f32_e32 v15, v13, v12
	v_pk_add_f32 v[28:29], v[12:13], v[14:15] neg_lo:[0,1] neg_hi:[0,1]
	v_mov_b32_e32 v27, v12
	v_pk_add_f32 v[12:13], v[28:29], v[26:27] neg_lo:[0,1] neg_hi:[0,1]
	v_cmp_eq_f32_e32 vcc, s10, v36
	v_add_f32_e32 v13, v32, v13
	v_add_f32_e32 v12, v12, v13
	;; [unrolled: 1-line block ×3, first 2 shown]
	v_mul_f32_e32 v32, v31, v13
	v_mul_f32_e32 v14, v30, v32
	v_fma_f32 v26, v32, v30, -v14
	v_fmac_f32_e32 v26, v32, v8
	v_sub_f32_e32 v8, v15, v13
	v_add_f32_e32 v8, v12, v8
	v_add_f32_e32 v12, v14, v26
	v_sub_f32_e32 v15, v13, v12
	v_pk_add_f32 v[28:29], v[12:13], v[14:15] neg_lo:[0,1] neg_hi:[0,1]
	v_mov_b32_e32 v27, v12
	v_pk_add_f32 v[12:13], v[28:29], v[26:27] neg_lo:[0,1] neg_hi:[0,1]
	scratch_load_dwordx2 v[28:29], off, off offset:164 ; 8-byte Folded Reload
	v_add_f32_e32 v8, v8, v13
	v_add_f32_e32 v8, v12, v8
	;; [unrolled: 1-line block ×4, first 2 shown]
	v_sub_f32_e32 v12, v13, v33
	v_mul_f32_e32 v8, v31, v8
	v_sub_f32_e32 v12, v32, v12
	v_add_f32_e32 v8, v12, v8
	v_add_f32_e32 v14, v13, v8
	v_mul_f32_e32 v26, v14, v14
	v_mov_b32_e32 v12, 0x3ecc95a3
	v_fmamk_f32 v12, v26, 0x3e9b6dac, v12
	s_waitcnt vmcnt(0)
	v_fmaak_f32 v29, v26, v12, 0x3f2aaada
	v_cvt_f32_i32_e32 v12, v19
	v_sub_f32_e32 v13, v14, v13
	v_sub_f32_e32 v8, v8, v13
	v_mul_f32_e32 v13, v14, v26
	v_ldexp_f32 v15, v14, 1
	v_ldexp_f32 v8, v8, 1
	s_or_b64 vcc, s[52:53], vcc
	v_mov_b32_e32 v14, v28
	v_pk_mul_f32 v[26:27], v[12:13], v[28:29]
	scratch_store_dwordx2 off, v[14:15], off offset:164 ; 8-byte Folded Spill
	v_fma_f32 v14, v12, s56, -v26
	v_fmac_f32_e32 v14, 0xb102e308, v12
	v_pk_add_f32 v[12:13], v[26:27], v[14:15]
	v_mov_b32_e32 v28, v26
	v_sub_f32_e32 v15, v13, v15
	v_sub_f32_e32 v15, v27, v15
	v_add_f32_e32 v29, v8, v15
	v_pk_add_f32 v[26:27], v[12:13], v[26:27] neg_lo:[0,1] neg_hi:[0,1]
	v_pk_add_f32 v[30:31], v[12:13], v[28:29]
	v_mov_b32_e32 v15, v12
	v_mov_b32_e32 v27, v31
	v_pk_add_f32 v[32:33], v[14:15], v[26:27] neg_lo:[0,1] neg_hi:[0,1]
	v_pk_add_f32 v[14:15], v[14:15], v[26:27]
	s_nop 0
	v_mov_b32_e32 v8, v15
	v_pk_add_f32 v[26:27], v[8:9], v[12:13] neg_lo:[0,1] neg_hi:[0,1]
	v_mov_b32_e32 v14, v31
	v_mov_b32_e32 v19, v26
	v_pk_add_f32 v[34:35], v[30:31], v[18:19] neg_lo:[0,1] neg_hi:[0,1]
	v_mov_b32_e32 v30, v13
	v_mov_b32_e32 v31, v26
	;; [unrolled: 1-line block ×3, first 2 shown]
	v_pk_add_f32 v[14:15], v[14:15], v[30:31] neg_lo:[0,1] neg_hi:[0,1]
	v_mov_b32_e32 v26, v29
	v_mov_b32_e32 v27, v12
	v_pk_add_f32 v[12:13], v[26:27], v[14:15] neg_lo:[0,1] neg_hi:[0,1]
	v_mov_b32_e32 v34, v32
	v_pk_add_f32 v[14:15], v[34:35], v[12:13]
	s_nop 0
	v_mov_b32_e32 v26, v15
	v_pk_add_f32 v[26:27], v[14:15], v[26:27]
	s_nop 0
	v_pk_add_f32 v[28:29], v[8:9], v[26:27]
	v_mov_b32_e32 v13, v26
	v_mov_b32_e32 v15, v28
	v_pk_add_f32 v[30:31], v[14:15], v[32:33] neg_lo:[0,1] neg_hi:[0,1]
	s_nop 0
	v_sub_f32_e32 v8, v14, v30
	v_pk_add_f32 v[12:13], v[12:13], v[30:31] neg_lo:[0,1] neg_hi:[0,1]
	v_sub_f32_e32 v8, v32, v8
	v_add_f32_e32 v8, v12, v8
	v_add_f32_e32 v8, v8, v13
	;; [unrolled: 1-line block ×3, first 2 shown]
	v_cndmask_b32_e32 v61, v8, v36, vcc
.LBB84_97:                              ;   in Loop: Header=BB84_13 Depth=1
	s_or_b64 exec, exec, s[54:55]
	v_cvt_f32_f16_sdwa v8, v9 dst_sel:DWORD dst_unused:UNUSED_PAD src0_sel:WORD_1
	v_readlane_b32 s0, v95, 2
	s_nop 1
	v_add_f32_e32 v62, s0, v8
	v_cmp_ge_f32_e32 vcc, s4, v62
	s_and_b64 s[0:1], s[6:7], vcc
	s_and_saveexec_b64 s[54:55], s[0:1]
	s_cbranch_execz .LBB84_99
; %bb.98:                               ;   in Loop: Header=BB84_13 Depth=1
	v_mul_f32_e32 v8, 0x3fb8aa3b, v62
	v_rndne_f32_e32 v9, v8
	v_sub_f32_e32 v12, v8, v9
	v_fma_f32 v8, v62, s5, -v8
	v_fmac_f32_e32 v8, 0x32a5705f, v62
	v_add_f32_e32 v8, v12, v8
	v_cvt_i32_f32_e32 v9, v9
	v_exp_f32_e32 v8, v8
	v_cmp_ngt_f32_e32 vcc, s8, v62
	v_ldexp_f32 v8, v8, v9
	s_nop 0
	v_cndmask_b32_e32 v8, 0, v8, vcc
	v_cmp_nlt_f32_e32 vcc, s9, v62
	s_nop 1
	v_cndmask_b32_e32 v19, v39, v8, vcc
	v_add_f32_e32 v12, 1.0, v19
	v_add_f32_e32 v8, -1.0, v12
	v_sub_f32_e32 v9, v8, v12
	v_add_f32_e32 v9, 1.0, v9
	v_sub_f32_e32 v8, v19, v8
	v_add_f32_e32 v13, v8, v9
	v_frexp_mant_f32_e32 v14, v12
	v_cvt_f64_f32_e32 v[8:9], v12
	v_frexp_exp_i32_f64_e32 v8, v[8:9]
	v_cmp_gt_f32_e32 vcc, s11, v14
	v_cmp_gt_f32_e64 s[52:53], s57, v19
	s_nop 0
	v_subbrev_co_u32_e32 v28, vcc, 0, v8, vcc
	v_sub_u32_e32 v8, 0, v28
	v_ldexp_f32 v9, v12, v8
	v_add_f32_e32 v12, -1.0, v9
	v_add_f32_e32 v14, 1.0, v9
	v_ldexp_f32 v8, v13, v8
	v_add_f32_e32 v13, 1.0, v12
	v_add_f32_e32 v15, -1.0, v14
	v_sub_f32_e32 v13, v9, v13
	v_sub_f32_e32 v9, v9, v15
	v_add_f32_e32 v13, v8, v13
	v_add_f32_e32 v8, v8, v9
	;; [unrolled: 1-line block ×3, first 2 shown]
	v_rcp_f32_e32 v31, v29
	v_sub_f32_e32 v9, v14, v29
	v_add_f32_e32 v30, v8, v9
	v_add_f32_e32 v9, v12, v13
	v_mul_f32_e32 v33, v9, v31
	v_sub_f32_e32 v8, v12, v9
	v_mul_f32_e32 v12, v29, v33
	v_fma_f32 v14, v33, v29, -v12
	v_fmac_f32_e32 v14, v33, v30
	v_add_f32_e32 v32, v13, v8
	v_add_f32_e32 v8, v12, v14
	v_sub_f32_e32 v13, v9, v8
	v_pk_add_f32 v[26:27], v[8:9], v[12:13] neg_lo:[0,1] neg_hi:[0,1]
	v_mov_b32_e32 v15, v8
	v_pk_add_f32 v[8:9], v[26:27], v[14:15] neg_lo:[0,1] neg_hi:[0,1]
	v_cmp_eq_f32_e32 vcc, s10, v19
	v_add_f32_e32 v9, v32, v9
	v_add_f32_e32 v8, v8, v9
	;; [unrolled: 1-line block ×3, first 2 shown]
	v_mul_f32_e32 v32, v31, v9
	v_mul_f32_e32 v12, v29, v32
	v_fma_f32 v14, v32, v29, -v12
	v_fmac_f32_e32 v14, v32, v30
	v_sub_f32_e32 v13, v13, v9
	v_add_f32_e32 v29, v8, v13
	v_add_f32_e32 v8, v12, v14
	v_sub_f32_e32 v13, v9, v8
	v_pk_add_f32 v[26:27], v[8:9], v[12:13] neg_lo:[0,1] neg_hi:[0,1]
	v_mov_b32_e32 v15, v8
	v_pk_add_f32 v[8:9], v[26:27], v[14:15] neg_lo:[0,1] neg_hi:[0,1]
	scratch_load_dwordx2 v[26:27], off, off offset:164 ; 8-byte Folded Reload
	v_add_f32_e32 v9, v29, v9
	v_add_f32_e32 v8, v8, v9
	v_add_f32_e32 v9, v33, v32
	v_add_f32_e32 v8, v13, v8
	v_sub_f32_e32 v12, v9, v33
	v_mul_f32_e32 v8, v31, v8
	v_sub_f32_e32 v12, v32, v12
	v_add_f32_e32 v12, v12, v8
	v_add_f32_e32 v14, v9, v12
	v_mul_f32_e32 v15, v14, v14
	v_mov_b32_e32 v8, 0x3ecc95a3
	v_fmamk_f32 v8, v15, 0x3e9b6dac, v8
	v_fmaak_f32 v31, v15, v8, 0x3f2aaada
	v_cvt_f32_i32_e32 v8, v28
	v_sub_f32_e32 v9, v14, v9
	v_sub_f32_e32 v9, v12, v9
	v_ldexp_f32 v13, v14, 1
	s_or_b64 vcc, s[52:53], vcc
	s_waitcnt vmcnt(0)
	v_mov_b32_e32 v30, v26
	v_ldexp_f32 v26, v9, 1
	v_mul_f32_e32 v9, v14, v15
	v_mov_b32_e32 v12, v30
	v_pk_mul_f32 v[14:15], v[8:9], v[30:31]
	scratch_store_dwordx2 off, v[12:13], off offset:164 ; 8-byte Folded Spill
	v_fma_f32 v12, v8, s56, -v14
	v_fmac_f32_e32 v12, 0xb102e308, v8
	v_pk_add_f32 v[8:9], v[14:15], v[12:13]
	s_nop 0
	v_sub_f32_e32 v13, v9, v13
	v_sub_f32_e32 v13, v15, v13
	v_add_f32_e32 v27, v26, v13
	v_mov_b32_e32 v26, v14
	v_pk_add_f32 v[14:15], v[8:9], v[14:15] neg_lo:[0,1] neg_hi:[0,1]
	v_pk_add_f32 v[28:29], v[8:9], v[26:27]
	v_mov_b32_e32 v13, v8
	v_mov_b32_e32 v15, v29
	v_pk_add_f32 v[30:31], v[12:13], v[14:15] neg_lo:[0,1] neg_hi:[0,1]
	v_pk_add_f32 v[12:13], v[12:13], v[14:15]
	v_mov_b32_e32 v26, v27
	v_mov_b32_e32 v14, v13
	v_pk_add_f32 v[32:33], v[14:15], v[8:9] neg_lo:[0,1] neg_hi:[0,1]
	v_mov_b32_e32 v12, v29
	v_mov_b32_e32 v15, v32
	v_pk_add_f32 v[34:35], v[28:29], v[14:15] neg_lo:[0,1] neg_hi:[0,1]
	v_mov_b32_e32 v28, v9
	v_mov_b32_e32 v29, v32
	;; [unrolled: 1-line block ×3, first 2 shown]
	v_pk_add_f32 v[12:13], v[12:13], v[28:29] neg_lo:[0,1] neg_hi:[0,1]
	v_mov_b32_e32 v27, v8
	v_pk_add_f32 v[8:9], v[26:27], v[12:13] neg_lo:[0,1] neg_hi:[0,1]
	v_mov_b32_e32 v34, v30
	v_pk_add_f32 v[12:13], v[34:35], v[8:9]
	s_nop 0
	v_mov_b32_e32 v26, v13
	v_pk_add_f32 v[26:27], v[12:13], v[26:27]
	s_nop 0
	v_pk_add_f32 v[14:15], v[14:15], v[26:27]
	v_mov_b32_e32 v9, v26
	v_mov_b32_e32 v13, v14
	v_pk_add_f32 v[28:29], v[12:13], v[30:31] neg_lo:[0,1] neg_hi:[0,1]
	s_nop 0
	v_sub_f32_e32 v12, v12, v28
	v_pk_add_f32 v[8:9], v[8:9], v[28:29] neg_lo:[0,1] neg_hi:[0,1]
	v_sub_f32_e32 v12, v30, v12
	v_add_f32_e32 v8, v8, v12
	v_add_f32_e32 v8, v8, v9
	;; [unrolled: 1-line block ×3, first 2 shown]
	v_cndmask_b32_e32 v62, v8, v19, vcc
.LBB84_99:                              ;   in Loop: Header=BB84_13 Depth=1
	s_or_b64 exec, exec, s[54:55]
	v_cvt_f32_f16_e32 v8, v10
	v_readlane_b32 s0, v95, 2
	s_nop 1
	v_add_f32_e32 v63, s0, v8
	v_cmp_ge_f32_e32 vcc, s4, v63
	s_and_b64 s[0:1], s[6:7], vcc
	s_and_saveexec_b64 s[54:55], s[0:1]
	s_cbranch_execz .LBB84_101
; %bb.100:                              ;   in Loop: Header=BB84_13 Depth=1
	v_mul_f32_e32 v8, 0x3fb8aa3b, v63
	v_rndne_f32_e32 v9, v8
	v_sub_f32_e32 v12, v8, v9
	v_fma_f32 v8, v63, s5, -v8
	v_fmac_f32_e32 v8, 0x32a5705f, v63
	v_add_f32_e32 v8, v12, v8
	v_cvt_i32_f32_e32 v9, v9
	v_exp_f32_e32 v8, v8
	v_cmp_ngt_f32_e32 vcc, s8, v63
	v_ldexp_f32 v8, v8, v9
	s_nop 0
	v_cndmask_b32_e32 v8, 0, v8, vcc
	v_cmp_nlt_f32_e32 vcc, s9, v63
	s_nop 1
	v_cndmask_b32_e32 v19, v39, v8, vcc
	v_add_f32_e32 v12, 1.0, v19
	v_add_f32_e32 v8, -1.0, v12
	v_sub_f32_e32 v9, v8, v12
	v_add_f32_e32 v9, 1.0, v9
	v_sub_f32_e32 v8, v19, v8
	v_add_f32_e32 v13, v8, v9
	v_frexp_mant_f32_e32 v14, v12
	v_cvt_f64_f32_e32 v[8:9], v12
	v_frexp_exp_i32_f64_e32 v8, v[8:9]
	v_cmp_gt_f32_e32 vcc, s11, v14
	v_cmp_gt_f32_e64 s[52:53], s57, v19
	s_nop 0
	v_subbrev_co_u32_e32 v28, vcc, 0, v8, vcc
	v_sub_u32_e32 v8, 0, v28
	v_ldexp_f32 v9, v12, v8
	v_add_f32_e32 v12, -1.0, v9
	v_add_f32_e32 v14, 1.0, v9
	v_ldexp_f32 v8, v13, v8
	v_add_f32_e32 v13, 1.0, v12
	v_add_f32_e32 v15, -1.0, v14
	v_sub_f32_e32 v13, v9, v13
	v_sub_f32_e32 v9, v9, v15
	v_add_f32_e32 v13, v8, v13
	v_add_f32_e32 v8, v8, v9
	;; [unrolled: 1-line block ×3, first 2 shown]
	v_rcp_f32_e32 v31, v29
	v_sub_f32_e32 v9, v14, v29
	v_add_f32_e32 v30, v8, v9
	v_add_f32_e32 v9, v12, v13
	v_mul_f32_e32 v33, v9, v31
	v_sub_f32_e32 v8, v12, v9
	v_mul_f32_e32 v12, v29, v33
	v_fma_f32 v14, v33, v29, -v12
	v_fmac_f32_e32 v14, v33, v30
	v_add_f32_e32 v32, v13, v8
	v_add_f32_e32 v8, v12, v14
	v_sub_f32_e32 v13, v9, v8
	v_pk_add_f32 v[26:27], v[8:9], v[12:13] neg_lo:[0,1] neg_hi:[0,1]
	v_mov_b32_e32 v15, v8
	v_pk_add_f32 v[8:9], v[26:27], v[14:15] neg_lo:[0,1] neg_hi:[0,1]
	v_cmp_eq_f32_e32 vcc, s10, v19
	v_add_f32_e32 v9, v32, v9
	v_add_f32_e32 v8, v8, v9
	;; [unrolled: 1-line block ×3, first 2 shown]
	v_mul_f32_e32 v32, v31, v9
	v_mul_f32_e32 v12, v29, v32
	v_fma_f32 v14, v32, v29, -v12
	v_fmac_f32_e32 v14, v32, v30
	v_sub_f32_e32 v13, v13, v9
	v_add_f32_e32 v29, v8, v13
	v_add_f32_e32 v8, v12, v14
	v_sub_f32_e32 v13, v9, v8
	v_pk_add_f32 v[26:27], v[8:9], v[12:13] neg_lo:[0,1] neg_hi:[0,1]
	v_mov_b32_e32 v15, v8
	v_pk_add_f32 v[8:9], v[26:27], v[14:15] neg_lo:[0,1] neg_hi:[0,1]
	scratch_load_dwordx2 v[26:27], off, off offset:164 ; 8-byte Folded Reload
	v_add_f32_e32 v9, v29, v9
	v_add_f32_e32 v8, v8, v9
	;; [unrolled: 1-line block ×4, first 2 shown]
	v_sub_f32_e32 v12, v9, v33
	v_mul_f32_e32 v8, v31, v8
	v_sub_f32_e32 v12, v32, v12
	v_add_f32_e32 v12, v12, v8
	v_add_f32_e32 v14, v9, v12
	v_mul_f32_e32 v15, v14, v14
	v_mov_b32_e32 v8, 0x3ecc95a3
	v_fmamk_f32 v8, v15, 0x3e9b6dac, v8
	v_fmaak_f32 v31, v15, v8, 0x3f2aaada
	v_cvt_f32_i32_e32 v8, v28
	v_sub_f32_e32 v9, v14, v9
	v_sub_f32_e32 v9, v12, v9
	v_ldexp_f32 v13, v14, 1
	s_or_b64 vcc, s[52:53], vcc
	s_waitcnt vmcnt(0)
	v_mov_b32_e32 v30, v26
	v_ldexp_f32 v26, v9, 1
	v_mul_f32_e32 v9, v14, v15
	v_mov_b32_e32 v12, v30
	v_pk_mul_f32 v[14:15], v[8:9], v[30:31]
	scratch_store_dwordx2 off, v[12:13], off offset:164 ; 8-byte Folded Spill
	v_fma_f32 v12, v8, s56, -v14
	v_fmac_f32_e32 v12, 0xb102e308, v8
	v_pk_add_f32 v[8:9], v[14:15], v[12:13]
	s_nop 0
	v_sub_f32_e32 v13, v9, v13
	v_sub_f32_e32 v13, v15, v13
	v_add_f32_e32 v27, v26, v13
	v_mov_b32_e32 v26, v14
	v_pk_add_f32 v[14:15], v[8:9], v[14:15] neg_lo:[0,1] neg_hi:[0,1]
	v_pk_add_f32 v[28:29], v[8:9], v[26:27]
	v_mov_b32_e32 v13, v8
	v_mov_b32_e32 v15, v29
	v_pk_add_f32 v[30:31], v[12:13], v[14:15] neg_lo:[0,1] neg_hi:[0,1]
	v_pk_add_f32 v[12:13], v[12:13], v[14:15]
	v_mov_b32_e32 v26, v27
	v_mov_b32_e32 v14, v13
	v_pk_add_f32 v[32:33], v[14:15], v[8:9] neg_lo:[0,1] neg_hi:[0,1]
	v_mov_b32_e32 v12, v29
	v_mov_b32_e32 v15, v32
	v_pk_add_f32 v[34:35], v[28:29], v[14:15] neg_lo:[0,1] neg_hi:[0,1]
	v_mov_b32_e32 v28, v9
	v_mov_b32_e32 v29, v32
	;; [unrolled: 1-line block ×3, first 2 shown]
	v_pk_add_f32 v[12:13], v[12:13], v[28:29] neg_lo:[0,1] neg_hi:[0,1]
	v_mov_b32_e32 v27, v8
	v_pk_add_f32 v[8:9], v[26:27], v[12:13] neg_lo:[0,1] neg_hi:[0,1]
	v_mov_b32_e32 v34, v30
	v_pk_add_f32 v[12:13], v[34:35], v[8:9]
	s_nop 0
	v_mov_b32_e32 v26, v13
	v_pk_add_f32 v[26:27], v[12:13], v[26:27]
	s_nop 0
	v_pk_add_f32 v[14:15], v[14:15], v[26:27]
	v_mov_b32_e32 v9, v26
	v_mov_b32_e32 v13, v14
	v_pk_add_f32 v[28:29], v[12:13], v[30:31] neg_lo:[0,1] neg_hi:[0,1]
	s_nop 0
	v_sub_f32_e32 v12, v12, v28
	v_pk_add_f32 v[8:9], v[8:9], v[28:29] neg_lo:[0,1] neg_hi:[0,1]
	v_sub_f32_e32 v12, v30, v12
	v_add_f32_e32 v8, v8, v12
	v_add_f32_e32 v8, v8, v9
	;; [unrolled: 1-line block ×3, first 2 shown]
	v_cndmask_b32_e32 v63, v8, v19, vcc
.LBB84_101:                             ;   in Loop: Header=BB84_13 Depth=1
	s_or_b64 exec, exec, s[54:55]
	v_cvt_f32_f16_sdwa v8, v10 dst_sel:DWORD dst_unused:UNUSED_PAD src0_sel:WORD_1
	v_readlane_b32 s0, v95, 2
	s_nop 1
	v_add_f32_e32 v64, s0, v8
	v_cmp_ge_f32_e32 vcc, s4, v64
	s_and_b64 s[0:1], s[6:7], vcc
	s_and_saveexec_b64 s[54:55], s[0:1]
	s_cbranch_execz .LBB84_103
; %bb.102:                              ;   in Loop: Header=BB84_13 Depth=1
	v_mul_f32_e32 v8, 0x3fb8aa3b, v64
	v_rndne_f32_e32 v9, v8
	v_sub_f32_e32 v10, v8, v9
	v_fma_f32 v8, v64, s5, -v8
	v_fmac_f32_e32 v8, 0x32a5705f, v64
	v_add_f32_e32 v8, v10, v8
	v_cvt_i32_f32_e32 v9, v9
	v_exp_f32_e32 v8, v8
	v_cmp_ngt_f32_e32 vcc, s8, v64
	v_ldexp_f32 v8, v8, v9
	s_nop 0
	v_cndmask_b32_e32 v8, 0, v8, vcc
	v_cmp_nlt_f32_e32 vcc, s9, v64
	s_nop 1
	v_cndmask_b32_e32 v19, v39, v8, vcc
	v_add_f32_e32 v10, 1.0, v19
	v_add_f32_e32 v8, -1.0, v10
	v_sub_f32_e32 v9, v8, v10
	v_add_f32_e32 v9, 1.0, v9
	v_sub_f32_e32 v8, v19, v8
	v_add_f32_e32 v12, v8, v9
	v_frexp_mant_f32_e32 v13, v10
	v_cvt_f64_f32_e32 v[8:9], v10
	v_frexp_exp_i32_f64_e32 v8, v[8:9]
	v_cmp_gt_f32_e32 vcc, s11, v13
	v_cmp_gt_f32_e64 s[52:53], s57, v19
	s_nop 0
	v_subbrev_co_u32_e32 v28, vcc, 0, v8, vcc
	v_sub_u32_e32 v8, 0, v28
	v_ldexp_f32 v9, v10, v8
	v_add_f32_e32 v10, -1.0, v9
	v_add_f32_e32 v13, 1.0, v9
	v_ldexp_f32 v8, v12, v8
	v_add_f32_e32 v12, 1.0, v10
	v_add_f32_e32 v14, -1.0, v13
	v_sub_f32_e32 v12, v9, v12
	v_sub_f32_e32 v9, v9, v14
	v_add_f32_e32 v12, v8, v12
	v_add_f32_e32 v8, v8, v9
	;; [unrolled: 1-line block ×3, first 2 shown]
	v_rcp_f32_e32 v31, v29
	v_sub_f32_e32 v9, v13, v29
	v_add_f32_e32 v30, v8, v9
	v_add_f32_e32 v9, v10, v12
	v_sub_f32_e32 v8, v10, v9
	v_mul_f32_e32 v32, v9, v31
	v_add_f32_e32 v10, v12, v8
	v_mul_f32_e32 v12, v29, v32
	v_fma_f32 v14, v32, v29, -v12
	v_fmac_f32_e32 v14, v32, v30
	v_add_f32_e32 v8, v12, v14
	v_sub_f32_e32 v13, v9, v8
	v_pk_add_f32 v[26:27], v[8:9], v[12:13] neg_lo:[0,1] neg_hi:[0,1]
	v_mov_b32_e32 v15, v8
	v_pk_add_f32 v[8:9], v[26:27], v[14:15] neg_lo:[0,1] neg_hi:[0,1]
	v_cmp_eq_f32_e32 vcc, s10, v19
	v_add_f32_e32 v9, v10, v9
	v_add_f32_e32 v8, v8, v9
	;; [unrolled: 1-line block ×3, first 2 shown]
	v_mul_f32_e32 v10, v31, v9
	v_mul_f32_e32 v12, v29, v10
	v_fma_f32 v14, v10, v29, -v12
	v_fmac_f32_e32 v14, v10, v30
	v_sub_f32_e32 v13, v13, v9
	v_add_f32_e32 v29, v8, v13
	v_add_f32_e32 v8, v12, v14
	v_sub_f32_e32 v13, v9, v8
	v_pk_add_f32 v[26:27], v[8:9], v[12:13] neg_lo:[0,1] neg_hi:[0,1]
	v_mov_b32_e32 v15, v8
	v_pk_add_f32 v[8:9], v[26:27], v[14:15] neg_lo:[0,1] neg_hi:[0,1]
	scratch_load_dwordx2 v[26:27], off, off offset:164 ; 8-byte Folded Reload
	v_add_f32_e32 v9, v29, v9
	v_add_f32_e32 v8, v8, v9
	;; [unrolled: 1-line block ×4, first 2 shown]
	v_sub_f32_e32 v12, v9, v32
	v_mul_f32_e32 v8, v31, v8
	v_sub_f32_e32 v10, v10, v12
	v_add_f32_e32 v10, v10, v8
	v_add_f32_e32 v12, v9, v10
	v_mul_f32_e32 v14, v12, v12
	v_mov_b32_e32 v8, 0x3ecc95a3
	v_fmamk_f32 v8, v14, 0x3e9b6dac, v8
	s_waitcnt vmcnt(0)
	v_fmaak_f32 v27, v14, v8, 0x3f2aaada
	v_cvt_f32_i32_e32 v8, v28
	v_sub_f32_e32 v9, v12, v9
	v_sub_f32_e32 v9, v10, v9
	v_ldexp_f32 v10, v9, 1
	v_mul_f32_e32 v9, v12, v14
	v_ldexp_f32 v13, v12, 1
	s_or_b64 vcc, s[52:53], vcc
	v_mov_b32_e32 v12, v26
	v_pk_mul_f32 v[14:15], v[8:9], v[26:27]
	scratch_store_dwordx2 off, v[12:13], off offset:164 ; 8-byte Folded Spill
	v_fma_f32 v12, v8, s56, -v14
	v_fmac_f32_e32 v12, 0xb102e308, v8
	v_pk_add_f32 v[8:9], v[14:15], v[12:13]
	v_mov_b32_e32 v26, v14
	v_sub_f32_e32 v13, v9, v13
	v_sub_f32_e32 v13, v15, v13
	v_add_f32_e32 v27, v10, v13
	v_pk_add_f32 v[14:15], v[8:9], v[14:15] neg_lo:[0,1] neg_hi:[0,1]
	v_pk_add_f32 v[28:29], v[8:9], v[26:27]
	v_mov_b32_e32 v13, v8
	v_mov_b32_e32 v15, v29
	v_pk_add_f32 v[30:31], v[12:13], v[14:15] neg_lo:[0,1] neg_hi:[0,1]
	v_pk_add_f32 v[12:13], v[12:13], v[14:15]
	s_nop 0
	v_mov_b32_e32 v10, v13
	v_pk_add_f32 v[14:15], v[10:11], v[8:9] neg_lo:[0,1] neg_hi:[0,1]
	v_mov_b32_e32 v12, v29
	v_mov_b32_e32 v15, v14
	v_pk_add_f32 v[32:33], v[28:29], v[14:15] neg_lo:[0,1] neg_hi:[0,1]
	v_mov_b32_e32 v28, v9
	v_mov_b32_e32 v29, v14
	v_mov_b32_e32 v31, v13
	v_pk_add_f32 v[12:13], v[12:13], v[28:29] neg_lo:[0,1] neg_hi:[0,1]
	v_mov_b32_e32 v14, v27
	v_mov_b32_e32 v15, v8
	v_pk_add_f32 v[8:9], v[14:15], v[12:13] neg_lo:[0,1] neg_hi:[0,1]
	v_mov_b32_e32 v32, v30
	v_pk_add_f32 v[12:13], v[32:33], v[8:9]
	s_nop 0
	v_mov_b32_e32 v14, v13
	v_pk_add_f32 v[14:15], v[12:13], v[14:15]
	s_nop 0
	v_pk_add_f32 v[26:27], v[10:11], v[14:15]
	v_mov_b32_e32 v9, v14
	v_mov_b32_e32 v13, v26
	v_pk_add_f32 v[28:29], v[12:13], v[30:31] neg_lo:[0,1] neg_hi:[0,1]
	s_nop 0
	v_sub_f32_e32 v10, v12, v28
	v_pk_add_f32 v[8:9], v[8:9], v[28:29] neg_lo:[0,1] neg_hi:[0,1]
	v_sub_f32_e32 v10, v30, v10
	v_add_f32_e32 v8, v8, v10
	v_add_f32_e32 v8, v8, v9
	;; [unrolled: 1-line block ×3, first 2 shown]
	v_cndmask_b32_e32 v64, v8, v19, vcc
.LBB84_103:                             ;   in Loop: Header=BB84_13 Depth=1
	s_or_b64 exec, exec, s[54:55]
	v_cvt_f32_f16_e32 v8, v11
	v_readlane_b32 s0, v95, 2
	s_nop 1
	v_add_f32_e32 v65, s0, v8
	v_cmp_ge_f32_e32 vcc, s4, v65
	s_and_b64 s[0:1], s[6:7], vcc
	s_and_saveexec_b64 s[54:55], s[0:1]
	s_cbranch_execz .LBB84_105
; %bb.104:                              ;   in Loop: Header=BB84_13 Depth=1
	v_mul_f32_e32 v8, 0x3fb8aa3b, v65
	v_rndne_f32_e32 v9, v8
	v_sub_f32_e32 v10, v8, v9
	v_fma_f32 v8, v65, s5, -v8
	v_fmac_f32_e32 v8, 0x32a5705f, v65
	v_add_f32_e32 v8, v10, v8
	v_cvt_i32_f32_e32 v9, v9
	v_exp_f32_e32 v8, v8
	v_cmp_ngt_f32_e32 vcc, s8, v65
	v_ldexp_f32 v8, v8, v9
	s_nop 0
	v_cndmask_b32_e32 v8, 0, v8, vcc
	v_cmp_nlt_f32_e32 vcc, s9, v65
	s_nop 1
	v_cndmask_b32_e32 v19, v39, v8, vcc
	v_add_f32_e32 v10, 1.0, v19
	v_add_f32_e32 v8, -1.0, v10
	v_sub_f32_e32 v9, v8, v10
	v_add_f32_e32 v9, 1.0, v9
	v_sub_f32_e32 v8, v19, v8
	v_add_f32_e32 v12, v8, v9
	v_frexp_mant_f32_e32 v13, v10
	v_cvt_f64_f32_e32 v[8:9], v10
	v_frexp_exp_i32_f64_e32 v8, v[8:9]
	v_cmp_gt_f32_e32 vcc, s11, v13
	v_cmp_gt_f32_e64 s[52:53], s57, v19
	s_nop 0
	v_subbrev_co_u32_e32 v28, vcc, 0, v8, vcc
	v_sub_u32_e32 v8, 0, v28
	v_ldexp_f32 v9, v10, v8
	v_add_f32_e32 v10, -1.0, v9
	v_add_f32_e32 v13, 1.0, v9
	v_ldexp_f32 v8, v12, v8
	v_add_f32_e32 v12, 1.0, v10
	v_add_f32_e32 v14, -1.0, v13
	v_sub_f32_e32 v12, v9, v12
	v_sub_f32_e32 v9, v9, v14
	v_add_f32_e32 v12, v8, v12
	v_add_f32_e32 v8, v8, v9
	v_add_f32_e32 v29, v13, v8
	v_rcp_f32_e32 v31, v29
	v_sub_f32_e32 v9, v13, v29
	v_add_f32_e32 v30, v8, v9
	v_add_f32_e32 v9, v10, v12
	v_sub_f32_e32 v8, v10, v9
	v_mul_f32_e32 v32, v9, v31
	v_add_f32_e32 v10, v12, v8
	v_mul_f32_e32 v12, v29, v32
	v_fma_f32 v14, v32, v29, -v12
	v_fmac_f32_e32 v14, v32, v30
	v_add_f32_e32 v8, v12, v14
	v_sub_f32_e32 v13, v9, v8
	v_pk_add_f32 v[26:27], v[8:9], v[12:13] neg_lo:[0,1] neg_hi:[0,1]
	v_mov_b32_e32 v15, v8
	v_pk_add_f32 v[8:9], v[26:27], v[14:15] neg_lo:[0,1] neg_hi:[0,1]
	v_cmp_eq_f32_e32 vcc, s10, v19
	v_add_f32_e32 v9, v10, v9
	v_add_f32_e32 v8, v8, v9
	v_add_f32_e32 v9, v13, v8
	v_mul_f32_e32 v10, v31, v9
	v_mul_f32_e32 v12, v29, v10
	v_fma_f32 v14, v10, v29, -v12
	v_fmac_f32_e32 v14, v10, v30
	v_sub_f32_e32 v13, v13, v9
	v_add_f32_e32 v29, v8, v13
	v_add_f32_e32 v8, v12, v14
	v_sub_f32_e32 v13, v9, v8
	v_pk_add_f32 v[26:27], v[8:9], v[12:13] neg_lo:[0,1] neg_hi:[0,1]
	v_mov_b32_e32 v15, v8
	v_pk_add_f32 v[8:9], v[26:27], v[14:15] neg_lo:[0,1] neg_hi:[0,1]
	scratch_load_dwordx2 v[26:27], off, off offset:164 ; 8-byte Folded Reload
	v_add_f32_e32 v9, v29, v9
	v_add_f32_e32 v8, v8, v9
	;; [unrolled: 1-line block ×4, first 2 shown]
	v_sub_f32_e32 v12, v9, v32
	v_mul_f32_e32 v8, v31, v8
	v_sub_f32_e32 v10, v10, v12
	v_add_f32_e32 v10, v10, v8
	v_add_f32_e32 v12, v9, v10
	v_mul_f32_e32 v14, v12, v12
	v_mov_b32_e32 v8, 0x3ecc95a3
	v_fmamk_f32 v8, v14, 0x3e9b6dac, v8
	s_waitcnt vmcnt(0)
	v_fmaak_f32 v27, v14, v8, 0x3f2aaada
	v_cvt_f32_i32_e32 v8, v28
	v_sub_f32_e32 v9, v12, v9
	v_sub_f32_e32 v9, v10, v9
	v_ldexp_f32 v10, v9, 1
	v_mul_f32_e32 v9, v12, v14
	v_ldexp_f32 v13, v12, 1
	s_or_b64 vcc, s[52:53], vcc
	v_mov_b32_e32 v12, v26
	v_pk_mul_f32 v[14:15], v[8:9], v[26:27]
	scratch_store_dwordx2 off, v[12:13], off offset:164 ; 8-byte Folded Spill
	v_fma_f32 v12, v8, s56, -v14
	v_fmac_f32_e32 v12, 0xb102e308, v8
	v_pk_add_f32 v[8:9], v[14:15], v[12:13]
	v_mov_b32_e32 v26, v14
	v_sub_f32_e32 v13, v9, v13
	v_sub_f32_e32 v13, v15, v13
	v_add_f32_e32 v27, v10, v13
	v_pk_add_f32 v[14:15], v[8:9], v[14:15] neg_lo:[0,1] neg_hi:[0,1]
	v_pk_add_f32 v[28:29], v[8:9], v[26:27]
	v_mov_b32_e32 v13, v8
	v_mov_b32_e32 v15, v29
	v_pk_add_f32 v[30:31], v[12:13], v[14:15] neg_lo:[0,1] neg_hi:[0,1]
	v_pk_add_f32 v[12:13], v[12:13], v[14:15]
	s_nop 0
	v_mov_b32_e32 v10, v13
	v_pk_add_f32 v[14:15], v[10:11], v[8:9] neg_lo:[0,1] neg_hi:[0,1]
	v_mov_b32_e32 v12, v29
	v_mov_b32_e32 v15, v14
	v_pk_add_f32 v[32:33], v[28:29], v[14:15] neg_lo:[0,1] neg_hi:[0,1]
	v_mov_b32_e32 v28, v9
	v_mov_b32_e32 v29, v14
	;; [unrolled: 1-line block ×3, first 2 shown]
	v_pk_add_f32 v[12:13], v[12:13], v[28:29] neg_lo:[0,1] neg_hi:[0,1]
	v_mov_b32_e32 v14, v27
	v_mov_b32_e32 v15, v8
	v_pk_add_f32 v[8:9], v[14:15], v[12:13] neg_lo:[0,1] neg_hi:[0,1]
	v_mov_b32_e32 v32, v30
	v_pk_add_f32 v[12:13], v[32:33], v[8:9]
	s_nop 0
	v_mov_b32_e32 v14, v13
	v_pk_add_f32 v[14:15], v[12:13], v[14:15]
	s_nop 0
	v_pk_add_f32 v[26:27], v[10:11], v[14:15]
	v_mov_b32_e32 v9, v14
	v_mov_b32_e32 v13, v26
	v_pk_add_f32 v[28:29], v[12:13], v[30:31] neg_lo:[0,1] neg_hi:[0,1]
	s_nop 0
	v_sub_f32_e32 v10, v12, v28
	v_pk_add_f32 v[8:9], v[8:9], v[28:29] neg_lo:[0,1] neg_hi:[0,1]
	v_sub_f32_e32 v10, v30, v10
	v_add_f32_e32 v8, v8, v10
	v_add_f32_e32 v8, v8, v9
	;; [unrolled: 1-line block ×3, first 2 shown]
	v_cndmask_b32_e32 v65, v8, v19, vcc
.LBB84_105:                             ;   in Loop: Header=BB84_13 Depth=1
	s_or_b64 exec, exec, s[54:55]
	v_cvt_f32_f16_sdwa v8, v11 dst_sel:DWORD dst_unused:UNUSED_PAD src0_sel:WORD_1
	v_readlane_b32 s0, v95, 2
	s_nop 1
	v_add_f32_e32 v27, s0, v8
	v_cmp_ge_f32_e32 vcc, s4, v27
	s_and_b64 s[0:1], s[6:7], vcc
	s_and_saveexec_b64 s[54:55], s[0:1]
	s_cbranch_execz .LBB84_107
; %bb.106:                              ;   in Loop: Header=BB84_13 Depth=1
	v_mul_f32_e32 v8, 0x3fb8aa3b, v27
	v_rndne_f32_e32 v9, v8
	v_sub_f32_e32 v10, v8, v9
	v_fma_f32 v8, v27, s5, -v8
	v_fmac_f32_e32 v8, 0x32a5705f, v27
	v_add_f32_e32 v8, v10, v8
	v_cvt_i32_f32_e32 v9, v9
	v_exp_f32_e32 v8, v8
	v_cmp_ngt_f32_e32 vcc, s8, v27
	v_ldexp_f32 v8, v8, v9
	s_nop 0
	v_cndmask_b32_e32 v8, 0, v8, vcc
	v_cmp_nlt_f32_e32 vcc, s9, v27
	s_nop 1
	v_cndmask_b32_e32 v19, v39, v8, vcc
	v_add_f32_e32 v10, 1.0, v19
	v_add_f32_e32 v8, -1.0, v10
	v_sub_f32_e32 v9, v8, v10
	v_add_f32_e32 v9, 1.0, v9
	v_sub_f32_e32 v8, v19, v8
	v_add_f32_e32 v11, v8, v9
	v_frexp_mant_f32_e32 v12, v10
	v_cvt_f64_f32_e32 v[8:9], v10
	v_frexp_exp_i32_f64_e32 v8, v[8:9]
	v_cmp_gt_f32_e32 vcc, s11, v12
	v_cmp_gt_f32_e64 s[52:53], s57, v19
	s_nop 0
	v_subbrev_co_u32_e32 v26, vcc, 0, v8, vcc
	v_sub_u32_e32 v8, 0, v26
	v_ldexp_f32 v9, v10, v8
	v_add_f32_e32 v10, -1.0, v9
	v_add_f32_e32 v12, 1.0, v9
	v_ldexp_f32 v8, v11, v8
	v_add_f32_e32 v11, 1.0, v10
	v_add_f32_e32 v13, -1.0, v12
	v_sub_f32_e32 v11, v9, v11
	v_sub_f32_e32 v9, v9, v13
	v_add_f32_e32 v11, v8, v11
	v_add_f32_e32 v8, v8, v9
	;; [unrolled: 1-line block ×3, first 2 shown]
	v_rcp_f32_e32 v29, v27
	v_sub_f32_e32 v9, v12, v27
	v_add_f32_e32 v28, v8, v9
	v_add_f32_e32 v9, v10, v11
	v_mul_f32_e32 v31, v9, v29
	v_sub_f32_e32 v8, v10, v9
	v_mul_f32_e32 v10, v27, v31
	v_fma_f32 v12, v31, v27, -v10
	v_fmac_f32_e32 v12, v31, v28
	v_add_f32_e32 v30, v11, v8
	v_add_f32_e32 v8, v10, v12
	v_sub_f32_e32 v11, v9, v8
	v_pk_add_f32 v[14:15], v[8:9], v[10:11] neg_lo:[0,1] neg_hi:[0,1]
	v_mov_b32_e32 v13, v8
	v_pk_add_f32 v[8:9], v[14:15], v[12:13] neg_lo:[0,1] neg_hi:[0,1]
	v_cmp_eq_f32_e32 vcc, s10, v19
	v_add_f32_e32 v9, v30, v9
	v_add_f32_e32 v8, v8, v9
	;; [unrolled: 1-line block ×3, first 2 shown]
	v_mul_f32_e32 v30, v29, v9
	v_mul_f32_e32 v10, v27, v30
	v_fma_f32 v12, v30, v27, -v10
	v_fmac_f32_e32 v12, v30, v28
	v_sub_f32_e32 v11, v11, v9
	v_add_f32_e32 v27, v8, v11
	v_add_f32_e32 v8, v10, v12
	v_sub_f32_e32 v11, v9, v8
	v_pk_add_f32 v[14:15], v[8:9], v[10:11] neg_lo:[0,1] neg_hi:[0,1]
	v_mov_b32_e32 v13, v8
	v_pk_add_f32 v[8:9], v[14:15], v[12:13] neg_lo:[0,1] neg_hi:[0,1]
	scratch_load_dwordx2 v[14:15], off, off offset:164 ; 8-byte Folded Reload
	v_add_f32_e32 v9, v27, v9
	v_add_f32_e32 v8, v8, v9
	;; [unrolled: 1-line block ×4, first 2 shown]
	v_sub_f32_e32 v10, v9, v31
	v_mul_f32_e32 v8, v29, v8
	v_sub_f32_e32 v10, v30, v10
	v_add_f32_e32 v10, v10, v8
	v_add_f32_e32 v12, v9, v10
	v_mul_f32_e32 v13, v12, v12
	v_mov_b32_e32 v8, 0x3ecc95a3
	v_fmamk_f32 v8, v13, 0x3e9b6dac, v8
	v_fmaak_f32 v29, v13, v8, 0x3f2aaada
	v_cvt_f32_i32_e32 v8, v26
	v_sub_f32_e32 v9, v12, v9
	v_sub_f32_e32 v9, v10, v9
	v_ldexp_f32 v11, v12, 1
	s_or_b64 vcc, s[52:53], vcc
	s_waitcnt vmcnt(0)
	v_mov_b32_e32 v28, v14
	v_ldexp_f32 v14, v9, 1
	v_mul_f32_e32 v9, v12, v13
	v_mov_b32_e32 v10, v28
	v_pk_mul_f32 v[12:13], v[8:9], v[28:29]
	scratch_store_dwordx2 off, v[10:11], off offset:164 ; 8-byte Folded Spill
	v_fma_f32 v10, v8, s56, -v12
	v_fmac_f32_e32 v10, 0xb102e308, v8
	v_pk_add_f32 v[8:9], v[12:13], v[10:11]
	s_nop 0
	v_sub_f32_e32 v11, v9, v11
	v_sub_f32_e32 v11, v13, v11
	v_add_f32_e32 v15, v14, v11
	v_mov_b32_e32 v14, v12
	v_pk_add_f32 v[12:13], v[8:9], v[12:13] neg_lo:[0,1] neg_hi:[0,1]
	v_pk_add_f32 v[26:27], v[8:9], v[14:15]
	v_mov_b32_e32 v11, v8
	v_mov_b32_e32 v13, v27
	v_pk_add_f32 v[28:29], v[10:11], v[12:13] neg_lo:[0,1] neg_hi:[0,1]
	v_pk_add_f32 v[10:11], v[10:11], v[12:13]
	v_mov_b32_e32 v14, v15
	v_mov_b32_e32 v12, v11
	v_pk_add_f32 v[30:31], v[12:13], v[8:9] neg_lo:[0,1] neg_hi:[0,1]
	v_mov_b32_e32 v10, v27
	v_mov_b32_e32 v13, v30
	v_pk_add_f32 v[32:33], v[26:27], v[12:13] neg_lo:[0,1] neg_hi:[0,1]
	v_mov_b32_e32 v26, v9
	v_mov_b32_e32 v27, v30
	;; [unrolled: 1-line block ×3, first 2 shown]
	v_pk_add_f32 v[10:11], v[10:11], v[26:27] neg_lo:[0,1] neg_hi:[0,1]
	v_mov_b32_e32 v15, v8
	v_pk_add_f32 v[8:9], v[14:15], v[10:11] neg_lo:[0,1] neg_hi:[0,1]
	v_mov_b32_e32 v32, v28
	v_pk_add_f32 v[10:11], v[32:33], v[8:9]
	s_nop 0
	v_mov_b32_e32 v14, v11
	v_pk_add_f32 v[14:15], v[10:11], v[14:15]
	s_nop 0
	v_pk_add_f32 v[12:13], v[12:13], v[14:15]
	v_mov_b32_e32 v9, v14
	v_mov_b32_e32 v11, v12
	v_pk_add_f32 v[26:27], v[10:11], v[28:29] neg_lo:[0,1] neg_hi:[0,1]
	s_nop 0
	v_sub_f32_e32 v10, v10, v26
	v_pk_add_f32 v[8:9], v[8:9], v[26:27] neg_lo:[0,1] neg_hi:[0,1]
	v_sub_f32_e32 v10, v28, v10
	v_add_f32_e32 v8, v8, v10
	v_add_f32_e32 v8, v8, v9
	;; [unrolled: 1-line block ×3, first 2 shown]
	v_cndmask_b32_e32 v27, v8, v19, vcc
.LBB84_107:                             ;   in Loop: Header=BB84_13 Depth=1
	s_or_b64 exec, exec, s[54:55]
	v_cvt_f32_f16_e32 v8, v7
	v_cvt_f32_f16_sdwa v9, v6 dst_sel:DWORD dst_unused:UNUSED_PAD src0_sel:WORD_1
	v_cvt_f32_f16_e32 v6, v6
	v_cvt_f32_f16_sdwa v11, v7 dst_sel:DWORD dst_unused:UNUSED_PAD src0_sel:WORD_1
	v_cvt_f32_f16_sdwa v7, v5 dst_sel:DWORD dst_unused:UNUSED_PAD src0_sel:WORD_1
	v_cvt_f32_f16_e32 v5, v5
	v_cvt_f32_f16_sdwa v10, v4 dst_sel:DWORD dst_unused:UNUSED_PAD src0_sel:WORD_1
	v_cvt_f32_f16_e32 v4, v4
	;; [unrolled: 2-line block ×6, first 2 shown]
	v_readlane_b32 s0, v95, 3
	s_waitcnt lgkmcnt(0)
	; wave barrier
	s_nop 0
	v_mul_f32_e32 v30, s0, v8
	v_mul_f32_e32 v29, s0, v9
	;; [unrolled: 1-line block ×16, first 2 shown]
	v_readlane_b32 s0, v95, 23
	v_readlane_b32 s1, v95, 24
	s_and_b64 vcc, exec, s[0:1]
	s_cbranch_vccz .LBB84_200
; %bb.108:                              ;   in Loop: Header=BB84_13 Depth=1
	v_mul_f32_e32 v82, v22, v0
	scratch_load_dword v0, off, off offset:264 ; 4-byte Folded Reload
	v_readlane_b32 s0, v95, 8
	v_readlane_b32 s1, v95, 9
	v_mul_f32_e32 v8, v65, v8
	v_mul_f32_e32 v6, v63, v6
	v_lshl_add_u64 v[44:45], s[0:1], 0, v[16:17]
	v_readlane_b32 s0, v95, 18
	v_readlane_b32 s1, v95, 19
	v_mul_f32_e32 v5, v61, v5
	s_mov_b32 s98, 0
	v_lshl_add_u64 v[46:47], s[0:1], 0, v[16:17]
	v_readlane_b32 s1, v95, 52
	s_cmp_lg_u32 s1, 0
	v_readlane_b32 s0, v95, 29
	s_cselect_b64 s[86:87], -1, 0
	s_cmp_eq_u32 s1, s0
	v_readlane_b32 s0, v95, 26
	v_readlane_b32 s1, v95, 27
	s_cselect_b64 s[90:91], -1, 0
	v_mul_f32_e32 v11, v27, v11
	scratch_store_dword off, v8, off offset:72 ; 4-byte Folded Spill
	v_mul_f32_e32 v8, v64, v9
	scratch_store_dword off, v6, off offset:80 ; 4-byte Folded Spill
	;; [unrolled: 2-line block ×3, first 2 shown]
	v_mul_f32_e32 v5, v60, v10
	v_mul_f32_e32 v72, v94, v4
	;; [unrolled: 1-line block ×9, first 2 shown]
	s_mov_b32 s92, s98
	s_mov_b32 s94, s98
	;; [unrolled: 1-line block ×3, first 2 shown]
	scratch_store_dword off, v11, off offset:68 ; 4-byte Folded Spill
	scratch_store_dword off, v8, off offset:76 ; 4-byte Folded Spill
	;; [unrolled: 1-line block ×4, first 2 shown]
	s_waitcnt vmcnt(7)
	v_cmp_gt_u32_e32 vcc, s82, v0
	scratch_load_dword v0, off, off offset:268 ; 4-byte Folded Reload
	s_or_b64 s[52:53], s[0:1], vcc
	s_waitcnt vmcnt(0)
	v_cmp_gt_u32_e32 vcc, s82, v0
	scratch_load_dword v0, off, off offset:272 ; 4-byte Folded Reload
	s_or_b64 s[54:55], s[0:1], vcc
	;; [unrolled: 4-line block ×15, first 2 shown]
	s_waitcnt vmcnt(0)
	v_cmp_gt_u32_e32 vcc, s82, v0
	s_or_b64 s[82:83], s[0:1], vcc
	v_readlane_b32 s0, v95, 22
	v_readlane_b32 s1, v95, 48
	s_branch .LBB84_110
.LBB84_109:                             ;   in Loop: Header=BB84_110 Depth=2
	s_or_b64 exec, exec, s[84:85]
	v_mul_f32_e32 v48, v83, v69
	v_fma_f32 v49, v83, v70, v8
	v_cndmask_b32_e64 v8, v49, v8, s[16:17]
	v_cndmask_b32_e64 v48, v48, v83, s[16:17]
	s_waitcnt lgkmcnt(0)
	v_fmac_f32_e32 v8, v58, v48
	v_fmac_f32_e32 v9, v8, v84
	;; [unrolled: 1-line block ×15, first 2 shown]
	v_readlane_b32 s4, v95, 38
	v_fmac_f32_e32 v57, v56, v68
	v_cvt_f32_f16_sdwa v49, v4 dst_sel:DWORD dst_unused:UNUSED_PAD src0_sel:WORD_1
	v_cvt_f32_f16_sdwa v59, v5 dst_sel:DWORD dst_unused:UNUSED_PAD src0_sel:WORD_1
	v_cvt_f32_f16_e32 v48, v4
	v_cvt_f32_f16_e32 v58, v5
	v_cvt_f32_f16_sdwa v5, v6 dst_sel:DWORD dst_unused:UNUSED_PAD src0_sel:WORD_1
	v_cvt_f32_f16_sdwa v67, v7 dst_sel:DWORD dst_unused:UNUSED_PAD src0_sel:WORD_1
	v_cvt_f32_f16_e32 v4, v6
	v_cvt_f32_f16_e32 v66, v7
	;; [unrolled: 4-line block ×4, first 2 shown]
	v_readlane_b32 s5, v95, 39
	v_readlane_b32 s6, v95, 40
	;; [unrolled: 1-line block ×7, first 2 shown]
	s_add_i32 s94, s94, s4
	v_readlane_b32 s4, v95, 10
	v_readlane_b32 s5, v95, 11
	;; [unrolled: 1-line block ×3, first 2 shown]
	s_add_i32 s1, s1, 8
	s_add_i32 s0, s0, -1
	s_add_i32 s96, s96, s97
	s_add_i32 s92, s92, s8
	s_add_i32 s98, s98, s5
	v_pk_fma_f32 v[42:43], v[10:11], v[58:59], v[42:43]
	v_pk_fma_f32 v[40:41], v[8:9], v[48:49], v[40:41]
	;; [unrolled: 1-line block ×7, first 2 shown]
	s_cmp_eq_u32 s0, 0
	v_pk_fma_f32 v[28:29], v[50:51], v[0:1], v[28:29]
	v_readlane_b32 s6, v95, 12
	v_readlane_b32 s7, v95, 13
	;; [unrolled: 1-line block ×5, first 2 shown]
	s_cbranch_scc1 .LBB84_199
.LBB84_110:                             ;   Parent Loop BB84_13 Depth=1
                                        ; =>  This Inner Loop Header: Depth=2
	s_lshl_b64 s[84:85], s[98:99], 2
	v_readlane_b32 s4, v95, 6
	s_add_u32 s84, s4, s84
	v_readlane_b32 s4, v95, 7
	s_addc_u32 s85, s4, s85
	global_load_dword v50, v17, s[84:85]
	s_mov_b32 s93, s99
	v_lshl_add_u64 v[0:1], s[92:93], 1, v[44:45]
	v_mov_b32_e32 v2, 0
	v_mov_b32_e32 v3, 0
	s_and_saveexec_b64 s[84:85], s[18:19]
	s_cbranch_execnz .LBB84_146
; %bb.111:                              ;   in Loop: Header=BB84_110 Depth=2
	s_or_b64 exec, exec, s[84:85]
	s_and_saveexec_b64 s[84:85], s[20:21]
	s_cbranch_execnz .LBB84_147
.LBB84_112:                             ;   in Loop: Header=BB84_110 Depth=2
	s_or_b64 exec, exec, s[84:85]
	v_mov_b32_e32 v4, 0
	s_and_saveexec_b64 s[84:85], s[22:23]
	s_cbranch_execnz .LBB84_148
.LBB84_113:                             ;   in Loop: Header=BB84_110 Depth=2
	s_or_b64 exec, exec, s[84:85]
	s_and_saveexec_b64 s[84:85], s[24:25]
	s_cbranch_execnz .LBB84_149
.LBB84_114:                             ;   in Loop: Header=BB84_110 Depth=2
	s_or_b64 exec, exec, s[84:85]
	v_mov_b32_e32 v5, 0
	s_and_saveexec_b64 s[84:85], s[26:27]
	s_cbranch_execnz .LBB84_150
.LBB84_115:                             ;   in Loop: Header=BB84_110 Depth=2
	s_or_b64 exec, exec, s[84:85]
	s_and_saveexec_b64 s[84:85], s[28:29]
	s_cbranch_execnz .LBB84_151
.LBB84_116:                             ;   in Loop: Header=BB84_110 Depth=2
	s_or_b64 exec, exec, s[84:85]
	v_mov_b32_e32 v6, 0
	s_and_saveexec_b64 s[84:85], s[30:31]
	s_cbranch_execnz .LBB84_152
.LBB84_117:                             ;   in Loop: Header=BB84_110 Depth=2
	s_or_b64 exec, exec, s[84:85]
	s_and_saveexec_b64 s[84:85], s[34:35]
	s_cbranch_execnz .LBB84_153
.LBB84_118:                             ;   in Loop: Header=BB84_110 Depth=2
	s_or_b64 exec, exec, s[84:85]
	v_mov_b32_e32 v7, 0
	s_and_saveexec_b64 s[84:85], s[36:37]
	s_cbranch_execnz .LBB84_154
.LBB84_119:                             ;   in Loop: Header=BB84_110 Depth=2
	s_or_b64 exec, exec, s[84:85]
	s_and_saveexec_b64 s[84:85], s[38:39]
	s_cbranch_execnz .LBB84_155
.LBB84_120:                             ;   in Loop: Header=BB84_110 Depth=2
	s_or_b64 exec, exec, s[84:85]
	v_mov_b32_e32 v8, 0
	s_and_saveexec_b64 s[84:85], s[40:41]
	s_cbranch_execnz .LBB84_156
.LBB84_121:                             ;   in Loop: Header=BB84_110 Depth=2
	s_or_b64 exec, exec, s[84:85]
	s_and_saveexec_b64 s[84:85], s[42:43]
	s_cbranch_execnz .LBB84_157
.LBB84_122:                             ;   in Loop: Header=BB84_110 Depth=2
	s_or_b64 exec, exec, s[84:85]
	v_mov_b32_e32 v9, 0
	s_and_saveexec_b64 s[84:85], s[44:45]
	s_cbranch_execnz .LBB84_158
.LBB84_123:                             ;   in Loop: Header=BB84_110 Depth=2
	s_or_b64 exec, exec, s[84:85]
	s_and_saveexec_b64 s[84:85], s[46:47]
	s_cbranch_execnz .LBB84_159
.LBB84_124:                             ;   in Loop: Header=BB84_110 Depth=2
	s_or_b64 exec, exec, s[84:85]
	v_mov_b32_e32 v10, 0
	s_and_saveexec_b64 s[84:85], s[48:49]
	s_cbranch_execnz .LBB84_160
.LBB84_125:                             ;   in Loop: Header=BB84_110 Depth=2
	s_or_b64 exec, exec, s[84:85]
	s_and_saveexec_b64 s[84:85], s[50:51]
	s_cbranch_execz .LBB84_127
.LBB84_126:                             ;   in Loop: Header=BB84_110 Depth=2
	global_load_ushort v0, v[0:1], off offset:1920
	s_waitcnt vmcnt(0)
	v_lshl_or_b32 v10, v0, 16, v10
.LBB84_127:                             ;   in Loop: Header=BB84_110 Depth=2
	s_or_b64 exec, exec, s[84:85]
	scratch_load_dword v0, off, off         ; 4-byte Folded Reload
	s_mov_b32 s95, s99
	s_waitcnt vmcnt(0)
	ds_write_b16 v0, v3
	scratch_load_dword v0, off, off offset:8 ; 4-byte Folded Reload
	v_mov_b32_e32 v3, 0
	s_waitcnt vmcnt(0)
	ds_write_b16 v0, v2 offset:128
	scratch_load_dword v0, off, off offset:12 ; 4-byte Folded Reload
	v_mov_b32_e32 v2, 0
	s_waitcnt vmcnt(0)
	ds_write_b16 v0, v4 offset:256
	scratch_load_dword v0, off, off offset:16 ; 4-byte Folded Reload
	s_waitcnt vmcnt(0)
	ds_write_b16_d16_hi v0, v4 offset:384
	scratch_load_dword v0, off, off offset:20 ; 4-byte Folded Reload
	s_waitcnt vmcnt(0)
	ds_write_b16 v0, v5 offset:512
	scratch_load_dword v0, off, off offset:24 ; 4-byte Folded Reload
	s_waitcnt vmcnt(0)
	ds_write_b16_d16_hi v0, v5 offset:640
	scratch_load_dword v0, off, off offset:28 ; 4-byte Folded Reload
	;; [unrolled: 6-line block ×6, first 2 shown]
	s_waitcnt vmcnt(0)
	ds_write_b16 v0, v10 offset:1792
	scratch_load_dword v0, off, off offset:64 ; 4-byte Folded Reload
	s_waitcnt vmcnt(0)
	ds_write_b16_d16_hi v0, v10 offset:1920
	; wave barrier
	scratch_load_dword v0, off, off offset:4 ; 4-byte Folded Reload
	s_waitcnt vmcnt(0)
	ds_read_b128 v[12:15], v0
	ds_read_b128 v[8:11], v0 offset:16
	v_lshl_add_u64 v[0:1], s[94:95], 1, v[46:47]
	s_and_saveexec_b64 s[84:85], s[18:19]
	s_cbranch_execnz .LBB84_161
; %bb.128:                              ;   in Loop: Header=BB84_110 Depth=2
	s_or_b64 exec, exec, s[84:85]
	s_and_saveexec_b64 s[84:85], s[20:21]
	s_cbranch_execnz .LBB84_162
.LBB84_129:                             ;   in Loop: Header=BB84_110 Depth=2
	s_or_b64 exec, exec, s[84:85]
	v_mov_b32_e32 v4, 0
	s_and_saveexec_b64 s[84:85], s[22:23]
	s_cbranch_execnz .LBB84_163
.LBB84_130:                             ;   in Loop: Header=BB84_110 Depth=2
	s_or_b64 exec, exec, s[84:85]
	s_and_saveexec_b64 s[84:85], s[24:25]
	s_cbranch_execnz .LBB84_164
.LBB84_131:                             ;   in Loop: Header=BB84_110 Depth=2
	s_or_b64 exec, exec, s[84:85]
	v_mov_b32_e32 v5, 0
	s_and_saveexec_b64 s[84:85], s[26:27]
	s_cbranch_execnz .LBB84_165
.LBB84_132:                             ;   in Loop: Header=BB84_110 Depth=2
	s_or_b64 exec, exec, s[84:85]
	s_and_saveexec_b64 s[84:85], s[28:29]
	s_cbranch_execnz .LBB84_166
.LBB84_133:                             ;   in Loop: Header=BB84_110 Depth=2
	s_or_b64 exec, exec, s[84:85]
	v_mov_b32_e32 v6, 0
	s_and_saveexec_b64 s[84:85], s[30:31]
	s_cbranch_execnz .LBB84_167
.LBB84_134:                             ;   in Loop: Header=BB84_110 Depth=2
	s_or_b64 exec, exec, s[84:85]
	s_and_saveexec_b64 s[84:85], s[34:35]
	s_cbranch_execnz .LBB84_168
.LBB84_135:                             ;   in Loop: Header=BB84_110 Depth=2
	s_or_b64 exec, exec, s[84:85]
	v_mov_b32_e32 v7, 0
	s_and_saveexec_b64 s[84:85], s[36:37]
	s_cbranch_execnz .LBB84_169
.LBB84_136:                             ;   in Loop: Header=BB84_110 Depth=2
	s_or_b64 exec, exec, s[84:85]
	s_and_saveexec_b64 s[84:85], s[38:39]
	s_cbranch_execnz .LBB84_170
.LBB84_137:                             ;   in Loop: Header=BB84_110 Depth=2
	s_or_b64 exec, exec, s[84:85]
	v_mov_b32_e32 v16, 0
	s_and_saveexec_b64 s[84:85], s[40:41]
	s_cbranch_execnz .LBB84_171
.LBB84_138:                             ;   in Loop: Header=BB84_110 Depth=2
	s_or_b64 exec, exec, s[84:85]
	s_and_saveexec_b64 s[84:85], s[42:43]
	s_cbranch_execnz .LBB84_172
.LBB84_139:                             ;   in Loop: Header=BB84_110 Depth=2
	s_or_b64 exec, exec, s[84:85]
	v_mov_b32_e32 v26, 0
	s_and_saveexec_b64 s[84:85], s[44:45]
	s_cbranch_execnz .LBB84_173
.LBB84_140:                             ;   in Loop: Header=BB84_110 Depth=2
	s_or_b64 exec, exec, s[84:85]
	s_and_saveexec_b64 s[84:85], s[46:47]
	s_cbranch_execnz .LBB84_174
.LBB84_141:                             ;   in Loop: Header=BB84_110 Depth=2
	s_or_b64 exec, exec, s[84:85]
	v_mov_b32_e32 v48, 0
	s_and_saveexec_b64 s[84:85], s[48:49]
	s_cbranch_execnz .LBB84_175
.LBB84_142:                             ;   in Loop: Header=BB84_110 Depth=2
	s_or_b64 exec, exec, s[84:85]
	s_and_saveexec_b64 s[84:85], s[50:51]
	s_cbranch_execz .LBB84_144
.LBB84_143:                             ;   in Loop: Header=BB84_110 Depth=2
	global_load_ushort v0, v[0:1], off offset:1920
	s_waitcnt vmcnt(0)
	v_lshl_or_b32 v48, v0, 16, v48
.LBB84_144:                             ;   in Loop: Header=BB84_110 Depth=2
	s_or_b64 exec, exec, s[84:85]
	scratch_load_dword v0, off, off         ; 4-byte Folded Reload
	s_andn2_b64 vcc, exec, s[86:87]
	s_waitcnt vmcnt(0)
	ds_write_b16 v0, v3 offset:2112
	scratch_load_dword v0, off, off offset:96 ; 4-byte Folded Reload
	s_waitcnt vmcnt(0)
	ds_write_b16 v0, v2 offset:128
	scratch_load_dword v0, off, off offset:100 ; 4-byte Folded Reload
	;; [unrolled: 3-line block ×3, first 2 shown]
	s_waitcnt vmcnt(0)
	ds_write_b16_d16_hi v0, v4 offset:384
	scratch_load_dword v0, off, off offset:108 ; 4-byte Folded Reload
	s_waitcnt vmcnt(0)
	ds_write_b16 v0, v5 offset:512
	scratch_load_dword v0, off, off offset:112 ; 4-byte Folded Reload
	s_waitcnt vmcnt(0)
	ds_write_b16_d16_hi v0, v5 offset:640
	scratch_load_dword v0, off, off offset:116 ; 4-byte Folded Reload
	s_waitcnt vmcnt(0)
	ds_write_b16 v0, v6 offset:768
	scratch_load_dword v0, off, off offset:120 ; 4-byte Folded Reload
	;; [unrolled: 6-line block ×6, first 2 shown]
	s_waitcnt vmcnt(0)
	ds_write_b16_d16_hi v0, v48 offset:1920
	; wave barrier
	scratch_load_dword v0, off, off offset:4 ; 4-byte Folded Reload
	s_waitcnt vmcnt(0)
	ds_read_b128 v[4:7], v0 offset:2112
	scratch_load_dword v0, off, off offset:156 ; 4-byte Folded Reload
	s_waitcnt vmcnt(0)
	ds_read_b128 v[0:3], v0 offset:16
	s_cbranch_vccnz .LBB84_176
; %bb.145:                              ;   in Loop: Header=BB84_110 Depth=2
	v_mov_b32_e32 v16, s1
	ds_read_b64 v[48:49], v16
	s_cbranch_execz .LBB84_177
	s_branch .LBB84_180
.LBB84_146:                             ;   in Loop: Header=BB84_110 Depth=2
	global_load_ushort v3, v[0:1], off
	s_or_b64 exec, exec, s[84:85]
	s_and_saveexec_b64 s[84:85], s[20:21]
	s_cbranch_execz .LBB84_112
.LBB84_147:                             ;   in Loop: Header=BB84_110 Depth=2
	global_load_ushort v2, v[0:1], off offset:128
	s_or_b64 exec, exec, s[84:85]
	v_mov_b32_e32 v4, 0
	s_and_saveexec_b64 s[84:85], s[22:23]
	s_cbranch_execz .LBB84_113
.LBB84_148:                             ;   in Loop: Header=BB84_110 Depth=2
	global_load_ushort v4, v[0:1], off offset:256
	s_or_b64 exec, exec, s[84:85]
	s_and_saveexec_b64 s[84:85], s[24:25]
	s_cbranch_execz .LBB84_114
.LBB84_149:                             ;   in Loop: Header=BB84_110 Depth=2
	global_load_ushort v5, v[0:1], off offset:384
	s_waitcnt vmcnt(0)
	v_lshl_or_b32 v4, v5, 16, v4
	s_or_b64 exec, exec, s[84:85]
	v_mov_b32_e32 v5, 0
	s_and_saveexec_b64 s[84:85], s[26:27]
	s_cbranch_execz .LBB84_115
.LBB84_150:                             ;   in Loop: Header=BB84_110 Depth=2
	global_load_ushort v5, v[0:1], off offset:512
	s_or_b64 exec, exec, s[84:85]
	s_and_saveexec_b64 s[84:85], s[28:29]
	s_cbranch_execz .LBB84_116
.LBB84_151:                             ;   in Loop: Header=BB84_110 Depth=2
	global_load_ushort v6, v[0:1], off offset:640
	s_waitcnt vmcnt(0)
	v_lshl_or_b32 v5, v6, 16, v5
	s_or_b64 exec, exec, s[84:85]
	v_mov_b32_e32 v6, 0
	s_and_saveexec_b64 s[84:85], s[30:31]
	s_cbranch_execz .LBB84_117
.LBB84_152:                             ;   in Loop: Header=BB84_110 Depth=2
	global_load_ushort v6, v[0:1], off offset:768
	s_or_b64 exec, exec, s[84:85]
	s_and_saveexec_b64 s[84:85], s[34:35]
	s_cbranch_execz .LBB84_118
.LBB84_153:                             ;   in Loop: Header=BB84_110 Depth=2
	global_load_ushort v7, v[0:1], off offset:896
	s_waitcnt vmcnt(0)
	v_lshl_or_b32 v6, v7, 16, v6
	s_or_b64 exec, exec, s[84:85]
	v_mov_b32_e32 v7, 0
	s_and_saveexec_b64 s[84:85], s[36:37]
	s_cbranch_execz .LBB84_119
.LBB84_154:                             ;   in Loop: Header=BB84_110 Depth=2
	global_load_ushort v7, v[0:1], off offset:1024
	s_or_b64 exec, exec, s[84:85]
	s_and_saveexec_b64 s[84:85], s[38:39]
	s_cbranch_execz .LBB84_120
.LBB84_155:                             ;   in Loop: Header=BB84_110 Depth=2
	global_load_ushort v8, v[0:1], off offset:1152
	s_waitcnt vmcnt(0)
	v_lshl_or_b32 v7, v8, 16, v7
	s_or_b64 exec, exec, s[84:85]
	v_mov_b32_e32 v8, 0
	s_and_saveexec_b64 s[84:85], s[40:41]
	s_cbranch_execz .LBB84_121
.LBB84_156:                             ;   in Loop: Header=BB84_110 Depth=2
	global_load_ushort v8, v[0:1], off offset:1280
	s_or_b64 exec, exec, s[84:85]
	s_and_saveexec_b64 s[84:85], s[42:43]
	s_cbranch_execz .LBB84_122
.LBB84_157:                             ;   in Loop: Header=BB84_110 Depth=2
	global_load_ushort v9, v[0:1], off offset:1408
	s_waitcnt vmcnt(0)
	v_lshl_or_b32 v8, v9, 16, v8
	s_or_b64 exec, exec, s[84:85]
	v_mov_b32_e32 v9, 0
	s_and_saveexec_b64 s[84:85], s[44:45]
	s_cbranch_execz .LBB84_123
.LBB84_158:                             ;   in Loop: Header=BB84_110 Depth=2
	global_load_ushort v9, v[0:1], off offset:1536
	s_or_b64 exec, exec, s[84:85]
	s_and_saveexec_b64 s[84:85], s[46:47]
	s_cbranch_execz .LBB84_124
.LBB84_159:                             ;   in Loop: Header=BB84_110 Depth=2
	global_load_ushort v10, v[0:1], off offset:1664
	s_waitcnt vmcnt(0)
	v_lshl_or_b32 v9, v10, 16, v9
	s_or_b64 exec, exec, s[84:85]
	v_mov_b32_e32 v10, 0
	s_and_saveexec_b64 s[84:85], s[48:49]
	s_cbranch_execz .LBB84_125
.LBB84_160:                             ;   in Loop: Header=BB84_110 Depth=2
	global_load_ushort v10, v[0:1], off offset:1792
	s_or_b64 exec, exec, s[84:85]
	s_and_saveexec_b64 s[84:85], s[50:51]
	s_cbranch_execnz .LBB84_126
	s_branch .LBB84_127
.LBB84_161:                             ;   in Loop: Header=BB84_110 Depth=2
	global_load_ushort v3, v[0:1], off
	s_or_b64 exec, exec, s[84:85]
	s_and_saveexec_b64 s[84:85], s[20:21]
	s_cbranch_execz .LBB84_129
.LBB84_162:                             ;   in Loop: Header=BB84_110 Depth=2
	global_load_ushort v2, v[0:1], off offset:128
	s_or_b64 exec, exec, s[84:85]
	v_mov_b32_e32 v4, 0
	s_and_saveexec_b64 s[84:85], s[22:23]
	s_cbranch_execz .LBB84_130
.LBB84_163:                             ;   in Loop: Header=BB84_110 Depth=2
	global_load_ushort v4, v[0:1], off offset:256
	s_or_b64 exec, exec, s[84:85]
	s_and_saveexec_b64 s[84:85], s[24:25]
	s_cbranch_execz .LBB84_131
.LBB84_164:                             ;   in Loop: Header=BB84_110 Depth=2
	global_load_ushort v5, v[0:1], off offset:384
	s_waitcnt vmcnt(0)
	v_lshl_or_b32 v4, v5, 16, v4
	s_or_b64 exec, exec, s[84:85]
	v_mov_b32_e32 v5, 0
	s_and_saveexec_b64 s[84:85], s[26:27]
	s_cbranch_execz .LBB84_132
.LBB84_165:                             ;   in Loop: Header=BB84_110 Depth=2
	global_load_ushort v5, v[0:1], off offset:512
	s_or_b64 exec, exec, s[84:85]
	s_and_saveexec_b64 s[84:85], s[28:29]
	s_cbranch_execz .LBB84_133
.LBB84_166:                             ;   in Loop: Header=BB84_110 Depth=2
	global_load_ushort v6, v[0:1], off offset:640
	s_waitcnt vmcnt(0)
	v_lshl_or_b32 v5, v6, 16, v5
	s_or_b64 exec, exec, s[84:85]
	v_mov_b32_e32 v6, 0
	s_and_saveexec_b64 s[84:85], s[30:31]
	s_cbranch_execz .LBB84_134
.LBB84_167:                             ;   in Loop: Header=BB84_110 Depth=2
	global_load_ushort v6, v[0:1], off offset:768
	s_or_b64 exec, exec, s[84:85]
	s_and_saveexec_b64 s[84:85], s[34:35]
	s_cbranch_execz .LBB84_135
.LBB84_168:                             ;   in Loop: Header=BB84_110 Depth=2
	global_load_ushort v7, v[0:1], off offset:896
	s_waitcnt vmcnt(0)
	v_lshl_or_b32 v6, v7, 16, v6
	s_or_b64 exec, exec, s[84:85]
	v_mov_b32_e32 v7, 0
	s_and_saveexec_b64 s[84:85], s[36:37]
	s_cbranch_execz .LBB84_136
.LBB84_169:                             ;   in Loop: Header=BB84_110 Depth=2
	global_load_ushort v7, v[0:1], off offset:1024
	s_or_b64 exec, exec, s[84:85]
	s_and_saveexec_b64 s[84:85], s[38:39]
	s_cbranch_execz .LBB84_137
.LBB84_170:                             ;   in Loop: Header=BB84_110 Depth=2
	global_load_ushort v16, v[0:1], off offset:1152
	s_waitcnt vmcnt(0)
	v_lshl_or_b32 v7, v16, 16, v7
	s_or_b64 exec, exec, s[84:85]
	v_mov_b32_e32 v16, 0
	s_and_saveexec_b64 s[84:85], s[40:41]
	s_cbranch_execz .LBB84_138
.LBB84_171:                             ;   in Loop: Header=BB84_110 Depth=2
	global_load_ushort v16, v[0:1], off offset:1280
	s_or_b64 exec, exec, s[84:85]
	s_and_saveexec_b64 s[84:85], s[42:43]
	s_cbranch_execz .LBB84_139
.LBB84_172:                             ;   in Loop: Header=BB84_110 Depth=2
	global_load_ushort v26, v[0:1], off offset:1408
	s_waitcnt vmcnt(0)
	v_lshl_or_b32 v16, v26, 16, v16
	s_or_b64 exec, exec, s[84:85]
	v_mov_b32_e32 v26, 0
	s_and_saveexec_b64 s[84:85], s[44:45]
	s_cbranch_execz .LBB84_140
.LBB84_173:                             ;   in Loop: Header=BB84_110 Depth=2
	global_load_ushort v26, v[0:1], off offset:1536
	s_or_b64 exec, exec, s[84:85]
	s_and_saveexec_b64 s[84:85], s[46:47]
	s_cbranch_execz .LBB84_141
.LBB84_174:                             ;   in Loop: Header=BB84_110 Depth=2
	global_load_ushort v48, v[0:1], off offset:1664
	s_waitcnt vmcnt(0)
	v_lshl_or_b32 v26, v48, 16, v26
	s_or_b64 exec, exec, s[84:85]
	v_mov_b32_e32 v48, 0
	s_and_saveexec_b64 s[84:85], s[48:49]
	s_cbranch_execz .LBB84_142
.LBB84_175:                             ;   in Loop: Header=BB84_110 Depth=2
	global_load_ushort v48, v[0:1], off offset:1792
	s_or_b64 exec, exec, s[84:85]
	s_and_saveexec_b64 s[84:85], s[50:51]
	s_cbranch_execnz .LBB84_143
	s_branch .LBB84_144
.LBB84_176:                             ;   in Loop: Header=BB84_110 Depth=2
                                        ; implicit-def: $vgpr49
.LBB84_177:                             ;   in Loop: Header=BB84_110 Depth=2
	v_readlane_b32 s84, v95, 0
	v_readlane_b32 s85, v95, 1
	s_andn2_b64 vcc, exec, s[84:85]
	s_waitcnt lgkmcnt(0)
	v_mov_b32_e32 v49, 0
	s_cbranch_vccnz .LBB84_179
; %bb.178:                              ;   in Loop: Header=BB84_110 Depth=2
	s_mov_b32 s97, s99
	s_lshl_b64 s[84:85], s[96:97], 1
	v_readlane_b32 s4, v95, 20
	s_add_u32 s84, s4, s84
	v_readlane_b32 s4, v95, 21
	s_addc_u32 s85, s4, s85
	global_load_ushort v16, v17, s[84:85]
	v_readlane_b32 s97, v95, 49
	s_waitcnt vmcnt(0)
	v_cvt_f32_f16_e32 v49, v16
.LBB84_179:                             ;   in Loop: Header=BB84_110 Depth=2
	v_mov_b32_e32 v48, 1.0
.LBB84_180:                             ;   in Loop: Header=BB84_110 Depth=2
	v_mul_f32_e32 v56, 0x3fb8aa3b, v50
	s_waitcnt lgkmcnt(14)
	v_cvt_f32_f16_e32 v53, v8
	v_cvt_f32_f16_sdwa v54, v8 dst_sel:DWORD dst_unused:UNUSED_PAD src0_sel:WORD_1
	v_mul_f32_e32 v8, v56, v22
	v_cmp_gt_f32_e32 vcc, s33, v8
	v_cvt_f32_f16_e32 v59, v10
	v_cvt_f32_f16_sdwa v67, v10 dst_sel:DWORD dst_unused:UNUSED_PAD src0_sel:WORD_1
	v_cndmask_b32_e32 v8, 0, v20, vcc
	v_mul_f32_e32 v10, v56, v23
	v_cvt_f32_f16_e32 v55, v9
	v_cvt_f32_f16_sdwa v58, v9 dst_sel:DWORD dst_unused:UNUSED_PAD src0_sel:WORD_1
	v_fmac_f32_e32 v8, v56, v22
	v_cndmask_b32_e32 v9, 1.0, v21, vcc
	v_cmp_gt_f32_e32 vcc, s33, v10
	v_exp_f32_e32 v8, v8
	v_cvt_f32_f16_e32 v16, v12
	v_cndmask_b32_e32 v10, 0, v20, vcc
	v_fmac_f32_e32 v10, v56, v23
	v_cvt_f32_f16_sdwa v12, v12 dst_sel:DWORD dst_unused:UNUSED_PAD src0_sel:WORD_1
	v_exp_f32_e32 v10, v10
	v_cvt_f32_f16_e32 v68, v11
	v_cvt_f32_f16_sdwa v57, v11 dst_sel:DWORD dst_unused:UNUSED_PAD src0_sel:WORD_1
	v_mul_f32_e32 v9, v8, v9
	v_mul_f32_e32 v11, v56, v24
	v_cndmask_b32_e64 v83, 1.0, v9, s[52:53]
	v_cndmask_b32_e32 v9, 1.0, v21, vcc
	v_cmp_gt_f32_e32 vcc, s33, v11
	v_mul_f32_e32 v10, v10, v9
	v_mul_f32_e32 v9, v81, v12
	v_cndmask_b32_e32 v11, 0, v20, vcc
	v_mul_f32_e32 v12, v56, v25
	v_fmac_f32_e32 v11, v56, v24
	v_cndmask_b32_e64 v84, 1.0, v10, s[54:55]
	v_cndmask_b32_e32 v10, 1.0, v21, vcc
	v_cmp_gt_f32_e32 vcc, s33, v12
	v_exp_f32_e32 v11, v11
	v_cvt_f32_f16_e32 v26, v13
	v_cndmask_b32_e32 v12, 0, v20, vcc
	v_fmac_f32_e32 v12, v56, v25
	v_cvt_f32_f16_sdwa v13, v13 dst_sel:DWORD dst_unused:UNUSED_PAD src0_sel:WORD_1
	v_exp_f32_e32 v12, v12
	v_mul_f32_e32 v11, v11, v10
	v_cndmask_b32_e64 v85, 1.0, v11, s[56:57]
	v_cndmask_b32_e32 v11, 1.0, v21, vcc
	v_mul_f32_e32 v12, v12, v11
	v_mul_f32_e32 v11, v79, v13
	;; [unrolled: 1-line block ×3, first 2 shown]
	v_cmp_gt_f32_e32 vcc, s33, v13
	v_mul_f32_e32 v8, v82, v16
	v_mul_f32_e32 v16, v56, v74
	v_cndmask_b32_e32 v13, 0, v20, vcc
	v_fmac_f32_e32 v13, v56, v18
	v_cndmask_b32_e64 v86, 1.0, v12, s[58:59]
	v_cndmask_b32_e32 v12, 1.0, v21, vcc
	v_cmp_gt_f32_e32 vcc, s33, v16
	v_exp_f32_e32 v13, v13
	v_cvt_f32_f16_e32 v51, v14
	v_cndmask_b32_e32 v16, 0, v20, vcc
	v_fmac_f32_e32 v16, v56, v74
	v_cvt_f32_f16_sdwa v14, v14 dst_sel:DWORD dst_unused:UNUSED_PAD src0_sel:WORD_1
	v_exp_f32_e32 v16, v16
	v_mul_f32_e32 v13, v13, v12
	v_cndmask_b32_e64 v87, 1.0, v13, s[60:61]
	v_cndmask_b32_e32 v13, 1.0, v21, vcc
	v_mul_f32_e32 v16, v16, v13
	v_mul_f32_e32 v13, v77, v14
	;; [unrolled: 1-line block ×3, first 2 shown]
	v_cmp_gt_f32_e32 vcc, s33, v14
	v_mul_f32_e32 v10, v80, v26
	v_mul_f32_e32 v26, v56, v93
	v_cndmask_b32_e32 v14, 0, v20, vcc
	v_fmac_f32_e32 v14, v56, v92
	v_cndmask_b32_e64 v88, 1.0, v16, s[62:63]
	v_cndmask_b32_e32 v16, 1.0, v21, vcc
	v_cmp_gt_f32_e32 vcc, s33, v26
	v_exp_f32_e32 v14, v14
	v_cvt_f32_f16_e32 v52, v15
	v_cndmask_b32_e32 v26, 0, v20, vcc
	v_fmac_f32_e32 v26, v56, v93
	v_exp_f32_e32 v26, v26
	v_mul_f32_e32 v16, v14, v16
	v_cndmask_b32_e64 v89, 1.0, v16, s[64:65]
	v_cndmask_b32_e32 v16, 1.0, v21, vcc
	v_mul_f32_e32 v16, v26, v16
	v_mul_f32_e32 v26, v56, v94
	v_cmp_gt_f32_e32 vcc, s33, v26
	v_cndmask_b32_e64 v90, 1.0, v16, s[66:67]
	v_mul_f32_e32 v14, v76, v52
	v_cndmask_b32_e32 v26, 0, v20, vcc
	v_fmac_f32_e32 v26, v56, v94
	v_exp_f32_e32 v26, v26
	v_cndmask_b32_e32 v16, 1.0, v21, vcc
	v_mul_f32_e32 v50, v56, v60
	v_cmp_gt_f32_e32 vcc, s33, v50
	v_mul_f32_e32 v16, v26, v16
	v_mul_f32_e32 v26, v72, v53
	v_cndmask_b32_e64 v52, 0, v26, s[68:69]
	scratch_load_dword v26, off, off offset:92 ; 4-byte Folded Reload
	v_cndmask_b32_e32 v50, 0, v20, vcc
	v_fmac_f32_e32 v50, v56, v60
	v_exp_f32_e32 v50, v50
	v_cndmask_b32_e64 v73, 1.0, v16, s[68:69]
	v_cndmask_b32_e32 v16, 1.0, v21, vcc
	v_mul_f32_e32 v12, v78, v51
	v_mul_f32_e32 v16, v50, v16
	;; [unrolled: 1-line block ×3, first 2 shown]
	v_cmp_gt_f32_e32 vcc, s33, v50
	v_cndmask_b32_e64 v75, 1.0, v16, s[70:71]
	v_mul_f32_e32 v51, v56, v63
	v_cndmask_b32_e32 v50, 0, v20, vcc
	v_fmac_f32_e32 v50, v56, v61
	v_exp_f32_e32 v50, v50
	v_cndmask_b32_e32 v16, 1.0, v21, vcc
	v_cndmask_b32_e64 v8, 0, v8, s[52:53]
	v_cndmask_b32_e64 v9, 0, v9, s[54:55]
	v_mul_f32_e32 v16, v50, v16
	v_mul_f32_e32 v50, v56, v62
	v_cmp_gt_f32_e32 vcc, s33, v50
	v_cvt_f32_f16_sdwa v15, v15 dst_sel:DWORD dst_unused:UNUSED_PAD src0_sel:WORD_1
	v_cndmask_b32_e64 v10, 0, v10, s[56:57]
	v_cndmask_b32_e32 v50, 0, v20, vcc
	v_fmac_f32_e32 v50, v56, v62
	v_exp_f32_e32 v50, v50
	v_cndmask_b32_e64 v11, 0, v11, s[58:59]
	v_cndmask_b32_e64 v12, 0, v12, s[60:61]
	;; [unrolled: 1-line block ×4, first 2 shown]
	v_mul_f32_e32 v15, v19, v15
	v_cndmask_b32_e64 v15, 0, v15, s[66:67]
	v_readlane_b32 s4, v95, 30
	v_readlane_b32 s5, v95, 31
	s_waitcnt vmcnt(0)
	v_mul_f32_e32 v26, v26, v54
	v_cndmask_b32_e64 v53, 0, v26, s[70:71]
	scratch_load_dword v26, off, off offset:88 ; 4-byte Folded Reload
	s_waitcnt vmcnt(0)
	v_mul_f32_e32 v26, v26, v55
	v_cndmask_b32_e64 v54, 0, v26, s[72:73]
	v_cndmask_b32_e64 v26, 1.0, v16, s[72:73]
	v_cndmask_b32_e32 v16, 1.0, v21, vcc
	v_mul_f32_e32 v16, v50, v16
	scratch_load_dword v50, off, off offset:84 ; 4-byte Folded Reload
	v_cmp_gt_f32_e32 vcc, s33, v51
	v_cndmask_b32_e64 v91, 1.0, v16, s[74:75]
	s_waitcnt vmcnt(0)
	v_mul_f32_e32 v50, v50, v58
	v_cndmask_b32_e64 v55, 0, v50, s[74:75]
	scratch_load_dword v50, off, off offset:80 ; 4-byte Folded Reload
	v_cndmask_b32_e32 v51, 0, v20, vcc
	v_fmac_f32_e32 v51, v56, v63
	v_exp_f32_e32 v51, v51
	v_cndmask_b32_e32 v16, 1.0, v21, vcc
	v_mul_f32_e32 v58, v56, v65
	v_mul_f32_e32 v16, v51, v16
	;; [unrolled: 1-line block ×3, first 2 shown]
	v_cmp_gt_f32_e32 vcc, s33, v51
	v_cndmask_b32_e64 v66, 1.0, v16, s[76:77]
	s_nop 0
	v_cndmask_b32_e32 v51, 0, v20, vcc
	v_fmac_f32_e32 v51, v56, v64
	v_cndmask_b32_e32 v16, 1.0, v21, vcc
	v_cmp_gt_f32_e32 vcc, s33, v58
	v_exp_f32_e32 v51, v51
	s_nop 0
	v_cndmask_b32_e32 v58, 0, v20, vcc
	v_fmac_f32_e32 v58, v56, v65
	v_exp_f32_e32 v58, v58
	v_mul_f32_e32 v16, v51, v16
	scratch_load_dword v51, off, off offset:76 ; 4-byte Folded Reload
	v_cndmask_b32_e64 v16, 1.0, v16, s[78:79]
	s_waitcnt vmcnt(1)
	v_mul_f32_e32 v50, v50, v59
	v_cndmask_b32_e32 v59, 1.0, v21, vcc
	v_mul_f32_e32 v58, v58, v59
	scratch_load_dword v59, off, off offset:72 ; 4-byte Folded Reload
	v_cndmask_b32_e64 v50, 0, v50, s[76:77]
	s_waitcnt vmcnt(1)
	v_mul_f32_e32 v51, v51, v67
	v_mul_f32_e32 v67, v56, v27
	v_cmp_gt_f32_e32 vcc, s33, v67
	v_cndmask_b32_e64 v51, 0, v51, s[78:79]
	s_waitcnt vmcnt(0)
	v_mul_f32_e32 v59, v59, v68
	v_cndmask_b32_e32 v67, 0, v20, vcc
	v_fmac_f32_e32 v67, v56, v27
	v_cndmask_b32_e64 v56, 0, v59, s[80:81]
	scratch_load_dword v59, off, off offset:68 ; 4-byte Folded Reload
	v_exp_f32_e32 v68, v67
	v_cndmask_b32_e64 v67, 1.0, v58, s[80:81]
	v_cndmask_b32_e32 v58, 1.0, v21, vcc
	v_mul_f32_e32 v58, v68, v58
	v_cndmask_b32_e64 v68, 1.0, v58, s[82:83]
	v_mul_f32_e32 v58, v84, v83
	v_mul_f32_e32 v58, v58, v85
	;; [unrolled: 1-line block ×15, first 2 shown]
	s_waitcnt vmcnt(0)
	v_mul_f32_e32 v57, v59, v57
	v_fma_f32 v59, v84, v8, v9
	v_fma_f32 v59, v59, v85, v10
	;; [unrolled: 1-line block ×13, first 2 shown]
	v_cndmask_b32_e64 v57, 0, v57, s[82:83]
	v_fma_f32 v59, v59, v67, v56
	v_fma_f32 v71, v59, v68, v57
	v_mov_b32_dpp v70, v58 row_shr:1 row_mask:0xf bank_mask:0xf
	s_nop 0
	v_mov_b32_dpp v69, v71 row_shr:1 row_mask:0xf bank_mask:0xf
	s_and_saveexec_b64 s[84:85], s[4:5]
; %bb.181:                              ;   in Loop: Header=BB84_110 Depth=2
	v_mul_f32_e32 v70, v58, v70
	v_fmac_f32_e32 v71, v58, v69
	v_mov_b32_e32 v58, v70
; %bb.182:                              ;   in Loop: Header=BB84_110 Depth=2
	s_or_b64 exec, exec, s[84:85]
	v_readlane_b32 s4, v95, 32
	v_mov_b32_dpp v69, v58 row_shr:2 row_mask:0xf bank_mask:0xf
	v_mov_b32_dpp v70, v71 row_shr:2 row_mask:0xf bank_mask:0xf
	v_readlane_b32 s5, v95, 33
	s_and_saveexec_b64 s[84:85], s[4:5]
; %bb.183:                              ;   in Loop: Header=BB84_110 Depth=2
	v_fmac_f32_e32 v71, v58, v70
	v_mul_f32_e32 v58, v58, v69
; %bb.184:                              ;   in Loop: Header=BB84_110 Depth=2
	s_or_b64 exec, exec, s[84:85]
	s_nop 0
	v_mov_b32_dpp v69, v58 row_shr:4 row_mask:0xf bank_mask:0xf
	v_mov_b32_dpp v70, v71 row_shr:4 row_mask:0xf bank_mask:0xf
	s_and_saveexec_b64 s[84:85], s[2:3]
; %bb.185:                              ;   in Loop: Header=BB84_110 Depth=2
	v_fmac_f32_e32 v71, v58, v70
	v_mul_f32_e32 v58, v58, v69
; %bb.186:                              ;   in Loop: Header=BB84_110 Depth=2
	s_or_b64 exec, exec, s[84:85]
	v_readlane_b32 s4, v95, 34
	v_mov_b32_dpp v69, v58 row_shr:8 row_mask:0xf bank_mask:0xf
	v_mov_b32_dpp v70, v71 row_shr:8 row_mask:0xf bank_mask:0xf
	v_readlane_b32 s5, v95, 35
	s_and_saveexec_b64 s[84:85], s[4:5]
; %bb.187:                              ;   in Loop: Header=BB84_110 Depth=2
	v_fmac_f32_e32 v71, v58, v70
	v_mul_f32_e32 v58, v58, v69
; %bb.188:                              ;   in Loop: Header=BB84_110 Depth=2
	s_or_b64 exec, exec, s[84:85]
	v_readlane_b32 s4, v95, 36
	v_mov_b32_dpp v69, v58 row_bcast:15 row_mask:0xf bank_mask:0xf
	v_mov_b32_dpp v70, v71 row_bcast:15 row_mask:0xf bank_mask:0xf
	v_readlane_b32 s5, v95, 37
	s_and_saveexec_b64 s[84:85], s[4:5]
; %bb.189:                              ;   in Loop: Header=BB84_110 Depth=2
	v_fmac_f32_e32 v71, v58, v70
	v_mul_f32_e32 v58, v58, v69
; %bb.190:                              ;   in Loop: Header=BB84_110 Depth=2
	s_or_b64 exec, exec, s[84:85]
	s_nop 0
	v_mov_b32_dpp v69, v58 row_bcast:31 row_mask:0xf bank_mask:0xf
	v_mov_b32_dpp v70, v71 row_bcast:31 row_mask:0xf bank_mask:0xf
	v_mov_b32_e32 v59, v71
	v_mul_f32_e32 v69, v58, v69
	v_fmac_f32_e32 v59, v58, v70
	v_readlane_b32 s4, v95, 46
	v_cndmask_b32_e64 v58, v58, v69, s[12:13]
	v_cndmask_b32_e64 v59, v71, v59, s[12:13]
	v_readlane_b32 s5, v95, 47
	s_and_saveexec_b64 s[84:85], s[4:5]
	s_cbranch_execz .LBB84_192
; %bb.191:                              ;   in Loop: Header=BB84_110 Depth=2
	ds_write_b64 v17, v[58:59] offset:4224
.LBB84_192:                             ;   in Loop: Header=BB84_110 Depth=2
	s_or_b64 exec, exec, s[84:85]
	scratch_load_dword v70, off, off offset:160 ; 4-byte Folded Reload
	s_waitcnt lgkmcnt(0)
	; wave barrier
	s_waitcnt vmcnt(0) lgkmcnt(0)
	ds_bpermute_b32 v69, v70, v58
	ds_bpermute_b32 v70, v70, v59
	v_mov_b32_e32 v59, v49
	s_and_saveexec_b64 s[84:85], s[14:15]
	s_cbranch_execz .LBB84_196
; %bb.193:                              ;   in Loop: Header=BB84_110 Depth=2
	ds_read_b64 v[58:59], v17 offset:4224
	s_and_saveexec_b64 s[88:89], s[16:17]
	s_cbranch_execz .LBB84_195
; %bb.194:                              ;   in Loop: Header=BB84_110 Depth=2
	ds_write_b64 v17, v[48:49] offset:4224
.LBB84_195:                             ;   in Loop: Header=BB84_110 Depth=2
	s_or_b64 exec, exec, s[88:89]
	s_waitcnt lgkmcnt(0)
	v_fmac_f32_e32 v59, v49, v58
	v_mul_f32_e32 v48, v48, v58
	v_mov_b32_e32 v49, v59
.LBB84_196:                             ;   in Loop: Header=BB84_110 Depth=2
	s_or_b64 exec, exec, s[84:85]
	s_waitcnt lgkmcnt(0)
	; wave barrier
	s_waitcnt lgkmcnt(0)
	ds_read_b32 v58, v17 offset:4228
	s_and_saveexec_b64 s[84:85], s[16:17]
	s_cbranch_execz .LBB84_109
; %bb.197:                              ;   in Loop: Header=BB84_110 Depth=2
	v_mov_b32_e32 v71, s1
	s_andn2_b64 vcc, exec, s[90:91]
	ds_write_b64 v71, v[48:49]
	s_cbranch_vccnz .LBB84_109
; %bb.198:                              ;   in Loop: Header=BB84_110 Depth=2
	s_mov_b32 s97, s99
	v_cvt_f16_f32_e32 v48, v59
	s_lshl_b64 s[88:89], s[96:97], 1
	v_readlane_b32 s4, v95, 20
	s_add_u32 s88, s4, s88
	v_readlane_b32 s4, v95, 21
	v_readlane_b32 s97, v95, 49
	s_addc_u32 s89, s4, s89
	global_store_short v17, v48, s[88:89]
	s_branch .LBB84_109
.LBB84_199:                             ;   in Loop: Header=BB84_13 Depth=1
	v_readlane_b32 s6, v95, 50
	v_readlane_b32 s7, v95, 51
	s_mov_b32 s4, 0x41a00000
	s_mov_b32 s5, 0x3fb8aa3b
	;; [unrolled: 1-line block ×8, first 2 shown]
.LBB84_200:                             ;   in Loop: Header=BB84_13 Depth=1
	v_cvt_f16_f32_e32 v0, v40
	v_cvt_f16_f32_e32 v4, v41
	s_waitcnt lgkmcnt(0)
	; wave barrier
	v_cvt_f16_f32_e32 v1, v42
	v_pack_b32_f16 v0, v0, v4
	scratch_load_dword v4, off, off offset:4 ; 4-byte Folded Reload
	v_cvt_f16_f32_e32 v5, v43
	v_cvt_f16_f32_e32 v2, v36
	;; [unrolled: 1-line block ×13, first 2 shown]
	v_pack_b32_f16 v3, v3, v7
	v_pack_b32_f16 v2, v2, v6
	;; [unrolled: 1-line block ×3, first 2 shown]
	v_readlane_b32 s0, v95, 53
	v_readlane_b32 s1, v95, 54
	s_mov_b32 s1, s99
	s_mov_b64 s[58:59], s[0:1]
	s_waitcnt vmcnt(0)
	ds_write_b128 v4, v[0:3]
	v_pack_b32_f16 v3, v14, v15
	v_pack_b32_f16 v2, v12, v13
	;; [unrolled: 1-line block ×4, first 2 shown]
	ds_write_b128 v4, v[0:3] offset:16
	; wave barrier
	scratch_load_dword v0, off, off offset:8 ; 4-byte Folded Reload
	s_waitcnt vmcnt(0)
	ds_read_u16 v16, v0 offset:128
	scratch_load_dword v0, off, off offset:12 ; 4-byte Folded Reload
	s_waitcnt vmcnt(0)
	ds_read_u16 v15, v0 offset:256
	;; [unrolled: 3-line block ×15, first 2 shown]
	scratch_load_dwordx2 v[0:1], off, off offset:240 ; 8-byte Folded Reload
	s_waitcnt vmcnt(0)
	v_lshl_add_u64 v[0:1], s[0:1], 1, v[0:1]
	s_and_saveexec_b64 s[52:53], s[18:19]
	s_cbranch_execnz .LBB84_269
; %bb.201:                              ;   in Loop: Header=BB84_13 Depth=1
	s_or_b64 exec, exec, s[52:53]
	s_and_saveexec_b64 s[52:53], s[20:21]
	s_cbranch_execnz .LBB84_270
.LBB84_202:                             ;   in Loop: Header=BB84_13 Depth=1
	s_or_b64 exec, exec, s[52:53]
	s_and_saveexec_b64 s[52:53], s[22:23]
	s_cbranch_execnz .LBB84_271
.LBB84_203:                             ;   in Loop: Header=BB84_13 Depth=1
	s_or_b64 exec, exec, s[52:53]
	s_and_saveexec_b64 s[52:53], s[24:25]
	s_cbranch_execnz .LBB84_272
.LBB84_204:                             ;   in Loop: Header=BB84_13 Depth=1
	s_or_b64 exec, exec, s[52:53]
	s_and_saveexec_b64 s[52:53], s[26:27]
	s_cbranch_execnz .LBB84_273
.LBB84_205:                             ;   in Loop: Header=BB84_13 Depth=1
	s_or_b64 exec, exec, s[52:53]
	s_and_saveexec_b64 s[52:53], s[28:29]
	s_cbranch_execnz .LBB84_274
.LBB84_206:                             ;   in Loop: Header=BB84_13 Depth=1
	s_or_b64 exec, exec, s[52:53]
	s_and_saveexec_b64 s[52:53], s[30:31]
	s_cbranch_execnz .LBB84_275
.LBB84_207:                             ;   in Loop: Header=BB84_13 Depth=1
	s_or_b64 exec, exec, s[52:53]
	s_and_saveexec_b64 s[52:53], s[34:35]
	s_cbranch_execnz .LBB84_276
.LBB84_208:                             ;   in Loop: Header=BB84_13 Depth=1
	s_or_b64 exec, exec, s[52:53]
	s_and_saveexec_b64 s[52:53], s[36:37]
	s_cbranch_execnz .LBB84_277
.LBB84_209:                             ;   in Loop: Header=BB84_13 Depth=1
	s_or_b64 exec, exec, s[52:53]
	s_and_saveexec_b64 s[52:53], s[38:39]
	s_cbranch_execnz .LBB84_278
.LBB84_210:                             ;   in Loop: Header=BB84_13 Depth=1
	s_or_b64 exec, exec, s[52:53]
	s_and_saveexec_b64 s[52:53], s[40:41]
	s_cbranch_execnz .LBB84_279
.LBB84_211:                             ;   in Loop: Header=BB84_13 Depth=1
	s_or_b64 exec, exec, s[52:53]
	s_and_saveexec_b64 s[52:53], s[42:43]
	s_cbranch_execnz .LBB84_280
.LBB84_212:                             ;   in Loop: Header=BB84_13 Depth=1
	s_or_b64 exec, exec, s[52:53]
	s_and_saveexec_b64 s[52:53], s[44:45]
	s_cbranch_execnz .LBB84_281
.LBB84_213:                             ;   in Loop: Header=BB84_13 Depth=1
	s_or_b64 exec, exec, s[52:53]
	s_and_saveexec_b64 s[52:53], s[46:47]
	s_cbranch_execnz .LBB84_282
.LBB84_214:                             ;   in Loop: Header=BB84_13 Depth=1
	s_or_b64 exec, exec, s[52:53]
	s_and_saveexec_b64 s[52:53], s[48:49]
	s_cbranch_execnz .LBB84_283
.LBB84_215:                             ;   in Loop: Header=BB84_13 Depth=1
	s_or_b64 exec, exec, s[52:53]
	s_and_saveexec_b64 s[52:53], s[50:51]
	s_cbranch_execz .LBB84_217
.LBB84_216:                             ;   in Loop: Header=BB84_13 Depth=1
	s_waitcnt lgkmcnt(0)
	global_store_short v[0:1], v2, off offset:1920
.LBB84_217:                             ;   in Loop: Header=BB84_13 Depth=1
	s_or_b64 exec, exec, s[52:53]
	s_waitcnt lgkmcnt(0)
	; wave barrier
	s_waitcnt lgkmcnt(0)
	scratch_load_dwordx2 v[0:1], off, off offset:248 ; 8-byte Folded Reload
	v_mov_b32_e32 v2, 0
	v_mov_b32_e32 v3, 0
	s_waitcnt vmcnt(0)
	v_lshl_add_u64 v[0:1], s[58:59], 1, v[0:1]
	s_and_saveexec_b64 s[52:53], s[18:19]
	s_cbranch_execz .LBB84_219
; %bb.218:                              ;   in Loop: Header=BB84_13 Depth=1
	global_load_ushort v3, v[0:1], off
.LBB84_219:                             ;   in Loop: Header=BB84_13 Depth=1
	s_or_b64 exec, exec, s[52:53]
	s_and_saveexec_b64 s[52:53], s[20:21]
	s_cbranch_execz .LBB84_221
; %bb.220:                              ;   in Loop: Header=BB84_13 Depth=1
	global_load_ushort v2, v[0:1], off offset:128
.LBB84_221:                             ;   in Loop: Header=BB84_13 Depth=1
	s_or_b64 exec, exec, s[52:53]
	v_mov_b32_e32 v4, 0
	v_mov_b32_e32 v5, 0
	s_and_saveexec_b64 s[52:53], s[22:23]
	s_cbranch_execz .LBB84_223
; %bb.222:                              ;   in Loop: Header=BB84_13 Depth=1
	global_load_ushort v5, v[0:1], off offset:256
.LBB84_223:                             ;   in Loop: Header=BB84_13 Depth=1
	s_or_b64 exec, exec, s[52:53]
	s_and_saveexec_b64 s[52:53], s[24:25]
	s_cbranch_execz .LBB84_225
; %bb.224:                              ;   in Loop: Header=BB84_13 Depth=1
	global_load_ushort v4, v[0:1], off offset:384
.LBB84_225:                             ;   in Loop: Header=BB84_13 Depth=1
	s_or_b64 exec, exec, s[52:53]
	v_mov_b32_e32 v6, 0
	v_mov_b32_e32 v7, 0
	s_and_saveexec_b64 s[52:53], s[26:27]
	s_cbranch_execz .LBB84_227
; %bb.226:                              ;   in Loop: Header=BB84_13 Depth=1
	global_load_ushort v7, v[0:1], off offset:512
.LBB84_227:                             ;   in Loop: Header=BB84_13 Depth=1
	;; [unrolled: 14-line block ×7, first 2 shown]
	s_or_b64 exec, exec, s[52:53]
	s_and_saveexec_b64 s[52:53], s[50:51]
	s_cbranch_execz .LBB84_249
; %bb.248:                              ;   in Loop: Header=BB84_13 Depth=1
	global_load_ushort v16, v[0:1], off offset:1920
.LBB84_249:                             ;   in Loop: Header=BB84_13 Depth=1
	s_or_b64 exec, exec, s[52:53]
	scratch_load_dword v0, off, off         ; 4-byte Folded Reload
	scratch_load_dword v44, off, off offset:8 ; 4-byte Folded Reload
	scratch_load_dword v45, off, off offset:12 ; 4-byte Folded Reload
	;; [unrolled: 1-line block ×15, first 2 shown]
	s_mov_b32 s52, 0xbfb8aa3b
	s_mov_b32 s53, 0xb2a5705f
	;; [unrolled: 1-line block ×4, first 2 shown]
	v_mov_b32_e32 v26, 0x7f800000
	s_waitcnt vmcnt(15)
	ds_write_b16 v0, v3
	s_waitcnt vmcnt(14)
	ds_write_b16 v44, v2 offset:128
	s_waitcnt vmcnt(13)
	ds_write_b16 v45, v5 offset:256
	;; [unrolled: 2-line block ×15, first 2 shown]
	; wave barrier
	scratch_load_dword v59, off, off offset:4 ; 4-byte Folded Reload
	s_waitcnt vmcnt(0)
	ds_read_b128 v[4:7], v59
	ds_read_b128 v[0:3], v59 offset:16
	s_waitcnt lgkmcnt(0)
	; wave barrier
	s_waitcnt lgkmcnt(0)
	v_cvt_f32_f16_e32 v12, v4
	v_cvt_f32_f16_sdwa v13, v4 dst_sel:DWORD dst_unused:UNUSED_PAD src0_sel:WORD_1
	v_cvt_f32_f16_e32 v10, v5
	v_cvt_f32_f16_sdwa v11, v5 dst_sel:DWORD dst_unused:UNUSED_PAD src0_sel:WORD_1
	v_mul_f32_e32 v8, 0xbfb8aa3b, v12
	v_rndne_f32_e32 v9, v8
	v_sub_f32_e32 v14, v8, v9
	v_fma_mix_f32 v8, v4, s52, -v8 op_sel_hi:[1,0,0]
	v_cvt_i32_f32_e32 v9, v9
	v_fma_mix_f32 v8, v4, s53, v8 op_sel_hi:[1,0,0]
	v_cmp_nlt_f32_e32 vcc, s54, v12
	v_add_f32_e32 v8, v14, v8
	v_exp_f32_e32 v8, v8
	s_nop 0
	v_ldexp_f32 v8, v8, v9
	v_mul_f32_e32 v9, 0xbfb8aa3b, v13
	v_rndne_f32_e32 v14, v9
	v_sub_f32_e32 v15, v9, v14
	v_fma_mix_f32 v9, v4, s52, -v9 op_sel:[1,0,0] op_sel_hi:[1,0,0]
	v_cndmask_b32_e32 v8, 0, v8, vcc
	v_fma_mix_f32 v4, v4, s53, v9 op_sel:[1,0,0] op_sel_hi:[1,0,0]
	v_cvt_i32_f32_e32 v9, v14
	v_add_f32_e32 v4, v15, v4
	v_exp_f32_e32 v4, v4
	v_cmp_ngt_f32_e32 vcc, s55, v12
	v_ldexp_f32 v4, v4, v9
	s_nop 0
	v_cndmask_b32_e32 v8, v26, v8, vcc
	v_cmp_nlt_f32_e32 vcc, s54, v13
	s_nop 1
	v_cndmask_b32_e32 v4, 0, v4, vcc
	v_cmp_ngt_f32_e32 vcc, s55, v13
	s_nop 1
	v_cndmask_b32_e32 v9, v26, v4, vcc
	v_mul_f32_e32 v4, 0xbfb8aa3b, v10
	v_rndne_f32_e32 v14, v4
	v_sub_f32_e32 v15, v4, v14
	v_fma_mix_f32 v4, v5, s52, -v4 op_sel_hi:[1,0,0]
	v_cvt_i32_f32_e32 v14, v14
	v_fma_mix_f32 v4, v5, s53, v4 op_sel_hi:[1,0,0]
	v_pk_add_f32 v[8:9], v[8:9], 1.0 op_sel_hi:[1,0]
	v_add_f32_e32 v4, v15, v4
	v_exp_f32_e32 v4, v4
	v_cmp_nlt_f32_e32 vcc, s54, v10
	v_ldexp_f32 v4, v4, v14
	v_mul_f32_e32 v14, 0xbfb8aa3b, v11
	v_rndne_f32_e32 v15, v14
	v_sub_f32_e32 v16, v14, v15
	v_fma_mix_f32 v14, v5, s52, -v14 op_sel:[1,0,0] op_sel_hi:[1,0,0]
	v_cndmask_b32_e32 v4, 0, v4, vcc
	v_fma_mix_f32 v5, v5, s53, v14 op_sel:[1,0,0] op_sel_hi:[1,0,0]
	v_cvt_i32_f32_e32 v14, v15
	v_add_f32_e32 v5, v16, v5
	v_exp_f32_e32 v5, v5
	v_cmp_ngt_f32_e32 vcc, s55, v10
	v_ldexp_f32 v5, v5, v14
	v_div_scale_f32 v14, s[0:1], v9, v9, v13
	v_rcp_f32_e32 v15, v14
	v_cndmask_b32_e32 v4, v26, v4, vcc
	v_cmp_nlt_f32_e32 vcc, s54, v11
	v_fma_f32 v16, -v14, v15, 1.0
	s_nop 0
	v_cndmask_b32_e32 v5, 0, v5, vcc
	v_cmp_ngt_f32_e32 vcc, s55, v11
	v_fmac_f32_e32 v15, v16, v15
	s_nop 0
	v_cndmask_b32_e32 v5, v26, v5, vcc
	v_div_scale_f32 v16, vcc, v13, v9, v13
	v_mul_f32_e32 v18, v16, v15
	v_fma_f32 v19, -v14, v18, v16
	v_fmac_f32_e32 v18, v19, v15
	v_fma_f32 v14, -v14, v18, v16
	v_div_fmas_f32 v14, v14, v15, v18
	v_div_fixup_f32 v9, v14, v9, v13
	v_div_scale_f32 v13, s[0:1], v8, v8, v12
	v_rcp_f32_e32 v14, v13
	v_pk_add_f32 v[4:5], v[4:5], 1.0 op_sel_hi:[1,0]
	v_fma_f32 v15, -v13, v14, 1.0
	v_fmac_f32_e32 v14, v15, v14
	v_div_scale_f32 v15, vcc, v12, v8, v12
	v_mul_f32_e32 v16, v15, v14
	v_fma_f32 v18, -v13, v16, v15
	v_fmac_f32_e32 v16, v18, v14
	v_fma_f32 v13, -v13, v16, v15
	v_div_fmas_f32 v13, v13, v14, v16
	v_div_fixup_f32 v8, v13, v8, v12
	v_div_scale_f32 v12, s[0:1], v5, v5, v11
	v_rcp_f32_e32 v13, v12
	v_pk_mul_f32 v[8:9], v[40:41], v[8:9]
	v_cvt_f32_f16_sdwa v18, v6 dst_sel:DWORD dst_unused:UNUSED_PAD src0_sel:WORD_1
	v_fma_f32 v14, -v12, v13, 1.0
	v_fmac_f32_e32 v13, v14, v13
	v_div_scale_f32 v14, vcc, v11, v5, v11
	v_mul_f32_e32 v15, v14, v13
	v_fma_f32 v16, -v12, v15, v14
	v_fmac_f32_e32 v15, v16, v13
	v_fma_f32 v12, -v12, v15, v14
	v_div_fmas_f32 v12, v12, v13, v15
	v_div_fixup_f32 v5, v12, v5, v11
	v_div_scale_f32 v11, s[0:1], v4, v4, v10
	v_rcp_f32_e32 v12, v11
	v_cvt_f32_f16_e32 v16, v6
	v_fma_f32 v13, -v11, v12, 1.0
	v_fmac_f32_e32 v12, v13, v12
	v_div_scale_f32 v13, vcc, v10, v4, v10
	v_mul_f32_e32 v14, v13, v12
	v_fma_f32 v15, -v11, v14, v13
	v_fmac_f32_e32 v14, v15, v12
	v_fma_f32 v11, -v11, v14, v13
	v_div_fmas_f32 v11, v11, v12, v14
	v_div_fixup_f32 v4, v11, v4, v10
	v_pk_mul_f32 v[4:5], v[42:43], v[4:5]
	v_cvt_f16_f32_e32 v11, v8
	v_cvt_f16_f32_e32 v13, v4
	v_mul_f32_e32 v4, 0xbfb8aa3b, v16
	v_cvt_f16_f32_e32 v12, v5
	v_rndne_f32_e32 v5, v4
	v_sub_f32_e32 v8, v4, v5
	v_fma_mix_f32 v4, v6, s52, -v4 op_sel_hi:[1,0,0]
	v_cvt_i32_f32_e32 v5, v5
	v_fma_mix_f32 v4, v6, s53, v4 op_sel_hi:[1,0,0]
	v_cmp_nlt_f32_e32 vcc, s54, v16
	v_add_f32_e32 v4, v8, v4
	v_exp_f32_e32 v4, v4
	v_cvt_f16_f32_e32 v10, v9
	v_cvt_f32_f16_e32 v14, v7
	v_cvt_f32_f16_sdwa v15, v7 dst_sel:DWORD dst_unused:UNUSED_PAD src0_sel:WORD_1
	v_ldexp_f32 v4, v4, v5
	v_cndmask_b32_e32 v4, 0, v4, vcc
	v_cmp_ngt_f32_e32 vcc, s55, v16
	s_nop 1
	v_cndmask_b32_e32 v8, v26, v4, vcc
	v_mul_f32_e32 v4, 0xbfb8aa3b, v18
	v_rndne_f32_e32 v5, v4
	v_sub_f32_e32 v9, v4, v5
	v_fma_mix_f32 v4, v6, s52, -v4 op_sel:[1,0,0] op_sel_hi:[1,0,0]
	v_cvt_i32_f32_e32 v5, v5
	v_fma_mix_f32 v4, v6, s53, v4 op_sel:[1,0,0] op_sel_hi:[1,0,0]
	v_cmp_nlt_f32_e32 vcc, s54, v18
	v_add_f32_e32 v4, v9, v4
	v_exp_f32_e32 v4, v4
	s_nop 0
	v_ldexp_f32 v4, v4, v5
	v_cndmask_b32_e32 v4, 0, v4, vcc
	v_cmp_ngt_f32_e32 vcc, s55, v18
	s_nop 1
	v_cndmask_b32_e32 v9, v26, v4, vcc
	v_mul_f32_e32 v4, 0xbfb8aa3b, v14
	v_rndne_f32_e32 v5, v4
	v_sub_f32_e32 v6, v4, v5
	v_fma_mix_f32 v4, v7, s52, -v4 op_sel_hi:[1,0,0]
	v_cvt_i32_f32_e32 v5, v5
	v_fma_mix_f32 v4, v7, s53, v4 op_sel_hi:[1,0,0]
	v_cmp_nlt_f32_e32 vcc, s54, v14
	v_add_f32_e32 v4, v6, v4
	v_exp_f32_e32 v4, v4
	s_nop 0
	v_ldexp_f32 v4, v4, v5
	v_mul_f32_e32 v5, 0xbfb8aa3b, v15
	v_rndne_f32_e32 v6, v5
	v_sub_f32_e32 v19, v5, v6
	v_fma_mix_f32 v5, v7, s52, -v5 op_sel:[1,0,0] op_sel_hi:[1,0,0]
	v_cvt_i32_f32_e32 v6, v6
	v_fma_mix_f32 v5, v7, s53, v5 op_sel:[1,0,0] op_sel_hi:[1,0,0]
	v_cndmask_b32_e32 v4, 0, v4, vcc
	v_add_f32_e32 v5, v19, v5
	v_exp_f32_e32 v5, v5
	v_cmp_ngt_f32_e32 vcc, s55, v14
	v_ldexp_f32 v5, v5, v6
	v_pk_add_f32 v[6:7], v[8:9], 1.0 op_sel_hi:[1,0]
	v_cndmask_b32_e32 v4, v26, v4, vcc
	v_div_scale_f32 v8, s[0:1], v7, v7, v18
	v_rcp_f32_e32 v9, v8
	v_cmp_nlt_f32_e32 vcc, s54, v15
	v_fma_f32 v19, -v8, v9, 1.0
	s_nop 0
	v_cndmask_b32_e32 v5, 0, v5, vcc
	v_cmp_ngt_f32_e32 vcc, s55, v15
	v_fmac_f32_e32 v9, v19, v9
	s_nop 0
	v_cndmask_b32_e32 v5, v26, v5, vcc
	v_div_scale_f32 v19, vcc, v18, v7, v18
	v_mul_f32_e32 v22, v19, v9
	v_fma_f32 v23, -v8, v22, v19
	v_fmac_f32_e32 v22, v23, v9
	v_fma_f32 v8, -v8, v22, v19
	v_div_fmas_f32 v8, v8, v9, v22
	v_div_fixup_f32 v7, v8, v7, v18
	v_div_scale_f32 v8, s[0:1], v6, v6, v16
	v_rcp_f32_e32 v9, v8
	v_pk_add_f32 v[4:5], v[4:5], 1.0 op_sel_hi:[1,0]
	v_fma_f32 v18, -v8, v9, 1.0
	v_fmac_f32_e32 v9, v18, v9
	v_div_scale_f32 v18, vcc, v16, v6, v16
	v_mul_f32_e32 v19, v18, v9
	v_fma_f32 v22, -v8, v19, v18
	v_fmac_f32_e32 v19, v22, v9
	v_fma_f32 v8, -v8, v19, v18
	v_div_fmas_f32 v8, v8, v9, v19
	v_div_fixup_f32 v6, v8, v6, v16
	v_div_scale_f32 v8, s[0:1], v5, v5, v15
	v_rcp_f32_e32 v9, v8
	s_nop 0
	v_fma_f32 v16, -v8, v9, 1.0
	v_fmac_f32_e32 v9, v16, v9
	v_div_scale_f32 v16, vcc, v15, v5, v15
	v_mul_f32_e32 v18, v16, v9
	v_fma_f32 v19, -v8, v18, v16
	v_fmac_f32_e32 v18, v19, v9
	v_fma_f32 v8, -v8, v18, v16
	v_div_fmas_f32 v8, v8, v9, v18
	v_div_fixup_f32 v5, v8, v5, v15
	v_div_scale_f32 v8, s[0:1], v4, v4, v14
	v_rcp_f32_e32 v9, v8
	s_nop 0
	v_fma_f32 v15, -v8, v9, 1.0
	v_fmac_f32_e32 v9, v15, v9
	v_div_scale_f32 v15, vcc, v14, v4, v14
	v_mul_f32_e32 v16, v15, v9
	v_fma_f32 v18, -v8, v16, v15
	v_fmac_f32_e32 v16, v18, v9
	v_fma_f32 v8, -v8, v16, v15
	v_div_fmas_f32 v8, v8, v9, v16
	v_cvt_f32_f16_e32 v16, v0
	v_div_fixup_f32 v4, v8, v4, v14
	v_pk_mul_f32 v[4:5], v[38:39], v[4:5]
	v_pk_mul_f32 v[8:9], v[36:37], v[6:7]
	v_cvt_f32_f16_sdwa v18, v0 dst_sel:DWORD dst_unused:UNUSED_PAD src0_sel:WORD_1
	v_cvt_f16_f32_e32 v6, v9
	v_cvt_f16_f32_e32 v9, v4
	v_mul_f32_e32 v4, 0xbfb8aa3b, v16
	v_cvt_f16_f32_e32 v7, v8
	v_cvt_f16_f32_e32 v8, v5
	v_rndne_f32_e32 v5, v4
	v_sub_f32_e32 v19, v4, v5
	v_fma_mix_f32 v4, v0, s52, -v4 op_sel_hi:[1,0,0]
	v_cvt_i32_f32_e32 v5, v5
	v_fma_mix_f32 v4, v0, s53, v4 op_sel_hi:[1,0,0]
	v_cvt_f32_f16_e32 v14, v1
	v_add_f32_e32 v4, v19, v4
	v_exp_f32_e32 v4, v4
	v_cmp_nlt_f32_e32 vcc, s54, v16
	v_cvt_f32_f16_sdwa v15, v1 dst_sel:DWORD dst_unused:UNUSED_PAD src0_sel:WORD_1
	v_ldexp_f32 v4, v4, v5
	v_mul_f32_e32 v5, 0xbfb8aa3b, v18
	v_rndne_f32_e32 v19, v5
	v_sub_f32_e32 v22, v5, v19
	v_fma_mix_f32 v5, v0, s52, -v5 op_sel:[1,0,0] op_sel_hi:[1,0,0]
	v_cndmask_b32_e32 v4, 0, v4, vcc
	v_fma_mix_f32 v0, v0, s53, v5 op_sel:[1,0,0] op_sel_hi:[1,0,0]
	v_cvt_i32_f32_e32 v5, v19
	v_add_f32_e32 v0, v22, v0
	v_exp_f32_e32 v0, v0
	v_cmp_ngt_f32_e32 vcc, s55, v16
	v_ldexp_f32 v0, v0, v5
	s_nop 0
	v_cndmask_b32_e32 v4, v26, v4, vcc
	v_cmp_nlt_f32_e32 vcc, s54, v18
	s_nop 1
	v_cndmask_b32_e32 v0, 0, v0, vcc
	v_cmp_ngt_f32_e32 vcc, s55, v18
	s_nop 1
	v_cndmask_b32_e32 v5, v26, v0, vcc
	v_mul_f32_e32 v0, 0xbfb8aa3b, v14
	v_rndne_f32_e32 v19, v0
	v_sub_f32_e32 v22, v0, v19
	v_fma_mix_f32 v0, v1, s52, -v0 op_sel_hi:[1,0,0]
	v_cvt_i32_f32_e32 v19, v19
	v_fma_mix_f32 v0, v1, s53, v0 op_sel_hi:[1,0,0]
	v_pk_add_f32 v[4:5], v[4:5], 1.0 op_sel_hi:[1,0]
	v_add_f32_e32 v0, v22, v0
	v_exp_f32_e32 v0, v0
	v_cmp_nlt_f32_e32 vcc, s54, v14
	v_ldexp_f32 v0, v0, v19
	v_mul_f32_e32 v19, 0xbfb8aa3b, v15
	v_rndne_f32_e32 v22, v19
	v_sub_f32_e32 v23, v19, v22
	v_fma_mix_f32 v19, v1, s52, -v19 op_sel:[1,0,0] op_sel_hi:[1,0,0]
	v_cndmask_b32_e32 v0, 0, v0, vcc
	v_fma_mix_f32 v1, v1, s53, v19 op_sel:[1,0,0] op_sel_hi:[1,0,0]
	v_cvt_i32_f32_e32 v19, v22
	v_add_f32_e32 v1, v23, v1
	v_exp_f32_e32 v1, v1
	v_cmp_ngt_f32_e32 vcc, s55, v14
	v_ldexp_f32 v1, v1, v19
	v_div_scale_f32 v19, s[0:1], v5, v5, v18
	v_rcp_f32_e32 v22, v19
	v_cndmask_b32_e32 v0, v26, v0, vcc
	v_cmp_nlt_f32_e32 vcc, s54, v15
	v_fma_f32 v23, -v19, v22, 1.0
	s_nop 0
	v_cndmask_b32_e32 v1, 0, v1, vcc
	v_cmp_ngt_f32_e32 vcc, s55, v15
	v_fmac_f32_e32 v22, v23, v22
	s_nop 0
	v_cndmask_b32_e32 v1, v26, v1, vcc
	v_div_scale_f32 v23, vcc, v18, v5, v18
	v_mul_f32_e32 v24, v23, v22
	v_fma_f32 v25, -v19, v24, v23
	v_fmac_f32_e32 v24, v25, v22
	v_fma_f32 v19, -v19, v24, v23
	v_div_fmas_f32 v19, v19, v22, v24
	v_div_fixup_f32 v5, v19, v5, v18
	v_div_scale_f32 v18, s[0:1], v4, v4, v16
	v_rcp_f32_e32 v19, v18
	v_pk_add_f32 v[0:1], v[0:1], 1.0 op_sel_hi:[1,0]
	v_fma_f32 v22, -v18, v19, 1.0
	v_fmac_f32_e32 v19, v22, v19
	v_div_scale_f32 v22, vcc, v16, v4, v16
	v_mul_f32_e32 v23, v22, v19
	v_fma_f32 v24, -v18, v23, v22
	v_fmac_f32_e32 v23, v24, v19
	v_fma_f32 v18, -v18, v23, v22
	v_div_fmas_f32 v18, v18, v19, v23
	v_div_fixup_f32 v4, v18, v4, v16
	v_div_scale_f32 v16, s[0:1], v1, v1, v15
	v_rcp_f32_e32 v18, v16
	v_pk_mul_f32 v[4:5], v[32:33], v[4:5]
	v_cvt_f32_f16_sdwa v24, v2 dst_sel:DWORD dst_unused:UNUSED_PAD src0_sel:WORD_1
	v_fma_f32 v19, -v16, v18, 1.0
	v_fmac_f32_e32 v18, v19, v18
	v_div_scale_f32 v19, vcc, v15, v1, v15
	v_mul_f32_e32 v22, v19, v18
	v_fma_f32 v23, -v16, v22, v19
	v_fmac_f32_e32 v22, v23, v18
	v_fma_f32 v16, -v16, v22, v19
	v_div_fmas_f32 v16, v16, v18, v22
	v_div_fixup_f32 v1, v16, v1, v15
	v_div_scale_f32 v15, s[0:1], v0, v0, v14
	v_rcp_f32_e32 v16, v15
	v_cvt_f32_f16_e32 v23, v2
	v_fma_f32 v18, -v15, v16, 1.0
	v_fmac_f32_e32 v16, v18, v16
	v_div_scale_f32 v18, vcc, v14, v0, v14
	v_mul_f32_e32 v19, v18, v16
	v_fma_f32 v22, -v15, v19, v18
	v_fmac_f32_e32 v19, v22, v16
	v_fma_f32 v15, -v15, v19, v18
	v_div_fmas_f32 v15, v15, v16, v19
	v_div_fixup_f32 v0, v15, v0, v14
	v_pk_mul_f32 v[0:1], v[34:35], v[0:1]
	v_cvt_f16_f32_e32 v15, v4
	v_cvt_f16_f32_e32 v18, v0
	v_mul_f32_e32 v0, 0xbfb8aa3b, v23
	v_cvt_f16_f32_e32 v16, v1
	v_rndne_f32_e32 v1, v0
	v_sub_f32_e32 v4, v0, v1
	v_fma_mix_f32 v0, v2, s52, -v0 op_sel_hi:[1,0,0]
	v_cvt_i32_f32_e32 v1, v1
	v_fma_mix_f32 v0, v2, s53, v0 op_sel_hi:[1,0,0]
	v_cmp_nlt_f32_e32 vcc, s54, v23
	v_add_f32_e32 v0, v4, v0
	v_exp_f32_e32 v0, v0
	v_cvt_f16_f32_e32 v14, v5
	v_cvt_f32_f16_e32 v19, v3
	v_cvt_f32_f16_sdwa v22, v3 dst_sel:DWORD dst_unused:UNUSED_PAD src0_sel:WORD_1
	v_ldexp_f32 v0, v0, v1
	v_cndmask_b32_e32 v0, 0, v0, vcc
	v_cmp_ngt_f32_e32 vcc, s55, v23
	s_nop 1
	v_cndmask_b32_e32 v4, v26, v0, vcc
	v_mul_f32_e32 v0, 0xbfb8aa3b, v24
	v_rndne_f32_e32 v1, v0
	v_sub_f32_e32 v5, v0, v1
	v_fma_mix_f32 v0, v2, s52, -v0 op_sel:[1,0,0] op_sel_hi:[1,0,0]
	v_cvt_i32_f32_e32 v1, v1
	v_fma_mix_f32 v0, v2, s53, v0 op_sel:[1,0,0] op_sel_hi:[1,0,0]
	v_cmp_nlt_f32_e32 vcc, s54, v24
	v_add_f32_e32 v0, v5, v0
	v_exp_f32_e32 v0, v0
	s_nop 0
	v_ldexp_f32 v0, v0, v1
	v_cndmask_b32_e32 v0, 0, v0, vcc
	v_cmp_ngt_f32_e32 vcc, s55, v24
	s_nop 1
	v_cndmask_b32_e32 v5, v26, v0, vcc
	v_mul_f32_e32 v0, 0xbfb8aa3b, v19
	v_rndne_f32_e32 v1, v0
	v_sub_f32_e32 v2, v0, v1
	v_fma_mix_f32 v0, v3, s52, -v0 op_sel_hi:[1,0,0]
	v_cvt_i32_f32_e32 v1, v1
	v_fma_mix_f32 v0, v3, s53, v0 op_sel_hi:[1,0,0]
	v_cmp_nlt_f32_e32 vcc, s54, v19
	v_add_f32_e32 v0, v2, v0
	v_exp_f32_e32 v0, v0
	s_nop 0
	v_ldexp_f32 v0, v0, v1
	v_mul_f32_e32 v1, 0xbfb8aa3b, v22
	v_rndne_f32_e32 v2, v1
	v_sub_f32_e32 v25, v1, v2
	v_fma_mix_f32 v1, v3, s52, -v1 op_sel:[1,0,0] op_sel_hi:[1,0,0]
	v_cvt_i32_f32_e32 v2, v2
	v_fma_mix_f32 v1, v3, s53, v1 op_sel:[1,0,0] op_sel_hi:[1,0,0]
	v_cndmask_b32_e32 v0, 0, v0, vcc
	v_add_f32_e32 v1, v25, v1
	v_exp_f32_e32 v1, v1
	v_cmp_ngt_f32_e32 vcc, s55, v19
	v_ldexp_f32 v1, v1, v2
	v_pk_add_f32 v[2:3], v[4:5], 1.0 op_sel_hi:[1,0]
	v_cndmask_b32_e32 v0, v26, v0, vcc
	v_div_scale_f32 v4, s[0:1], v3, v3, v24
	v_rcp_f32_e32 v5, v4
	v_cmp_nlt_f32_e32 vcc, s54, v22
	v_fma_f32 v25, -v4, v5, 1.0
	s_nop 0
	v_cndmask_b32_e32 v1, 0, v1, vcc
	v_cmp_ngt_f32_e32 vcc, s55, v22
	v_fmac_f32_e32 v5, v25, v5
	s_nop 0
	v_cndmask_b32_e32 v1, v26, v1, vcc
	v_div_scale_f32 v25, vcc, v24, v3, v24
	v_mul_f32_e32 v26, v25, v5
	v_fma_f32 v27, -v4, v26, v25
	v_fmac_f32_e32 v26, v27, v5
	v_fma_f32 v4, -v4, v26, v25
	v_div_fmas_f32 v4, v4, v5, v26
	v_div_fixup_f32 v3, v4, v3, v24
	v_div_scale_f32 v4, s[0:1], v2, v2, v23
	v_rcp_f32_e32 v5, v4
	v_pk_add_f32 v[0:1], v[0:1], 1.0 op_sel_hi:[1,0]
	v_fma_f32 v24, -v4, v5, 1.0
	v_fmac_f32_e32 v5, v24, v5
	v_div_scale_f32 v24, vcc, v23, v2, v23
	v_mul_f32_e32 v25, v24, v5
	v_fma_f32 v26, -v4, v25, v24
	v_fmac_f32_e32 v25, v26, v5
	v_fma_f32 v4, -v4, v25, v24
	v_div_fmas_f32 v4, v4, v5, v25
	v_div_fixup_f32 v2, v4, v2, v23
	v_div_scale_f32 v4, s[0:1], v1, v1, v22
	v_rcp_f32_e32 v5, v4
	v_pk_mul_f32 v[2:3], v[28:29], v[2:3]
	v_fma_f32 v23, -v4, v5, 1.0
	v_fmac_f32_e32 v5, v23, v5
	v_div_scale_f32 v23, vcc, v22, v1, v22
	v_mul_f32_e32 v24, v23, v5
	v_fma_f32 v25, -v4, v24, v23
	v_fmac_f32_e32 v24, v25, v5
	v_fma_f32 v4, -v4, v24, v23
	v_div_fmas_f32 v4, v4, v5, v24
	v_div_fixup_f32 v1, v4, v1, v22
	v_div_scale_f32 v4, s[0:1], v0, v0, v19
	v_rcp_f32_e32 v5, v4
	s_nop 0
	v_fma_f32 v22, -v4, v5, 1.0
	v_fmac_f32_e32 v5, v22, v5
	v_div_scale_f32 v22, vcc, v19, v0, v19
	v_mul_f32_e32 v23, v22, v5
	v_fma_f32 v24, -v4, v23, v22
	v_fmac_f32_e32 v23, v24, v5
	v_fma_f32 v4, -v4, v23, v22
	v_div_fmas_f32 v4, v4, v5, v23
	v_div_fixup_f32 v0, v4, v0, v19
	v_pk_mul_f32 v[0:1], v[30:31], v[0:1]
	v_cvt_f16_f32_e32 v4, v3
	v_cvt_f16_f32_e32 v5, v2
	;; [unrolled: 1-line block ×4, first 2 shown]
	v_pack_b32_f16 v3, v9, v8
	v_pack_b32_f16 v2, v7, v6
	;; [unrolled: 1-line block ×4, first 2 shown]
	ds_write_b128 v59, v[0:3]
	v_pack_b32_f16 v3, v22, v19
	v_pack_b32_f16 v2, v5, v4
	v_pack_b32_f16 v1, v18, v16
	v_pack_b32_f16 v0, v15, v14
	ds_write_b128 v59, v[0:3] offset:16
	; wave barrier
	ds_read_u16 v16, v44 offset:128
	ds_read_u16 v15, v45 offset:256
	ds_read_u16 v14, v46 offset:384
	ds_read_u16 v13, v47 offset:512
	ds_read_u16 v12, v48 offset:640
	ds_read_u16 v11, v49 offset:768
	ds_read_u16 v10, v50 offset:896
	ds_read_u16 v9, v51 offset:1024
	ds_read_u16 v8, v52 offset:1152
	ds_read_u16 v7, v53 offset:1280
	ds_read_u16 v6, v54 offset:1408
	ds_read_u16 v5, v55 offset:1536
	ds_read_u16 v4, v56 offset:1664
	ds_read_u16 v3, v57 offset:1792
	ds_read_u16 v2, v58 offset:1920
	scratch_load_dwordx2 v[0:1], off, off offset:256 ; 8-byte Folded Reload
	s_waitcnt vmcnt(0)
	v_lshl_add_u64 v[0:1], s[58:59], 1, v[0:1]
	s_and_saveexec_b64 s[52:53], s[18:19]
	s_cbranch_execz .LBB84_251
; %bb.250:                              ;   in Loop: Header=BB84_13 Depth=1
	scratch_load_dword v18, off, off        ; 4-byte Folded Reload
	s_waitcnt vmcnt(0)
	ds_read_u16 v18, v18
	s_waitcnt lgkmcnt(0)
	global_store_short v[0:1], v18, off
.LBB84_251:                             ;   in Loop: Header=BB84_13 Depth=1
	s_or_b64 exec, exec, s[52:53]
	s_and_saveexec_b64 s[18:19], s[20:21]
	s_cbranch_execz .LBB84_253
; %bb.252:                              ;   in Loop: Header=BB84_13 Depth=1
	s_waitcnt lgkmcnt(14)
	global_store_short v[0:1], v16, off offset:128
.LBB84_253:                             ;   in Loop: Header=BB84_13 Depth=1
	s_or_b64 exec, exec, s[18:19]
	s_mov_b64 s[18:19], exec
	s_and_b64 s[0:1], s[18:19], s[22:23]
	v_mov_b32_e32 v39, 0x7f800000
	s_mov_b64 exec, s[0:1]
	s_cbranch_execnz .LBB84_284
; %bb.254:                              ;   in Loop: Header=BB84_13 Depth=1
	s_or_b64 exec, exec, s[18:19]
	s_and_saveexec_b64 s[18:19], s[24:25]
	s_cbranch_execnz .LBB84_285
.LBB84_255:                             ;   in Loop: Header=BB84_13 Depth=1
	s_or_b64 exec, exec, s[18:19]
	s_and_saveexec_b64 s[18:19], s[26:27]
	s_cbranch_execnz .LBB84_286
.LBB84_256:                             ;   in Loop: Header=BB84_13 Depth=1
	s_or_b64 exec, exec, s[18:19]
	s_and_saveexec_b64 s[18:19], s[28:29]
	s_cbranch_execnz .LBB84_287
.LBB84_257:                             ;   in Loop: Header=BB84_13 Depth=1
	s_or_b64 exec, exec, s[18:19]
	s_and_saveexec_b64 s[18:19], s[30:31]
	s_cbranch_execnz .LBB84_288
.LBB84_258:                             ;   in Loop: Header=BB84_13 Depth=1
	s_or_b64 exec, exec, s[18:19]
	s_and_saveexec_b64 s[18:19], s[34:35]
	s_cbranch_execnz .LBB84_289
.LBB84_259:                             ;   in Loop: Header=BB84_13 Depth=1
	s_or_b64 exec, exec, s[18:19]
	s_and_saveexec_b64 s[18:19], s[36:37]
	s_cbranch_execnz .LBB84_290
.LBB84_260:                             ;   in Loop: Header=BB84_13 Depth=1
	s_or_b64 exec, exec, s[18:19]
	s_and_saveexec_b64 s[18:19], s[38:39]
	s_cbranch_execnz .LBB84_291
.LBB84_261:                             ;   in Loop: Header=BB84_13 Depth=1
	s_or_b64 exec, exec, s[18:19]
	s_and_saveexec_b64 s[18:19], s[40:41]
	s_cbranch_execnz .LBB84_292
.LBB84_262:                             ;   in Loop: Header=BB84_13 Depth=1
	s_or_b64 exec, exec, s[18:19]
	s_and_saveexec_b64 s[18:19], s[42:43]
	s_cbranch_execnz .LBB84_293
.LBB84_263:                             ;   in Loop: Header=BB84_13 Depth=1
	s_or_b64 exec, exec, s[18:19]
	s_and_saveexec_b64 s[18:19], s[44:45]
	s_cbranch_execnz .LBB84_294
.LBB84_264:                             ;   in Loop: Header=BB84_13 Depth=1
	s_or_b64 exec, exec, s[18:19]
	s_and_saveexec_b64 s[18:19], s[46:47]
	s_cbranch_execnz .LBB84_295
.LBB84_265:                             ;   in Loop: Header=BB84_13 Depth=1
	s_or_b64 exec, exec, s[18:19]
	s_and_saveexec_b64 s[18:19], s[48:49]
	s_cbranch_execnz .LBB84_296
.LBB84_266:                             ;   in Loop: Header=BB84_13 Depth=1
	s_or_b64 exec, exec, s[18:19]
	s_and_saveexec_b64 s[18:19], s[50:51]
	s_cbranch_execz .LBB84_12
	s_branch .LBB84_297
.LBB84_267:                             ;   in Loop: Header=BB84_13 Depth=1
	global_load_ushort v28, v[8:9], off offset:1664
	s_or_b64 exec, exec, s[52:53]
	s_and_saveexec_b64 s[52:53], s[48:49]
	s_cbranch_execz .LBB84_73
.LBB84_268:                             ;   in Loop: Header=BB84_13 Depth=1
	global_load_ushort v27, v[8:9], off offset:1792
	s_or_b64 exec, exec, s[52:53]
	v_mov_b32_e32 v29, 0
	s_and_saveexec_b64 s[52:53], s[50:51]
	s_cbranch_execnz .LBB84_74
	s_branch .LBB84_75
.LBB84_269:                             ;   in Loop: Header=BB84_13 Depth=1
	scratch_load_dword v18, off, off        ; 4-byte Folded Reload
	s_waitcnt vmcnt(0)
	ds_read_u16 v18, v18
	s_waitcnt lgkmcnt(0)
	global_store_short v[0:1], v18, off
	s_or_b64 exec, exec, s[52:53]
	s_and_saveexec_b64 s[52:53], s[20:21]
	s_cbranch_execz .LBB84_202
.LBB84_270:                             ;   in Loop: Header=BB84_13 Depth=1
	s_waitcnt lgkmcnt(14)
	global_store_short v[0:1], v16, off offset:128
	s_or_b64 exec, exec, s[52:53]
	s_and_saveexec_b64 s[52:53], s[22:23]
	s_cbranch_execz .LBB84_203
.LBB84_271:                             ;   in Loop: Header=BB84_13 Depth=1
	s_waitcnt lgkmcnt(13)
	global_store_short v[0:1], v15, off offset:256
	s_or_b64 exec, exec, s[52:53]
	s_and_saveexec_b64 s[52:53], s[24:25]
	s_cbranch_execz .LBB84_204
.LBB84_272:                             ;   in Loop: Header=BB84_13 Depth=1
	s_waitcnt lgkmcnt(12)
	global_store_short v[0:1], v14, off offset:384
	s_or_b64 exec, exec, s[52:53]
	s_and_saveexec_b64 s[52:53], s[26:27]
	s_cbranch_execz .LBB84_205
.LBB84_273:                             ;   in Loop: Header=BB84_13 Depth=1
	s_waitcnt lgkmcnt(11)
	global_store_short v[0:1], v13, off offset:512
	s_or_b64 exec, exec, s[52:53]
	s_and_saveexec_b64 s[52:53], s[28:29]
	s_cbranch_execz .LBB84_206
.LBB84_274:                             ;   in Loop: Header=BB84_13 Depth=1
	s_waitcnt lgkmcnt(10)
	global_store_short v[0:1], v12, off offset:640
	s_or_b64 exec, exec, s[52:53]
	s_and_saveexec_b64 s[52:53], s[30:31]
	s_cbranch_execz .LBB84_207
.LBB84_275:                             ;   in Loop: Header=BB84_13 Depth=1
	s_waitcnt lgkmcnt(9)
	global_store_short v[0:1], v11, off offset:768
	s_or_b64 exec, exec, s[52:53]
	s_and_saveexec_b64 s[52:53], s[34:35]
	s_cbranch_execz .LBB84_208
.LBB84_276:                             ;   in Loop: Header=BB84_13 Depth=1
	s_waitcnt lgkmcnt(8)
	global_store_short v[0:1], v10, off offset:896
	s_or_b64 exec, exec, s[52:53]
	s_and_saveexec_b64 s[52:53], s[36:37]
	s_cbranch_execz .LBB84_209
.LBB84_277:                             ;   in Loop: Header=BB84_13 Depth=1
	s_waitcnt lgkmcnt(7)
	global_store_short v[0:1], v9, off offset:1024
	s_or_b64 exec, exec, s[52:53]
	s_and_saveexec_b64 s[52:53], s[38:39]
	s_cbranch_execz .LBB84_210
.LBB84_278:                             ;   in Loop: Header=BB84_13 Depth=1
	s_waitcnt lgkmcnt(6)
	global_store_short v[0:1], v8, off offset:1152
	s_or_b64 exec, exec, s[52:53]
	s_and_saveexec_b64 s[52:53], s[40:41]
	s_cbranch_execz .LBB84_211
.LBB84_279:                             ;   in Loop: Header=BB84_13 Depth=1
	s_waitcnt lgkmcnt(5)
	global_store_short v[0:1], v7, off offset:1280
	s_or_b64 exec, exec, s[52:53]
	s_and_saveexec_b64 s[52:53], s[42:43]
	s_cbranch_execz .LBB84_212
.LBB84_280:                             ;   in Loop: Header=BB84_13 Depth=1
	s_waitcnt lgkmcnt(4)
	global_store_short v[0:1], v6, off offset:1408
	s_or_b64 exec, exec, s[52:53]
	s_and_saveexec_b64 s[52:53], s[44:45]
	s_cbranch_execz .LBB84_213
.LBB84_281:                             ;   in Loop: Header=BB84_13 Depth=1
	s_waitcnt lgkmcnt(3)
	global_store_short v[0:1], v5, off offset:1536
	s_or_b64 exec, exec, s[52:53]
	s_and_saveexec_b64 s[52:53], s[46:47]
	s_cbranch_execz .LBB84_214
.LBB84_282:                             ;   in Loop: Header=BB84_13 Depth=1
	s_waitcnt lgkmcnt(2)
	global_store_short v[0:1], v4, off offset:1664
	s_or_b64 exec, exec, s[52:53]
	s_and_saveexec_b64 s[52:53], s[48:49]
	s_cbranch_execz .LBB84_215
.LBB84_283:                             ;   in Loop: Header=BB84_13 Depth=1
	s_waitcnt lgkmcnt(1)
	global_store_short v[0:1], v3, off offset:1792
	s_or_b64 exec, exec, s[52:53]
	s_and_saveexec_b64 s[52:53], s[50:51]
	s_cbranch_execnz .LBB84_216
	s_branch .LBB84_217
.LBB84_284:                             ;   in Loop: Header=BB84_13 Depth=1
	s_waitcnt lgkmcnt(13)
	global_store_short v[0:1], v15, off offset:256
	s_or_b64 exec, exec, s[18:19]
	s_and_saveexec_b64 s[18:19], s[24:25]
	s_cbranch_execz .LBB84_255
.LBB84_285:                             ;   in Loop: Header=BB84_13 Depth=1
	s_waitcnt lgkmcnt(12)
	global_store_short v[0:1], v14, off offset:384
	s_or_b64 exec, exec, s[18:19]
	s_and_saveexec_b64 s[18:19], s[26:27]
	s_cbranch_execz .LBB84_256
.LBB84_286:                             ;   in Loop: Header=BB84_13 Depth=1
	s_waitcnt lgkmcnt(11)
	global_store_short v[0:1], v13, off offset:512
	s_or_b64 exec, exec, s[18:19]
	s_and_saveexec_b64 s[18:19], s[28:29]
	s_cbranch_execz .LBB84_257
.LBB84_287:                             ;   in Loop: Header=BB84_13 Depth=1
	s_waitcnt lgkmcnt(10)
	global_store_short v[0:1], v12, off offset:640
	s_or_b64 exec, exec, s[18:19]
	s_and_saveexec_b64 s[18:19], s[30:31]
	s_cbranch_execz .LBB84_258
.LBB84_288:                             ;   in Loop: Header=BB84_13 Depth=1
	s_waitcnt lgkmcnt(9)
	global_store_short v[0:1], v11, off offset:768
	s_or_b64 exec, exec, s[18:19]
	s_and_saveexec_b64 s[18:19], s[34:35]
	s_cbranch_execz .LBB84_259
.LBB84_289:                             ;   in Loop: Header=BB84_13 Depth=1
	s_waitcnt lgkmcnt(8)
	global_store_short v[0:1], v10, off offset:896
	s_or_b64 exec, exec, s[18:19]
	s_and_saveexec_b64 s[18:19], s[36:37]
	s_cbranch_execz .LBB84_260
.LBB84_290:                             ;   in Loop: Header=BB84_13 Depth=1
	s_waitcnt lgkmcnt(7)
	global_store_short v[0:1], v9, off offset:1024
	s_or_b64 exec, exec, s[18:19]
	s_and_saveexec_b64 s[18:19], s[38:39]
	s_cbranch_execz .LBB84_261
.LBB84_291:                             ;   in Loop: Header=BB84_13 Depth=1
	s_waitcnt lgkmcnt(6)
	global_store_short v[0:1], v8, off offset:1152
	s_or_b64 exec, exec, s[18:19]
	s_and_saveexec_b64 s[18:19], s[40:41]
	s_cbranch_execz .LBB84_262
.LBB84_292:                             ;   in Loop: Header=BB84_13 Depth=1
	s_waitcnt lgkmcnt(5)
	global_store_short v[0:1], v7, off offset:1280
	s_or_b64 exec, exec, s[18:19]
	s_and_saveexec_b64 s[18:19], s[42:43]
	s_cbranch_execz .LBB84_263
.LBB84_293:                             ;   in Loop: Header=BB84_13 Depth=1
	s_waitcnt lgkmcnt(4)
	global_store_short v[0:1], v6, off offset:1408
	s_or_b64 exec, exec, s[18:19]
	s_and_saveexec_b64 s[18:19], s[44:45]
	s_cbranch_execz .LBB84_264
.LBB84_294:                             ;   in Loop: Header=BB84_13 Depth=1
	s_waitcnt lgkmcnt(3)
	global_store_short v[0:1], v5, off offset:1536
	s_or_b64 exec, exec, s[18:19]
	s_and_saveexec_b64 s[18:19], s[46:47]
	s_cbranch_execz .LBB84_265
.LBB84_295:                             ;   in Loop: Header=BB84_13 Depth=1
	s_waitcnt lgkmcnt(2)
	global_store_short v[0:1], v4, off offset:1664
	s_or_b64 exec, exec, s[18:19]
	s_and_saveexec_b64 s[18:19], s[48:49]
	s_cbranch_execz .LBB84_266
.LBB84_296:                             ;   in Loop: Header=BB84_13 Depth=1
	s_waitcnt lgkmcnt(1)
	global_store_short v[0:1], v3, off offset:1792
	s_or_b64 exec, exec, s[18:19]
	s_and_saveexec_b64 s[18:19], s[50:51]
	s_cbranch_execz .LBB84_12
.LBB84_297:                             ;   in Loop: Header=BB84_13 Depth=1
	s_waitcnt lgkmcnt(0)
	global_store_short v[0:1], v2, off offset:1920
	s_branch .LBB84_12
.LBB84_298:
	s_endpgm
	.section	.rodata,"a",@progbits
	.p2align	6, 0x0
	.amdhsa_kernel _Z25selective_scan_fwd_kernelI32Selective_Scan_fwd_kernel_traitsILi64ELi16ELi1ELb0ELb1ELb1ELb1ELb1EN3c104HalfEfS2_EEv13SSMParamsBase
		.amdhsa_group_segment_fixed_size 0
		.amdhsa_private_segment_fixed_size 332
		.amdhsa_kernarg_size 248
		.amdhsa_user_sgpr_count 2
		.amdhsa_user_sgpr_dispatch_ptr 0
		.amdhsa_user_sgpr_queue_ptr 0
		.amdhsa_user_sgpr_kernarg_segment_ptr 1
		.amdhsa_user_sgpr_dispatch_id 0
		.amdhsa_user_sgpr_kernarg_preload_length 0
		.amdhsa_user_sgpr_kernarg_preload_offset 0
		.amdhsa_user_sgpr_private_segment_size 0
		.amdhsa_uses_dynamic_stack 0
		.amdhsa_enable_private_segment 1
		.amdhsa_system_sgpr_workgroup_id_x 1
		.amdhsa_system_sgpr_workgroup_id_y 1
		.amdhsa_system_sgpr_workgroup_id_z 0
		.amdhsa_system_sgpr_workgroup_info 0
		.amdhsa_system_vgpr_workitem_id 0
		.amdhsa_next_free_vgpr 96
		.amdhsa_next_free_sgpr 100
		.amdhsa_accum_offset 96
		.amdhsa_reserve_vcc 1
		.amdhsa_float_round_mode_32 0
		.amdhsa_float_round_mode_16_64 0
		.amdhsa_float_denorm_mode_32 3
		.amdhsa_float_denorm_mode_16_64 3
		.amdhsa_dx10_clamp 1
		.amdhsa_ieee_mode 1
		.amdhsa_fp16_overflow 0
		.amdhsa_tg_split 0
		.amdhsa_exception_fp_ieee_invalid_op 0
		.amdhsa_exception_fp_denorm_src 0
		.amdhsa_exception_fp_ieee_div_zero 0
		.amdhsa_exception_fp_ieee_overflow 0
		.amdhsa_exception_fp_ieee_underflow 0
		.amdhsa_exception_fp_ieee_inexact 0
		.amdhsa_exception_int_div_zero 0
	.end_amdhsa_kernel
	.section	.text._Z25selective_scan_fwd_kernelI32Selective_Scan_fwd_kernel_traitsILi64ELi16ELi1ELb0ELb1ELb1ELb1ELb1EN3c104HalfEfS2_EEv13SSMParamsBase,"axG",@progbits,_Z25selective_scan_fwd_kernelI32Selective_Scan_fwd_kernel_traitsILi64ELi16ELi1ELb0ELb1ELb1ELb1ELb1EN3c104HalfEfS2_EEv13SSMParamsBase,comdat
.Lfunc_end84:
	.size	_Z25selective_scan_fwd_kernelI32Selective_Scan_fwd_kernel_traitsILi64ELi16ELi1ELb0ELb1ELb1ELb1ELb1EN3c104HalfEfS2_EEv13SSMParamsBase, .Lfunc_end84-_Z25selective_scan_fwd_kernelI32Selective_Scan_fwd_kernel_traitsILi64ELi16ELi1ELb0ELb1ELb1ELb1ELb1EN3c104HalfEfS2_EEv13SSMParamsBase
                                        ; -- End function
	.section	.AMDGPU.csdata,"",@progbits
; Kernel info:
; codeLenInByte = 27188
; NumSgprs: 106
; NumVgprs: 96
; NumAgprs: 0
; TotalNumVgprs: 96
; ScratchSize: 332
; MemoryBound: 0
; FloatMode: 240
; IeeeMode: 1
; LDSByteSize: 0 bytes/workgroup (compile time only)
; SGPRBlocks: 13
; VGPRBlocks: 11
; NumSGPRsForWavesPerEU: 106
; NumVGPRsForWavesPerEU: 96
; AccumOffset: 96
; Occupancy: 5
; WaveLimiterHint : 1
; COMPUTE_PGM_RSRC2:SCRATCH_EN: 1
; COMPUTE_PGM_RSRC2:USER_SGPR: 2
; COMPUTE_PGM_RSRC2:TRAP_HANDLER: 0
; COMPUTE_PGM_RSRC2:TGID_X_EN: 1
; COMPUTE_PGM_RSRC2:TGID_Y_EN: 1
; COMPUTE_PGM_RSRC2:TGID_Z_EN: 0
; COMPUTE_PGM_RSRC2:TIDIG_COMP_CNT: 0
; COMPUTE_PGM_RSRC3_GFX90A:ACCUM_OFFSET: 23
; COMPUTE_PGM_RSRC3_GFX90A:TG_SPLIT: 0
	.section	.text._Z25selective_scan_fwd_kernelI32Selective_Scan_fwd_kernel_traitsILi64ELi16ELi1ELb0ELb1ELb1ELb1ELb0EN3c104HalfEfS2_EEv13SSMParamsBase,"axG",@progbits,_Z25selective_scan_fwd_kernelI32Selective_Scan_fwd_kernel_traitsILi64ELi16ELi1ELb0ELb1ELb1ELb1ELb0EN3c104HalfEfS2_EEv13SSMParamsBase,comdat
	.protected	_Z25selective_scan_fwd_kernelI32Selective_Scan_fwd_kernel_traitsILi64ELi16ELi1ELb0ELb1ELb1ELb1ELb0EN3c104HalfEfS2_EEv13SSMParamsBase ; -- Begin function _Z25selective_scan_fwd_kernelI32Selective_Scan_fwd_kernel_traitsILi64ELi16ELi1ELb0ELb1ELb1ELb1ELb0EN3c104HalfEfS2_EEv13SSMParamsBase
	.globl	_Z25selective_scan_fwd_kernelI32Selective_Scan_fwd_kernel_traitsILi64ELi16ELi1ELb0ELb1ELb1ELb1ELb0EN3c104HalfEfS2_EEv13SSMParamsBase
	.p2align	8
	.type	_Z25selective_scan_fwd_kernelI32Selective_Scan_fwd_kernel_traitsILi64ELi16ELi1ELb0ELb1ELb1ELb1ELb0EN3c104HalfEfS2_EEv13SSMParamsBase,@function
_Z25selective_scan_fwd_kernelI32Selective_Scan_fwd_kernel_traitsILi64ELi16ELi1ELb0ELb1ELb1ELb1ELb0EN3c104HalfEfS2_EEv13SSMParamsBase: ; @_Z25selective_scan_fwd_kernelI32Selective_Scan_fwd_kernel_traitsILi64ELi16ELi1ELb0ELb1ELb1ELb1ELb0EN3c104HalfEfS2_EEv13SSMParamsBase
; %bb.0:
	s_load_dword s36, s[0:1], 0x18
	s_load_dwordx4 s[4:7], s[0:1], 0xe8
	s_mov_b32 s28, s3
                                        ; implicit-def: $vgpr95 : SGPR spill to VGPR lane
	s_waitcnt lgkmcnt(0)
	s_abs_i32 s33, s36
	v_cvt_f32_u32_e32 v1, s33
	s_cmp_eq_u64 s[6:7], 0
	v_rcp_iflag_f32_e32 v1, v1
	s_nop 0
	v_mul_f32_e32 v1, 0x4f7ffffe, v1
	v_cvt_u32_f32_e32 v1, v1
	s_nop 0
	v_readfirstlane_b32 s24, v1
	s_cbranch_scc1 .LBB85_2
; %bb.1:
	s_ashr_i32 s3, s2, 31
	s_add_u32 s6, s6, s2
	s_addc_u32 s7, s7, s3
	v_mov_b32_e32 v1, 0
	global_load_ubyte v1, v1, s[6:7]
	s_waitcnt vmcnt(0)
	v_and_b32_e32 v1, 1, v1
	v_cmp_eq_u32_e64 s[6:7], 1, v1
	s_branch .LBB85_3
.LBB85_2:
	s_mov_b64 s[6:7], 0
.LBB85_3:
	s_nop 0
	v_writelane_b32 v95, s6, 0
	s_cmp_eq_u64 s[4:5], 0
	s_nop 0
	v_writelane_b32 v95, s7, 1
	s_load_dwordx2 s[6:7], s[0:1], 0x20
	s_cbranch_scc1 .LBB85_5
; %bb.4:
	s_ashr_i32 s3, s2, 31
	s_lshl_b64 s[8:9], s[2:3], 2
	s_add_u32 s4, s4, s8
	s_addc_u32 s5, s5, s9
	s_load_dword s34, s[4:5], 0x0
	s_waitcnt lgkmcnt(0)
	s_ashr_i32 s35, s34, 31
	s_cmp_eq_u64 s[6:7], s[34:35]
	s_cbranch_scc0 .LBB85_6
	s_branch .LBB85_298
.LBB85_5:
	s_mov_b32 s34, s2
	s_ashr_i32 s35, s34, 31
	s_waitcnt lgkmcnt(0)
	s_cmp_eq_u64 s[6:7], s[34:35]
	s_cbranch_scc1 .LBB85_298
.LBB85_6:
	s_load_dwordx16 s[4:19], s[0:1], 0x88
	s_load_dwordx2 s[38:39], s[0:1], 0x8
	s_mov_b32 s3, 0
	v_writelane_b32 v95, s3, 2
	v_writelane_b32 v95, s3, 3
	s_waitcnt lgkmcnt(0)
	s_cmp_eq_u64 s[10:11], 0
	s_cbranch_scc1 .LBB85_8
; %bb.7:
	s_ashr_i32 s29, s28, 31
	s_lshl_b64 s[20:21], s[28:29], 2
	s_add_u32 s10, s10, s20
	s_addc_u32 s11, s11, s21
	s_load_dword s3, s[10:11], 0x0
	s_waitcnt lgkmcnt(0)
	v_writelane_b32 v95, s3, 3
.LBB85_8:
	s_cmp_eq_u64 s[16:17], 0
	s_cbranch_scc1 .LBB85_10
; %bb.9:
	s_ashr_i32 s29, s28, 31
	s_lshl_b64 s[10:11], s[28:29], 2
	s_add_u32 s10, s16, s10
	s_addc_u32 s11, s17, s11
	s_load_dword s3, s[10:11], 0x0
	s_waitcnt lgkmcnt(0)
	v_writelane_b32 v95, s3, 2
.LBB85_10:
	s_cmp_lt_i32 s38, 1
	s_cbranch_scc1 .LBB85_298
; %bb.11:
	v_mbcnt_lo_u32_b32 v1, -1, 0
	v_mbcnt_hi_u32_b32 v20, -1, v1
	v_lshrrev_b32_e32 v1, 5, v20
	s_sub_i32 s3, 0, s33
	v_and_b32_e32 v1, 2, v1
	s_mul_i32 s3, s3, s24
	v_add_u32_e32 v1, v1, v20
	s_mul_hi_u32 s3, s24, s3
	v_add_u32_e32 v2, 64, v20
	v_lshl_add_u32 v1, v1, 1, 0
	s_load_dwordx8 s[40:47], s[0:1], 0x2c
	s_load_dwordx2 s[10:11], s[0:1], 0x7c
	s_load_dwordx4 s[20:23], s[0:1], 0x6c
	s_load_dwordx8 s[48:55], s[0:1], 0x4c
	s_load_dwordx2 s[30:31], s[0:1], 0xd8
	s_add_i32 s3, s24, s3
	s_load_dwordx4 s[24:27], s[0:1], 0xc8
	s_load_dword s87, s[0:1], 0x84
	scratch_store_dword off, v1, off        ; 4-byte Folded Spill
	scratch_store_dword off, v2, off offset:180 ; 4-byte Folded Spill
	v_lshrrev_b32_e32 v1, 5, v2
	v_and_b32_e32 v1, 6, v1
	v_add_lshl_u32 v1, v1, v20, 1
	v_or_b32_e32 v3, 0x80, v20
	v_add_u32_e32 v2, 0, v1
	scratch_store_dword off, v2, off offset:8 ; 4-byte Folded Spill
	scratch_store_dword off, v3, off offset:184 ; 4-byte Folded Spill
	v_lshrrev_b32_e32 v2, 5, v3
	s_abs_i32 s16, s28
	v_and_b32_e32 v2, 6, v2
	s_mul_hi_u32 s3, s16, s3
	s_load_dword s17, s[0:1], 0x28
	s_ashr_i32 s0, s28, 31
	s_ashr_i32 s1, s36, 31
	v_add_lshl_u32 v2, v2, v20, 1
	s_xor_b32 s0, s0, s1
	s_mul_i32 s1, s3, s33
	v_add_u32_e32 v4, 0xc0, v20
	v_add_u32_e32 v3, 0, v2
	s_sub_i32 s1, s16, s1
	scratch_store_dword off, v3, off offset:12 ; 4-byte Folded Spill
	scratch_store_dword off, v4, off offset:188 ; 4-byte Folded Spill
	v_lshrrev_b32_e32 v3, 5, v4
	s_add_i32 s16, s3, 1
	s_sub_i32 s29, s1, s33
	v_and_b32_e32 v3, 14, v3
	s_cmp_ge_u32 s1, s33
	v_add_lshl_u32 v3, v3, v20, 1
	s_cselect_b32 s3, s16, s3
	v_or_b32_e32 v5, 0x100, v20
	v_add_u32_e32 v4, 0, v3
	s_cselect_b32 s1, s29, s1
	s_add_i32 s16, s3, 1
	scratch_store_dword off, v4, off offset:16 ; 4-byte Folded Spill
	scratch_store_dword off, v5, off offset:192 ; 4-byte Folded Spill
	v_lshrrev_b32_e32 v4, 5, v5
	s_cmp_ge_u32 s1, s33
	v_and_b32_e32 v4, 10, v4
	s_cselect_b32 s1, s16, s3
	v_add_lshl_u32 v4, v4, v20, 1
	s_xor_b32 s1, s1, s0
	s_waitcnt lgkmcnt(0)
	s_mul_i32 s88, s50, s2
	s_mov_b32 s89, 0
	v_add_u32_e32 v6, 0x140, v20
	v_add_u32_e32 v5, 0, v4
	s_sub_i32 s3, s1, s0
	s_lshl_b64 s[0:1], s[88:89], 1
	scratch_store_dword off, v5, off offset:20 ; 4-byte Folded Spill
	scratch_store_dword off, v6, off offset:196 ; 4-byte Folded Spill
	v_lshrrev_b32_e32 v5, 5, v6
	s_add_u32 s12, s12, s0
	s_mul_i32 s88, s51, s28
	v_and_b32_e32 v5, 14, v5
	s_addc_u32 s13, s13, s1
	s_lshl_b64 s[0:1], s[88:89], 1
	v_add_lshl_u32 v5, v5, v20, 1
	s_add_u32 s36, s12, s0
	s_mul_i32 s88, s52, s2
	v_or_b32_e32 v7, 0x180, v20
	v_add_u32_e32 v6, 0, v5
	s_addc_u32 s37, s13, s1
	s_lshl_b64 s[0:1], s[88:89], 1
	scratch_store_dword off, v6, off offset:24 ; 4-byte Folded Spill
	scratch_store_dword off, v7, off offset:200 ; 4-byte Folded Spill
	v_lshrrev_b32_e32 v6, 5, v7
	s_add_u32 s12, s14, s0
	s_mul_i32 s88, s53, s28
	v_and_b32_e32 v6, 14, v6
	s_addc_u32 s13, s15, s1
	s_lshl_b64 s[0:1], s[88:89], 1
	v_add_lshl_u32 v6, v6, v20, 1
	s_add_u32 s0, s12, s0
	v_add_u32_e32 v8, 0x1c0, v20
	v_add_u32_e32 v7, 0, v6
	s_addc_u32 s1, s13, s1
	scratch_store_dword off, v7, off offset:28 ; 4-byte Folded Spill
	scratch_store_dword off, v8, off offset:204 ; 4-byte Folded Spill
	v_lshrrev_b32_e32 v7, 5, v8
	v_writelane_b32 v95, s0, 4
	s_mul_i32 s88, s40, s28
	v_and_b32_e32 v7, 30, v7
	v_writelane_b32 v95, s1, 5
	s_lshl_b64 s[0:1], s[88:89], 2
	v_add_lshl_u32 v7, v7, v20, 1
	s_add_u32 s0, s4, s0
	v_or_b32_e32 v9, 0x200, v20
	v_add_u32_e32 v8, 0, v7
	v_writelane_b32 v95, s0, 6
	s_addc_u32 s0, s5, s1
	s_mul_i32 s88, s42, s2
	scratch_store_dword off, v8, off offset:32 ; 4-byte Folded Spill
	scratch_store_dword off, v9, off offset:208 ; 4-byte Folded Spill
	v_lshrrev_b32_e32 v8, 5, v9
	v_writelane_b32 v95, s0, 7
	s_lshl_b64 s[0:1], s[88:89], 1
	v_and_b32_e32 v8, 18, v8
	s_add_u32 s4, s6, s0
	s_mul_i32 s88, s3, s45
	v_add_lshl_u32 v8, v8, v20, 1
	s_addc_u32 s5, s7, s1
	s_lshl_b64 s[0:1], s[88:89], 1
	v_add_u32_e32 v10, 0x240, v20
	v_add_u32_e32 v9, 0, v8
	s_add_u32 s0, s4, s0
	scratch_store_dword off, v9, off offset:36 ; 4-byte Folded Spill
	scratch_store_dword off, v10, off offset:212 ; 4-byte Folded Spill
	v_lshrrev_b32_e32 v9, 5, v10
	s_addc_u32 s1, s5, s1
	v_and_b32_e32 v9, 22, v9
	v_writelane_b32 v95, s0, 8
	v_add_lshl_u32 v9, v9, v20, 1
	v_or_b32_e32 v11, 0x280, v20
	v_writelane_b32 v95, s1, 9
	v_add_u32_e32 v10, 0, v9
	v_writelane_b32 v95, s40, 10
	scratch_store_dword off, v10, off offset:40 ; 4-byte Folded Spill
	scratch_store_dword off, v11, off offset:216 ; 4-byte Folded Spill
	v_lshrrev_b32_e32 v10, 5, v11
	v_writelane_b32 v95, s41, 11
	v_and_b32_e32 v10, 22, v10
	v_writelane_b32 v95, s42, 12
	s_mul_i32 s88, s46, s2
	v_add_lshl_u32 v10, v10, v20, 1
	v_writelane_b32 v95, s43, 13
	s_lshl_b64 s[0:1], s[88:89], 1
	v_add_u32_e32 v12, 0x2c0, v20
	v_add_u32_e32 v11, 0, v10
	v_writelane_b32 v95, s44, 14
	s_add_u32 s4, s8, s0
	s_mul_i32 s88, s3, s49
	scratch_store_dword off, v11, off offset:44 ; 4-byte Folded Spill
	scratch_store_dword off, v12, off offset:220 ; 4-byte Folded Spill
	v_lshrrev_b32_e32 v11, 5, v12
	v_writelane_b32 v95, s45, 15
	s_addc_u32 s5, s9, s1
	s_lshl_b64 s[0:1], s[88:89], 1
	v_and_b32_e32 v11, 30, v11
	v_writelane_b32 v95, s46, 16
	s_add_u32 s0, s4, s0
	v_add_lshl_u32 v11, v11, v20, 1
	v_writelane_b32 v95, s47, 17
	s_addc_u32 s1, s5, s1
	v_or_b32_e32 v13, 0x300, v20
	v_add_u32_e32 v12, 0, v11
	v_writelane_b32 v95, s0, 18
	s_mul_i32 s88, s34, s10
	scratch_store_dword off, v12, off offset:48 ; 4-byte Folded Spill
	scratch_store_dword off, v13, off offset:224 ; 4-byte Folded Spill
	v_lshrrev_b32_e32 v12, 5, v13
	v_writelane_b32 v95, s1, 19
	s_lshl_b64 s[0:1], s[88:89], 1
	v_and_b32_e32 v12, 26, v12
	s_add_u32 s3, s24, s0
	s_mul_i32 s88, s11, s28
	v_add_lshl_u32 v12, v12, v20, 1
	s_addc_u32 s4, s25, s1
	s_lshl_b64 s[0:1], s[88:89], 1
	v_add_u32_e32 v14, 0x340, v20
	v_add_u32_e32 v13, 0, v12
	s_add_u32 s0, s3, s0
	scratch_store_dword off, v13, off offset:52 ; 4-byte Folded Spill
	scratch_store_dword off, v14, off offset:228 ; 4-byte Folded Spill
	v_lshrrev_b32_e32 v13, 5, v14
	v_writelane_b32 v95, s0, 20
	s_addc_u32 s0, s4, s1
	v_and_b32_e32 v13, 30, v13
	v_writelane_b32 v95, s0, 21
	s_add_i32 s0, s38, 0x7ff
	v_add_lshl_u32 v13, v13, v20, 1
	s_lshr_b32 s1, s0, 11
	v_or_b32_e32 v15, 0x380, v20
	v_add_u32_e32 v14, 0, v13
	scratch_store_dword off, v14, off offset:56 ; 4-byte Folded Spill
	scratch_store_dword off, v15, off offset:232 ; 4-byte Folded Spill
	v_lshrrev_b32_e32 v14, 5, v15
	s_bitcmp1_b32 s17, 0
	v_and_b32_e32 v14, 30, v14
	s_cselect_b64 s[6:7], -1, 0
	s_cmp_gt_i32 s39, 0
	v_add_lshl_u32 v14, v14, v20, 1
	s_cselect_b64 s[4:5], -1, 0
	s_add_i32 s0, 0, 0x840
	v_add_u32_e32 v15, 0, v14
	v_add_u32_e32 v1, s0, v1
	;; [unrolled: 1-line block ×3, first 2 shown]
	scratch_store_dword off, v15, off offset:60 ; 4-byte Folded Spill
	scratch_store_dword off, v16, off offset:236 ; 4-byte Folded Spill
	;; [unrolled: 1-line block ×3, first 2 shown]
	v_add_u32_e32 v1, s0, v2
	scratch_store_dword off, v1, off offset:100 ; 4-byte Folded Spill
	v_add_u32_e32 v1, s0, v3
	scratch_store_dword off, v1, off offset:104 ; 4-byte Folded Spill
	;; [unrolled: 2-line block ×7, first 2 shown]
	v_add_u32_e32 v1, s0, v9
	v_lshrrev_b32_e32 v15, 5, v16
	scratch_store_dword off, v1, off offset:128 ; 4-byte Folded Spill
	v_add_u32_e32 v1, s0, v10
	v_and_b32_e32 v15, 62, v15
	scratch_store_dword off, v1, off offset:132 ; 4-byte Folded Spill
	v_add_u32_e32 v1, s0, v11
	v_add_lshl_u32 v15, v15, v20, 1
	scratch_store_dword off, v1, off offset:136 ; 4-byte Folded Spill
	v_add_u32_e32 v1, s0, v12
	v_add_u32_e32 v16, 0, v15
	v_lshrrev_b32_e32 v18, 1, v20
	scratch_store_dword off, v1, off offset:140 ; 4-byte Folded Spill
	v_add_u32_e32 v1, s0, v13
	scratch_store_dword off, v16, off offset:64 ; 4-byte Folded Spill
	v_lshlrev_b32_e32 v16, 4, v20
	v_and_b32_e32 v18, 62, v18
	v_writelane_b32 v95, s4, 22
	scratch_store_dword off, v1, off offset:144 ; 4-byte Folded Spill
	v_add_u32_e32 v1, s0, v14
	v_add_lshl_u32 v16, v18, v16, 1
	v_writelane_b32 v95, s5, 23
	scratch_store_dword off, v1, off offset:148 ; 4-byte Folded Spill
	v_add_u32_e32 v1, s0, v15
	scratch_store_dword off, v1, off offset:152 ; 4-byte Folded Spill
	v_add_u32_e32 v1, s0, v16
	v_writelane_b32 v95, s38, 24
	s_and_b32 s0, s38, 0x3ff
	s_cmp_eq_u32 s0, 0
	v_writelane_b32 v95, s39, 25
	s_cselect_b64 s[4:5], -1, 0
	scratch_store_dword off, v1, off offset:156 ; 4-byte Folded Spill
	v_writelane_b32 v95, s4, 26
	v_and_b32_e32 v1, 15, v20
	s_mul_i32 s88, s20, s2
	v_writelane_b32 v95, s5, 27
	v_cmp_ne_u32_e64 s[4:5], 0, v1
	s_add_i32 s0, s1, -1
	v_cmp_lt_u32_e64 s[84:85], 3, v1
	v_writelane_b32 v95, s4, 28
	v_and_b32_e32 v2, 64, v20
	v_lshlrev_b32_e32 v19, 4, v0
	v_writelane_b32 v95, s5, 29
	v_writelane_b32 v95, s1, 30
	s_lshl_b64 s[4:5], s[88:89], 1
	v_writelane_b32 v95, s0, 31
	s_add_u32 s0, s18, s4
	s_addc_u32 s1, s19, s5
	v_cmp_lt_u32_e64 s[4:5], 1, v1
	s_mul_i32 s88, s21, s28
	s_lshl_b64 s[16:17], s[88:89], 1
	v_writelane_b32 v95, s4, 32
	s_add_u32 s18, s0, s16
	s_mul_i32 s88, s54, s2
	v_writelane_b32 v95, s5, 33
	v_cmp_lt_u32_e64 s[4:5], 7, v1
	v_and_b32_e32 v1, 16, v20
	s_addc_u32 s19, s1, s17
	v_writelane_b32 v95, s4, 34
	s_lshl_b64 s[16:17], s[88:89], 1
	s_add_u32 s0, s26, s16
	v_writelane_b32 v95, s5, 35
	v_cmp_ne_u32_e64 s[4:5], 0, v1
	v_add_u32_e32 v1, -1, v20
	v_cmp_lt_i32_e32 vcc, v1, v2
	v_writelane_b32 v95, s4, 36
	v_cmp_gt_u32_e64 s[14:15], 64, v0
	v_cndmask_b32_e32 v1, v1, v20, vcc
	v_writelane_b32 v95, s5, 37
	v_cmp_eq_u32_e64 s[4:5], 63, v0
	v_lshlrev_b32_e32 v1, 2, v1
	s_addc_u32 s1, s27, s17
	v_cmp_eq_u32_e64 s[16:17], 0, v0
	v_mov_b32_e32 v0, v20
	scratch_store_dwordx2 off, v[0:1], off offset:172 ; 8-byte Folded Spill
	v_or_b32_e32 v0, 1, v19
	scratch_store_dword off, v0, off offset:268 ; 4-byte Folded Spill
	v_or_b32_e32 v0, 2, v19
	scratch_store_dword off, v0, off offset:272 ; 4-byte Folded Spill
	;; [unrolled: 2-line block ×5, first 2 shown]
	v_or_b32_e32 v0, 6, v19
	v_writelane_b32 v95, s4, 38
	scratch_store_dword off, v0, off offset:288 ; 4-byte Folded Spill
                                        ; implicit-def: $vgpr0
	v_add_u32_e32 v18, 0, v16
	v_writelane_b32 v95, s5, 39
	v_or_b32_e32 v0, 7, v19
	v_writelane_b32 v95, s48, 40
	s_mul_i32 s88, s55, s28
	scratch_store_dword off, v0, off offset:292 ; 4-byte Folded Spill
	v_or_b32_e32 v0, 8, v19
	v_writelane_b32 v95, s49, 41
	s_lshl_b64 s[20:21], s[88:89], 1
	scratch_store_dword off, v0, off offset:296 ; 4-byte Folded Spill
	v_or_b32_e32 v0, 9, v19
	v_writelane_b32 v95, s50, 42
	s_add_u32 s20, s0, s20
	s_mul_i32 s88, s22, s2
	scratch_store_dword off, v0, off offset:300 ; 4-byte Folded Spill
	v_or_b32_e32 v0, 10, v19
	v_writelane_b32 v95, s51, 43
	s_addc_u32 s21, s1, s21
	s_lshl_b64 s[2:3], s[88:89], 1
	scratch_store_dword off, v0, off offset:304 ; 4-byte Folded Spill
	v_or_b32_e32 v0, 11, v19
	v_writelane_b32 v95, s52, 44
	s_add_u32 s0, s30, s2
	s_mul_i32 s88, s23, s28
	scratch_store_dword off, v0, off offset:308 ; 4-byte Folded Spill
	v_or_b32_e32 v0, 12, v19
	v_writelane_b32 v95, s53, 45
	s_addc_u32 s1, s31, s3
	s_lshl_b64 s[2:3], s[88:89], 1
	scratch_store_dword off, v0, off offset:312 ; 4-byte Folded Spill
	v_or_b32_e32 v0, 13, v19
	v_writelane_b32 v95, s54, 46
	s_add_u32 s2, s0, s2
	scratch_store_dword off, v0, off offset:316 ; 4-byte Folded Spill
	v_or_b32_e32 v0, 14, v19
	v_mov_b32_e32 v17, 0
	scratch_store_dword off, v18, off offset:4 ; 4-byte Folded Spill
	scratch_store_dword off, v1, off offset:160 ; 4-byte Folded Spill
	v_lshlrev_b32_e32 v16, 1, v20
	v_writelane_b32 v95, s55, 47
	s_addc_u32 s3, s1, s3
	s_add_i32 s0, 0, 0x1088
	scratch_store_dword off, v0, off offset:320 ; 4-byte Folded Spill
	scratch_store_dword off, v19, off offset:264 ; 4-byte Folded Spill
	v_or_b32_e32 v0, 15, v19
	v_writelane_b32 v95, s0, 48
	scratch_store_dword off, v0, off offset:324 ; 4-byte Folded Spill
	v_lshl_add_u64 v[0:1], s[18:19], 0, v[16:17]
	scratch_store_dwordx2 off, v[0:1], off offset:240 ; 8-byte Folded Spill
	v_lshl_add_u64 v[0:1], s[20:21], 0, v[16:17]
	v_writelane_b32 v95, s87, 49
	scratch_store_dwordx2 off, v[0:1], off offset:248 ; 8-byte Folded Spill
	v_lshl_add_u64 v[0:1], s[2:3], 0, v[16:17]
	v_writelane_b32 v95, s6, 50
	v_cmp_lt_u32_e64 s[12:13], 31, v20
	s_mov_b32 s4, 0x41a00000
	s_mov_b32 s5, 0x3fb8aa3b
	;; [unrolled: 1-line block ×10, first 2 shown]
	v_mov_b32_e32 v39, 0x7f800000
	v_mov_b32_e32 v20, 0x42800000
	;; [unrolled: 1-line block ×3, first 2 shown]
	scratch_store_dwordx2 off, v[0:1], off offset:256 ; 8-byte Folded Spill
	v_mov_b32_e32 v0, 0x3f317218
	v_writelane_b32 v95, s7, 51
	scratch_store_dwordx2 off, v[0:1], off offset:164 ; 8-byte Folded Spill
	s_branch .LBB85_13
.LBB85_12:                              ;   in Loop: Header=BB85_13 Depth=1
	s_or_b64 exec, exec, s[2:3]
	v_readlane_b32 s0, v95, 4
	v_readlane_b32 s1, v95, 5
	s_add_u32 s0, s0, 0x800
	s_addc_u32 s1, s1, 0
	v_writelane_b32 v95, s0, 4
	s_nop 1
	v_writelane_b32 v95, s1, 5
	s_nop 0
	v_readlane_b32 s36, v95, 55
	v_readlane_b32 s37, v95, 56
	s_add_u32 s36, s36, 0x800
	s_addc_u32 s37, s37, 0
	v_readlane_b32 s0, v95, 8
	v_readlane_b32 s1, v95, 9
	s_add_u32 s0, s0, 0x800
	s_addc_u32 s1, s1, 0
	v_writelane_b32 v95, s0, 8
	s_nop 1
	v_writelane_b32 v95, s1, 9
	s_nop 0
	v_readlane_b32 s0, v95, 18
	v_readlane_b32 s1, v95, 19
	s_add_u32 s0, s0, 0x800
	s_addc_u32 s1, s1, 0
	v_writelane_b32 v95, s0, 18
	s_nop 1
	v_writelane_b32 v95, s1, 19
	s_nop 0
	v_readlane_b32 s1, v95, 52
	s_add_i32 s1, s1, 1
	v_readlane_b32 s0, v95, 30
	s_cmp_lg_u32 s1, s0
	s_cbranch_scc0 .LBB85_298
.LBB85_13:                              ; =>This Loop Header: Depth=1
                                        ;     Child Loop BB85_110 Depth 2
	s_waitcnt lgkmcnt(0)
	; wave barrier
	s_waitcnt vmcnt(63) expcnt(7) lgkmcnt(15)
	scratch_load_dwordx2 v[0:1], off, off offset:172 ; 8-byte Folded Reload
	v_writelane_b32 v95, s1, 52
	s_lshl_b32 s18, s1, 10
	v_readlane_b32 s0, v95, 24
	s_mov_b32 s2, s18
	v_readlane_b32 s1, v95, 25
	v_writelane_b32 v95, s2, 53
	s_sub_i32 s82, s0, s18
	s_waitcnt vmcnt(0) lgkmcnt(0)
	v_mov_b32_e32 v2, v0
	v_writelane_b32 v95, s3, 54
	v_lshlrev_b32_e32 v16, 1, v2
	v_writelane_b32 v95, s36, 55
	v_cmp_gt_u32_e64 s[18:19], s82, v2
	v_mov_b32_e32 v2, 0
	v_writelane_b32 v95, s37, 56
	v_lshl_add_u64 v[0:1], s[36:37], 0, v[16:17]
	s_and_saveexec_b64 s[2:3], s[18:19]
	s_cbranch_execz .LBB85_15
; %bb.14:                               ;   in Loop: Header=BB85_13 Depth=1
	global_load_ushort v2, v[0:1], off
.LBB85_15:                              ;   in Loop: Header=BB85_13 Depth=1
	s_or_b64 exec, exec, s[2:3]
	scratch_load_dword v3, off, off offset:180 ; 4-byte Folded Reload
	v_mov_b32_e32 v4, 0
	s_waitcnt vmcnt(0)
	v_cmp_gt_u32_e64 s[20:21], s82, v3
	v_mov_b32_e32 v3, 0
	s_and_saveexec_b64 s[2:3], s[20:21]
	s_cbranch_execz .LBB85_17
; %bb.16:                               ;   in Loop: Header=BB85_13 Depth=1
	global_load_ushort v4, v[0:1], off offset:128
.LBB85_17:                              ;   in Loop: Header=BB85_13 Depth=1
	s_or_b64 exec, exec, s[2:3]
	scratch_load_dword v5, off, off offset:184 ; 4-byte Folded Reload
	s_waitcnt vmcnt(0)
	v_cmp_gt_u32_e64 s[22:23], s82, v5
	s_and_saveexec_b64 s[2:3], s[22:23]
	s_cbranch_execz .LBB85_19
; %bb.18:                               ;   in Loop: Header=BB85_13 Depth=1
	global_load_ushort v3, v[0:1], off offset:256
.LBB85_19:                              ;   in Loop: Header=BB85_13 Depth=1
	s_or_b64 exec, exec, s[2:3]
	scratch_load_dword v5, off, off offset:188 ; 4-byte Folded Reload
	v_mov_b32_e32 v6, 0
	s_waitcnt vmcnt(0)
	v_cmp_gt_u32_e64 s[24:25], s82, v5
	v_mov_b32_e32 v5, 0
	s_and_saveexec_b64 s[2:3], s[24:25]
	s_cbranch_execz .LBB85_21
; %bb.20:                               ;   in Loop: Header=BB85_13 Depth=1
	global_load_ushort v6, v[0:1], off offset:384
.LBB85_21:                              ;   in Loop: Header=BB85_13 Depth=1
	s_or_b64 exec, exec, s[2:3]
	scratch_load_dword v7, off, off offset:192 ; 4-byte Folded Reload
	s_waitcnt vmcnt(0)
	v_cmp_gt_u32_e64 s[26:27], s82, v7
	s_and_saveexec_b64 s[2:3], s[26:27]
	s_cbranch_execz .LBB85_23
; %bb.22:                               ;   in Loop: Header=BB85_13 Depth=1
	global_load_ushort v5, v[0:1], off offset:512
.LBB85_23:                              ;   in Loop: Header=BB85_13 Depth=1
	;; [unrolled: 20-line block ×4, first 2 shown]
	s_or_b64 exec, exec, s[2:3]
	scratch_load_dword v10, off, off offset:212 ; 4-byte Folded Reload
	v_mov_b32_e32 v12, 0
	v_mov_b32_e32 v13, 0
	s_waitcnt vmcnt(0)
	v_cmp_gt_u32_e64 s[38:39], s82, v10
	s_and_saveexec_b64 s[2:3], s[38:39]
	s_cbranch_execz .LBB85_33
; %bb.32:                               ;   in Loop: Header=BB85_13 Depth=1
	global_load_ushort v13, v[0:1], off offset:1152
.LBB85_33:                              ;   in Loop: Header=BB85_13 Depth=1
	s_or_b64 exec, exec, s[2:3]
	scratch_load_dword v10, off, off offset:216 ; 4-byte Folded Reload
	s_waitcnt vmcnt(0)
	v_cmp_gt_u32_e64 s[40:41], s82, v10
	s_and_saveexec_b64 s[2:3], s[40:41]
	s_cbranch_execz .LBB85_35
; %bb.34:                               ;   in Loop: Header=BB85_13 Depth=1
	global_load_ushort v12, v[0:1], off offset:1280
.LBB85_35:                              ;   in Loop: Header=BB85_13 Depth=1
	s_or_b64 exec, exec, s[2:3]
	scratch_load_dword v10, off, off offset:220 ; 4-byte Folded Reload
	v_mov_b32_e32 v14, 0
	v_mov_b32_e32 v15, 0
	s_waitcnt vmcnt(0)
	v_cmp_gt_u32_e64 s[42:43], s82, v10
	s_and_saveexec_b64 s[2:3], s[42:43]
	s_cbranch_execz .LBB85_37
; %bb.36:                               ;   in Loop: Header=BB85_13 Depth=1
	global_load_ushort v15, v[0:1], off offset:1408
.LBB85_37:                              ;   in Loop: Header=BB85_13 Depth=1
	s_or_b64 exec, exec, s[2:3]
	scratch_load_dword v10, off, off offset:224 ; 4-byte Folded Reload
	s_waitcnt vmcnt(0)
	v_cmp_gt_u32_e64 s[44:45], s82, v10
	s_and_saveexec_b64 s[2:3], s[44:45]
	s_cbranch_execz .LBB85_39
; %bb.38:                               ;   in Loop: Header=BB85_13 Depth=1
	global_load_ushort v14, v[0:1], off offset:1536
.LBB85_39:                              ;   in Loop: Header=BB85_13 Depth=1
	;; [unrolled: 20-line block ×3, first 2 shown]
	s_or_b64 exec, exec, s[2:3]
	scratch_load_dword v10, off, off offset:236 ; 4-byte Folded Reload
	v_mov_b32_e32 v22, 0
	s_waitcnt vmcnt(0)
	v_cmp_gt_u32_e64 s[50:51], s82, v10
	v_mov_b32_e32 v10, 0
	s_and_saveexec_b64 s[2:3], s[50:51]
	s_cbranch_execz .LBB85_45
; %bb.44:                               ;   in Loop: Header=BB85_13 Depth=1
	global_load_ushort v22, v[0:1], off offset:1920
.LBB85_45:                              ;   in Loop: Header=BB85_13 Depth=1
	s_or_b64 exec, exec, s[2:3]
	scratch_load_dword v0, off, off         ; 4-byte Folded Reload
	v_readlane_b32 s0, v95, 4
	v_readlane_b32 s1, v95, 5
	s_waitcnt vmcnt(0)
	ds_write_b16 v0, v2
	scratch_load_dword v0, off, off offset:8 ; 4-byte Folded Reload
	s_waitcnt vmcnt(0)
	ds_write_b16 v0, v4 offset:128
	scratch_load_dword v0, off, off offset:12 ; 4-byte Folded Reload
	s_waitcnt vmcnt(0)
	ds_write_b16 v0, v3 offset:256
	;; [unrolled: 3-line block ×8, first 2 shown]
	scratch_load_dword v0, off, off offset:40 ; 4-byte Folded Reload
	v_lshl_add_u64 v[8:9], s[0:1], 0, v[16:17]
	s_waitcnt vmcnt(0)
	ds_write_b16 v0, v13 offset:1152
	scratch_load_dword v0, off, off offset:44 ; 4-byte Folded Reload
	s_waitcnt vmcnt(0)
	ds_write_b16 v0, v12 offset:1280
	scratch_load_dword v0, off, off offset:48 ; 4-byte Folded Reload
	;; [unrolled: 3-line block ×6, first 2 shown]
	s_waitcnt vmcnt(0)
	ds_write_b16 v0, v22 offset:1920
	; wave barrier
	scratch_load_dword v4, off, off offset:4 ; 4-byte Folded Reload
	s_waitcnt vmcnt(0)
	ds_read_b128 v[0:3], v4
	ds_read_b128 v[4:7], v4 offset:16
	s_waitcnt lgkmcnt(0)
	; wave barrier
	s_waitcnt lgkmcnt(0)
	s_and_saveexec_b64 s[2:3], s[18:19]
	s_cbranch_execz .LBB85_47
; %bb.46:                               ;   in Loop: Header=BB85_13 Depth=1
	global_load_ushort v10, v[8:9], off
.LBB85_47:                              ;   in Loop: Header=BB85_13 Depth=1
	s_or_b64 exec, exec, s[2:3]
	v_mov_b32_e32 v11, 0
	v_mov_b32_e32 v12, 0
	s_and_saveexec_b64 s[2:3], s[20:21]
	s_cbranch_execz .LBB85_49
; %bb.48:                               ;   in Loop: Header=BB85_13 Depth=1
	global_load_ushort v12, v[8:9], off offset:128
.LBB85_49:                              ;   in Loop: Header=BB85_13 Depth=1
	s_or_b64 exec, exec, s[2:3]
	s_and_saveexec_b64 s[2:3], s[22:23]
	s_cbranch_execz .LBB85_51
; %bb.50:                               ;   in Loop: Header=BB85_13 Depth=1
	global_load_ushort v11, v[8:9], off offset:256
.LBB85_51:                              ;   in Loop: Header=BB85_13 Depth=1
	s_or_b64 exec, exec, s[2:3]
	v_mov_b32_e32 v13, 0
	v_mov_b32_e32 v14, 0
	s_and_saveexec_b64 s[2:3], s[24:25]
	s_cbranch_execz .LBB85_53
; %bb.52:                               ;   in Loop: Header=BB85_13 Depth=1
	global_load_ushort v14, v[8:9], off offset:384
.LBB85_53:                              ;   in Loop: Header=BB85_13 Depth=1
	s_or_b64 exec, exec, s[2:3]
	s_and_saveexec_b64 s[2:3], s[26:27]
	s_cbranch_execz .LBB85_55
; %bb.54:                               ;   in Loop: Header=BB85_13 Depth=1
	global_load_ushort v13, v[8:9], off offset:512
.LBB85_55:                              ;   in Loop: Header=BB85_13 Depth=1
	;; [unrolled: 14-line block ×6, first 2 shown]
	s_or_b64 exec, exec, s[2:3]
	v_mov_b32_e32 v27, 0
	v_mov_b32_e32 v28, 0
	s_and_saveexec_b64 s[2:3], s[46:47]
	s_cbranch_execnz .LBB85_267
; %bb.72:                               ;   in Loop: Header=BB85_13 Depth=1
	s_or_b64 exec, exec, s[2:3]
	s_and_saveexec_b64 s[2:3], s[48:49]
	s_cbranch_execnz .LBB85_268
.LBB85_73:                              ;   in Loop: Header=BB85_13 Depth=1
	s_or_b64 exec, exec, s[2:3]
	v_mov_b32_e32 v29, 0
	s_and_saveexec_b64 s[2:3], s[50:51]
	s_cbranch_execz .LBB85_75
.LBB85_74:                              ;   in Loop: Header=BB85_13 Depth=1
	global_load_ushort v29, v[8:9], off offset:1920
.LBB85_75:                              ;   in Loop: Header=BB85_13 Depth=1
	s_or_b64 exec, exec, s[2:3]
	scratch_load_dword v8, off, off         ; 4-byte Folded Reload
	v_readlane_b32 s0, v95, 2
	s_waitcnt vmcnt(0)
	ds_write_b16 v8, v10
	scratch_load_dword v8, off, off offset:8 ; 4-byte Folded Reload
	s_waitcnt vmcnt(0)
	ds_write_b16 v8, v12 offset:128
	scratch_load_dword v8, off, off offset:12 ; 4-byte Folded Reload
	s_waitcnt vmcnt(0)
	ds_write_b16 v8, v11 offset:256
	;; [unrolled: 3-line block ×15, first 2 shown]
	; wave barrier
	scratch_load_dword v8, off, off offset:4 ; 4-byte Folded Reload
	s_waitcnt vmcnt(0)
	ds_read_b128 v[12:15], v8
	ds_read_b128 v[8:11], v8 offset:16
	s_waitcnt lgkmcnt(1)
	v_cvt_f32_f16_e32 v18, v12
	v_add_f32_e32 v22, s0, v18
	v_cmp_ge_f32_e32 vcc, s4, v22
	s_and_b64 s[2:3], s[6:7], vcc
	s_and_saveexec_b64 s[52:53], s[2:3]
	s_cbranch_execz .LBB85_77
; %bb.76:                               ;   in Loop: Header=BB85_13 Depth=1
	v_mul_f32_e32 v18, 0x3fb8aa3b, v22
	v_rndne_f32_e32 v19, v18
	v_sub_f32_e32 v23, v18, v19
	v_fma_f32 v18, v22, s5, -v18
	v_fmac_f32_e32 v18, 0x32a5705f, v22
	v_add_f32_e32 v18, v23, v18
	v_cvt_i32_f32_e32 v19, v19
	v_exp_f32_e32 v18, v18
	v_cmp_ngt_f32_e32 vcc, s8, v22
	v_ldexp_f32 v18, v18, v19
	s_nop 0
	v_cndmask_b32_e32 v18, 0, v18, vcc
	v_cmp_nlt_f32_e32 vcc, s9, v22
	s_nop 1
	v_cndmask_b32_e32 v36, v39, v18, vcc
	v_add_f32_e32 v22, 1.0, v36
	v_add_f32_e32 v18, -1.0, v22
	v_sub_f32_e32 v19, v18, v22
	v_add_f32_e32 v19, 1.0, v19
	v_sub_f32_e32 v18, v36, v18
	v_add_f32_e32 v23, v18, v19
	v_frexp_mant_f32_e32 v24, v22
	v_cvt_f64_f32_e32 v[18:19], v22
	v_frexp_exp_i32_f64_e32 v18, v[18:19]
	v_cmp_gt_f32_e32 vcc, s11, v24
	v_cmp_gt_f32_e64 s[2:3], s54, v36
	s_nop 0
	v_subbrev_co_u32_e32 v28, vcc, 0, v18, vcc
	v_sub_u32_e32 v18, 0, v28
	v_ldexp_f32 v19, v22, v18
	v_add_f32_e32 v22, -1.0, v19
	v_add_f32_e32 v24, 1.0, v19
	v_ldexp_f32 v18, v23, v18
	v_add_f32_e32 v23, 1.0, v22
	v_add_f32_e32 v25, -1.0, v24
	v_sub_f32_e32 v23, v19, v23
	v_sub_f32_e32 v19, v19, v25
	v_add_f32_e32 v23, v18, v23
	v_add_f32_e32 v18, v18, v19
	;; [unrolled: 1-line block ×3, first 2 shown]
	v_rcp_f32_e32 v31, v29
	v_sub_f32_e32 v19, v24, v29
	v_add_f32_e32 v30, v18, v19
	v_add_f32_e32 v19, v22, v23
	v_mul_f32_e32 v33, v19, v31
	v_sub_f32_e32 v18, v22, v19
	v_mul_f32_e32 v22, v29, v33
	v_fma_f32 v24, v33, v29, -v22
	v_fmac_f32_e32 v24, v33, v30
	v_add_f32_e32 v32, v23, v18
	v_add_f32_e32 v18, v22, v24
	v_sub_f32_e32 v23, v19, v18
	v_pk_add_f32 v[26:27], v[18:19], v[22:23] neg_lo:[0,1] neg_hi:[0,1]
	v_mov_b32_e32 v25, v18
	v_pk_add_f32 v[18:19], v[26:27], v[24:25] neg_lo:[0,1] neg_hi:[0,1]
	v_cmp_eq_f32_e32 vcc, s10, v36
	v_add_f32_e32 v19, v32, v19
	v_add_f32_e32 v18, v18, v19
	v_add_f32_e32 v19, v23, v18
	v_mul_f32_e32 v32, v31, v19
	v_mul_f32_e32 v22, v29, v32
	v_fma_f32 v24, v32, v29, -v22
	v_fmac_f32_e32 v24, v32, v30
	v_sub_f32_e32 v23, v23, v19
	v_add_f32_e32 v29, v18, v23
	v_add_f32_e32 v18, v22, v24
	v_sub_f32_e32 v23, v19, v18
	v_pk_add_f32 v[26:27], v[18:19], v[22:23] neg_lo:[0,1] neg_hi:[0,1]
	v_mov_b32_e32 v25, v18
	v_pk_add_f32 v[18:19], v[26:27], v[24:25] neg_lo:[0,1] neg_hi:[0,1]
	scratch_load_dwordx2 v[26:27], off, off offset:164 ; 8-byte Folded Reload
	v_add_f32_e32 v19, v29, v19
	v_add_f32_e32 v18, v18, v19
	;; [unrolled: 1-line block ×4, first 2 shown]
	v_sub_f32_e32 v22, v19, v33
	v_mul_f32_e32 v18, v31, v18
	v_sub_f32_e32 v22, v32, v22
	v_add_f32_e32 v22, v22, v18
	v_add_f32_e32 v24, v19, v22
	v_mul_f32_e32 v25, v24, v24
	v_mov_b32_e32 v18, 0x3ecc95a3
	v_fmamk_f32 v18, v25, 0x3e9b6dac, v18
	v_fmaak_f32 v31, v25, v18, 0x3f2aaada
	v_cvt_f32_i32_e32 v18, v28
	v_sub_f32_e32 v19, v24, v19
	v_sub_f32_e32 v19, v22, v19
	v_ldexp_f32 v23, v24, 1
	s_or_b64 vcc, s[2:3], vcc
	s_waitcnt vmcnt(0)
	v_mov_b32_e32 v30, v26
	v_ldexp_f32 v26, v19, 1
	v_mul_f32_e32 v19, v24, v25
	v_mov_b32_e32 v22, v30
	v_pk_mul_f32 v[24:25], v[18:19], v[30:31]
	scratch_store_dwordx2 off, v[22:23], off offset:164 ; 8-byte Folded Spill
	v_fma_f32 v22, v18, s33, -v24
	v_fmac_f32_e32 v22, 0xb102e308, v18
	v_pk_add_f32 v[18:19], v[24:25], v[22:23]
	s_nop 0
	v_sub_f32_e32 v23, v19, v23
	v_sub_f32_e32 v23, v25, v23
	v_add_f32_e32 v27, v26, v23
	v_mov_b32_e32 v26, v24
	v_pk_add_f32 v[24:25], v[18:19], v[24:25] neg_lo:[0,1] neg_hi:[0,1]
	v_pk_add_f32 v[28:29], v[18:19], v[26:27]
	v_mov_b32_e32 v23, v18
	v_mov_b32_e32 v25, v29
	v_pk_add_f32 v[30:31], v[22:23], v[24:25] neg_lo:[0,1] neg_hi:[0,1]
	v_pk_add_f32 v[22:23], v[22:23], v[24:25]
	v_mov_b32_e32 v26, v27
	v_mov_b32_e32 v24, v23
	v_pk_add_f32 v[32:33], v[24:25], v[18:19] neg_lo:[0,1] neg_hi:[0,1]
	v_mov_b32_e32 v22, v29
	v_mov_b32_e32 v25, v32
	v_pk_add_f32 v[34:35], v[28:29], v[24:25] neg_lo:[0,1] neg_hi:[0,1]
	v_mov_b32_e32 v28, v19
	v_mov_b32_e32 v29, v32
	;; [unrolled: 1-line block ×3, first 2 shown]
	v_pk_add_f32 v[22:23], v[22:23], v[28:29] neg_lo:[0,1] neg_hi:[0,1]
	v_mov_b32_e32 v27, v18
	v_pk_add_f32 v[18:19], v[26:27], v[22:23] neg_lo:[0,1] neg_hi:[0,1]
	v_mov_b32_e32 v34, v30
	v_pk_add_f32 v[22:23], v[34:35], v[18:19]
	s_nop 0
	v_mov_b32_e32 v26, v23
	v_pk_add_f32 v[26:27], v[22:23], v[26:27]
	s_nop 0
	v_pk_add_f32 v[24:25], v[24:25], v[26:27]
	v_mov_b32_e32 v19, v26
	v_mov_b32_e32 v23, v24
	v_pk_add_f32 v[28:29], v[22:23], v[30:31] neg_lo:[0,1] neg_hi:[0,1]
	s_nop 0
	v_sub_f32_e32 v22, v22, v28
	v_pk_add_f32 v[18:19], v[18:19], v[28:29] neg_lo:[0,1] neg_hi:[0,1]
	v_sub_f32_e32 v22, v30, v22
	v_add_f32_e32 v18, v18, v22
	v_add_f32_e32 v18, v18, v19
	;; [unrolled: 1-line block ×3, first 2 shown]
	v_cndmask_b32_e32 v22, v18, v36, vcc
.LBB85_77:                              ;   in Loop: Header=BB85_13 Depth=1
	s_or_b64 exec, exec, s[52:53]
	v_cvt_f32_f16_sdwa v12, v12 dst_sel:DWORD dst_unused:UNUSED_PAD src0_sel:WORD_1
	v_readlane_b32 s0, v95, 2
	s_nop 1
	v_add_f32_e32 v23, s0, v12
	v_cmp_ge_f32_e32 vcc, s4, v23
	s_and_b64 s[2:3], s[6:7], vcc
	s_and_saveexec_b64 s[52:53], s[2:3]
	s_cbranch_execz .LBB85_79
; %bb.78:                               ;   in Loop: Header=BB85_13 Depth=1
	v_mul_f32_e32 v12, 0x3fb8aa3b, v23
	v_rndne_f32_e32 v18, v12
	v_sub_f32_e32 v19, v12, v18
	v_fma_f32 v12, v23, s5, -v12
	v_fmac_f32_e32 v12, 0x32a5705f, v23
	v_add_f32_e32 v12, v19, v12
	v_cvt_i32_f32_e32 v18, v18
	v_exp_f32_e32 v12, v12
	v_cmp_ngt_f32_e32 vcc, s8, v23
	v_ldexp_f32 v12, v12, v18
	s_nop 0
	v_cndmask_b32_e32 v12, 0, v12, vcc
	v_cmp_nlt_f32_e32 vcc, s9, v23
	s_nop 1
	v_cndmask_b32_e32 v36, v39, v12, vcc
	v_add_f32_e32 v12, 1.0, v36
	v_add_f32_e32 v18, -1.0, v12
	v_sub_f32_e32 v19, v18, v12
	v_add_f32_e32 v19, 1.0, v19
	v_sub_f32_e32 v18, v36, v18
	v_add_f32_e32 v23, v18, v19
	v_frexp_mant_f32_e32 v24, v12
	v_cvt_f64_f32_e32 v[18:19], v12
	v_frexp_exp_i32_f64_e32 v18, v[18:19]
	v_cmp_gt_f32_e32 vcc, s11, v24
	v_cmp_gt_f32_e64 s[2:3], s54, v36
	s_nop 0
	v_subbrev_co_u32_e32 v30, vcc, 0, v18, vcc
	v_sub_u32_e32 v18, 0, v30
	v_ldexp_f32 v12, v12, v18
	v_ldexp_f32 v18, v23, v18
	v_add_f32_e32 v23, -1.0, v12
	v_add_f32_e32 v19, 1.0, v23
	v_sub_f32_e32 v19, v12, v19
	v_add_f32_e32 v24, v18, v19
	v_add_f32_e32 v19, 1.0, v12
	v_add_f32_e32 v25, -1.0, v19
	v_sub_f32_e32 v12, v12, v25
	v_add_f32_e32 v12, v18, v12
	v_add_f32_e32 v31, v19, v12
	v_rcp_f32_e32 v32, v31
	v_sub_f32_e32 v18, v19, v31
	v_add_f32_e32 v19, v23, v24
	v_add_f32_e32 v12, v12, v18
	v_sub_f32_e32 v18, v23, v19
	v_mul_f32_e32 v33, v19, v32
	v_add_f32_e32 v23, v24, v18
	v_mul_f32_e32 v24, v31, v33
	v_fma_f32 v26, v33, v31, -v24
	v_fmac_f32_e32 v26, v33, v12
	v_add_f32_e32 v18, v24, v26
	v_sub_f32_e32 v25, v19, v18
	v_pk_add_f32 v[28:29], v[18:19], v[24:25] neg_lo:[0,1] neg_hi:[0,1]
	v_mov_b32_e32 v27, v18
	v_pk_add_f32 v[18:19], v[28:29], v[26:27] neg_lo:[0,1] neg_hi:[0,1]
	v_cmp_eq_f32_e32 vcc, s10, v36
	v_add_f32_e32 v19, v23, v19
	v_add_f32_e32 v18, v18, v19
	;; [unrolled: 1-line block ×3, first 2 shown]
	v_mul_f32_e32 v23, v32, v19
	v_mul_f32_e32 v24, v31, v23
	v_fma_f32 v26, v23, v31, -v24
	v_fmac_f32_e32 v26, v23, v12
	v_sub_f32_e32 v12, v25, v19
	v_add_f32_e32 v12, v18, v12
	v_add_f32_e32 v18, v24, v26
	v_sub_f32_e32 v25, v19, v18
	v_pk_add_f32 v[28:29], v[18:19], v[24:25] neg_lo:[0,1] neg_hi:[0,1]
	v_mov_b32_e32 v27, v18
	v_pk_add_f32 v[18:19], v[28:29], v[26:27] neg_lo:[0,1] neg_hi:[0,1]
	scratch_load_dwordx2 v[26:27], off, off offset:164 ; 8-byte Folded Reload
	v_add_f32_e32 v12, v12, v19
	v_add_f32_e32 v12, v18, v12
	;; [unrolled: 1-line block ×4, first 2 shown]
	v_sub_f32_e32 v18, v19, v33
	v_mul_f32_e32 v12, v32, v12
	v_sub_f32_e32 v18, v23, v18
	v_add_f32_e32 v12, v18, v12
	v_add_f32_e32 v23, v19, v12
	v_mul_f32_e32 v24, v23, v23
	v_mov_b32_e32 v18, 0x3ecc95a3
	v_fmamk_f32 v18, v24, 0x3e9b6dac, v18
	s_waitcnt vmcnt(0)
	v_fmaak_f32 v27, v24, v18, 0x3f2aaada
	v_cvt_f32_i32_e32 v18, v30
	v_sub_f32_e32 v19, v23, v19
	v_sub_f32_e32 v12, v12, v19
	v_mul_f32_e32 v19, v23, v24
	v_ldexp_f32 v25, v23, 1
	v_ldexp_f32 v12, v12, 1
	s_or_b64 vcc, s[2:3], vcc
	v_mov_b32_e32 v24, v26
	v_pk_mul_f32 v[26:27], v[18:19], v[26:27]
	scratch_store_dwordx2 off, v[24:25], off offset:164 ; 8-byte Folded Spill
	v_fma_f32 v24, v18, s33, -v26
	v_fmac_f32_e32 v24, 0xb102e308, v18
	v_pk_add_f32 v[18:19], v[26:27], v[24:25]
	v_mov_b32_e32 v28, v26
	v_sub_f32_e32 v23, v19, v25
	v_sub_f32_e32 v23, v27, v23
	v_add_f32_e32 v29, v12, v23
	v_pk_add_f32 v[26:27], v[18:19], v[26:27] neg_lo:[0,1] neg_hi:[0,1]
	v_pk_add_f32 v[30:31], v[18:19], v[28:29]
	v_mov_b32_e32 v25, v18
	v_mov_b32_e32 v27, v31
	v_pk_add_f32 v[32:33], v[24:25], v[26:27] neg_lo:[0,1] neg_hi:[0,1]
	v_pk_add_f32 v[24:25], v[24:25], v[26:27]
	s_nop 0
	v_mov_b32_e32 v12, v25
	v_pk_add_f32 v[26:27], v[12:13], v[18:19] neg_lo:[0,1] neg_hi:[0,1]
	v_mov_b32_e32 v24, v31
	v_mov_b32_e32 v23, v26
	v_pk_add_f32 v[34:35], v[30:31], v[22:23] neg_lo:[0,1] neg_hi:[0,1]
	v_mov_b32_e32 v30, v19
	v_mov_b32_e32 v31, v26
	;; [unrolled: 1-line block ×3, first 2 shown]
	v_pk_add_f32 v[24:25], v[24:25], v[30:31] neg_lo:[0,1] neg_hi:[0,1]
	v_mov_b32_e32 v26, v29
	v_mov_b32_e32 v27, v18
	v_pk_add_f32 v[18:19], v[26:27], v[24:25] neg_lo:[0,1] neg_hi:[0,1]
	v_mov_b32_e32 v34, v32
	v_pk_add_f32 v[24:25], v[34:35], v[18:19]
	s_nop 0
	v_mov_b32_e32 v26, v25
	v_pk_add_f32 v[26:27], v[24:25], v[26:27]
	s_nop 0
	v_pk_add_f32 v[28:29], v[12:13], v[26:27]
	v_mov_b32_e32 v19, v26
	v_mov_b32_e32 v25, v28
	v_pk_add_f32 v[30:31], v[24:25], v[32:33] neg_lo:[0,1] neg_hi:[0,1]
	s_nop 0
	v_sub_f32_e32 v12, v24, v30
	v_pk_add_f32 v[18:19], v[18:19], v[30:31] neg_lo:[0,1] neg_hi:[0,1]
	v_sub_f32_e32 v12, v32, v12
	v_add_f32_e32 v12, v18, v12
	v_add_f32_e32 v12, v12, v19
	;; [unrolled: 1-line block ×3, first 2 shown]
	v_cndmask_b32_e32 v23, v12, v36, vcc
.LBB85_79:                              ;   in Loop: Header=BB85_13 Depth=1
	s_or_b64 exec, exec, s[52:53]
	v_cvt_f32_f16_e32 v12, v13
	v_readlane_b32 s0, v95, 2
	s_nop 1
	v_add_f32_e32 v24, s0, v12
	v_cmp_ge_f32_e32 vcc, s4, v24
	s_and_b64 s[2:3], s[6:7], vcc
	s_and_saveexec_b64 s[52:53], s[2:3]
	s_cbranch_execz .LBB85_81
; %bb.80:                               ;   in Loop: Header=BB85_13 Depth=1
	v_mul_f32_e32 v12, 0x3fb8aa3b, v24
	v_rndne_f32_e32 v18, v12
	v_sub_f32_e32 v19, v12, v18
	v_fma_f32 v12, v24, s5, -v12
	v_fmac_f32_e32 v12, 0x32a5705f, v24
	v_add_f32_e32 v12, v19, v12
	v_cvt_i32_f32_e32 v18, v18
	v_exp_f32_e32 v12, v12
	v_cmp_ngt_f32_e32 vcc, s8, v24
	v_ldexp_f32 v12, v12, v18
	s_nop 0
	v_cndmask_b32_e32 v12, 0, v12, vcc
	v_cmp_nlt_f32_e32 vcc, s9, v24
	s_nop 1
	v_cndmask_b32_e32 v36, v39, v12, vcc
	v_add_f32_e32 v12, 1.0, v36
	v_add_f32_e32 v18, -1.0, v12
	v_sub_f32_e32 v19, v18, v12
	v_add_f32_e32 v19, 1.0, v19
	v_sub_f32_e32 v18, v36, v18
	v_add_f32_e32 v24, v18, v19
	v_frexp_mant_f32_e32 v25, v12
	v_cvt_f64_f32_e32 v[18:19], v12
	v_frexp_exp_i32_f64_e32 v18, v[18:19]
	v_cmp_gt_f32_e32 vcc, s11, v25
	v_cmp_gt_f32_e64 s[2:3], s54, v36
	s_nop 0
	v_subbrev_co_u32_e32 v30, vcc, 0, v18, vcc
	v_sub_u32_e32 v18, 0, v30
	v_ldexp_f32 v12, v12, v18
	v_ldexp_f32 v18, v24, v18
	v_add_f32_e32 v24, -1.0, v12
	v_add_f32_e32 v19, 1.0, v24
	v_sub_f32_e32 v19, v12, v19
	v_add_f32_e32 v25, v18, v19
	v_add_f32_e32 v19, 1.0, v12
	v_add_f32_e32 v26, -1.0, v19
	v_sub_f32_e32 v12, v12, v26
	v_add_f32_e32 v12, v18, v12
	v_add_f32_e32 v31, v19, v12
	v_rcp_f32_e32 v32, v31
	v_sub_f32_e32 v18, v19, v31
	v_add_f32_e32 v19, v24, v25
	v_add_f32_e32 v12, v12, v18
	v_mul_f32_e32 v34, v19, v32
	v_sub_f32_e32 v18, v24, v19
	v_mul_f32_e32 v24, v31, v34
	v_fma_f32 v26, v34, v31, -v24
	v_fmac_f32_e32 v26, v34, v12
	v_add_f32_e32 v33, v25, v18
	v_add_f32_e32 v18, v24, v26
	v_sub_f32_e32 v25, v19, v18
	v_pk_add_f32 v[28:29], v[18:19], v[24:25] neg_lo:[0,1] neg_hi:[0,1]
	v_mov_b32_e32 v27, v18
	v_pk_add_f32 v[18:19], v[28:29], v[26:27] neg_lo:[0,1] neg_hi:[0,1]
	v_cmp_eq_f32_e32 vcc, s10, v36
	v_add_f32_e32 v19, v33, v19
	v_add_f32_e32 v18, v18, v19
	;; [unrolled: 1-line block ×3, first 2 shown]
	v_mul_f32_e32 v33, v32, v19
	v_mul_f32_e32 v24, v31, v33
	v_fma_f32 v26, v33, v31, -v24
	v_fmac_f32_e32 v26, v33, v12
	v_sub_f32_e32 v12, v25, v19
	v_add_f32_e32 v12, v18, v12
	v_add_f32_e32 v18, v24, v26
	v_sub_f32_e32 v25, v19, v18
	v_pk_add_f32 v[28:29], v[18:19], v[24:25] neg_lo:[0,1] neg_hi:[0,1]
	v_mov_b32_e32 v27, v18
	v_pk_add_f32 v[18:19], v[28:29], v[26:27] neg_lo:[0,1] neg_hi:[0,1]
	scratch_load_dwordx2 v[28:29], off, off offset:164 ; 8-byte Folded Reload
	v_add_f32_e32 v12, v12, v19
	v_add_f32_e32 v12, v18, v12
	;; [unrolled: 1-line block ×4, first 2 shown]
	v_sub_f32_e32 v18, v19, v34
	v_mul_f32_e32 v12, v32, v12
	v_sub_f32_e32 v18, v33, v18
	v_add_f32_e32 v12, v18, v12
	v_add_f32_e32 v24, v19, v12
	v_mul_f32_e32 v26, v24, v24
	v_mov_b32_e32 v18, 0x3ecc95a3
	v_fmamk_f32 v18, v26, 0x3e9b6dac, v18
	s_waitcnt vmcnt(0)
	v_fmaak_f32 v29, v26, v18, 0x3f2aaada
	v_cvt_f32_i32_e32 v18, v30
	v_sub_f32_e32 v19, v24, v19
	v_sub_f32_e32 v12, v12, v19
	v_mul_f32_e32 v19, v24, v26
	v_ldexp_f32 v25, v24, 1
	v_ldexp_f32 v12, v12, 1
	s_or_b64 vcc, s[2:3], vcc
	v_mov_b32_e32 v24, v28
	v_pk_mul_f32 v[26:27], v[18:19], v[28:29]
	scratch_store_dwordx2 off, v[24:25], off offset:164 ; 8-byte Folded Spill
	v_fma_f32 v24, v18, s33, -v26
	v_fmac_f32_e32 v24, 0xb102e308, v18
	v_pk_add_f32 v[18:19], v[26:27], v[24:25]
	v_mov_b32_e32 v28, v26
	v_sub_f32_e32 v25, v19, v25
	v_sub_f32_e32 v25, v27, v25
	v_add_f32_e32 v29, v12, v25
	v_pk_add_f32 v[26:27], v[18:19], v[26:27] neg_lo:[0,1] neg_hi:[0,1]
	v_pk_add_f32 v[30:31], v[18:19], v[28:29]
	v_mov_b32_e32 v25, v18
	v_mov_b32_e32 v27, v31
	v_pk_add_f32 v[32:33], v[24:25], v[26:27] neg_lo:[0,1] neg_hi:[0,1]
	v_pk_add_f32 v[24:25], v[24:25], v[26:27]
	s_nop 0
	v_mov_b32_e32 v12, v25
	v_pk_add_f32 v[26:27], v[12:13], v[18:19] neg_lo:[0,1] neg_hi:[0,1]
	v_mov_b32_e32 v24, v31
	v_mov_b32_e32 v27, v26
	v_pk_add_f32 v[34:35], v[30:31], v[26:27] neg_lo:[0,1] neg_hi:[0,1]
	v_mov_b32_e32 v30, v19
	v_mov_b32_e32 v31, v26
	;; [unrolled: 1-line block ×3, first 2 shown]
	v_pk_add_f32 v[24:25], v[24:25], v[30:31] neg_lo:[0,1] neg_hi:[0,1]
	v_mov_b32_e32 v26, v29
	v_mov_b32_e32 v27, v18
	v_pk_add_f32 v[18:19], v[26:27], v[24:25] neg_lo:[0,1] neg_hi:[0,1]
	v_mov_b32_e32 v34, v32
	v_pk_add_f32 v[24:25], v[34:35], v[18:19]
	s_nop 0
	v_mov_b32_e32 v26, v25
	v_pk_add_f32 v[26:27], v[24:25], v[26:27]
	s_nop 0
	v_pk_add_f32 v[28:29], v[12:13], v[26:27]
	v_mov_b32_e32 v19, v26
	v_mov_b32_e32 v25, v28
	v_pk_add_f32 v[30:31], v[24:25], v[32:33] neg_lo:[0,1] neg_hi:[0,1]
	s_nop 0
	v_sub_f32_e32 v12, v24, v30
	v_pk_add_f32 v[18:19], v[18:19], v[30:31] neg_lo:[0,1] neg_hi:[0,1]
	v_sub_f32_e32 v12, v32, v12
	v_add_f32_e32 v12, v18, v12
	v_add_f32_e32 v12, v12, v19
	;; [unrolled: 1-line block ×3, first 2 shown]
	v_cndmask_b32_e32 v24, v12, v36, vcc
.LBB85_81:                              ;   in Loop: Header=BB85_13 Depth=1
	s_or_b64 exec, exec, s[52:53]
	v_cvt_f32_f16_sdwa v12, v13 dst_sel:DWORD dst_unused:UNUSED_PAD src0_sel:WORD_1
	v_readlane_b32 s0, v95, 2
	s_nop 1
	v_add_f32_e32 v25, s0, v12
	v_cmp_ge_f32_e32 vcc, s4, v25
	s_and_b64 s[2:3], s[6:7], vcc
	s_and_saveexec_b64 s[52:53], s[2:3]
	s_cbranch_execz .LBB85_83
; %bb.82:                               ;   in Loop: Header=BB85_13 Depth=1
	v_mul_f32_e32 v12, 0x3fb8aa3b, v25
	v_rndne_f32_e32 v13, v12
	v_sub_f32_e32 v18, v12, v13
	v_fma_f32 v12, v25, s5, -v12
	v_fmac_f32_e32 v12, 0x32a5705f, v25
	v_add_f32_e32 v12, v18, v12
	v_cvt_i32_f32_e32 v13, v13
	v_exp_f32_e32 v12, v12
	v_cmp_ngt_f32_e32 vcc, s8, v25
	v_ldexp_f32 v12, v12, v13
	s_nop 0
	v_cndmask_b32_e32 v12, 0, v12, vcc
	v_cmp_nlt_f32_e32 vcc, s9, v25
	s_nop 1
	v_cndmask_b32_e32 v38, v39, v12, vcc
	v_add_f32_e32 v18, 1.0, v38
	v_add_f32_e32 v12, -1.0, v18
	v_sub_f32_e32 v13, v12, v18
	v_add_f32_e32 v13, 1.0, v13
	v_sub_f32_e32 v12, v38, v12
	v_add_f32_e32 v19, v12, v13
	v_frexp_mant_f32_e32 v25, v18
	v_cvt_f64_f32_e32 v[12:13], v18
	v_frexp_exp_i32_f64_e32 v12, v[12:13]
	v_cmp_gt_f32_e32 vcc, s11, v25
	v_cmp_gt_f32_e64 s[2:3], s54, v38
	s_nop 0
	v_subbrev_co_u32_e32 v25, vcc, 0, v12, vcc
	v_sub_u32_e32 v12, 0, v25
	v_ldexp_f32 v13, v18, v12
	v_add_f32_e32 v18, -1.0, v13
	v_add_f32_e32 v26, 1.0, v13
	v_ldexp_f32 v12, v19, v12
	v_add_f32_e32 v19, 1.0, v18
	v_add_f32_e32 v27, -1.0, v26
	v_sub_f32_e32 v19, v13, v19
	v_sub_f32_e32 v13, v13, v27
	v_add_f32_e32 v19, v12, v19
	v_add_f32_e32 v12, v12, v13
	;; [unrolled: 1-line block ×3, first 2 shown]
	v_rcp_f32_e32 v32, v30
	v_sub_f32_e32 v13, v26, v30
	v_add_f32_e32 v31, v12, v13
	v_add_f32_e32 v13, v18, v19
	v_mul_f32_e32 v34, v13, v32
	v_sub_f32_e32 v12, v18, v13
	v_mul_f32_e32 v18, v30, v34
	v_fma_f32 v26, v34, v30, -v18
	v_fmac_f32_e32 v26, v34, v31
	v_add_f32_e32 v33, v19, v12
	v_add_f32_e32 v12, v18, v26
	v_sub_f32_e32 v19, v13, v12
	v_pk_add_f32 v[28:29], v[12:13], v[18:19] neg_lo:[0,1] neg_hi:[0,1]
	v_mov_b32_e32 v27, v12
	v_pk_add_f32 v[12:13], v[28:29], v[26:27] neg_lo:[0,1] neg_hi:[0,1]
	v_cmp_eq_f32_e32 vcc, s10, v38
	v_add_f32_e32 v13, v33, v13
	v_add_f32_e32 v12, v12, v13
	;; [unrolled: 1-line block ×3, first 2 shown]
	v_mul_f32_e32 v33, v32, v13
	v_mul_f32_e32 v18, v30, v33
	v_fma_f32 v26, v33, v30, -v18
	v_fmac_f32_e32 v26, v33, v31
	v_sub_f32_e32 v19, v19, v13
	v_add_f32_e32 v30, v12, v19
	v_add_f32_e32 v12, v18, v26
	v_sub_f32_e32 v19, v13, v12
	v_pk_add_f32 v[28:29], v[12:13], v[18:19] neg_lo:[0,1] neg_hi:[0,1]
	v_mov_b32_e32 v27, v12
	v_pk_add_f32 v[12:13], v[28:29], v[26:27] neg_lo:[0,1] neg_hi:[0,1]
	scratch_load_dwordx2 v[28:29], off, off offset:164 ; 8-byte Folded Reload
	v_add_f32_e32 v13, v30, v13
	v_add_f32_e32 v12, v12, v13
	;; [unrolled: 1-line block ×4, first 2 shown]
	v_sub_f32_e32 v18, v13, v34
	v_mul_f32_e32 v12, v32, v12
	v_sub_f32_e32 v18, v33, v18
	v_add_f32_e32 v18, v18, v12
	v_add_f32_e32 v26, v13, v18
	v_mul_f32_e32 v27, v26, v26
	v_mov_b32_e32 v12, 0x3ecc95a3
	v_fmamk_f32 v12, v27, 0x3e9b6dac, v12
	s_waitcnt vmcnt(0)
	v_fmaak_f32 v29, v27, v12, 0x3f2aaada
	v_cvt_f32_i32_e32 v12, v25
	v_sub_f32_e32 v13, v26, v13
	v_sub_f32_e32 v13, v18, v13
	v_ldexp_f32 v25, v13, 1
	v_mul_f32_e32 v13, v26, v27
	v_ldexp_f32 v19, v26, 1
	s_or_b64 vcc, s[2:3], vcc
	v_mov_b32_e32 v18, v28
	v_pk_mul_f32 v[26:27], v[12:13], v[28:29]
	scratch_store_dwordx2 off, v[18:19], off offset:164 ; 8-byte Folded Spill
	v_fma_f32 v18, v12, s33, -v26
	v_fmac_f32_e32 v18, 0xb102e308, v12
	v_pk_add_f32 v[12:13], v[26:27], v[18:19]
	v_mov_b32_e32 v28, v26
	v_sub_f32_e32 v19, v13, v19
	v_sub_f32_e32 v19, v27, v19
	v_add_f32_e32 v29, v25, v19
	v_pk_add_f32 v[26:27], v[12:13], v[26:27] neg_lo:[0,1] neg_hi:[0,1]
	v_pk_add_f32 v[30:31], v[12:13], v[28:29]
	v_mov_b32_e32 v19, v12
	v_mov_b32_e32 v27, v31
	v_pk_add_f32 v[32:33], v[18:19], v[26:27] neg_lo:[0,1] neg_hi:[0,1]
	v_pk_add_f32 v[18:19], v[18:19], v[26:27]
	v_mov_b32_e32 v28, v29
	v_mov_b32_e32 v26, v19
	v_pk_add_f32 v[34:35], v[26:27], v[12:13] neg_lo:[0,1] neg_hi:[0,1]
	v_mov_b32_e32 v18, v31
	v_mov_b32_e32 v25, v34
	v_pk_add_f32 v[36:37], v[30:31], v[24:25] neg_lo:[0,1] neg_hi:[0,1]
	v_mov_b32_e32 v30, v13
	v_mov_b32_e32 v31, v34
	;; [unrolled: 1-line block ×3, first 2 shown]
	v_pk_add_f32 v[18:19], v[18:19], v[30:31] neg_lo:[0,1] neg_hi:[0,1]
	v_mov_b32_e32 v29, v12
	v_pk_add_f32 v[12:13], v[28:29], v[18:19] neg_lo:[0,1] neg_hi:[0,1]
	v_mov_b32_e32 v36, v32
	v_pk_add_f32 v[18:19], v[36:37], v[12:13]
	s_nop 0
	v_mov_b32_e32 v28, v19
	v_pk_add_f32 v[28:29], v[18:19], v[28:29]
	s_nop 0
	v_pk_add_f32 v[26:27], v[26:27], v[28:29]
	v_mov_b32_e32 v13, v28
	v_mov_b32_e32 v19, v26
	v_pk_add_f32 v[30:31], v[18:19], v[32:33] neg_lo:[0,1] neg_hi:[0,1]
	s_nop 0
	v_sub_f32_e32 v18, v18, v30
	v_pk_add_f32 v[12:13], v[12:13], v[30:31] neg_lo:[0,1] neg_hi:[0,1]
	v_sub_f32_e32 v18, v32, v18
	v_add_f32_e32 v12, v12, v18
	v_add_f32_e32 v12, v12, v13
	;; [unrolled: 1-line block ×3, first 2 shown]
	v_cndmask_b32_e32 v25, v12, v38, vcc
.LBB85_83:                              ;   in Loop: Header=BB85_13 Depth=1
	s_or_b64 exec, exec, s[52:53]
	v_cvt_f32_f16_e32 v12, v14
	v_readlane_b32 s0, v95, 2
	s_nop 1
	v_add_f32_e32 v18, s0, v12
	v_cmp_ge_f32_e32 vcc, s4, v18
	s_and_b64 s[2:3], s[6:7], vcc
	s_and_saveexec_b64 s[52:53], s[2:3]
	s_cbranch_execz .LBB85_85
; %bb.84:                               ;   in Loop: Header=BB85_13 Depth=1
	v_mul_f32_e32 v12, 0x3fb8aa3b, v18
	v_rndne_f32_e32 v13, v12
	v_sub_f32_e32 v19, v12, v13
	v_fma_f32 v12, v18, s5, -v12
	v_fmac_f32_e32 v12, 0x32a5705f, v18
	v_add_f32_e32 v12, v19, v12
	v_cvt_i32_f32_e32 v13, v13
	v_exp_f32_e32 v12, v12
	v_cmp_ngt_f32_e32 vcc, s8, v18
	v_ldexp_f32 v12, v12, v13
	s_nop 0
	v_cndmask_b32_e32 v12, 0, v12, vcc
	v_cmp_nlt_f32_e32 vcc, s9, v18
	s_nop 1
	v_cndmask_b32_e32 v38, v39, v12, vcc
	v_add_f32_e32 v18, 1.0, v38
	v_add_f32_e32 v12, -1.0, v18
	v_sub_f32_e32 v13, v12, v18
	v_add_f32_e32 v13, 1.0, v13
	v_sub_f32_e32 v12, v38, v12
	v_add_f32_e32 v19, v12, v13
	v_frexp_mant_f32_e32 v26, v18
	v_cvt_f64_f32_e32 v[12:13], v18
	v_frexp_exp_i32_f64_e32 v12, v[12:13]
	v_cmp_gt_f32_e32 vcc, s11, v26
	v_cmp_gt_f32_e64 s[2:3], s54, v38
	s_nop 0
	v_subbrev_co_u32_e32 v30, vcc, 0, v12, vcc
	v_sub_u32_e32 v12, 0, v30
	v_ldexp_f32 v13, v18, v12
	v_add_f32_e32 v18, -1.0, v13
	v_add_f32_e32 v26, 1.0, v13
	v_ldexp_f32 v12, v19, v12
	v_add_f32_e32 v19, 1.0, v18
	v_add_f32_e32 v27, -1.0, v26
	v_sub_f32_e32 v19, v13, v19
	v_sub_f32_e32 v13, v13, v27
	v_add_f32_e32 v19, v12, v19
	v_add_f32_e32 v12, v12, v13
	;; [unrolled: 1-line block ×3, first 2 shown]
	v_rcp_f32_e32 v33, v31
	v_sub_f32_e32 v13, v26, v31
	v_add_f32_e32 v32, v12, v13
	v_add_f32_e32 v13, v18, v19
	v_mul_f32_e32 v35, v13, v33
	v_sub_f32_e32 v12, v18, v13
	v_mul_f32_e32 v18, v31, v35
	v_fma_f32 v26, v35, v31, -v18
	v_fmac_f32_e32 v26, v35, v32
	v_add_f32_e32 v34, v19, v12
	v_add_f32_e32 v12, v18, v26
	v_sub_f32_e32 v19, v13, v12
	v_pk_add_f32 v[28:29], v[12:13], v[18:19] neg_lo:[0,1] neg_hi:[0,1]
	v_mov_b32_e32 v27, v12
	v_pk_add_f32 v[12:13], v[28:29], v[26:27] neg_lo:[0,1] neg_hi:[0,1]
	v_cmp_eq_f32_e32 vcc, s10, v38
	v_add_f32_e32 v13, v34, v13
	v_add_f32_e32 v12, v12, v13
	;; [unrolled: 1-line block ×3, first 2 shown]
	v_mul_f32_e32 v34, v33, v13
	v_mul_f32_e32 v18, v31, v34
	v_fma_f32 v26, v34, v31, -v18
	v_fmac_f32_e32 v26, v34, v32
	v_sub_f32_e32 v19, v19, v13
	v_add_f32_e32 v31, v12, v19
	v_add_f32_e32 v12, v18, v26
	v_sub_f32_e32 v19, v13, v12
	v_pk_add_f32 v[28:29], v[12:13], v[18:19] neg_lo:[0,1] neg_hi:[0,1]
	v_mov_b32_e32 v27, v12
	v_pk_add_f32 v[12:13], v[28:29], v[26:27] neg_lo:[0,1] neg_hi:[0,1]
	scratch_load_dwordx2 v[28:29], off, off offset:164 ; 8-byte Folded Reload
	v_add_f32_e32 v13, v31, v13
	v_add_f32_e32 v12, v12, v13
	;; [unrolled: 1-line block ×4, first 2 shown]
	v_sub_f32_e32 v18, v13, v35
	v_mul_f32_e32 v12, v33, v12
	v_sub_f32_e32 v18, v34, v18
	v_add_f32_e32 v18, v18, v12
	v_add_f32_e32 v26, v13, v18
	v_mul_f32_e32 v27, v26, v26
	v_mov_b32_e32 v12, 0x3ecc95a3
	v_fmamk_f32 v12, v27, 0x3e9b6dac, v12
	v_fmaak_f32 v33, v27, v12, 0x3f2aaada
	v_cvt_f32_i32_e32 v12, v30
	v_sub_f32_e32 v13, v26, v13
	v_sub_f32_e32 v13, v18, v13
	v_ldexp_f32 v19, v26, 1
	s_or_b64 vcc, s[2:3], vcc
	s_waitcnt vmcnt(0)
	v_mov_b32_e32 v32, v28
	v_ldexp_f32 v28, v13, 1
	v_mul_f32_e32 v13, v26, v27
	v_mov_b32_e32 v18, v32
	v_pk_mul_f32 v[26:27], v[12:13], v[32:33]
	scratch_store_dwordx2 off, v[18:19], off offset:164 ; 8-byte Folded Spill
	v_fma_f32 v18, v12, s33, -v26
	v_fmac_f32_e32 v18, 0xb102e308, v12
	v_pk_add_f32 v[12:13], v[26:27], v[18:19]
	s_nop 0
	v_sub_f32_e32 v19, v13, v19
	v_sub_f32_e32 v19, v27, v19
	v_add_f32_e32 v29, v28, v19
	v_mov_b32_e32 v28, v26
	v_pk_add_f32 v[26:27], v[12:13], v[26:27] neg_lo:[0,1] neg_hi:[0,1]
	v_pk_add_f32 v[30:31], v[12:13], v[28:29]
	v_mov_b32_e32 v19, v12
	v_mov_b32_e32 v27, v31
	v_pk_add_f32 v[32:33], v[18:19], v[26:27] neg_lo:[0,1] neg_hi:[0,1]
	v_pk_add_f32 v[18:19], v[18:19], v[26:27]
	v_mov_b32_e32 v28, v29
	v_mov_b32_e32 v26, v19
	v_pk_add_f32 v[34:35], v[26:27], v[12:13] neg_lo:[0,1] neg_hi:[0,1]
	v_mov_b32_e32 v18, v31
	v_mov_b32_e32 v27, v34
	v_pk_add_f32 v[36:37], v[30:31], v[26:27] neg_lo:[0,1] neg_hi:[0,1]
	v_mov_b32_e32 v30, v13
	v_mov_b32_e32 v31, v34
	;; [unrolled: 1-line block ×3, first 2 shown]
	v_pk_add_f32 v[18:19], v[18:19], v[30:31] neg_lo:[0,1] neg_hi:[0,1]
	v_mov_b32_e32 v29, v12
	v_pk_add_f32 v[12:13], v[28:29], v[18:19] neg_lo:[0,1] neg_hi:[0,1]
	v_mov_b32_e32 v36, v32
	v_pk_add_f32 v[18:19], v[36:37], v[12:13]
	s_nop 0
	v_mov_b32_e32 v28, v19
	v_pk_add_f32 v[28:29], v[18:19], v[28:29]
	s_nop 0
	v_pk_add_f32 v[26:27], v[26:27], v[28:29]
	v_mov_b32_e32 v13, v28
	v_mov_b32_e32 v19, v26
	v_pk_add_f32 v[30:31], v[18:19], v[32:33] neg_lo:[0,1] neg_hi:[0,1]
	s_nop 0
	v_sub_f32_e32 v18, v18, v30
	v_pk_add_f32 v[12:13], v[12:13], v[30:31] neg_lo:[0,1] neg_hi:[0,1]
	v_sub_f32_e32 v18, v32, v18
	v_add_f32_e32 v12, v12, v18
	v_add_f32_e32 v12, v12, v13
	;; [unrolled: 1-line block ×3, first 2 shown]
	v_cndmask_b32_e32 v18, v12, v38, vcc
.LBB85_85:                              ;   in Loop: Header=BB85_13 Depth=1
	s_or_b64 exec, exec, s[52:53]
	v_cvt_f32_f16_sdwa v12, v14 dst_sel:DWORD dst_unused:UNUSED_PAD src0_sel:WORD_1
	v_readlane_b32 s0, v95, 2
	s_nop 1
	v_add_f32_e32 v74, s0, v12
	v_cmp_ge_f32_e32 vcc, s4, v74
	s_and_b64 s[2:3], s[6:7], vcc
	s_and_saveexec_b64 s[52:53], s[2:3]
	s_cbranch_execz .LBB85_87
; %bb.86:                               ;   in Loop: Header=BB85_13 Depth=1
	v_mul_f32_e32 v12, 0x3fb8aa3b, v74
	v_rndne_f32_e32 v13, v12
	v_sub_f32_e32 v14, v12, v13
	v_fma_f32 v12, v74, s5, -v12
	v_fmac_f32_e32 v12, 0x32a5705f, v74
	v_add_f32_e32 v12, v14, v12
	v_cvt_i32_f32_e32 v13, v13
	v_exp_f32_e32 v12, v12
	v_cmp_ngt_f32_e32 vcc, s8, v74
	v_ldexp_f32 v12, v12, v13
	s_nop 0
	v_cndmask_b32_e32 v12, 0, v12, vcc
	v_cmp_nlt_f32_e32 vcc, s9, v74
	s_nop 1
	v_cndmask_b32_e32 v38, v39, v12, vcc
	v_add_f32_e32 v14, 1.0, v38
	v_add_f32_e32 v12, -1.0, v14
	v_sub_f32_e32 v13, v12, v14
	v_add_f32_e32 v13, 1.0, v13
	v_sub_f32_e32 v12, v38, v12
	v_add_f32_e32 v19, v12, v13
	v_frexp_mant_f32_e32 v26, v14
	v_cvt_f64_f32_e32 v[12:13], v14
	v_frexp_exp_i32_f64_e32 v12, v[12:13]
	v_cmp_gt_f32_e32 vcc, s11, v26
	v_cmp_gt_f32_e64 s[2:3], s54, v38
	s_nop 0
	v_subbrev_co_u32_e32 v32, vcc, 0, v12, vcc
	v_sub_u32_e32 v12, 0, v32
	v_ldexp_f32 v13, v14, v12
	v_add_f32_e32 v14, -1.0, v13
	v_add_f32_e32 v26, 1.0, v13
	v_ldexp_f32 v12, v19, v12
	v_add_f32_e32 v19, 1.0, v14
	v_add_f32_e32 v27, -1.0, v26
	v_sub_f32_e32 v19, v13, v19
	v_sub_f32_e32 v13, v13, v27
	v_add_f32_e32 v19, v12, v19
	v_add_f32_e32 v12, v12, v13
	;; [unrolled: 1-line block ×3, first 2 shown]
	v_rcp_f32_e32 v35, v33
	v_sub_f32_e32 v13, v26, v33
	v_add_f32_e32 v34, v12, v13
	v_add_f32_e32 v13, v14, v19
	v_sub_f32_e32 v12, v14, v13
	v_add_f32_e32 v14, v19, v12
	v_mul_f32_e32 v19, v13, v35
	v_mul_f32_e32 v26, v33, v19
	v_fma_f32 v28, v19, v33, -v26
	v_fmac_f32_e32 v28, v19, v34
	v_add_f32_e32 v12, v26, v28
	v_sub_f32_e32 v27, v13, v12
	v_pk_add_f32 v[30:31], v[12:13], v[26:27] neg_lo:[0,1] neg_hi:[0,1]
	v_mov_b32_e32 v29, v12
	v_pk_add_f32 v[12:13], v[30:31], v[28:29] neg_lo:[0,1] neg_hi:[0,1]
	v_cmp_eq_f32_e32 vcc, s10, v38
	v_add_f32_e32 v13, v14, v13
	v_add_f32_e32 v12, v12, v13
	;; [unrolled: 1-line block ×3, first 2 shown]
	v_mul_f32_e32 v14, v35, v13
	v_mul_f32_e32 v26, v33, v14
	v_fma_f32 v28, v14, v33, -v26
	v_fmac_f32_e32 v28, v14, v34
	v_sub_f32_e32 v27, v27, v13
	v_add_f32_e32 v33, v12, v27
	v_add_f32_e32 v12, v26, v28
	v_sub_f32_e32 v27, v13, v12
	v_pk_add_f32 v[30:31], v[12:13], v[26:27] neg_lo:[0,1] neg_hi:[0,1]
	v_mov_b32_e32 v29, v12
	v_pk_add_f32 v[12:13], v[30:31], v[28:29] neg_lo:[0,1] neg_hi:[0,1]
	scratch_load_dwordx2 v[28:29], off, off offset:164 ; 8-byte Folded Reload
	v_add_f32_e32 v13, v33, v13
	v_add_f32_e32 v12, v12, v13
	;; [unrolled: 1-line block ×4, first 2 shown]
	v_sub_f32_e32 v19, v13, v19
	v_mul_f32_e32 v12, v35, v12
	v_sub_f32_e32 v14, v14, v19
	v_add_f32_e32 v14, v14, v12
	v_add_f32_e32 v19, v13, v14
	v_mul_f32_e32 v26, v19, v19
	v_mov_b32_e32 v12, 0x3ecc95a3
	v_fmamk_f32 v12, v26, 0x3e9b6dac, v12
	s_waitcnt vmcnt(0)
	v_fmaak_f32 v29, v26, v12, 0x3f2aaada
	v_cvt_f32_i32_e32 v12, v32
	v_sub_f32_e32 v13, v19, v13
	v_sub_f32_e32 v13, v14, v13
	v_ldexp_f32 v14, v13, 1
	v_mul_f32_e32 v13, v19, v26
	v_ldexp_f32 v27, v19, 1
	s_or_b64 vcc, s[2:3], vcc
	v_mov_b32_e32 v26, v28
	v_pk_mul_f32 v[28:29], v[12:13], v[28:29]
	scratch_store_dwordx2 off, v[26:27], off offset:164 ; 8-byte Folded Spill
	v_fma_f32 v26, v12, s33, -v28
	v_fmac_f32_e32 v26, 0xb102e308, v12
	v_pk_add_f32 v[12:13], v[28:29], v[26:27]
	v_mov_b32_e32 v30, v28
	v_sub_f32_e32 v19, v13, v27
	v_sub_f32_e32 v19, v29, v19
	v_add_f32_e32 v31, v14, v19
	v_pk_add_f32 v[28:29], v[12:13], v[28:29] neg_lo:[0,1] neg_hi:[0,1]
	v_pk_add_f32 v[32:33], v[12:13], v[30:31]
	v_mov_b32_e32 v27, v12
	v_mov_b32_e32 v29, v33
	v_pk_add_f32 v[34:35], v[26:27], v[28:29] neg_lo:[0,1] neg_hi:[0,1]
	v_pk_add_f32 v[26:27], v[26:27], v[28:29]
	s_nop 0
	v_mov_b32_e32 v14, v27
	v_pk_add_f32 v[28:29], v[14:15], v[12:13] neg_lo:[0,1] neg_hi:[0,1]
	v_mov_b32_e32 v26, v33
	v_mov_b32_e32 v19, v28
	v_pk_add_f32 v[36:37], v[32:33], v[18:19] neg_lo:[0,1] neg_hi:[0,1]
	v_mov_b32_e32 v32, v13
	v_mov_b32_e32 v33, v28
	;; [unrolled: 1-line block ×3, first 2 shown]
	v_pk_add_f32 v[26:27], v[26:27], v[32:33] neg_lo:[0,1] neg_hi:[0,1]
	v_mov_b32_e32 v28, v31
	v_mov_b32_e32 v29, v12
	v_pk_add_f32 v[12:13], v[28:29], v[26:27] neg_lo:[0,1] neg_hi:[0,1]
	v_mov_b32_e32 v36, v34
	v_pk_add_f32 v[26:27], v[36:37], v[12:13]
	s_nop 0
	v_mov_b32_e32 v28, v27
	v_pk_add_f32 v[28:29], v[26:27], v[28:29]
	s_nop 0
	v_pk_add_f32 v[30:31], v[14:15], v[28:29]
	v_mov_b32_e32 v13, v28
	v_mov_b32_e32 v27, v30
	v_pk_add_f32 v[32:33], v[26:27], v[34:35] neg_lo:[0,1] neg_hi:[0,1]
	s_nop 0
	v_sub_f32_e32 v14, v26, v32
	v_pk_add_f32 v[12:13], v[12:13], v[32:33] neg_lo:[0,1] neg_hi:[0,1]
	v_sub_f32_e32 v14, v34, v14
	v_add_f32_e32 v12, v12, v14
	v_add_f32_e32 v12, v12, v13
	;; [unrolled: 1-line block ×3, first 2 shown]
	v_cndmask_b32_e32 v74, v12, v38, vcc
.LBB85_87:                              ;   in Loop: Header=BB85_13 Depth=1
	s_or_b64 exec, exec, s[52:53]
	v_cvt_f32_f16_e32 v12, v15
	v_readlane_b32 s0, v95, 2
	s_nop 1
	v_add_f32_e32 v92, s0, v12
	v_cmp_ge_f32_e32 vcc, s4, v92
	s_and_b64 s[2:3], s[6:7], vcc
	s_and_saveexec_b64 s[52:53], s[2:3]
	s_cbranch_execz .LBB85_89
; %bb.88:                               ;   in Loop: Header=BB85_13 Depth=1
	v_mul_f32_e32 v12, 0x3fb8aa3b, v92
	v_rndne_f32_e32 v13, v12
	v_sub_f32_e32 v14, v12, v13
	v_fma_f32 v12, v92, s5, -v12
	v_fmac_f32_e32 v12, 0x32a5705f, v92
	v_add_f32_e32 v12, v14, v12
	v_cvt_i32_f32_e32 v13, v13
	v_exp_f32_e32 v12, v12
	v_cmp_ngt_f32_e32 vcc, s8, v92
	v_ldexp_f32 v12, v12, v13
	s_nop 0
	v_cndmask_b32_e32 v12, 0, v12, vcc
	v_cmp_nlt_f32_e32 vcc, s9, v92
	s_nop 1
	v_cndmask_b32_e32 v38, v39, v12, vcc
	v_add_f32_e32 v14, 1.0, v38
	v_add_f32_e32 v12, -1.0, v14
	v_sub_f32_e32 v13, v12, v14
	v_add_f32_e32 v13, 1.0, v13
	v_sub_f32_e32 v12, v38, v12
	v_add_f32_e32 v19, v12, v13
	v_frexp_mant_f32_e32 v26, v14
	v_cvt_f64_f32_e32 v[12:13], v14
	v_frexp_exp_i32_f64_e32 v12, v[12:13]
	v_cmp_gt_f32_e32 vcc, s11, v26
	v_cmp_gt_f32_e64 s[2:3], s54, v38
	s_nop 0
	v_subbrev_co_u32_e32 v32, vcc, 0, v12, vcc
	v_sub_u32_e32 v12, 0, v32
	v_ldexp_f32 v13, v14, v12
	v_add_f32_e32 v14, -1.0, v13
	v_add_f32_e32 v26, 1.0, v13
	v_ldexp_f32 v12, v19, v12
	v_add_f32_e32 v19, 1.0, v14
	v_add_f32_e32 v27, -1.0, v26
	v_sub_f32_e32 v19, v13, v19
	v_sub_f32_e32 v13, v13, v27
	v_add_f32_e32 v19, v12, v19
	v_add_f32_e32 v12, v12, v13
	v_add_f32_e32 v33, v26, v12
	v_rcp_f32_e32 v35, v33
	v_sub_f32_e32 v13, v26, v33
	v_add_f32_e32 v34, v12, v13
	v_add_f32_e32 v13, v14, v19
	v_sub_f32_e32 v12, v14, v13
	v_add_f32_e32 v14, v19, v12
	v_mul_f32_e32 v19, v13, v35
	v_mul_f32_e32 v26, v33, v19
	v_fma_f32 v28, v19, v33, -v26
	v_fmac_f32_e32 v28, v19, v34
	v_add_f32_e32 v12, v26, v28
	v_sub_f32_e32 v27, v13, v12
	v_pk_add_f32 v[30:31], v[12:13], v[26:27] neg_lo:[0,1] neg_hi:[0,1]
	v_mov_b32_e32 v29, v12
	v_pk_add_f32 v[12:13], v[30:31], v[28:29] neg_lo:[0,1] neg_hi:[0,1]
	v_cmp_eq_f32_e32 vcc, s10, v38
	v_add_f32_e32 v13, v14, v13
	v_add_f32_e32 v12, v12, v13
	v_add_f32_e32 v13, v27, v12
	v_mul_f32_e32 v14, v35, v13
	v_mul_f32_e32 v26, v33, v14
	v_fma_f32 v28, v14, v33, -v26
	v_fmac_f32_e32 v28, v14, v34
	v_sub_f32_e32 v27, v27, v13
	v_add_f32_e32 v33, v12, v27
	v_add_f32_e32 v12, v26, v28
	v_sub_f32_e32 v27, v13, v12
	v_pk_add_f32 v[30:31], v[12:13], v[26:27] neg_lo:[0,1] neg_hi:[0,1]
	v_mov_b32_e32 v29, v12
	v_pk_add_f32 v[12:13], v[30:31], v[28:29] neg_lo:[0,1] neg_hi:[0,1]
	scratch_load_dwordx2 v[28:29], off, off offset:164 ; 8-byte Folded Reload
	v_add_f32_e32 v13, v33, v13
	v_add_f32_e32 v12, v12, v13
	;; [unrolled: 1-line block ×4, first 2 shown]
	v_sub_f32_e32 v19, v13, v19
	v_mul_f32_e32 v12, v35, v12
	v_sub_f32_e32 v14, v14, v19
	v_add_f32_e32 v14, v14, v12
	v_add_f32_e32 v19, v13, v14
	v_mul_f32_e32 v26, v19, v19
	v_mov_b32_e32 v12, 0x3ecc95a3
	v_fmamk_f32 v12, v26, 0x3e9b6dac, v12
	s_waitcnt vmcnt(0)
	v_fmaak_f32 v29, v26, v12, 0x3f2aaada
	v_cvt_f32_i32_e32 v12, v32
	v_sub_f32_e32 v13, v19, v13
	v_sub_f32_e32 v13, v14, v13
	v_ldexp_f32 v14, v13, 1
	v_mul_f32_e32 v13, v19, v26
	v_ldexp_f32 v27, v19, 1
	s_or_b64 vcc, s[2:3], vcc
	v_mov_b32_e32 v26, v28
	v_pk_mul_f32 v[28:29], v[12:13], v[28:29]
	scratch_store_dwordx2 off, v[26:27], off offset:164 ; 8-byte Folded Spill
	v_fma_f32 v26, v12, s33, -v28
	v_fmac_f32_e32 v26, 0xb102e308, v12
	v_pk_add_f32 v[12:13], v[28:29], v[26:27]
	v_mov_b32_e32 v30, v28
	v_sub_f32_e32 v19, v13, v27
	v_sub_f32_e32 v19, v29, v19
	v_add_f32_e32 v31, v14, v19
	v_pk_add_f32 v[28:29], v[12:13], v[28:29] neg_lo:[0,1] neg_hi:[0,1]
	v_pk_add_f32 v[32:33], v[12:13], v[30:31]
	v_mov_b32_e32 v27, v12
	v_mov_b32_e32 v29, v33
	v_pk_add_f32 v[34:35], v[26:27], v[28:29] neg_lo:[0,1] neg_hi:[0,1]
	v_pk_add_f32 v[26:27], v[26:27], v[28:29]
	s_nop 0
	v_mov_b32_e32 v14, v27
	v_pk_add_f32 v[28:29], v[14:15], v[12:13] neg_lo:[0,1] neg_hi:[0,1]
	v_mov_b32_e32 v26, v33
	v_mov_b32_e32 v19, v28
	v_pk_add_f32 v[36:37], v[32:33], v[18:19] neg_lo:[0,1] neg_hi:[0,1]
	v_mov_b32_e32 v32, v13
	v_mov_b32_e32 v33, v28
	;; [unrolled: 1-line block ×3, first 2 shown]
	v_pk_add_f32 v[26:27], v[26:27], v[32:33] neg_lo:[0,1] neg_hi:[0,1]
	v_mov_b32_e32 v28, v31
	v_mov_b32_e32 v29, v12
	v_pk_add_f32 v[12:13], v[28:29], v[26:27] neg_lo:[0,1] neg_hi:[0,1]
	v_mov_b32_e32 v36, v34
	v_pk_add_f32 v[26:27], v[36:37], v[12:13]
	s_nop 0
	v_mov_b32_e32 v28, v27
	v_pk_add_f32 v[28:29], v[26:27], v[28:29]
	s_nop 0
	v_pk_add_f32 v[30:31], v[14:15], v[28:29]
	v_mov_b32_e32 v13, v28
	v_mov_b32_e32 v27, v30
	v_pk_add_f32 v[32:33], v[26:27], v[34:35] neg_lo:[0,1] neg_hi:[0,1]
	s_nop 0
	v_sub_f32_e32 v14, v26, v32
	v_pk_add_f32 v[12:13], v[12:13], v[32:33] neg_lo:[0,1] neg_hi:[0,1]
	v_sub_f32_e32 v14, v34, v14
	v_add_f32_e32 v12, v12, v14
	v_add_f32_e32 v12, v12, v13
	;; [unrolled: 1-line block ×3, first 2 shown]
	v_cndmask_b32_e32 v92, v12, v38, vcc
.LBB85_89:                              ;   in Loop: Header=BB85_13 Depth=1
	s_or_b64 exec, exec, s[52:53]
	v_cvt_f32_f16_sdwa v12, v15 dst_sel:DWORD dst_unused:UNUSED_PAD src0_sel:WORD_1
	v_readlane_b32 s0, v95, 2
	s_nop 1
	v_add_f32_e32 v93, s0, v12
	v_cmp_ge_f32_e32 vcc, s4, v93
	s_and_b64 s[2:3], s[6:7], vcc
	s_and_saveexec_b64 s[52:53], s[2:3]
	s_cbranch_execz .LBB85_91
; %bb.90:                               ;   in Loop: Header=BB85_13 Depth=1
	v_mul_f32_e32 v12, 0x3fb8aa3b, v93
	v_rndne_f32_e32 v13, v12
	v_sub_f32_e32 v14, v12, v13
	v_fma_f32 v12, v93, s5, -v12
	v_fmac_f32_e32 v12, 0x32a5705f, v93
	v_add_f32_e32 v12, v14, v12
	v_cvt_i32_f32_e32 v13, v13
	v_exp_f32_e32 v12, v12
	v_cmp_ngt_f32_e32 vcc, s8, v93
	v_ldexp_f32 v12, v12, v13
	s_nop 0
	v_cndmask_b32_e32 v12, 0, v12, vcc
	v_cmp_nlt_f32_e32 vcc, s9, v93
	s_nop 1
	v_cndmask_b32_e32 v38, v39, v12, vcc
	v_add_f32_e32 v14, 1.0, v38
	v_add_f32_e32 v12, -1.0, v14
	v_sub_f32_e32 v13, v12, v14
	v_add_f32_e32 v13, 1.0, v13
	v_sub_f32_e32 v12, v38, v12
	v_add_f32_e32 v15, v12, v13
	v_frexp_mant_f32_e32 v19, v14
	v_cvt_f64_f32_e32 v[12:13], v14
	v_frexp_exp_i32_f64_e32 v12, v[12:13]
	v_cmp_gt_f32_e32 vcc, s11, v19
	v_cmp_gt_f32_e64 s[2:3], s54, v38
	s_nop 0
	v_subbrev_co_u32_e32 v19, vcc, 0, v12, vcc
	v_sub_u32_e32 v12, 0, v19
	v_ldexp_f32 v13, v14, v12
	v_add_f32_e32 v14, -1.0, v13
	v_add_f32_e32 v26, 1.0, v13
	v_ldexp_f32 v12, v15, v12
	v_add_f32_e32 v15, 1.0, v14
	v_add_f32_e32 v27, -1.0, v26
	v_sub_f32_e32 v15, v13, v15
	v_sub_f32_e32 v13, v13, v27
	v_add_f32_e32 v15, v12, v15
	v_add_f32_e32 v12, v12, v13
	;; [unrolled: 1-line block ×3, first 2 shown]
	v_rcp_f32_e32 v32, v30
	v_sub_f32_e32 v13, v26, v30
	v_add_f32_e32 v31, v12, v13
	v_add_f32_e32 v13, v14, v15
	v_mul_f32_e32 v34, v13, v32
	v_sub_f32_e32 v12, v14, v13
	v_mul_f32_e32 v14, v30, v34
	v_fma_f32 v26, v34, v30, -v14
	v_fmac_f32_e32 v26, v34, v31
	v_add_f32_e32 v33, v15, v12
	v_add_f32_e32 v12, v14, v26
	v_sub_f32_e32 v15, v13, v12
	v_pk_add_f32 v[28:29], v[12:13], v[14:15] neg_lo:[0,1] neg_hi:[0,1]
	v_mov_b32_e32 v27, v12
	v_pk_add_f32 v[12:13], v[28:29], v[26:27] neg_lo:[0,1] neg_hi:[0,1]
	v_cmp_eq_f32_e32 vcc, s10, v38
	v_add_f32_e32 v13, v33, v13
	v_add_f32_e32 v12, v12, v13
	;; [unrolled: 1-line block ×3, first 2 shown]
	v_mul_f32_e32 v33, v32, v13
	v_mul_f32_e32 v14, v30, v33
	v_fma_f32 v26, v33, v30, -v14
	v_fmac_f32_e32 v26, v33, v31
	v_sub_f32_e32 v15, v15, v13
	v_add_f32_e32 v30, v12, v15
	v_add_f32_e32 v12, v14, v26
	v_sub_f32_e32 v15, v13, v12
	v_pk_add_f32 v[28:29], v[12:13], v[14:15] neg_lo:[0,1] neg_hi:[0,1]
	v_mov_b32_e32 v27, v12
	v_pk_add_f32 v[12:13], v[28:29], v[26:27] neg_lo:[0,1] neg_hi:[0,1]
	scratch_load_dwordx2 v[28:29], off, off offset:164 ; 8-byte Folded Reload
	v_add_f32_e32 v13, v30, v13
	v_add_f32_e32 v12, v12, v13
	;; [unrolled: 1-line block ×4, first 2 shown]
	v_sub_f32_e32 v14, v13, v34
	v_mul_f32_e32 v12, v32, v12
	v_sub_f32_e32 v14, v33, v14
	v_add_f32_e32 v14, v14, v12
	v_add_f32_e32 v26, v13, v14
	v_mul_f32_e32 v27, v26, v26
	v_mov_b32_e32 v12, 0x3ecc95a3
	v_fmamk_f32 v12, v27, 0x3e9b6dac, v12
	s_waitcnt vmcnt(0)
	v_fmaak_f32 v29, v27, v12, 0x3f2aaada
	v_cvt_f32_i32_e32 v12, v19
	v_sub_f32_e32 v13, v26, v13
	v_sub_f32_e32 v13, v14, v13
	v_ldexp_f32 v19, v13, 1
	v_mul_f32_e32 v13, v26, v27
	v_ldexp_f32 v15, v26, 1
	s_or_b64 vcc, s[2:3], vcc
	v_mov_b32_e32 v14, v28
	v_pk_mul_f32 v[26:27], v[12:13], v[28:29]
	scratch_store_dwordx2 off, v[14:15], off offset:164 ; 8-byte Folded Spill
	v_fma_f32 v14, v12, s33, -v26
	v_fmac_f32_e32 v14, 0xb102e308, v12
	v_pk_add_f32 v[12:13], v[26:27], v[14:15]
	v_mov_b32_e32 v28, v26
	v_sub_f32_e32 v15, v13, v15
	v_sub_f32_e32 v15, v27, v15
	v_add_f32_e32 v29, v19, v15
	v_pk_add_f32 v[26:27], v[12:13], v[26:27] neg_lo:[0,1] neg_hi:[0,1]
	v_pk_add_f32 v[30:31], v[12:13], v[28:29]
	v_mov_b32_e32 v15, v12
	v_mov_b32_e32 v27, v31
	v_pk_add_f32 v[32:33], v[14:15], v[26:27] neg_lo:[0,1] neg_hi:[0,1]
	v_pk_add_f32 v[14:15], v[14:15], v[26:27]
	v_mov_b32_e32 v28, v29
	v_mov_b32_e32 v26, v15
	v_pk_add_f32 v[34:35], v[26:27], v[12:13] neg_lo:[0,1] neg_hi:[0,1]
	v_mov_b32_e32 v14, v31
	v_mov_b32_e32 v19, v34
	v_pk_add_f32 v[36:37], v[30:31], v[18:19] neg_lo:[0,1] neg_hi:[0,1]
	v_mov_b32_e32 v30, v13
	v_mov_b32_e32 v31, v34
	;; [unrolled: 1-line block ×3, first 2 shown]
	v_pk_add_f32 v[14:15], v[14:15], v[30:31] neg_lo:[0,1] neg_hi:[0,1]
	v_mov_b32_e32 v29, v12
	v_pk_add_f32 v[12:13], v[28:29], v[14:15] neg_lo:[0,1] neg_hi:[0,1]
	v_mov_b32_e32 v36, v32
	v_pk_add_f32 v[14:15], v[36:37], v[12:13]
	s_nop 0
	v_mov_b32_e32 v28, v15
	v_pk_add_f32 v[28:29], v[14:15], v[28:29]
	s_nop 0
	v_pk_add_f32 v[26:27], v[26:27], v[28:29]
	v_mov_b32_e32 v13, v28
	v_mov_b32_e32 v15, v26
	v_pk_add_f32 v[30:31], v[14:15], v[32:33] neg_lo:[0,1] neg_hi:[0,1]
	s_nop 0
	v_sub_f32_e32 v14, v14, v30
	v_pk_add_f32 v[12:13], v[12:13], v[30:31] neg_lo:[0,1] neg_hi:[0,1]
	v_sub_f32_e32 v14, v32, v14
	v_add_f32_e32 v12, v12, v14
	v_add_f32_e32 v12, v12, v13
	;; [unrolled: 1-line block ×3, first 2 shown]
	v_cndmask_b32_e32 v93, v12, v38, vcc
.LBB85_91:                              ;   in Loop: Header=BB85_13 Depth=1
	s_or_b64 exec, exec, s[52:53]
	s_waitcnt lgkmcnt(0)
	v_cvt_f32_f16_e32 v12, v8
	v_readlane_b32 s0, v95, 2
	s_nop 1
	v_add_f32_e32 v94, s0, v12
	v_cmp_ge_f32_e32 vcc, s4, v94
	s_and_b64 s[2:3], s[6:7], vcc
	s_and_saveexec_b64 s[52:53], s[2:3]
	s_cbranch_execz .LBB85_93
; %bb.92:                               ;   in Loop: Header=BB85_13 Depth=1
	v_mul_f32_e32 v12, 0x3fb8aa3b, v94
	v_rndne_f32_e32 v13, v12
	v_sub_f32_e32 v14, v12, v13
	v_fma_f32 v12, v94, s5, -v12
	v_fmac_f32_e32 v12, 0x32a5705f, v94
	v_add_f32_e32 v12, v14, v12
	v_cvt_i32_f32_e32 v13, v13
	v_exp_f32_e32 v12, v12
	v_cmp_ngt_f32_e32 vcc, s8, v94
	v_ldexp_f32 v12, v12, v13
	s_nop 0
	v_cndmask_b32_e32 v12, 0, v12, vcc
	v_cmp_nlt_f32_e32 vcc, s9, v94
	s_nop 1
	v_cndmask_b32_e32 v38, v39, v12, vcc
	v_add_f32_e32 v14, 1.0, v38
	v_add_f32_e32 v12, -1.0, v14
	v_sub_f32_e32 v13, v12, v14
	v_add_f32_e32 v13, 1.0, v13
	v_sub_f32_e32 v12, v38, v12
	v_add_f32_e32 v15, v12, v13
	v_frexp_mant_f32_e32 v19, v14
	v_cvt_f64_f32_e32 v[12:13], v14
	v_frexp_exp_i32_f64_e32 v12, v[12:13]
	v_cmp_gt_f32_e32 vcc, s11, v19
	v_cmp_gt_f32_e64 s[2:3], s54, v38
	s_nop 0
	v_subbrev_co_u32_e32 v19, vcc, 0, v12, vcc
	v_sub_u32_e32 v12, 0, v19
	v_ldexp_f32 v13, v14, v12
	v_add_f32_e32 v14, -1.0, v13
	v_add_f32_e32 v26, 1.0, v13
	v_ldexp_f32 v12, v15, v12
	v_add_f32_e32 v15, 1.0, v14
	v_add_f32_e32 v27, -1.0, v26
	v_sub_f32_e32 v15, v13, v15
	v_sub_f32_e32 v13, v13, v27
	v_add_f32_e32 v15, v12, v15
	v_add_f32_e32 v12, v12, v13
	;; [unrolled: 1-line block ×3, first 2 shown]
	v_rcp_f32_e32 v32, v30
	v_sub_f32_e32 v13, v26, v30
	v_add_f32_e32 v31, v12, v13
	v_add_f32_e32 v13, v14, v15
	v_mul_f32_e32 v34, v13, v32
	v_sub_f32_e32 v12, v14, v13
	v_mul_f32_e32 v14, v30, v34
	v_fma_f32 v26, v34, v30, -v14
	v_fmac_f32_e32 v26, v34, v31
	v_add_f32_e32 v33, v15, v12
	v_add_f32_e32 v12, v14, v26
	v_sub_f32_e32 v15, v13, v12
	v_pk_add_f32 v[28:29], v[12:13], v[14:15] neg_lo:[0,1] neg_hi:[0,1]
	v_mov_b32_e32 v27, v12
	v_pk_add_f32 v[12:13], v[28:29], v[26:27] neg_lo:[0,1] neg_hi:[0,1]
	v_cmp_eq_f32_e32 vcc, s10, v38
	v_add_f32_e32 v13, v33, v13
	v_add_f32_e32 v12, v12, v13
	;; [unrolled: 1-line block ×3, first 2 shown]
	v_mul_f32_e32 v33, v32, v13
	v_mul_f32_e32 v14, v30, v33
	v_fma_f32 v26, v33, v30, -v14
	v_fmac_f32_e32 v26, v33, v31
	v_sub_f32_e32 v15, v15, v13
	v_add_f32_e32 v30, v12, v15
	v_add_f32_e32 v12, v14, v26
	v_sub_f32_e32 v15, v13, v12
	v_pk_add_f32 v[28:29], v[12:13], v[14:15] neg_lo:[0,1] neg_hi:[0,1]
	v_mov_b32_e32 v27, v12
	v_pk_add_f32 v[12:13], v[28:29], v[26:27] neg_lo:[0,1] neg_hi:[0,1]
	scratch_load_dwordx2 v[28:29], off, off offset:164 ; 8-byte Folded Reload
	v_add_f32_e32 v13, v30, v13
	v_add_f32_e32 v12, v12, v13
	;; [unrolled: 1-line block ×4, first 2 shown]
	v_sub_f32_e32 v14, v13, v34
	v_mul_f32_e32 v12, v32, v12
	v_sub_f32_e32 v14, v33, v14
	v_add_f32_e32 v14, v14, v12
	v_add_f32_e32 v26, v13, v14
	v_mul_f32_e32 v27, v26, v26
	v_mov_b32_e32 v12, 0x3ecc95a3
	v_fmamk_f32 v12, v27, 0x3e9b6dac, v12
	s_waitcnt vmcnt(0)
	v_fmaak_f32 v29, v27, v12, 0x3f2aaada
	v_cvt_f32_i32_e32 v12, v19
	v_sub_f32_e32 v13, v26, v13
	v_sub_f32_e32 v13, v14, v13
	v_ldexp_f32 v19, v13, 1
	v_mul_f32_e32 v13, v26, v27
	v_ldexp_f32 v15, v26, 1
	s_or_b64 vcc, s[2:3], vcc
	v_mov_b32_e32 v14, v28
	v_pk_mul_f32 v[26:27], v[12:13], v[28:29]
	scratch_store_dwordx2 off, v[14:15], off offset:164 ; 8-byte Folded Spill
	v_fma_f32 v14, v12, s33, -v26
	v_fmac_f32_e32 v14, 0xb102e308, v12
	v_pk_add_f32 v[12:13], v[26:27], v[14:15]
	v_mov_b32_e32 v28, v26
	v_sub_f32_e32 v15, v13, v15
	v_sub_f32_e32 v15, v27, v15
	v_add_f32_e32 v29, v19, v15
	v_pk_add_f32 v[26:27], v[12:13], v[26:27] neg_lo:[0,1] neg_hi:[0,1]
	v_pk_add_f32 v[30:31], v[12:13], v[28:29]
	v_mov_b32_e32 v15, v12
	v_mov_b32_e32 v27, v31
	v_pk_add_f32 v[32:33], v[14:15], v[26:27] neg_lo:[0,1] neg_hi:[0,1]
	v_pk_add_f32 v[14:15], v[14:15], v[26:27]
	v_mov_b32_e32 v28, v29
	v_mov_b32_e32 v26, v15
	v_pk_add_f32 v[34:35], v[26:27], v[12:13] neg_lo:[0,1] neg_hi:[0,1]
	v_mov_b32_e32 v14, v31
	v_mov_b32_e32 v19, v34
	v_pk_add_f32 v[36:37], v[30:31], v[18:19] neg_lo:[0,1] neg_hi:[0,1]
	v_mov_b32_e32 v30, v13
	v_mov_b32_e32 v31, v34
	;; [unrolled: 1-line block ×3, first 2 shown]
	v_pk_add_f32 v[14:15], v[14:15], v[30:31] neg_lo:[0,1] neg_hi:[0,1]
	v_mov_b32_e32 v29, v12
	v_pk_add_f32 v[12:13], v[28:29], v[14:15] neg_lo:[0,1] neg_hi:[0,1]
	v_mov_b32_e32 v36, v32
	v_pk_add_f32 v[14:15], v[36:37], v[12:13]
	s_nop 0
	v_mov_b32_e32 v28, v15
	v_pk_add_f32 v[28:29], v[14:15], v[28:29]
	s_nop 0
	v_pk_add_f32 v[26:27], v[26:27], v[28:29]
	v_mov_b32_e32 v13, v28
	v_mov_b32_e32 v15, v26
	v_pk_add_f32 v[30:31], v[14:15], v[32:33] neg_lo:[0,1] neg_hi:[0,1]
	s_nop 0
	v_sub_f32_e32 v14, v14, v30
	v_pk_add_f32 v[12:13], v[12:13], v[30:31] neg_lo:[0,1] neg_hi:[0,1]
	v_sub_f32_e32 v14, v32, v14
	v_add_f32_e32 v12, v12, v14
	v_add_f32_e32 v12, v12, v13
	;; [unrolled: 1-line block ×3, first 2 shown]
	v_cndmask_b32_e32 v94, v12, v38, vcc
.LBB85_93:                              ;   in Loop: Header=BB85_13 Depth=1
	s_or_b64 exec, exec, s[52:53]
	v_cvt_f32_f16_sdwa v8, v8 dst_sel:DWORD dst_unused:UNUSED_PAD src0_sel:WORD_1
	v_readlane_b32 s0, v95, 2
	s_nop 1
	v_add_f32_e32 v60, s0, v8
	v_cmp_ge_f32_e32 vcc, s4, v60
	s_and_b64 s[2:3], s[6:7], vcc
	s_and_saveexec_b64 s[52:53], s[2:3]
	s_cbranch_execz .LBB85_95
; %bb.94:                               ;   in Loop: Header=BB85_13 Depth=1
	v_mul_f32_e32 v8, 0x3fb8aa3b, v60
	v_rndne_f32_e32 v12, v8
	v_sub_f32_e32 v13, v8, v12
	v_fma_f32 v8, v60, s5, -v8
	v_fmac_f32_e32 v8, 0x32a5705f, v60
	v_add_f32_e32 v8, v13, v8
	v_cvt_i32_f32_e32 v12, v12
	v_exp_f32_e32 v8, v8
	v_cmp_ngt_f32_e32 vcc, s8, v60
	v_ldexp_f32 v8, v8, v12
	s_nop 0
	v_cndmask_b32_e32 v8, 0, v8, vcc
	v_cmp_nlt_f32_e32 vcc, s9, v60
	s_nop 1
	v_cndmask_b32_e32 v36, v39, v8, vcc
	v_add_f32_e32 v8, 1.0, v36
	v_add_f32_e32 v12, -1.0, v8
	v_sub_f32_e32 v13, v12, v8
	v_add_f32_e32 v13, 1.0, v13
	v_sub_f32_e32 v12, v36, v12
	v_add_f32_e32 v14, v12, v13
	v_frexp_mant_f32_e32 v15, v8
	v_cvt_f64_f32_e32 v[12:13], v8
	v_frexp_exp_i32_f64_e32 v12, v[12:13]
	v_cmp_gt_f32_e32 vcc, s11, v15
	v_cmp_gt_f32_e64 s[2:3], s54, v36
	s_nop 0
	v_subbrev_co_u32_e32 v19, vcc, 0, v12, vcc
	v_sub_u32_e32 v12, 0, v19
	v_ldexp_f32 v8, v8, v12
	v_ldexp_f32 v12, v14, v12
	v_add_f32_e32 v14, -1.0, v8
	v_add_f32_e32 v13, 1.0, v14
	v_sub_f32_e32 v13, v8, v13
	v_add_f32_e32 v15, v12, v13
	v_add_f32_e32 v13, 1.0, v8
	v_add_f32_e32 v26, -1.0, v13
	v_sub_f32_e32 v8, v8, v26
	v_add_f32_e32 v8, v12, v8
	v_add_f32_e32 v30, v13, v8
	v_rcp_f32_e32 v31, v30
	v_sub_f32_e32 v12, v13, v30
	v_add_f32_e32 v13, v14, v15
	v_add_f32_e32 v8, v8, v12
	v_mul_f32_e32 v33, v13, v31
	v_sub_f32_e32 v12, v14, v13
	v_mul_f32_e32 v14, v30, v33
	v_fma_f32 v26, v33, v30, -v14
	v_fmac_f32_e32 v26, v33, v8
	v_add_f32_e32 v32, v15, v12
	v_add_f32_e32 v12, v14, v26
	v_sub_f32_e32 v15, v13, v12
	v_pk_add_f32 v[28:29], v[12:13], v[14:15] neg_lo:[0,1] neg_hi:[0,1]
	v_mov_b32_e32 v27, v12
	v_pk_add_f32 v[12:13], v[28:29], v[26:27] neg_lo:[0,1] neg_hi:[0,1]
	v_cmp_eq_f32_e32 vcc, s10, v36
	v_add_f32_e32 v13, v32, v13
	v_add_f32_e32 v12, v12, v13
	;; [unrolled: 1-line block ×3, first 2 shown]
	v_mul_f32_e32 v32, v31, v13
	v_mul_f32_e32 v14, v30, v32
	v_fma_f32 v26, v32, v30, -v14
	v_fmac_f32_e32 v26, v32, v8
	v_sub_f32_e32 v8, v15, v13
	v_add_f32_e32 v8, v12, v8
	v_add_f32_e32 v12, v14, v26
	v_sub_f32_e32 v15, v13, v12
	v_pk_add_f32 v[28:29], v[12:13], v[14:15] neg_lo:[0,1] neg_hi:[0,1]
	v_mov_b32_e32 v27, v12
	v_pk_add_f32 v[12:13], v[28:29], v[26:27] neg_lo:[0,1] neg_hi:[0,1]
	scratch_load_dwordx2 v[28:29], off, off offset:164 ; 8-byte Folded Reload
	v_add_f32_e32 v8, v8, v13
	v_add_f32_e32 v8, v12, v8
	;; [unrolled: 1-line block ×4, first 2 shown]
	v_sub_f32_e32 v12, v13, v33
	v_mul_f32_e32 v8, v31, v8
	v_sub_f32_e32 v12, v32, v12
	v_add_f32_e32 v8, v12, v8
	v_add_f32_e32 v14, v13, v8
	v_mul_f32_e32 v26, v14, v14
	v_mov_b32_e32 v12, 0x3ecc95a3
	v_fmamk_f32 v12, v26, 0x3e9b6dac, v12
	s_waitcnt vmcnt(0)
	v_fmaak_f32 v29, v26, v12, 0x3f2aaada
	v_cvt_f32_i32_e32 v12, v19
	v_sub_f32_e32 v13, v14, v13
	v_sub_f32_e32 v8, v8, v13
	v_mul_f32_e32 v13, v14, v26
	v_ldexp_f32 v15, v14, 1
	v_ldexp_f32 v8, v8, 1
	s_or_b64 vcc, s[2:3], vcc
	v_mov_b32_e32 v14, v28
	v_pk_mul_f32 v[26:27], v[12:13], v[28:29]
	scratch_store_dwordx2 off, v[14:15], off offset:164 ; 8-byte Folded Spill
	v_fma_f32 v14, v12, s33, -v26
	v_fmac_f32_e32 v14, 0xb102e308, v12
	v_pk_add_f32 v[12:13], v[26:27], v[14:15]
	v_mov_b32_e32 v28, v26
	v_sub_f32_e32 v15, v13, v15
	v_sub_f32_e32 v15, v27, v15
	v_add_f32_e32 v29, v8, v15
	v_pk_add_f32 v[26:27], v[12:13], v[26:27] neg_lo:[0,1] neg_hi:[0,1]
	v_pk_add_f32 v[30:31], v[12:13], v[28:29]
	v_mov_b32_e32 v15, v12
	v_mov_b32_e32 v27, v31
	v_pk_add_f32 v[32:33], v[14:15], v[26:27] neg_lo:[0,1] neg_hi:[0,1]
	v_pk_add_f32 v[14:15], v[14:15], v[26:27]
	s_nop 0
	v_mov_b32_e32 v8, v15
	v_pk_add_f32 v[26:27], v[8:9], v[12:13] neg_lo:[0,1] neg_hi:[0,1]
	v_mov_b32_e32 v14, v31
	v_mov_b32_e32 v19, v26
	v_pk_add_f32 v[34:35], v[30:31], v[18:19] neg_lo:[0,1] neg_hi:[0,1]
	v_mov_b32_e32 v30, v13
	v_mov_b32_e32 v31, v26
	;; [unrolled: 1-line block ×3, first 2 shown]
	v_pk_add_f32 v[14:15], v[14:15], v[30:31] neg_lo:[0,1] neg_hi:[0,1]
	v_mov_b32_e32 v26, v29
	v_mov_b32_e32 v27, v12
	v_pk_add_f32 v[12:13], v[26:27], v[14:15] neg_lo:[0,1] neg_hi:[0,1]
	v_mov_b32_e32 v34, v32
	v_pk_add_f32 v[14:15], v[34:35], v[12:13]
	s_nop 0
	v_mov_b32_e32 v26, v15
	v_pk_add_f32 v[26:27], v[14:15], v[26:27]
	s_nop 0
	v_pk_add_f32 v[28:29], v[8:9], v[26:27]
	v_mov_b32_e32 v13, v26
	v_mov_b32_e32 v15, v28
	v_pk_add_f32 v[30:31], v[14:15], v[32:33] neg_lo:[0,1] neg_hi:[0,1]
	s_nop 0
	v_sub_f32_e32 v8, v14, v30
	v_pk_add_f32 v[12:13], v[12:13], v[30:31] neg_lo:[0,1] neg_hi:[0,1]
	v_sub_f32_e32 v8, v32, v8
	v_add_f32_e32 v8, v12, v8
	v_add_f32_e32 v8, v8, v13
	v_add_f32_e32 v8, v28, v8
	v_cndmask_b32_e32 v60, v8, v36, vcc
.LBB85_95:                              ;   in Loop: Header=BB85_13 Depth=1
	s_or_b64 exec, exec, s[52:53]
	v_cvt_f32_f16_e32 v8, v9
	v_readlane_b32 s0, v95, 2
	s_nop 1
	v_add_f32_e32 v61, s0, v8
	v_cmp_ge_f32_e32 vcc, s4, v61
	s_and_b64 s[2:3], s[6:7], vcc
	s_and_saveexec_b64 s[52:53], s[2:3]
	s_cbranch_execz .LBB85_97
; %bb.96:                               ;   in Loop: Header=BB85_13 Depth=1
	v_mul_f32_e32 v8, 0x3fb8aa3b, v61
	v_rndne_f32_e32 v12, v8
	v_sub_f32_e32 v13, v8, v12
	v_fma_f32 v8, v61, s5, -v8
	v_fmac_f32_e32 v8, 0x32a5705f, v61
	v_add_f32_e32 v8, v13, v8
	v_cvt_i32_f32_e32 v12, v12
	v_exp_f32_e32 v8, v8
	v_cmp_ngt_f32_e32 vcc, s8, v61
	v_ldexp_f32 v8, v8, v12
	s_nop 0
	v_cndmask_b32_e32 v8, 0, v8, vcc
	v_cmp_nlt_f32_e32 vcc, s9, v61
	s_nop 1
	v_cndmask_b32_e32 v36, v39, v8, vcc
	v_add_f32_e32 v8, 1.0, v36
	v_add_f32_e32 v12, -1.0, v8
	v_sub_f32_e32 v13, v12, v8
	v_add_f32_e32 v13, 1.0, v13
	v_sub_f32_e32 v12, v36, v12
	v_add_f32_e32 v14, v12, v13
	v_frexp_mant_f32_e32 v15, v8
	v_cvt_f64_f32_e32 v[12:13], v8
	v_frexp_exp_i32_f64_e32 v12, v[12:13]
	v_cmp_gt_f32_e32 vcc, s11, v15
	v_cmp_gt_f32_e64 s[2:3], s54, v36
	s_nop 0
	v_subbrev_co_u32_e32 v19, vcc, 0, v12, vcc
	v_sub_u32_e32 v12, 0, v19
	v_ldexp_f32 v8, v8, v12
	v_ldexp_f32 v12, v14, v12
	v_add_f32_e32 v14, -1.0, v8
	v_add_f32_e32 v13, 1.0, v14
	v_sub_f32_e32 v13, v8, v13
	v_add_f32_e32 v15, v12, v13
	v_add_f32_e32 v13, 1.0, v8
	v_add_f32_e32 v26, -1.0, v13
	v_sub_f32_e32 v8, v8, v26
	v_add_f32_e32 v8, v12, v8
	v_add_f32_e32 v30, v13, v8
	v_rcp_f32_e32 v31, v30
	v_sub_f32_e32 v12, v13, v30
	v_add_f32_e32 v13, v14, v15
	v_add_f32_e32 v8, v8, v12
	v_mul_f32_e32 v33, v13, v31
	v_sub_f32_e32 v12, v14, v13
	v_mul_f32_e32 v14, v30, v33
	v_fma_f32 v26, v33, v30, -v14
	v_fmac_f32_e32 v26, v33, v8
	v_add_f32_e32 v32, v15, v12
	v_add_f32_e32 v12, v14, v26
	v_sub_f32_e32 v15, v13, v12
	v_pk_add_f32 v[28:29], v[12:13], v[14:15] neg_lo:[0,1] neg_hi:[0,1]
	v_mov_b32_e32 v27, v12
	v_pk_add_f32 v[12:13], v[28:29], v[26:27] neg_lo:[0,1] neg_hi:[0,1]
	v_cmp_eq_f32_e32 vcc, s10, v36
	v_add_f32_e32 v13, v32, v13
	v_add_f32_e32 v12, v12, v13
	;; [unrolled: 1-line block ×3, first 2 shown]
	v_mul_f32_e32 v32, v31, v13
	v_mul_f32_e32 v14, v30, v32
	v_fma_f32 v26, v32, v30, -v14
	v_fmac_f32_e32 v26, v32, v8
	v_sub_f32_e32 v8, v15, v13
	v_add_f32_e32 v8, v12, v8
	v_add_f32_e32 v12, v14, v26
	v_sub_f32_e32 v15, v13, v12
	v_pk_add_f32 v[28:29], v[12:13], v[14:15] neg_lo:[0,1] neg_hi:[0,1]
	v_mov_b32_e32 v27, v12
	v_pk_add_f32 v[12:13], v[28:29], v[26:27] neg_lo:[0,1] neg_hi:[0,1]
	scratch_load_dwordx2 v[28:29], off, off offset:164 ; 8-byte Folded Reload
	v_add_f32_e32 v8, v8, v13
	v_add_f32_e32 v8, v12, v8
	;; [unrolled: 1-line block ×4, first 2 shown]
	v_sub_f32_e32 v12, v13, v33
	v_mul_f32_e32 v8, v31, v8
	v_sub_f32_e32 v12, v32, v12
	v_add_f32_e32 v8, v12, v8
	v_add_f32_e32 v14, v13, v8
	v_mul_f32_e32 v26, v14, v14
	v_mov_b32_e32 v12, 0x3ecc95a3
	v_fmamk_f32 v12, v26, 0x3e9b6dac, v12
	s_waitcnt vmcnt(0)
	v_fmaak_f32 v29, v26, v12, 0x3f2aaada
	v_cvt_f32_i32_e32 v12, v19
	v_sub_f32_e32 v13, v14, v13
	v_sub_f32_e32 v8, v8, v13
	v_mul_f32_e32 v13, v14, v26
	v_ldexp_f32 v15, v14, 1
	v_ldexp_f32 v8, v8, 1
	s_or_b64 vcc, s[2:3], vcc
	v_mov_b32_e32 v14, v28
	v_pk_mul_f32 v[26:27], v[12:13], v[28:29]
	scratch_store_dwordx2 off, v[14:15], off offset:164 ; 8-byte Folded Spill
	v_fma_f32 v14, v12, s33, -v26
	v_fmac_f32_e32 v14, 0xb102e308, v12
	v_pk_add_f32 v[12:13], v[26:27], v[14:15]
	v_mov_b32_e32 v28, v26
	v_sub_f32_e32 v15, v13, v15
	v_sub_f32_e32 v15, v27, v15
	v_add_f32_e32 v29, v8, v15
	v_pk_add_f32 v[26:27], v[12:13], v[26:27] neg_lo:[0,1] neg_hi:[0,1]
	v_pk_add_f32 v[30:31], v[12:13], v[28:29]
	v_mov_b32_e32 v15, v12
	v_mov_b32_e32 v27, v31
	v_pk_add_f32 v[32:33], v[14:15], v[26:27] neg_lo:[0,1] neg_hi:[0,1]
	v_pk_add_f32 v[14:15], v[14:15], v[26:27]
	s_nop 0
	v_mov_b32_e32 v8, v15
	v_pk_add_f32 v[26:27], v[8:9], v[12:13] neg_lo:[0,1] neg_hi:[0,1]
	v_mov_b32_e32 v14, v31
	v_mov_b32_e32 v19, v26
	v_pk_add_f32 v[34:35], v[30:31], v[18:19] neg_lo:[0,1] neg_hi:[0,1]
	v_mov_b32_e32 v30, v13
	v_mov_b32_e32 v31, v26
	v_mov_b32_e32 v33, v15
	v_pk_add_f32 v[14:15], v[14:15], v[30:31] neg_lo:[0,1] neg_hi:[0,1]
	v_mov_b32_e32 v26, v29
	v_mov_b32_e32 v27, v12
	v_pk_add_f32 v[12:13], v[26:27], v[14:15] neg_lo:[0,1] neg_hi:[0,1]
	v_mov_b32_e32 v34, v32
	v_pk_add_f32 v[14:15], v[34:35], v[12:13]
	s_nop 0
	v_mov_b32_e32 v26, v15
	v_pk_add_f32 v[26:27], v[14:15], v[26:27]
	s_nop 0
	v_pk_add_f32 v[28:29], v[8:9], v[26:27]
	v_mov_b32_e32 v13, v26
	v_mov_b32_e32 v15, v28
	v_pk_add_f32 v[30:31], v[14:15], v[32:33] neg_lo:[0,1] neg_hi:[0,1]
	s_nop 0
	v_sub_f32_e32 v8, v14, v30
	v_pk_add_f32 v[12:13], v[12:13], v[30:31] neg_lo:[0,1] neg_hi:[0,1]
	v_sub_f32_e32 v8, v32, v8
	v_add_f32_e32 v8, v12, v8
	v_add_f32_e32 v8, v8, v13
	;; [unrolled: 1-line block ×3, first 2 shown]
	v_cndmask_b32_e32 v61, v8, v36, vcc
.LBB85_97:                              ;   in Loop: Header=BB85_13 Depth=1
	s_or_b64 exec, exec, s[52:53]
	v_cvt_f32_f16_sdwa v8, v9 dst_sel:DWORD dst_unused:UNUSED_PAD src0_sel:WORD_1
	v_readlane_b32 s0, v95, 2
	s_nop 1
	v_add_f32_e32 v62, s0, v8
	v_cmp_ge_f32_e32 vcc, s4, v62
	s_and_b64 s[2:3], s[6:7], vcc
	s_and_saveexec_b64 s[52:53], s[2:3]
	s_cbranch_execz .LBB85_99
; %bb.98:                               ;   in Loop: Header=BB85_13 Depth=1
	v_mul_f32_e32 v8, 0x3fb8aa3b, v62
	v_rndne_f32_e32 v9, v8
	v_sub_f32_e32 v12, v8, v9
	v_fma_f32 v8, v62, s5, -v8
	v_fmac_f32_e32 v8, 0x32a5705f, v62
	v_add_f32_e32 v8, v12, v8
	v_cvt_i32_f32_e32 v9, v9
	v_exp_f32_e32 v8, v8
	v_cmp_ngt_f32_e32 vcc, s8, v62
	v_ldexp_f32 v8, v8, v9
	s_nop 0
	v_cndmask_b32_e32 v8, 0, v8, vcc
	v_cmp_nlt_f32_e32 vcc, s9, v62
	s_nop 1
	v_cndmask_b32_e32 v19, v39, v8, vcc
	v_add_f32_e32 v12, 1.0, v19
	v_add_f32_e32 v8, -1.0, v12
	v_sub_f32_e32 v9, v8, v12
	v_add_f32_e32 v9, 1.0, v9
	v_sub_f32_e32 v8, v19, v8
	v_add_f32_e32 v13, v8, v9
	v_frexp_mant_f32_e32 v14, v12
	v_cvt_f64_f32_e32 v[8:9], v12
	v_frexp_exp_i32_f64_e32 v8, v[8:9]
	v_cmp_gt_f32_e32 vcc, s11, v14
	v_cmp_gt_f32_e64 s[2:3], s54, v19
	s_nop 0
	v_subbrev_co_u32_e32 v28, vcc, 0, v8, vcc
	v_sub_u32_e32 v8, 0, v28
	v_ldexp_f32 v9, v12, v8
	v_add_f32_e32 v12, -1.0, v9
	v_add_f32_e32 v14, 1.0, v9
	v_ldexp_f32 v8, v13, v8
	v_add_f32_e32 v13, 1.0, v12
	v_add_f32_e32 v15, -1.0, v14
	v_sub_f32_e32 v13, v9, v13
	v_sub_f32_e32 v9, v9, v15
	v_add_f32_e32 v13, v8, v13
	v_add_f32_e32 v8, v8, v9
	v_add_f32_e32 v29, v14, v8
	v_rcp_f32_e32 v31, v29
	v_sub_f32_e32 v9, v14, v29
	v_add_f32_e32 v30, v8, v9
	v_add_f32_e32 v9, v12, v13
	v_mul_f32_e32 v33, v9, v31
	v_sub_f32_e32 v8, v12, v9
	v_mul_f32_e32 v12, v29, v33
	v_fma_f32 v14, v33, v29, -v12
	v_fmac_f32_e32 v14, v33, v30
	v_add_f32_e32 v32, v13, v8
	v_add_f32_e32 v8, v12, v14
	v_sub_f32_e32 v13, v9, v8
	v_pk_add_f32 v[26:27], v[8:9], v[12:13] neg_lo:[0,1] neg_hi:[0,1]
	v_mov_b32_e32 v15, v8
	v_pk_add_f32 v[8:9], v[26:27], v[14:15] neg_lo:[0,1] neg_hi:[0,1]
	v_cmp_eq_f32_e32 vcc, s10, v19
	v_add_f32_e32 v9, v32, v9
	v_add_f32_e32 v8, v8, v9
	;; [unrolled: 1-line block ×3, first 2 shown]
	v_mul_f32_e32 v32, v31, v9
	v_mul_f32_e32 v12, v29, v32
	v_fma_f32 v14, v32, v29, -v12
	v_fmac_f32_e32 v14, v32, v30
	v_sub_f32_e32 v13, v13, v9
	v_add_f32_e32 v29, v8, v13
	v_add_f32_e32 v8, v12, v14
	v_sub_f32_e32 v13, v9, v8
	v_pk_add_f32 v[26:27], v[8:9], v[12:13] neg_lo:[0,1] neg_hi:[0,1]
	v_mov_b32_e32 v15, v8
	v_pk_add_f32 v[8:9], v[26:27], v[14:15] neg_lo:[0,1] neg_hi:[0,1]
	scratch_load_dwordx2 v[26:27], off, off offset:164 ; 8-byte Folded Reload
	v_add_f32_e32 v9, v29, v9
	v_add_f32_e32 v8, v8, v9
	;; [unrolled: 1-line block ×4, first 2 shown]
	v_sub_f32_e32 v12, v9, v33
	v_mul_f32_e32 v8, v31, v8
	v_sub_f32_e32 v12, v32, v12
	v_add_f32_e32 v12, v12, v8
	v_add_f32_e32 v14, v9, v12
	v_mul_f32_e32 v15, v14, v14
	v_mov_b32_e32 v8, 0x3ecc95a3
	v_fmamk_f32 v8, v15, 0x3e9b6dac, v8
	v_fmaak_f32 v31, v15, v8, 0x3f2aaada
	v_cvt_f32_i32_e32 v8, v28
	v_sub_f32_e32 v9, v14, v9
	v_sub_f32_e32 v9, v12, v9
	v_ldexp_f32 v13, v14, 1
	s_or_b64 vcc, s[2:3], vcc
	s_waitcnt vmcnt(0)
	v_mov_b32_e32 v30, v26
	v_ldexp_f32 v26, v9, 1
	v_mul_f32_e32 v9, v14, v15
	v_mov_b32_e32 v12, v30
	v_pk_mul_f32 v[14:15], v[8:9], v[30:31]
	scratch_store_dwordx2 off, v[12:13], off offset:164 ; 8-byte Folded Spill
	v_fma_f32 v12, v8, s33, -v14
	v_fmac_f32_e32 v12, 0xb102e308, v8
	v_pk_add_f32 v[8:9], v[14:15], v[12:13]
	s_nop 0
	v_sub_f32_e32 v13, v9, v13
	v_sub_f32_e32 v13, v15, v13
	v_add_f32_e32 v27, v26, v13
	v_mov_b32_e32 v26, v14
	v_pk_add_f32 v[14:15], v[8:9], v[14:15] neg_lo:[0,1] neg_hi:[0,1]
	v_pk_add_f32 v[28:29], v[8:9], v[26:27]
	v_mov_b32_e32 v13, v8
	v_mov_b32_e32 v15, v29
	v_pk_add_f32 v[30:31], v[12:13], v[14:15] neg_lo:[0,1] neg_hi:[0,1]
	v_pk_add_f32 v[12:13], v[12:13], v[14:15]
	v_mov_b32_e32 v26, v27
	v_mov_b32_e32 v14, v13
	v_pk_add_f32 v[32:33], v[14:15], v[8:9] neg_lo:[0,1] neg_hi:[0,1]
	v_mov_b32_e32 v12, v29
	v_mov_b32_e32 v15, v32
	v_pk_add_f32 v[34:35], v[28:29], v[14:15] neg_lo:[0,1] neg_hi:[0,1]
	v_mov_b32_e32 v28, v9
	v_mov_b32_e32 v29, v32
	;; [unrolled: 1-line block ×3, first 2 shown]
	v_pk_add_f32 v[12:13], v[12:13], v[28:29] neg_lo:[0,1] neg_hi:[0,1]
	v_mov_b32_e32 v27, v8
	v_pk_add_f32 v[8:9], v[26:27], v[12:13] neg_lo:[0,1] neg_hi:[0,1]
	v_mov_b32_e32 v34, v30
	v_pk_add_f32 v[12:13], v[34:35], v[8:9]
	s_nop 0
	v_mov_b32_e32 v26, v13
	v_pk_add_f32 v[26:27], v[12:13], v[26:27]
	s_nop 0
	v_pk_add_f32 v[14:15], v[14:15], v[26:27]
	v_mov_b32_e32 v9, v26
	v_mov_b32_e32 v13, v14
	v_pk_add_f32 v[28:29], v[12:13], v[30:31] neg_lo:[0,1] neg_hi:[0,1]
	s_nop 0
	v_sub_f32_e32 v12, v12, v28
	v_pk_add_f32 v[8:9], v[8:9], v[28:29] neg_lo:[0,1] neg_hi:[0,1]
	v_sub_f32_e32 v12, v30, v12
	v_add_f32_e32 v8, v8, v12
	v_add_f32_e32 v8, v8, v9
	;; [unrolled: 1-line block ×3, first 2 shown]
	v_cndmask_b32_e32 v62, v8, v19, vcc
.LBB85_99:                              ;   in Loop: Header=BB85_13 Depth=1
	s_or_b64 exec, exec, s[52:53]
	v_cvt_f32_f16_e32 v8, v10
	v_readlane_b32 s0, v95, 2
	s_nop 1
	v_add_f32_e32 v63, s0, v8
	v_cmp_ge_f32_e32 vcc, s4, v63
	s_and_b64 s[2:3], s[6:7], vcc
	s_and_saveexec_b64 s[52:53], s[2:3]
	s_cbranch_execz .LBB85_101
; %bb.100:                              ;   in Loop: Header=BB85_13 Depth=1
	v_mul_f32_e32 v8, 0x3fb8aa3b, v63
	v_rndne_f32_e32 v9, v8
	v_sub_f32_e32 v12, v8, v9
	v_fma_f32 v8, v63, s5, -v8
	v_fmac_f32_e32 v8, 0x32a5705f, v63
	v_add_f32_e32 v8, v12, v8
	v_cvt_i32_f32_e32 v9, v9
	v_exp_f32_e32 v8, v8
	v_cmp_ngt_f32_e32 vcc, s8, v63
	v_ldexp_f32 v8, v8, v9
	s_nop 0
	v_cndmask_b32_e32 v8, 0, v8, vcc
	v_cmp_nlt_f32_e32 vcc, s9, v63
	s_nop 1
	v_cndmask_b32_e32 v19, v39, v8, vcc
	v_add_f32_e32 v12, 1.0, v19
	v_add_f32_e32 v8, -1.0, v12
	v_sub_f32_e32 v9, v8, v12
	v_add_f32_e32 v9, 1.0, v9
	v_sub_f32_e32 v8, v19, v8
	v_add_f32_e32 v13, v8, v9
	v_frexp_mant_f32_e32 v14, v12
	v_cvt_f64_f32_e32 v[8:9], v12
	v_frexp_exp_i32_f64_e32 v8, v[8:9]
	v_cmp_gt_f32_e32 vcc, s11, v14
	v_cmp_gt_f32_e64 s[2:3], s54, v19
	s_nop 0
	v_subbrev_co_u32_e32 v28, vcc, 0, v8, vcc
	v_sub_u32_e32 v8, 0, v28
	v_ldexp_f32 v9, v12, v8
	v_add_f32_e32 v12, -1.0, v9
	v_add_f32_e32 v14, 1.0, v9
	v_ldexp_f32 v8, v13, v8
	v_add_f32_e32 v13, 1.0, v12
	v_add_f32_e32 v15, -1.0, v14
	v_sub_f32_e32 v13, v9, v13
	v_sub_f32_e32 v9, v9, v15
	v_add_f32_e32 v13, v8, v13
	v_add_f32_e32 v8, v8, v9
	;; [unrolled: 1-line block ×3, first 2 shown]
	v_rcp_f32_e32 v31, v29
	v_sub_f32_e32 v9, v14, v29
	v_add_f32_e32 v30, v8, v9
	v_add_f32_e32 v9, v12, v13
	v_mul_f32_e32 v33, v9, v31
	v_sub_f32_e32 v8, v12, v9
	v_mul_f32_e32 v12, v29, v33
	v_fma_f32 v14, v33, v29, -v12
	v_fmac_f32_e32 v14, v33, v30
	v_add_f32_e32 v32, v13, v8
	v_add_f32_e32 v8, v12, v14
	v_sub_f32_e32 v13, v9, v8
	v_pk_add_f32 v[26:27], v[8:9], v[12:13] neg_lo:[0,1] neg_hi:[0,1]
	v_mov_b32_e32 v15, v8
	v_pk_add_f32 v[8:9], v[26:27], v[14:15] neg_lo:[0,1] neg_hi:[0,1]
	v_cmp_eq_f32_e32 vcc, s10, v19
	v_add_f32_e32 v9, v32, v9
	v_add_f32_e32 v8, v8, v9
	;; [unrolled: 1-line block ×3, first 2 shown]
	v_mul_f32_e32 v32, v31, v9
	v_mul_f32_e32 v12, v29, v32
	v_fma_f32 v14, v32, v29, -v12
	v_fmac_f32_e32 v14, v32, v30
	v_sub_f32_e32 v13, v13, v9
	v_add_f32_e32 v29, v8, v13
	v_add_f32_e32 v8, v12, v14
	v_sub_f32_e32 v13, v9, v8
	v_pk_add_f32 v[26:27], v[8:9], v[12:13] neg_lo:[0,1] neg_hi:[0,1]
	v_mov_b32_e32 v15, v8
	v_pk_add_f32 v[8:9], v[26:27], v[14:15] neg_lo:[0,1] neg_hi:[0,1]
	scratch_load_dwordx2 v[26:27], off, off offset:164 ; 8-byte Folded Reload
	v_add_f32_e32 v9, v29, v9
	v_add_f32_e32 v8, v8, v9
	;; [unrolled: 1-line block ×4, first 2 shown]
	v_sub_f32_e32 v12, v9, v33
	v_mul_f32_e32 v8, v31, v8
	v_sub_f32_e32 v12, v32, v12
	v_add_f32_e32 v12, v12, v8
	v_add_f32_e32 v14, v9, v12
	v_mul_f32_e32 v15, v14, v14
	v_mov_b32_e32 v8, 0x3ecc95a3
	v_fmamk_f32 v8, v15, 0x3e9b6dac, v8
	v_fmaak_f32 v31, v15, v8, 0x3f2aaada
	v_cvt_f32_i32_e32 v8, v28
	v_sub_f32_e32 v9, v14, v9
	v_sub_f32_e32 v9, v12, v9
	v_ldexp_f32 v13, v14, 1
	s_or_b64 vcc, s[2:3], vcc
	s_waitcnt vmcnt(0)
	v_mov_b32_e32 v30, v26
	v_ldexp_f32 v26, v9, 1
	v_mul_f32_e32 v9, v14, v15
	v_mov_b32_e32 v12, v30
	v_pk_mul_f32 v[14:15], v[8:9], v[30:31]
	scratch_store_dwordx2 off, v[12:13], off offset:164 ; 8-byte Folded Spill
	v_fma_f32 v12, v8, s33, -v14
	v_fmac_f32_e32 v12, 0xb102e308, v8
	v_pk_add_f32 v[8:9], v[14:15], v[12:13]
	s_nop 0
	v_sub_f32_e32 v13, v9, v13
	v_sub_f32_e32 v13, v15, v13
	v_add_f32_e32 v27, v26, v13
	v_mov_b32_e32 v26, v14
	v_pk_add_f32 v[14:15], v[8:9], v[14:15] neg_lo:[0,1] neg_hi:[0,1]
	v_pk_add_f32 v[28:29], v[8:9], v[26:27]
	v_mov_b32_e32 v13, v8
	v_mov_b32_e32 v15, v29
	v_pk_add_f32 v[30:31], v[12:13], v[14:15] neg_lo:[0,1] neg_hi:[0,1]
	v_pk_add_f32 v[12:13], v[12:13], v[14:15]
	v_mov_b32_e32 v26, v27
	v_mov_b32_e32 v14, v13
	v_pk_add_f32 v[32:33], v[14:15], v[8:9] neg_lo:[0,1] neg_hi:[0,1]
	v_mov_b32_e32 v12, v29
	v_mov_b32_e32 v15, v32
	v_pk_add_f32 v[34:35], v[28:29], v[14:15] neg_lo:[0,1] neg_hi:[0,1]
	v_mov_b32_e32 v28, v9
	v_mov_b32_e32 v29, v32
	;; [unrolled: 1-line block ×3, first 2 shown]
	v_pk_add_f32 v[12:13], v[12:13], v[28:29] neg_lo:[0,1] neg_hi:[0,1]
	v_mov_b32_e32 v27, v8
	v_pk_add_f32 v[8:9], v[26:27], v[12:13] neg_lo:[0,1] neg_hi:[0,1]
	v_mov_b32_e32 v34, v30
	v_pk_add_f32 v[12:13], v[34:35], v[8:9]
	s_nop 0
	v_mov_b32_e32 v26, v13
	v_pk_add_f32 v[26:27], v[12:13], v[26:27]
	s_nop 0
	v_pk_add_f32 v[14:15], v[14:15], v[26:27]
	v_mov_b32_e32 v9, v26
	v_mov_b32_e32 v13, v14
	v_pk_add_f32 v[28:29], v[12:13], v[30:31] neg_lo:[0,1] neg_hi:[0,1]
	s_nop 0
	v_sub_f32_e32 v12, v12, v28
	v_pk_add_f32 v[8:9], v[8:9], v[28:29] neg_lo:[0,1] neg_hi:[0,1]
	v_sub_f32_e32 v12, v30, v12
	v_add_f32_e32 v8, v8, v12
	v_add_f32_e32 v8, v8, v9
	;; [unrolled: 1-line block ×3, first 2 shown]
	v_cndmask_b32_e32 v63, v8, v19, vcc
.LBB85_101:                             ;   in Loop: Header=BB85_13 Depth=1
	s_or_b64 exec, exec, s[52:53]
	v_cvt_f32_f16_sdwa v8, v10 dst_sel:DWORD dst_unused:UNUSED_PAD src0_sel:WORD_1
	v_readlane_b32 s0, v95, 2
	s_nop 1
	v_add_f32_e32 v64, s0, v8
	v_cmp_ge_f32_e32 vcc, s4, v64
	s_and_b64 s[2:3], s[6:7], vcc
	s_and_saveexec_b64 s[52:53], s[2:3]
	s_cbranch_execz .LBB85_103
; %bb.102:                              ;   in Loop: Header=BB85_13 Depth=1
	v_mul_f32_e32 v8, 0x3fb8aa3b, v64
	v_rndne_f32_e32 v9, v8
	v_sub_f32_e32 v10, v8, v9
	v_fma_f32 v8, v64, s5, -v8
	v_fmac_f32_e32 v8, 0x32a5705f, v64
	v_add_f32_e32 v8, v10, v8
	v_cvt_i32_f32_e32 v9, v9
	v_exp_f32_e32 v8, v8
	v_cmp_ngt_f32_e32 vcc, s8, v64
	v_ldexp_f32 v8, v8, v9
	s_nop 0
	v_cndmask_b32_e32 v8, 0, v8, vcc
	v_cmp_nlt_f32_e32 vcc, s9, v64
	s_nop 1
	v_cndmask_b32_e32 v19, v39, v8, vcc
	v_add_f32_e32 v10, 1.0, v19
	v_add_f32_e32 v8, -1.0, v10
	v_sub_f32_e32 v9, v8, v10
	v_add_f32_e32 v9, 1.0, v9
	v_sub_f32_e32 v8, v19, v8
	v_add_f32_e32 v12, v8, v9
	v_frexp_mant_f32_e32 v13, v10
	v_cvt_f64_f32_e32 v[8:9], v10
	v_frexp_exp_i32_f64_e32 v8, v[8:9]
	v_cmp_gt_f32_e32 vcc, s11, v13
	v_cmp_gt_f32_e64 s[2:3], s54, v19
	s_nop 0
	v_subbrev_co_u32_e32 v28, vcc, 0, v8, vcc
	v_sub_u32_e32 v8, 0, v28
	v_ldexp_f32 v9, v10, v8
	v_add_f32_e32 v10, -1.0, v9
	v_add_f32_e32 v13, 1.0, v9
	v_ldexp_f32 v8, v12, v8
	v_add_f32_e32 v12, 1.0, v10
	v_add_f32_e32 v14, -1.0, v13
	v_sub_f32_e32 v12, v9, v12
	v_sub_f32_e32 v9, v9, v14
	v_add_f32_e32 v12, v8, v12
	v_add_f32_e32 v8, v8, v9
	;; [unrolled: 1-line block ×3, first 2 shown]
	v_rcp_f32_e32 v31, v29
	v_sub_f32_e32 v9, v13, v29
	v_add_f32_e32 v30, v8, v9
	v_add_f32_e32 v9, v10, v12
	v_sub_f32_e32 v8, v10, v9
	v_mul_f32_e32 v32, v9, v31
	v_add_f32_e32 v10, v12, v8
	v_mul_f32_e32 v12, v29, v32
	v_fma_f32 v14, v32, v29, -v12
	v_fmac_f32_e32 v14, v32, v30
	v_add_f32_e32 v8, v12, v14
	v_sub_f32_e32 v13, v9, v8
	v_pk_add_f32 v[26:27], v[8:9], v[12:13] neg_lo:[0,1] neg_hi:[0,1]
	v_mov_b32_e32 v15, v8
	v_pk_add_f32 v[8:9], v[26:27], v[14:15] neg_lo:[0,1] neg_hi:[0,1]
	v_cmp_eq_f32_e32 vcc, s10, v19
	v_add_f32_e32 v9, v10, v9
	v_add_f32_e32 v8, v8, v9
	;; [unrolled: 1-line block ×3, first 2 shown]
	v_mul_f32_e32 v10, v31, v9
	v_mul_f32_e32 v12, v29, v10
	v_fma_f32 v14, v10, v29, -v12
	v_fmac_f32_e32 v14, v10, v30
	v_sub_f32_e32 v13, v13, v9
	v_add_f32_e32 v29, v8, v13
	v_add_f32_e32 v8, v12, v14
	v_sub_f32_e32 v13, v9, v8
	v_pk_add_f32 v[26:27], v[8:9], v[12:13] neg_lo:[0,1] neg_hi:[0,1]
	v_mov_b32_e32 v15, v8
	v_pk_add_f32 v[8:9], v[26:27], v[14:15] neg_lo:[0,1] neg_hi:[0,1]
	scratch_load_dwordx2 v[26:27], off, off offset:164 ; 8-byte Folded Reload
	v_add_f32_e32 v9, v29, v9
	v_add_f32_e32 v8, v8, v9
	;; [unrolled: 1-line block ×4, first 2 shown]
	v_sub_f32_e32 v12, v9, v32
	v_mul_f32_e32 v8, v31, v8
	v_sub_f32_e32 v10, v10, v12
	v_add_f32_e32 v10, v10, v8
	v_add_f32_e32 v12, v9, v10
	v_mul_f32_e32 v14, v12, v12
	v_mov_b32_e32 v8, 0x3ecc95a3
	v_fmamk_f32 v8, v14, 0x3e9b6dac, v8
	s_waitcnt vmcnt(0)
	v_fmaak_f32 v27, v14, v8, 0x3f2aaada
	v_cvt_f32_i32_e32 v8, v28
	v_sub_f32_e32 v9, v12, v9
	v_sub_f32_e32 v9, v10, v9
	v_ldexp_f32 v10, v9, 1
	v_mul_f32_e32 v9, v12, v14
	v_ldexp_f32 v13, v12, 1
	s_or_b64 vcc, s[2:3], vcc
	v_mov_b32_e32 v12, v26
	v_pk_mul_f32 v[14:15], v[8:9], v[26:27]
	scratch_store_dwordx2 off, v[12:13], off offset:164 ; 8-byte Folded Spill
	v_fma_f32 v12, v8, s33, -v14
	v_fmac_f32_e32 v12, 0xb102e308, v8
	v_pk_add_f32 v[8:9], v[14:15], v[12:13]
	v_mov_b32_e32 v26, v14
	v_sub_f32_e32 v13, v9, v13
	v_sub_f32_e32 v13, v15, v13
	v_add_f32_e32 v27, v10, v13
	v_pk_add_f32 v[14:15], v[8:9], v[14:15] neg_lo:[0,1] neg_hi:[0,1]
	v_pk_add_f32 v[28:29], v[8:9], v[26:27]
	v_mov_b32_e32 v13, v8
	v_mov_b32_e32 v15, v29
	v_pk_add_f32 v[30:31], v[12:13], v[14:15] neg_lo:[0,1] neg_hi:[0,1]
	v_pk_add_f32 v[12:13], v[12:13], v[14:15]
	s_nop 0
	v_mov_b32_e32 v10, v13
	v_pk_add_f32 v[14:15], v[10:11], v[8:9] neg_lo:[0,1] neg_hi:[0,1]
	v_mov_b32_e32 v12, v29
	v_mov_b32_e32 v15, v14
	v_pk_add_f32 v[32:33], v[28:29], v[14:15] neg_lo:[0,1] neg_hi:[0,1]
	v_mov_b32_e32 v28, v9
	v_mov_b32_e32 v29, v14
	;; [unrolled: 1-line block ×3, first 2 shown]
	v_pk_add_f32 v[12:13], v[12:13], v[28:29] neg_lo:[0,1] neg_hi:[0,1]
	v_mov_b32_e32 v14, v27
	v_mov_b32_e32 v15, v8
	v_pk_add_f32 v[8:9], v[14:15], v[12:13] neg_lo:[0,1] neg_hi:[0,1]
	v_mov_b32_e32 v32, v30
	v_pk_add_f32 v[12:13], v[32:33], v[8:9]
	s_nop 0
	v_mov_b32_e32 v14, v13
	v_pk_add_f32 v[14:15], v[12:13], v[14:15]
	s_nop 0
	v_pk_add_f32 v[26:27], v[10:11], v[14:15]
	v_mov_b32_e32 v9, v14
	v_mov_b32_e32 v13, v26
	v_pk_add_f32 v[28:29], v[12:13], v[30:31] neg_lo:[0,1] neg_hi:[0,1]
	s_nop 0
	v_sub_f32_e32 v10, v12, v28
	v_pk_add_f32 v[8:9], v[8:9], v[28:29] neg_lo:[0,1] neg_hi:[0,1]
	v_sub_f32_e32 v10, v30, v10
	v_add_f32_e32 v8, v8, v10
	v_add_f32_e32 v8, v8, v9
	v_add_f32_e32 v8, v26, v8
	v_cndmask_b32_e32 v64, v8, v19, vcc
.LBB85_103:                             ;   in Loop: Header=BB85_13 Depth=1
	s_or_b64 exec, exec, s[52:53]
	v_cvt_f32_f16_e32 v8, v11
	v_readlane_b32 s0, v95, 2
	s_nop 1
	v_add_f32_e32 v65, s0, v8
	v_cmp_ge_f32_e32 vcc, s4, v65
	s_and_b64 s[2:3], s[6:7], vcc
	s_and_saveexec_b64 s[52:53], s[2:3]
	s_cbranch_execz .LBB85_105
; %bb.104:                              ;   in Loop: Header=BB85_13 Depth=1
	v_mul_f32_e32 v8, 0x3fb8aa3b, v65
	v_rndne_f32_e32 v9, v8
	v_sub_f32_e32 v10, v8, v9
	v_fma_f32 v8, v65, s5, -v8
	v_fmac_f32_e32 v8, 0x32a5705f, v65
	v_add_f32_e32 v8, v10, v8
	v_cvt_i32_f32_e32 v9, v9
	v_exp_f32_e32 v8, v8
	v_cmp_ngt_f32_e32 vcc, s8, v65
	v_ldexp_f32 v8, v8, v9
	s_nop 0
	v_cndmask_b32_e32 v8, 0, v8, vcc
	v_cmp_nlt_f32_e32 vcc, s9, v65
	s_nop 1
	v_cndmask_b32_e32 v19, v39, v8, vcc
	v_add_f32_e32 v10, 1.0, v19
	v_add_f32_e32 v8, -1.0, v10
	v_sub_f32_e32 v9, v8, v10
	v_add_f32_e32 v9, 1.0, v9
	v_sub_f32_e32 v8, v19, v8
	v_add_f32_e32 v12, v8, v9
	v_frexp_mant_f32_e32 v13, v10
	v_cvt_f64_f32_e32 v[8:9], v10
	v_frexp_exp_i32_f64_e32 v8, v[8:9]
	v_cmp_gt_f32_e32 vcc, s11, v13
	v_cmp_gt_f32_e64 s[2:3], s54, v19
	s_nop 0
	v_subbrev_co_u32_e32 v28, vcc, 0, v8, vcc
	v_sub_u32_e32 v8, 0, v28
	v_ldexp_f32 v9, v10, v8
	v_add_f32_e32 v10, -1.0, v9
	v_add_f32_e32 v13, 1.0, v9
	v_ldexp_f32 v8, v12, v8
	v_add_f32_e32 v12, 1.0, v10
	v_add_f32_e32 v14, -1.0, v13
	v_sub_f32_e32 v12, v9, v12
	v_sub_f32_e32 v9, v9, v14
	v_add_f32_e32 v12, v8, v12
	v_add_f32_e32 v8, v8, v9
	;; [unrolled: 1-line block ×3, first 2 shown]
	v_rcp_f32_e32 v31, v29
	v_sub_f32_e32 v9, v13, v29
	v_add_f32_e32 v30, v8, v9
	v_add_f32_e32 v9, v10, v12
	v_sub_f32_e32 v8, v10, v9
	v_mul_f32_e32 v32, v9, v31
	v_add_f32_e32 v10, v12, v8
	v_mul_f32_e32 v12, v29, v32
	v_fma_f32 v14, v32, v29, -v12
	v_fmac_f32_e32 v14, v32, v30
	v_add_f32_e32 v8, v12, v14
	v_sub_f32_e32 v13, v9, v8
	v_pk_add_f32 v[26:27], v[8:9], v[12:13] neg_lo:[0,1] neg_hi:[0,1]
	v_mov_b32_e32 v15, v8
	v_pk_add_f32 v[8:9], v[26:27], v[14:15] neg_lo:[0,1] neg_hi:[0,1]
	v_cmp_eq_f32_e32 vcc, s10, v19
	v_add_f32_e32 v9, v10, v9
	v_add_f32_e32 v8, v8, v9
	;; [unrolled: 1-line block ×3, first 2 shown]
	v_mul_f32_e32 v10, v31, v9
	v_mul_f32_e32 v12, v29, v10
	v_fma_f32 v14, v10, v29, -v12
	v_fmac_f32_e32 v14, v10, v30
	v_sub_f32_e32 v13, v13, v9
	v_add_f32_e32 v29, v8, v13
	v_add_f32_e32 v8, v12, v14
	v_sub_f32_e32 v13, v9, v8
	v_pk_add_f32 v[26:27], v[8:9], v[12:13] neg_lo:[0,1] neg_hi:[0,1]
	v_mov_b32_e32 v15, v8
	v_pk_add_f32 v[8:9], v[26:27], v[14:15] neg_lo:[0,1] neg_hi:[0,1]
	scratch_load_dwordx2 v[26:27], off, off offset:164 ; 8-byte Folded Reload
	v_add_f32_e32 v9, v29, v9
	v_add_f32_e32 v8, v8, v9
	;; [unrolled: 1-line block ×4, first 2 shown]
	v_sub_f32_e32 v12, v9, v32
	v_mul_f32_e32 v8, v31, v8
	v_sub_f32_e32 v10, v10, v12
	v_add_f32_e32 v10, v10, v8
	v_add_f32_e32 v12, v9, v10
	v_mul_f32_e32 v14, v12, v12
	v_mov_b32_e32 v8, 0x3ecc95a3
	v_fmamk_f32 v8, v14, 0x3e9b6dac, v8
	s_waitcnt vmcnt(0)
	v_fmaak_f32 v27, v14, v8, 0x3f2aaada
	v_cvt_f32_i32_e32 v8, v28
	v_sub_f32_e32 v9, v12, v9
	v_sub_f32_e32 v9, v10, v9
	v_ldexp_f32 v10, v9, 1
	v_mul_f32_e32 v9, v12, v14
	v_ldexp_f32 v13, v12, 1
	s_or_b64 vcc, s[2:3], vcc
	v_mov_b32_e32 v12, v26
	v_pk_mul_f32 v[14:15], v[8:9], v[26:27]
	scratch_store_dwordx2 off, v[12:13], off offset:164 ; 8-byte Folded Spill
	v_fma_f32 v12, v8, s33, -v14
	v_fmac_f32_e32 v12, 0xb102e308, v8
	v_pk_add_f32 v[8:9], v[14:15], v[12:13]
	v_mov_b32_e32 v26, v14
	v_sub_f32_e32 v13, v9, v13
	v_sub_f32_e32 v13, v15, v13
	v_add_f32_e32 v27, v10, v13
	v_pk_add_f32 v[14:15], v[8:9], v[14:15] neg_lo:[0,1] neg_hi:[0,1]
	v_pk_add_f32 v[28:29], v[8:9], v[26:27]
	v_mov_b32_e32 v13, v8
	v_mov_b32_e32 v15, v29
	v_pk_add_f32 v[30:31], v[12:13], v[14:15] neg_lo:[0,1] neg_hi:[0,1]
	v_pk_add_f32 v[12:13], v[12:13], v[14:15]
	s_nop 0
	v_mov_b32_e32 v10, v13
	v_pk_add_f32 v[14:15], v[10:11], v[8:9] neg_lo:[0,1] neg_hi:[0,1]
	v_mov_b32_e32 v12, v29
	v_mov_b32_e32 v15, v14
	v_pk_add_f32 v[32:33], v[28:29], v[14:15] neg_lo:[0,1] neg_hi:[0,1]
	v_mov_b32_e32 v28, v9
	v_mov_b32_e32 v29, v14
	;; [unrolled: 1-line block ×3, first 2 shown]
	v_pk_add_f32 v[12:13], v[12:13], v[28:29] neg_lo:[0,1] neg_hi:[0,1]
	v_mov_b32_e32 v14, v27
	v_mov_b32_e32 v15, v8
	v_pk_add_f32 v[8:9], v[14:15], v[12:13] neg_lo:[0,1] neg_hi:[0,1]
	v_mov_b32_e32 v32, v30
	v_pk_add_f32 v[12:13], v[32:33], v[8:9]
	s_nop 0
	v_mov_b32_e32 v14, v13
	v_pk_add_f32 v[14:15], v[12:13], v[14:15]
	s_nop 0
	v_pk_add_f32 v[26:27], v[10:11], v[14:15]
	v_mov_b32_e32 v9, v14
	v_mov_b32_e32 v13, v26
	v_pk_add_f32 v[28:29], v[12:13], v[30:31] neg_lo:[0,1] neg_hi:[0,1]
	s_nop 0
	v_sub_f32_e32 v10, v12, v28
	v_pk_add_f32 v[8:9], v[8:9], v[28:29] neg_lo:[0,1] neg_hi:[0,1]
	v_sub_f32_e32 v10, v30, v10
	v_add_f32_e32 v8, v8, v10
	v_add_f32_e32 v8, v8, v9
	;; [unrolled: 1-line block ×3, first 2 shown]
	v_cndmask_b32_e32 v65, v8, v19, vcc
.LBB85_105:                             ;   in Loop: Header=BB85_13 Depth=1
	s_or_b64 exec, exec, s[52:53]
	v_cvt_f32_f16_sdwa v8, v11 dst_sel:DWORD dst_unused:UNUSED_PAD src0_sel:WORD_1
	v_readlane_b32 s0, v95, 2
	s_nop 1
	v_add_f32_e32 v27, s0, v8
	v_cmp_ge_f32_e32 vcc, s4, v27
	s_and_b64 s[2:3], s[6:7], vcc
	s_and_saveexec_b64 s[52:53], s[2:3]
	s_cbranch_execz .LBB85_107
; %bb.106:                              ;   in Loop: Header=BB85_13 Depth=1
	v_mul_f32_e32 v8, 0x3fb8aa3b, v27
	v_rndne_f32_e32 v9, v8
	v_sub_f32_e32 v10, v8, v9
	v_fma_f32 v8, v27, s5, -v8
	v_fmac_f32_e32 v8, 0x32a5705f, v27
	v_add_f32_e32 v8, v10, v8
	v_cvt_i32_f32_e32 v9, v9
	v_exp_f32_e32 v8, v8
	v_cmp_ngt_f32_e32 vcc, s8, v27
	v_ldexp_f32 v8, v8, v9
	s_nop 0
	v_cndmask_b32_e32 v8, 0, v8, vcc
	v_cmp_nlt_f32_e32 vcc, s9, v27
	s_nop 1
	v_cndmask_b32_e32 v19, v39, v8, vcc
	v_add_f32_e32 v10, 1.0, v19
	v_add_f32_e32 v8, -1.0, v10
	v_sub_f32_e32 v9, v8, v10
	v_add_f32_e32 v9, 1.0, v9
	v_sub_f32_e32 v8, v19, v8
	v_add_f32_e32 v11, v8, v9
	v_frexp_mant_f32_e32 v12, v10
	v_cvt_f64_f32_e32 v[8:9], v10
	v_frexp_exp_i32_f64_e32 v8, v[8:9]
	v_cmp_gt_f32_e32 vcc, s11, v12
	v_cmp_gt_f32_e64 s[2:3], s54, v19
	s_nop 0
	v_subbrev_co_u32_e32 v26, vcc, 0, v8, vcc
	v_sub_u32_e32 v8, 0, v26
	v_ldexp_f32 v9, v10, v8
	v_add_f32_e32 v10, -1.0, v9
	v_add_f32_e32 v12, 1.0, v9
	v_ldexp_f32 v8, v11, v8
	v_add_f32_e32 v11, 1.0, v10
	v_add_f32_e32 v13, -1.0, v12
	v_sub_f32_e32 v11, v9, v11
	v_sub_f32_e32 v9, v9, v13
	v_add_f32_e32 v11, v8, v11
	v_add_f32_e32 v8, v8, v9
	;; [unrolled: 1-line block ×3, first 2 shown]
	v_rcp_f32_e32 v29, v27
	v_sub_f32_e32 v9, v12, v27
	v_add_f32_e32 v28, v8, v9
	v_add_f32_e32 v9, v10, v11
	v_mul_f32_e32 v31, v9, v29
	v_sub_f32_e32 v8, v10, v9
	v_mul_f32_e32 v10, v27, v31
	v_fma_f32 v12, v31, v27, -v10
	v_fmac_f32_e32 v12, v31, v28
	v_add_f32_e32 v30, v11, v8
	v_add_f32_e32 v8, v10, v12
	v_sub_f32_e32 v11, v9, v8
	v_pk_add_f32 v[14:15], v[8:9], v[10:11] neg_lo:[0,1] neg_hi:[0,1]
	v_mov_b32_e32 v13, v8
	v_pk_add_f32 v[8:9], v[14:15], v[12:13] neg_lo:[0,1] neg_hi:[0,1]
	v_cmp_eq_f32_e32 vcc, s10, v19
	v_add_f32_e32 v9, v30, v9
	v_add_f32_e32 v8, v8, v9
	;; [unrolled: 1-line block ×3, first 2 shown]
	v_mul_f32_e32 v30, v29, v9
	v_mul_f32_e32 v10, v27, v30
	v_fma_f32 v12, v30, v27, -v10
	v_fmac_f32_e32 v12, v30, v28
	v_sub_f32_e32 v11, v11, v9
	v_add_f32_e32 v27, v8, v11
	v_add_f32_e32 v8, v10, v12
	v_sub_f32_e32 v11, v9, v8
	v_pk_add_f32 v[14:15], v[8:9], v[10:11] neg_lo:[0,1] neg_hi:[0,1]
	v_mov_b32_e32 v13, v8
	v_pk_add_f32 v[8:9], v[14:15], v[12:13] neg_lo:[0,1] neg_hi:[0,1]
	scratch_load_dwordx2 v[14:15], off, off offset:164 ; 8-byte Folded Reload
	v_add_f32_e32 v9, v27, v9
	v_add_f32_e32 v8, v8, v9
	;; [unrolled: 1-line block ×4, first 2 shown]
	v_sub_f32_e32 v10, v9, v31
	v_mul_f32_e32 v8, v29, v8
	v_sub_f32_e32 v10, v30, v10
	v_add_f32_e32 v10, v10, v8
	v_add_f32_e32 v12, v9, v10
	v_mul_f32_e32 v13, v12, v12
	v_mov_b32_e32 v8, 0x3ecc95a3
	v_fmamk_f32 v8, v13, 0x3e9b6dac, v8
	v_fmaak_f32 v29, v13, v8, 0x3f2aaada
	v_cvt_f32_i32_e32 v8, v26
	v_sub_f32_e32 v9, v12, v9
	v_sub_f32_e32 v9, v10, v9
	v_ldexp_f32 v11, v12, 1
	s_or_b64 vcc, s[2:3], vcc
	s_waitcnt vmcnt(0)
	v_mov_b32_e32 v28, v14
	v_ldexp_f32 v14, v9, 1
	v_mul_f32_e32 v9, v12, v13
	v_mov_b32_e32 v10, v28
	v_pk_mul_f32 v[12:13], v[8:9], v[28:29]
	scratch_store_dwordx2 off, v[10:11], off offset:164 ; 8-byte Folded Spill
	v_fma_f32 v10, v8, s33, -v12
	v_fmac_f32_e32 v10, 0xb102e308, v8
	v_pk_add_f32 v[8:9], v[12:13], v[10:11]
	s_nop 0
	v_sub_f32_e32 v11, v9, v11
	v_sub_f32_e32 v11, v13, v11
	v_add_f32_e32 v15, v14, v11
	v_mov_b32_e32 v14, v12
	v_pk_add_f32 v[12:13], v[8:9], v[12:13] neg_lo:[0,1] neg_hi:[0,1]
	v_pk_add_f32 v[26:27], v[8:9], v[14:15]
	v_mov_b32_e32 v11, v8
	v_mov_b32_e32 v13, v27
	v_pk_add_f32 v[28:29], v[10:11], v[12:13] neg_lo:[0,1] neg_hi:[0,1]
	v_pk_add_f32 v[10:11], v[10:11], v[12:13]
	v_mov_b32_e32 v14, v15
	v_mov_b32_e32 v12, v11
	v_pk_add_f32 v[30:31], v[12:13], v[8:9] neg_lo:[0,1] neg_hi:[0,1]
	v_mov_b32_e32 v10, v27
	v_mov_b32_e32 v13, v30
	v_pk_add_f32 v[32:33], v[26:27], v[12:13] neg_lo:[0,1] neg_hi:[0,1]
	v_mov_b32_e32 v26, v9
	v_mov_b32_e32 v27, v30
	;; [unrolled: 1-line block ×3, first 2 shown]
	v_pk_add_f32 v[10:11], v[10:11], v[26:27] neg_lo:[0,1] neg_hi:[0,1]
	v_mov_b32_e32 v15, v8
	v_pk_add_f32 v[8:9], v[14:15], v[10:11] neg_lo:[0,1] neg_hi:[0,1]
	v_mov_b32_e32 v32, v28
	v_pk_add_f32 v[10:11], v[32:33], v[8:9]
	s_nop 0
	v_mov_b32_e32 v14, v11
	v_pk_add_f32 v[14:15], v[10:11], v[14:15]
	s_nop 0
	v_pk_add_f32 v[12:13], v[12:13], v[14:15]
	v_mov_b32_e32 v9, v14
	v_mov_b32_e32 v11, v12
	v_pk_add_f32 v[26:27], v[10:11], v[28:29] neg_lo:[0,1] neg_hi:[0,1]
	s_nop 0
	v_sub_f32_e32 v10, v10, v26
	v_pk_add_f32 v[8:9], v[8:9], v[26:27] neg_lo:[0,1] neg_hi:[0,1]
	v_sub_f32_e32 v10, v28, v10
	v_add_f32_e32 v8, v8, v10
	v_add_f32_e32 v8, v8, v9
	;; [unrolled: 1-line block ×3, first 2 shown]
	v_cndmask_b32_e32 v27, v8, v19, vcc
.LBB85_107:                             ;   in Loop: Header=BB85_13 Depth=1
	s_or_b64 exec, exec, s[52:53]
	v_cvt_f32_f16_e32 v8, v7
	v_cvt_f32_f16_sdwa v9, v6 dst_sel:DWORD dst_unused:UNUSED_PAD src0_sel:WORD_1
	v_cvt_f32_f16_e32 v6, v6
	v_cvt_f32_f16_sdwa v11, v7 dst_sel:DWORD dst_unused:UNUSED_PAD src0_sel:WORD_1
	v_cvt_f32_f16_sdwa v7, v5 dst_sel:DWORD dst_unused:UNUSED_PAD src0_sel:WORD_1
	v_cvt_f32_f16_e32 v5, v5
	v_cvt_f32_f16_sdwa v10, v4 dst_sel:DWORD dst_unused:UNUSED_PAD src0_sel:WORD_1
	v_cvt_f32_f16_e32 v4, v4
	;; [unrolled: 2-line block ×6, first 2 shown]
	v_readlane_b32 s0, v95, 3
	s_waitcnt lgkmcnt(0)
	; wave barrier
	s_nop 0
	v_mul_f32_e32 v30, s0, v8
	v_mul_f32_e32 v29, s0, v9
	;; [unrolled: 1-line block ×16, first 2 shown]
	v_readlane_b32 s0, v95, 22
	v_readlane_b32 s1, v95, 23
	s_and_b64 vcc, exec, s[0:1]
	s_cbranch_vccz .LBB85_200
; %bb.108:                              ;   in Loop: Header=BB85_13 Depth=1
	v_mul_f32_e32 v82, v22, v0
	scratch_load_dword v0, off, off offset:264 ; 4-byte Folded Reload
	v_readlane_b32 s0, v95, 8
	v_readlane_b32 s1, v95, 9
	v_mul_f32_e32 v8, v65, v8
	v_mul_f32_e32 v6, v63, v6
	v_lshl_add_u64 v[44:45], s[0:1], 0, v[16:17]
	v_readlane_b32 s0, v95, 18
	v_readlane_b32 s1, v95, 19
	v_mul_f32_e32 v5, v61, v5
	s_mov_b32 s88, 0
	v_lshl_add_u64 v[46:47], s[0:1], 0, v[16:17]
	v_readlane_b32 s1, v95, 52
	s_cmp_lg_u32 s1, 0
	v_readlane_b32 s0, v95, 31
	s_cselect_b64 s[2:3], -1, 0
	s_cmp_eq_u32 s1, s0
	v_readlane_b32 s0, v95, 26
	v_readlane_b32 s1, v95, 27
	s_cselect_b64 s[94:95], -1, 0
	v_mul_f32_e32 v11, v27, v11
	scratch_store_dword off, v8, off offset:72 ; 4-byte Folded Spill
	v_mul_f32_e32 v8, v64, v9
	scratch_store_dword off, v6, off offset:80 ; 4-byte Folded Spill
	v_mul_f32_e32 v6, v62, v7
	scratch_store_dword off, v5, off offset:88 ; 4-byte Folded Spill
	v_mul_f32_e32 v5, v60, v10
	v_mul_f32_e32 v72, v94, v4
	;; [unrolled: 1-line block ×9, first 2 shown]
	s_mov_b32 s98, s88
	s_mov_b32 s96, s88
	;; [unrolled: 1-line block ×3, first 2 shown]
	v_readlane_b32 s90, v95, 48
	scratch_store_dword off, v11, off offset:68 ; 4-byte Folded Spill
	scratch_store_dword off, v8, off offset:76 ; 4-byte Folded Spill
	;; [unrolled: 1-line block ×4, first 2 shown]
	s_waitcnt vmcnt(7)
	v_cmp_gt_u32_e32 vcc, s82, v0
	scratch_load_dword v0, off, off offset:268 ; 4-byte Folded Reload
	s_or_b64 s[52:53], s[0:1], vcc
	s_waitcnt vmcnt(0)
	v_cmp_gt_u32_e32 vcc, s82, v0
	scratch_load_dword v0, off, off offset:272 ; 4-byte Folded Reload
	s_or_b64 s[54:55], s[0:1], vcc
	;; [unrolled: 4-line block ×15, first 2 shown]
	s_waitcnt vmcnt(0)
	v_cmp_gt_u32_e32 vcc, s82, v0
	s_or_b64 s[82:83], s[0:1], vcc
	v_readlane_b32 s0, v95, 24
	v_readlane_b32 s1, v95, 25
	s_mov_b32 s33, s1
	s_branch .LBB85_110
.LBB85_109:                             ;   in Loop: Header=BB85_110 Depth=2
	s_or_b64 exec, exec, s[92:93]
	v_mul_f32_e32 v48, v83, v69
	v_fma_f32 v49, v83, v70, v8
	v_cndmask_b32_e64 v8, v49, v8, s[16:17]
	v_cndmask_b32_e64 v48, v48, v83, s[16:17]
	s_waitcnt lgkmcnt(0)
	v_fmac_f32_e32 v8, v58, v48
	v_fmac_f32_e32 v9, v8, v84
	;; [unrolled: 1-line block ×15, first 2 shown]
	v_readlane_b32 s4, v95, 40
	v_fmac_f32_e32 v57, v56, v68
	v_cvt_f32_f16_sdwa v49, v4 dst_sel:DWORD dst_unused:UNUSED_PAD src0_sel:WORD_1
	v_cvt_f32_f16_sdwa v59, v5 dst_sel:DWORD dst_unused:UNUSED_PAD src0_sel:WORD_1
	v_cvt_f32_f16_e32 v48, v4
	v_cvt_f32_f16_e32 v58, v5
	v_cvt_f32_f16_sdwa v5, v6 dst_sel:DWORD dst_unused:UNUSED_PAD src0_sel:WORD_1
	v_cvt_f32_f16_sdwa v67, v7 dst_sel:DWORD dst_unused:UNUSED_PAD src0_sel:WORD_1
	v_cvt_f32_f16_e32 v4, v6
	v_cvt_f32_f16_e32 v66, v7
	;; [unrolled: 4-line block ×4, first 2 shown]
	v_readlane_b32 s5, v95, 41
	v_readlane_b32 s6, v95, 42
	v_readlane_b32 s7, v95, 43
	v_readlane_b32 s8, v95, 44
	v_readlane_b32 s9, v95, 45
	v_readlane_b32 s10, v95, 46
	v_readlane_b32 s11, v95, 47
	s_add_i32 s96, s96, s4
	v_readlane_b32 s4, v95, 10
	v_readlane_b32 s5, v95, 11
	;; [unrolled: 1-line block ×3, first 2 shown]
	s_add_i32 s90, s90, 8
	s_add_i32 s33, s33, -1
	s_add_i32 s86, s86, s87
	s_add_i32 s98, s98, s8
	;; [unrolled: 1-line block ×3, first 2 shown]
	v_pk_fma_f32 v[42:43], v[10:11], v[58:59], v[42:43]
	v_pk_fma_f32 v[40:41], v[8:9], v[48:49], v[40:41]
	;; [unrolled: 1-line block ×7, first 2 shown]
	s_cmp_eq_u32 s33, 0
	v_pk_fma_f32 v[28:29], v[14:15], v[0:1], v[28:29]
	v_readlane_b32 s6, v95, 12
	v_readlane_b32 s7, v95, 13
	;; [unrolled: 1-line block ×5, first 2 shown]
	s_cbranch_scc1 .LBB85_199
.LBB85_110:                             ;   Parent Loop BB85_13 Depth=1
                                        ; =>  This Inner Loop Header: Depth=2
	s_lshl_b64 s[92:93], s[88:89], 2
	v_readlane_b32 s0, v95, 6
	s_add_u32 s92, s0, s92
	v_readlane_b32 s0, v95, 7
	s_addc_u32 s93, s0, s93
	global_load_dword v50, v17, s[92:93]
	s_mov_b32 s99, s89
	v_lshl_add_u64 v[0:1], s[98:99], 1, v[44:45]
	v_mov_b32_e32 v2, 0
	v_mov_b32_e32 v3, 0
	s_and_saveexec_b64 s[92:93], s[18:19]
	s_cbranch_execnz .LBB85_146
; %bb.111:                              ;   in Loop: Header=BB85_110 Depth=2
	s_or_b64 exec, exec, s[92:93]
	s_and_saveexec_b64 s[92:93], s[20:21]
	s_cbranch_execnz .LBB85_147
.LBB85_112:                             ;   in Loop: Header=BB85_110 Depth=2
	s_or_b64 exec, exec, s[92:93]
	v_mov_b32_e32 v4, 0
	s_and_saveexec_b64 s[92:93], s[22:23]
	s_cbranch_execnz .LBB85_148
.LBB85_113:                             ;   in Loop: Header=BB85_110 Depth=2
	s_or_b64 exec, exec, s[92:93]
	s_and_saveexec_b64 s[92:93], s[24:25]
	s_cbranch_execnz .LBB85_149
.LBB85_114:                             ;   in Loop: Header=BB85_110 Depth=2
	s_or_b64 exec, exec, s[92:93]
	v_mov_b32_e32 v5, 0
	s_and_saveexec_b64 s[92:93], s[26:27]
	s_cbranch_execnz .LBB85_150
.LBB85_115:                             ;   in Loop: Header=BB85_110 Depth=2
	s_or_b64 exec, exec, s[92:93]
	s_and_saveexec_b64 s[92:93], s[28:29]
	s_cbranch_execnz .LBB85_151
.LBB85_116:                             ;   in Loop: Header=BB85_110 Depth=2
	s_or_b64 exec, exec, s[92:93]
	v_mov_b32_e32 v6, 0
	s_and_saveexec_b64 s[92:93], s[30:31]
	s_cbranch_execnz .LBB85_152
.LBB85_117:                             ;   in Loop: Header=BB85_110 Depth=2
	s_or_b64 exec, exec, s[92:93]
	s_and_saveexec_b64 s[92:93], s[34:35]
	s_cbranch_execnz .LBB85_153
.LBB85_118:                             ;   in Loop: Header=BB85_110 Depth=2
	s_or_b64 exec, exec, s[92:93]
	v_mov_b32_e32 v7, 0
	s_and_saveexec_b64 s[92:93], s[36:37]
	s_cbranch_execnz .LBB85_154
.LBB85_119:                             ;   in Loop: Header=BB85_110 Depth=2
	s_or_b64 exec, exec, s[92:93]
	s_and_saveexec_b64 s[92:93], s[38:39]
	s_cbranch_execnz .LBB85_155
.LBB85_120:                             ;   in Loop: Header=BB85_110 Depth=2
	s_or_b64 exec, exec, s[92:93]
	v_mov_b32_e32 v8, 0
	s_and_saveexec_b64 s[92:93], s[40:41]
	s_cbranch_execnz .LBB85_156
.LBB85_121:                             ;   in Loop: Header=BB85_110 Depth=2
	s_or_b64 exec, exec, s[92:93]
	s_and_saveexec_b64 s[92:93], s[42:43]
	s_cbranch_execnz .LBB85_157
.LBB85_122:                             ;   in Loop: Header=BB85_110 Depth=2
	s_or_b64 exec, exec, s[92:93]
	v_mov_b32_e32 v9, 0
	s_and_saveexec_b64 s[92:93], s[44:45]
	s_cbranch_execnz .LBB85_158
.LBB85_123:                             ;   in Loop: Header=BB85_110 Depth=2
	s_or_b64 exec, exec, s[92:93]
	s_and_saveexec_b64 s[92:93], s[46:47]
	s_cbranch_execnz .LBB85_159
.LBB85_124:                             ;   in Loop: Header=BB85_110 Depth=2
	s_or_b64 exec, exec, s[92:93]
	v_mov_b32_e32 v10, 0
	s_and_saveexec_b64 s[92:93], s[48:49]
	s_cbranch_execnz .LBB85_160
.LBB85_125:                             ;   in Loop: Header=BB85_110 Depth=2
	s_or_b64 exec, exec, s[92:93]
	s_and_saveexec_b64 s[92:93], s[50:51]
	s_cbranch_execz .LBB85_127
.LBB85_126:                             ;   in Loop: Header=BB85_110 Depth=2
	global_load_ushort v0, v[0:1], off offset:1920
	s_waitcnt vmcnt(0)
	v_lshl_or_b32 v10, v0, 16, v10
.LBB85_127:                             ;   in Loop: Header=BB85_110 Depth=2
	s_or_b64 exec, exec, s[92:93]
	scratch_load_dword v0, off, off         ; 4-byte Folded Reload
	s_mov_b32 s97, s89
	s_waitcnt vmcnt(0)
	ds_write_b16 v0, v3
	scratch_load_dword v0, off, off offset:8 ; 4-byte Folded Reload
	v_mov_b32_e32 v3, 0
	s_waitcnt vmcnt(0)
	ds_write_b16 v0, v2 offset:128
	scratch_load_dword v0, off, off offset:12 ; 4-byte Folded Reload
	v_mov_b32_e32 v2, 0
	s_waitcnt vmcnt(0)
	ds_write_b16 v0, v4 offset:256
	scratch_load_dword v0, off, off offset:16 ; 4-byte Folded Reload
	s_waitcnt vmcnt(0)
	ds_write_b16_d16_hi v0, v4 offset:384
	scratch_load_dword v0, off, off offset:20 ; 4-byte Folded Reload
	s_waitcnt vmcnt(0)
	ds_write_b16 v0, v5 offset:512
	scratch_load_dword v0, off, off offset:24 ; 4-byte Folded Reload
	s_waitcnt vmcnt(0)
	ds_write_b16_d16_hi v0, v5 offset:640
	scratch_load_dword v0, off, off offset:28 ; 4-byte Folded Reload
	;; [unrolled: 6-line block ×6, first 2 shown]
	s_waitcnt vmcnt(0)
	ds_write_b16 v0, v10 offset:1792
	scratch_load_dword v0, off, off offset:64 ; 4-byte Folded Reload
	s_waitcnt vmcnt(0)
	ds_write_b16_d16_hi v0, v10 offset:1920
	; wave barrier
	scratch_load_dword v0, off, off offset:4 ; 4-byte Folded Reload
	s_waitcnt vmcnt(0)
	ds_read_b128 v[12:15], v0
	ds_read_b128 v[8:11], v0 offset:16
	v_lshl_add_u64 v[0:1], s[96:97], 1, v[46:47]
	s_and_saveexec_b64 s[92:93], s[18:19]
	s_cbranch_execnz .LBB85_161
; %bb.128:                              ;   in Loop: Header=BB85_110 Depth=2
	s_or_b64 exec, exec, s[92:93]
	s_and_saveexec_b64 s[92:93], s[20:21]
	s_cbranch_execnz .LBB85_162
.LBB85_129:                             ;   in Loop: Header=BB85_110 Depth=2
	s_or_b64 exec, exec, s[92:93]
	v_mov_b32_e32 v4, 0
	s_and_saveexec_b64 s[92:93], s[22:23]
	s_cbranch_execnz .LBB85_163
.LBB85_130:                             ;   in Loop: Header=BB85_110 Depth=2
	s_or_b64 exec, exec, s[92:93]
	s_and_saveexec_b64 s[92:93], s[24:25]
	s_cbranch_execnz .LBB85_164
.LBB85_131:                             ;   in Loop: Header=BB85_110 Depth=2
	s_or_b64 exec, exec, s[92:93]
	v_mov_b32_e32 v5, 0
	s_and_saveexec_b64 s[92:93], s[26:27]
	s_cbranch_execnz .LBB85_165
.LBB85_132:                             ;   in Loop: Header=BB85_110 Depth=2
	s_or_b64 exec, exec, s[92:93]
	s_and_saveexec_b64 s[92:93], s[28:29]
	s_cbranch_execnz .LBB85_166
.LBB85_133:                             ;   in Loop: Header=BB85_110 Depth=2
	s_or_b64 exec, exec, s[92:93]
	v_mov_b32_e32 v6, 0
	s_and_saveexec_b64 s[92:93], s[30:31]
	s_cbranch_execnz .LBB85_167
.LBB85_134:                             ;   in Loop: Header=BB85_110 Depth=2
	s_or_b64 exec, exec, s[92:93]
	s_and_saveexec_b64 s[92:93], s[34:35]
	s_cbranch_execnz .LBB85_168
.LBB85_135:                             ;   in Loop: Header=BB85_110 Depth=2
	s_or_b64 exec, exec, s[92:93]
	v_mov_b32_e32 v7, 0
	s_and_saveexec_b64 s[92:93], s[36:37]
	s_cbranch_execnz .LBB85_169
.LBB85_136:                             ;   in Loop: Header=BB85_110 Depth=2
	s_or_b64 exec, exec, s[92:93]
	s_and_saveexec_b64 s[92:93], s[38:39]
	s_cbranch_execnz .LBB85_170
.LBB85_137:                             ;   in Loop: Header=BB85_110 Depth=2
	s_or_b64 exec, exec, s[92:93]
	v_mov_b32_e32 v16, 0
	s_and_saveexec_b64 s[92:93], s[40:41]
	s_cbranch_execnz .LBB85_171
.LBB85_138:                             ;   in Loop: Header=BB85_110 Depth=2
	s_or_b64 exec, exec, s[92:93]
	s_and_saveexec_b64 s[92:93], s[42:43]
	s_cbranch_execnz .LBB85_172
.LBB85_139:                             ;   in Loop: Header=BB85_110 Depth=2
	s_or_b64 exec, exec, s[92:93]
	v_mov_b32_e32 v26, 0
	s_and_saveexec_b64 s[92:93], s[44:45]
	s_cbranch_execnz .LBB85_173
.LBB85_140:                             ;   in Loop: Header=BB85_110 Depth=2
	s_or_b64 exec, exec, s[92:93]
	s_and_saveexec_b64 s[92:93], s[46:47]
	s_cbranch_execnz .LBB85_174
.LBB85_141:                             ;   in Loop: Header=BB85_110 Depth=2
	s_or_b64 exec, exec, s[92:93]
	v_mov_b32_e32 v48, 0
	s_and_saveexec_b64 s[92:93], s[48:49]
	s_cbranch_execnz .LBB85_175
.LBB85_142:                             ;   in Loop: Header=BB85_110 Depth=2
	s_or_b64 exec, exec, s[92:93]
	s_and_saveexec_b64 s[92:93], s[50:51]
	s_cbranch_execz .LBB85_144
.LBB85_143:                             ;   in Loop: Header=BB85_110 Depth=2
	global_load_ushort v0, v[0:1], off offset:1920
	s_waitcnt vmcnt(0)
	v_lshl_or_b32 v48, v0, 16, v48
.LBB85_144:                             ;   in Loop: Header=BB85_110 Depth=2
	s_or_b64 exec, exec, s[92:93]
	scratch_load_dword v0, off, off         ; 4-byte Folded Reload
	s_andn2_b64 vcc, exec, s[2:3]
	s_waitcnt vmcnt(0)
	ds_write_b16 v0, v3 offset:2112
	scratch_load_dword v0, off, off offset:96 ; 4-byte Folded Reload
	s_waitcnt vmcnt(0)
	ds_write_b16 v0, v2 offset:128
	scratch_load_dword v0, off, off offset:100 ; 4-byte Folded Reload
	;; [unrolled: 3-line block ×3, first 2 shown]
	s_waitcnt vmcnt(0)
	ds_write_b16_d16_hi v0, v4 offset:384
	scratch_load_dword v0, off, off offset:108 ; 4-byte Folded Reload
	s_waitcnt vmcnt(0)
	ds_write_b16 v0, v5 offset:512
	scratch_load_dword v0, off, off offset:112 ; 4-byte Folded Reload
	s_waitcnt vmcnt(0)
	ds_write_b16_d16_hi v0, v5 offset:640
	scratch_load_dword v0, off, off offset:116 ; 4-byte Folded Reload
	s_waitcnt vmcnt(0)
	ds_write_b16 v0, v6 offset:768
	scratch_load_dword v0, off, off offset:120 ; 4-byte Folded Reload
	;; [unrolled: 6-line block ×6, first 2 shown]
	s_waitcnt vmcnt(0)
	ds_write_b16_d16_hi v0, v48 offset:1920
	; wave barrier
	scratch_load_dword v0, off, off offset:4 ; 4-byte Folded Reload
	s_waitcnt vmcnt(0)
	ds_read_b128 v[4:7], v0 offset:2112
	scratch_load_dword v0, off, off offset:156 ; 4-byte Folded Reload
	s_waitcnt vmcnt(0)
	ds_read_b128 v[0:3], v0 offset:16
	s_cbranch_vccnz .LBB85_176
; %bb.145:                              ;   in Loop: Header=BB85_110 Depth=2
	v_mov_b32_e32 v16, s90
	ds_read_b64 v[48:49], v16
	s_cbranch_execz .LBB85_177
	s_branch .LBB85_180
.LBB85_146:                             ;   in Loop: Header=BB85_110 Depth=2
	global_load_ushort v3, v[0:1], off
	s_or_b64 exec, exec, s[92:93]
	s_and_saveexec_b64 s[92:93], s[20:21]
	s_cbranch_execz .LBB85_112
.LBB85_147:                             ;   in Loop: Header=BB85_110 Depth=2
	global_load_ushort v2, v[0:1], off offset:128
	s_or_b64 exec, exec, s[92:93]
	v_mov_b32_e32 v4, 0
	s_and_saveexec_b64 s[92:93], s[22:23]
	s_cbranch_execz .LBB85_113
.LBB85_148:                             ;   in Loop: Header=BB85_110 Depth=2
	global_load_ushort v4, v[0:1], off offset:256
	s_or_b64 exec, exec, s[92:93]
	s_and_saveexec_b64 s[92:93], s[24:25]
	s_cbranch_execz .LBB85_114
.LBB85_149:                             ;   in Loop: Header=BB85_110 Depth=2
	global_load_ushort v5, v[0:1], off offset:384
	s_waitcnt vmcnt(0)
	v_lshl_or_b32 v4, v5, 16, v4
	s_or_b64 exec, exec, s[92:93]
	v_mov_b32_e32 v5, 0
	s_and_saveexec_b64 s[92:93], s[26:27]
	s_cbranch_execz .LBB85_115
.LBB85_150:                             ;   in Loop: Header=BB85_110 Depth=2
	global_load_ushort v5, v[0:1], off offset:512
	s_or_b64 exec, exec, s[92:93]
	s_and_saveexec_b64 s[92:93], s[28:29]
	s_cbranch_execz .LBB85_116
.LBB85_151:                             ;   in Loop: Header=BB85_110 Depth=2
	global_load_ushort v6, v[0:1], off offset:640
	s_waitcnt vmcnt(0)
	v_lshl_or_b32 v5, v6, 16, v5
	s_or_b64 exec, exec, s[92:93]
	v_mov_b32_e32 v6, 0
	s_and_saveexec_b64 s[92:93], s[30:31]
	s_cbranch_execz .LBB85_117
.LBB85_152:                             ;   in Loop: Header=BB85_110 Depth=2
	global_load_ushort v6, v[0:1], off offset:768
	s_or_b64 exec, exec, s[92:93]
	s_and_saveexec_b64 s[92:93], s[34:35]
	s_cbranch_execz .LBB85_118
.LBB85_153:                             ;   in Loop: Header=BB85_110 Depth=2
	global_load_ushort v7, v[0:1], off offset:896
	s_waitcnt vmcnt(0)
	v_lshl_or_b32 v6, v7, 16, v6
	s_or_b64 exec, exec, s[92:93]
	v_mov_b32_e32 v7, 0
	s_and_saveexec_b64 s[92:93], s[36:37]
	s_cbranch_execz .LBB85_119
.LBB85_154:                             ;   in Loop: Header=BB85_110 Depth=2
	global_load_ushort v7, v[0:1], off offset:1024
	s_or_b64 exec, exec, s[92:93]
	s_and_saveexec_b64 s[92:93], s[38:39]
	s_cbranch_execz .LBB85_120
.LBB85_155:                             ;   in Loop: Header=BB85_110 Depth=2
	global_load_ushort v8, v[0:1], off offset:1152
	s_waitcnt vmcnt(0)
	v_lshl_or_b32 v7, v8, 16, v7
	s_or_b64 exec, exec, s[92:93]
	v_mov_b32_e32 v8, 0
	s_and_saveexec_b64 s[92:93], s[40:41]
	s_cbranch_execz .LBB85_121
.LBB85_156:                             ;   in Loop: Header=BB85_110 Depth=2
	global_load_ushort v8, v[0:1], off offset:1280
	s_or_b64 exec, exec, s[92:93]
	s_and_saveexec_b64 s[92:93], s[42:43]
	s_cbranch_execz .LBB85_122
.LBB85_157:                             ;   in Loop: Header=BB85_110 Depth=2
	global_load_ushort v9, v[0:1], off offset:1408
	s_waitcnt vmcnt(0)
	v_lshl_or_b32 v8, v9, 16, v8
	s_or_b64 exec, exec, s[92:93]
	v_mov_b32_e32 v9, 0
	s_and_saveexec_b64 s[92:93], s[44:45]
	s_cbranch_execz .LBB85_123
.LBB85_158:                             ;   in Loop: Header=BB85_110 Depth=2
	global_load_ushort v9, v[0:1], off offset:1536
	s_or_b64 exec, exec, s[92:93]
	s_and_saveexec_b64 s[92:93], s[46:47]
	s_cbranch_execz .LBB85_124
.LBB85_159:                             ;   in Loop: Header=BB85_110 Depth=2
	global_load_ushort v10, v[0:1], off offset:1664
	s_waitcnt vmcnt(0)
	v_lshl_or_b32 v9, v10, 16, v9
	s_or_b64 exec, exec, s[92:93]
	v_mov_b32_e32 v10, 0
	s_and_saveexec_b64 s[92:93], s[48:49]
	s_cbranch_execz .LBB85_125
.LBB85_160:                             ;   in Loop: Header=BB85_110 Depth=2
	global_load_ushort v10, v[0:1], off offset:1792
	s_or_b64 exec, exec, s[92:93]
	s_and_saveexec_b64 s[92:93], s[50:51]
	s_cbranch_execnz .LBB85_126
	s_branch .LBB85_127
.LBB85_161:                             ;   in Loop: Header=BB85_110 Depth=2
	global_load_ushort v3, v[0:1], off
	s_or_b64 exec, exec, s[92:93]
	s_and_saveexec_b64 s[92:93], s[20:21]
	s_cbranch_execz .LBB85_129
.LBB85_162:                             ;   in Loop: Header=BB85_110 Depth=2
	global_load_ushort v2, v[0:1], off offset:128
	s_or_b64 exec, exec, s[92:93]
	v_mov_b32_e32 v4, 0
	s_and_saveexec_b64 s[92:93], s[22:23]
	s_cbranch_execz .LBB85_130
.LBB85_163:                             ;   in Loop: Header=BB85_110 Depth=2
	global_load_ushort v4, v[0:1], off offset:256
	s_or_b64 exec, exec, s[92:93]
	s_and_saveexec_b64 s[92:93], s[24:25]
	s_cbranch_execz .LBB85_131
.LBB85_164:                             ;   in Loop: Header=BB85_110 Depth=2
	global_load_ushort v5, v[0:1], off offset:384
	s_waitcnt vmcnt(0)
	v_lshl_or_b32 v4, v5, 16, v4
	s_or_b64 exec, exec, s[92:93]
	v_mov_b32_e32 v5, 0
	s_and_saveexec_b64 s[92:93], s[26:27]
	s_cbranch_execz .LBB85_132
.LBB85_165:                             ;   in Loop: Header=BB85_110 Depth=2
	global_load_ushort v5, v[0:1], off offset:512
	s_or_b64 exec, exec, s[92:93]
	s_and_saveexec_b64 s[92:93], s[28:29]
	s_cbranch_execz .LBB85_133
.LBB85_166:                             ;   in Loop: Header=BB85_110 Depth=2
	global_load_ushort v6, v[0:1], off offset:640
	s_waitcnt vmcnt(0)
	v_lshl_or_b32 v5, v6, 16, v5
	s_or_b64 exec, exec, s[92:93]
	v_mov_b32_e32 v6, 0
	s_and_saveexec_b64 s[92:93], s[30:31]
	s_cbranch_execz .LBB85_134
.LBB85_167:                             ;   in Loop: Header=BB85_110 Depth=2
	global_load_ushort v6, v[0:1], off offset:768
	s_or_b64 exec, exec, s[92:93]
	s_and_saveexec_b64 s[92:93], s[34:35]
	s_cbranch_execz .LBB85_135
.LBB85_168:                             ;   in Loop: Header=BB85_110 Depth=2
	global_load_ushort v7, v[0:1], off offset:896
	s_waitcnt vmcnt(0)
	v_lshl_or_b32 v6, v7, 16, v6
	s_or_b64 exec, exec, s[92:93]
	v_mov_b32_e32 v7, 0
	s_and_saveexec_b64 s[92:93], s[36:37]
	s_cbranch_execz .LBB85_136
.LBB85_169:                             ;   in Loop: Header=BB85_110 Depth=2
	global_load_ushort v7, v[0:1], off offset:1024
	s_or_b64 exec, exec, s[92:93]
	s_and_saveexec_b64 s[92:93], s[38:39]
	s_cbranch_execz .LBB85_137
.LBB85_170:                             ;   in Loop: Header=BB85_110 Depth=2
	global_load_ushort v16, v[0:1], off offset:1152
	s_waitcnt vmcnt(0)
	v_lshl_or_b32 v7, v16, 16, v7
	s_or_b64 exec, exec, s[92:93]
	v_mov_b32_e32 v16, 0
	s_and_saveexec_b64 s[92:93], s[40:41]
	s_cbranch_execz .LBB85_138
.LBB85_171:                             ;   in Loop: Header=BB85_110 Depth=2
	global_load_ushort v16, v[0:1], off offset:1280
	s_or_b64 exec, exec, s[92:93]
	s_and_saveexec_b64 s[92:93], s[42:43]
	s_cbranch_execz .LBB85_139
.LBB85_172:                             ;   in Loop: Header=BB85_110 Depth=2
	global_load_ushort v26, v[0:1], off offset:1408
	s_waitcnt vmcnt(0)
	v_lshl_or_b32 v16, v26, 16, v16
	s_or_b64 exec, exec, s[92:93]
	v_mov_b32_e32 v26, 0
	s_and_saveexec_b64 s[92:93], s[44:45]
	s_cbranch_execz .LBB85_140
.LBB85_173:                             ;   in Loop: Header=BB85_110 Depth=2
	global_load_ushort v26, v[0:1], off offset:1536
	s_or_b64 exec, exec, s[92:93]
	s_and_saveexec_b64 s[92:93], s[46:47]
	s_cbranch_execz .LBB85_141
.LBB85_174:                             ;   in Loop: Header=BB85_110 Depth=2
	global_load_ushort v48, v[0:1], off offset:1664
	s_waitcnt vmcnt(0)
	v_lshl_or_b32 v26, v48, 16, v26
	s_or_b64 exec, exec, s[92:93]
	v_mov_b32_e32 v48, 0
	s_and_saveexec_b64 s[92:93], s[48:49]
	s_cbranch_execz .LBB85_142
.LBB85_175:                             ;   in Loop: Header=BB85_110 Depth=2
	global_load_ushort v48, v[0:1], off offset:1792
	s_or_b64 exec, exec, s[92:93]
	s_and_saveexec_b64 s[92:93], s[50:51]
	s_cbranch_execnz .LBB85_143
	s_branch .LBB85_144
.LBB85_176:                             ;   in Loop: Header=BB85_110 Depth=2
                                        ; implicit-def: $vgpr49
.LBB85_177:                             ;   in Loop: Header=BB85_110 Depth=2
	v_readlane_b32 s0, v95, 0
	v_readlane_b32 s1, v95, 1
	s_andn2_b64 vcc, exec, s[0:1]
	s_waitcnt lgkmcnt(0)
	v_mov_b32_e32 v49, 0
	s_cbranch_vccnz .LBB85_179
; %bb.178:                              ;   in Loop: Header=BB85_110 Depth=2
	s_mov_b32 s87, s89
	s_lshl_b64 s[92:93], s[86:87], 1
	v_readlane_b32 s0, v95, 20
	s_add_u32 s92, s0, s92
	v_readlane_b32 s0, v95, 21
	s_addc_u32 s93, s0, s93
	global_load_ushort v16, v17, s[92:93]
	v_readlane_b32 s87, v95, 49
	s_waitcnt vmcnt(0)
	v_cvt_f32_f16_e32 v49, v16
.LBB85_179:                             ;   in Loop: Header=BB85_110 Depth=2
	v_mov_b32_e32 v48, 1.0
.LBB85_180:                             ;   in Loop: Header=BB85_110 Depth=2
	v_mul_f32_e32 v56, 0x3fb8aa3b, v50
	s_waitcnt lgkmcnt(14)
	v_cvt_f32_f16_e32 v53, v8
	v_cvt_f32_f16_sdwa v54, v8 dst_sel:DWORD dst_unused:UNUSED_PAD src0_sel:WORD_1
	v_mul_f32_e32 v8, v56, v22
	v_cmp_gt_f32_e32 vcc, s91, v8
	v_cvt_f32_f16_e32 v59, v10
	v_cvt_f32_f16_sdwa v67, v10 dst_sel:DWORD dst_unused:UNUSED_PAD src0_sel:WORD_1
	v_cndmask_b32_e32 v8, 0, v20, vcc
	v_mul_f32_e32 v10, v56, v23
	v_cvt_f32_f16_e32 v55, v9
	v_cvt_f32_f16_sdwa v58, v9 dst_sel:DWORD dst_unused:UNUSED_PAD src0_sel:WORD_1
	v_fmac_f32_e32 v8, v56, v22
	v_cndmask_b32_e32 v9, 1.0, v21, vcc
	v_cmp_gt_f32_e32 vcc, s91, v10
	v_exp_f32_e32 v8, v8
	v_cvt_f32_f16_e32 v16, v12
	v_cndmask_b32_e32 v10, 0, v20, vcc
	v_fmac_f32_e32 v10, v56, v23
	v_cvt_f32_f16_sdwa v12, v12 dst_sel:DWORD dst_unused:UNUSED_PAD src0_sel:WORD_1
	v_exp_f32_e32 v10, v10
	v_cvt_f32_f16_e32 v68, v11
	v_cvt_f32_f16_sdwa v57, v11 dst_sel:DWORD dst_unused:UNUSED_PAD src0_sel:WORD_1
	v_mul_f32_e32 v9, v8, v9
	v_mul_f32_e32 v11, v56, v24
	v_cndmask_b32_e64 v83, 1.0, v9, s[52:53]
	v_cndmask_b32_e32 v9, 1.0, v21, vcc
	v_cmp_gt_f32_e32 vcc, s91, v11
	v_mul_f32_e32 v10, v10, v9
	v_mul_f32_e32 v9, v81, v12
	v_cndmask_b32_e32 v11, 0, v20, vcc
	v_mul_f32_e32 v12, v56, v25
	v_fmac_f32_e32 v11, v56, v24
	v_cndmask_b32_e64 v84, 1.0, v10, s[54:55]
	v_cndmask_b32_e32 v10, 1.0, v21, vcc
	v_cmp_gt_f32_e32 vcc, s91, v12
	v_exp_f32_e32 v11, v11
	v_cvt_f32_f16_e32 v26, v13
	v_cndmask_b32_e32 v12, 0, v20, vcc
	v_fmac_f32_e32 v12, v56, v25
	v_cvt_f32_f16_sdwa v13, v13 dst_sel:DWORD dst_unused:UNUSED_PAD src0_sel:WORD_1
	v_exp_f32_e32 v12, v12
	v_mul_f32_e32 v11, v11, v10
	v_cndmask_b32_e64 v85, 1.0, v11, s[56:57]
	v_cndmask_b32_e32 v11, 1.0, v21, vcc
	v_mul_f32_e32 v12, v12, v11
	v_mul_f32_e32 v11, v79, v13
	;; [unrolled: 1-line block ×3, first 2 shown]
	v_cmp_gt_f32_e32 vcc, s91, v13
	v_mul_f32_e32 v8, v82, v16
	v_mul_f32_e32 v16, v56, v74
	v_cndmask_b32_e32 v13, 0, v20, vcc
	v_fmac_f32_e32 v13, v56, v18
	v_cndmask_b32_e64 v86, 1.0, v12, s[58:59]
	v_cndmask_b32_e32 v12, 1.0, v21, vcc
	v_cmp_gt_f32_e32 vcc, s91, v16
	v_exp_f32_e32 v13, v13
	v_cvt_f32_f16_e32 v51, v14
	v_cndmask_b32_e32 v16, 0, v20, vcc
	v_fmac_f32_e32 v16, v56, v74
	v_cvt_f32_f16_sdwa v14, v14 dst_sel:DWORD dst_unused:UNUSED_PAD src0_sel:WORD_1
	v_exp_f32_e32 v16, v16
	v_mul_f32_e32 v13, v13, v12
	v_cndmask_b32_e64 v87, 1.0, v13, s[60:61]
	v_cndmask_b32_e32 v13, 1.0, v21, vcc
	v_mul_f32_e32 v16, v16, v13
	v_mul_f32_e32 v13, v77, v14
	;; [unrolled: 1-line block ×3, first 2 shown]
	v_cmp_gt_f32_e32 vcc, s91, v14
	v_cvt_f32_f16_e32 v52, v15
	v_cvt_f32_f16_sdwa v15, v15 dst_sel:DWORD dst_unused:UNUSED_PAD src0_sel:WORD_1
	v_cndmask_b32_e32 v14, 0, v20, vcc
	v_fmac_f32_e32 v14, v56, v92
	v_exp_f32_e32 v14, v14
	v_mul_f32_e32 v15, v19, v15
	v_mul_f32_e32 v12, v78, v51
	v_cndmask_b32_e64 v88, 1.0, v16, s[62:63]
	v_cndmask_b32_e32 v16, 1.0, v21, vcc
	v_cndmask_b32_e64 v51, 0, v15, s[66:67]
	v_mul_f32_e32 v15, v72, v53
	v_mul_f32_e32 v14, v14, v16
	;; [unrolled: 1-line block ×3, first 2 shown]
	v_cndmask_b32_e64 v52, 0, v15, s[68:69]
	scratch_load_dword v15, off, off offset:92 ; 4-byte Folded Reload
	v_mul_f32_e32 v10, v80, v26
	v_mul_f32_e32 v26, v56, v93
	v_cmp_gt_f32_e32 vcc, s91, v26
	v_cndmask_b32_e64 v50, 0, v16, s[64:65]
	v_mul_f32_e32 v16, v56, v94
	v_cndmask_b32_e32 v26, 0, v20, vcc
	v_fmac_f32_e32 v26, v56, v93
	v_cndmask_b32_e64 v89, 1.0, v14, s[64:65]
	v_cndmask_b32_e32 v14, 1.0, v21, vcc
	v_cmp_gt_f32_e32 vcc, s91, v16
	v_exp_f32_e32 v26, v26
	v_cndmask_b32_e64 v8, 0, v8, s[52:53]
	v_cndmask_b32_e32 v16, 0, v20, vcc
	v_fmac_f32_e32 v16, v56, v94
	v_exp_f32_e32 v16, v16
	v_mul_f32_e32 v14, v26, v14
	v_cndmask_b32_e64 v90, 1.0, v14, s[66:67]
	v_cndmask_b32_e32 v14, 1.0, v21, vcc
	v_mul_f32_e32 v14, v16, v14
	v_mul_f32_e32 v16, v56, v60
	v_cmp_gt_f32_e32 vcc, s91, v16
	v_cndmask_b32_e64 v73, 1.0, v14, s[68:69]
	v_cndmask_b32_e64 v9, 0, v9, s[54:55]
	v_cndmask_b32_e32 v16, 0, v20, vcc
	v_fmac_f32_e32 v16, v56, v60
	v_exp_f32_e32 v16, v16
	v_cndmask_b32_e32 v14, 1.0, v21, vcc
	v_cndmask_b32_e64 v10, 0, v10, s[56:57]
	v_cndmask_b32_e64 v11, 0, v11, s[58:59]
	v_mul_f32_e32 v14, v16, v14
	v_mul_f32_e32 v16, v56, v61
	v_cmp_gt_f32_e32 vcc, s91, v16
	v_cndmask_b32_e64 v75, 1.0, v14, s[70:71]
	v_cndmask_b32_e64 v12, 0, v12, s[60:61]
	v_cndmask_b32_e32 v16, 0, v20, vcc
	v_fmac_f32_e32 v16, v56, v61
	v_exp_f32_e32 v16, v16
	v_cndmask_b32_e32 v14, 1.0, v21, vcc
	v_cndmask_b32_e64 v13, 0, v13, s[62:63]
	v_readlane_b32 s0, v95, 28
	v_mul_f32_e32 v14, v16, v14
	v_mul_f32_e32 v16, v56, v62
	v_cmp_gt_f32_e32 vcc, s91, v16
	v_cndmask_b32_e64 v26, 1.0, v14, s[72:73]
	v_readlane_b32 s1, v95, 29
	v_cndmask_b32_e32 v16, 0, v20, vcc
	v_fmac_f32_e32 v16, v56, v62
	v_exp_f32_e32 v16, v16
	v_cndmask_b32_e32 v14, 1.0, v21, vcc
	v_mul_f32_e32 v14, v16, v14
	v_mul_f32_e32 v16, v56, v63
	v_cmp_gt_f32_e32 vcc, s91, v16
	v_cndmask_b32_e64 v91, 1.0, v14, s[74:75]
	s_waitcnt vmcnt(0)
	v_mul_f32_e32 v15, v15, v54
	v_cndmask_b32_e64 v53, 0, v15, s[70:71]
	scratch_load_dword v15, off, off offset:88 ; 4-byte Folded Reload
	v_cndmask_b32_e32 v16, 0, v20, vcc
	v_fmac_f32_e32 v16, v56, v63
	v_exp_f32_e32 v16, v16
	v_cndmask_b32_e32 v14, 1.0, v21, vcc
	s_waitcnt vmcnt(0)
	v_mul_f32_e32 v15, v15, v55
	v_cndmask_b32_e64 v54, 0, v15, s[72:73]
	scratch_load_dword v15, off, off offset:84 ; 4-byte Folded Reload
	s_waitcnt vmcnt(0)
	v_mul_f32_e32 v15, v15, v58
	v_cndmask_b32_e64 v55, 0, v15, s[74:75]
	v_mul_f32_e32 v15, v16, v14
	scratch_load_dword v14, off, off offset:80 ; 4-byte Folded Reload
	v_mul_f32_e32 v16, v56, v64
	v_cmp_gt_f32_e32 vcc, s91, v16
	v_mul_f32_e32 v58, v56, v65
	v_cndmask_b32_e64 v66, 1.0, v15, s[76:77]
	v_cndmask_b32_e32 v16, 0, v20, vcc
	v_fmac_f32_e32 v16, v56, v64
	v_cndmask_b32_e32 v15, 1.0, v21, vcc
	v_cmp_gt_f32_e32 vcc, s91, v58
	v_exp_f32_e32 v16, v16
	s_nop 0
	v_cndmask_b32_e32 v58, 0, v20, vcc
	v_fmac_f32_e32 v58, v56, v65
	v_exp_f32_e32 v58, v58
	v_mul_f32_e32 v16, v16, v15
	scratch_load_dword v15, off, off offset:76 ; 4-byte Folded Reload
	v_cndmask_b32_e64 v16, 1.0, v16, s[78:79]
	s_waitcnt vmcnt(1)
	v_mul_f32_e32 v14, v14, v59
	v_cndmask_b32_e32 v59, 1.0, v21, vcc
	v_mul_f32_e32 v58, v58, v59
	scratch_load_dword v59, off, off offset:72 ; 4-byte Folded Reload
	v_cndmask_b32_e64 v14, 0, v14, s[76:77]
	s_waitcnt vmcnt(1)
	v_mul_f32_e32 v15, v15, v67
	v_mul_f32_e32 v67, v56, v27
	v_cmp_gt_f32_e32 vcc, s91, v67
	v_cndmask_b32_e64 v15, 0, v15, s[78:79]
	s_waitcnt vmcnt(0)
	v_mul_f32_e32 v59, v59, v68
	v_cndmask_b32_e32 v67, 0, v20, vcc
	v_fmac_f32_e32 v67, v56, v27
	v_cndmask_b32_e64 v56, 0, v59, s[80:81]
	scratch_load_dword v59, off, off offset:68 ; 4-byte Folded Reload
	v_exp_f32_e32 v68, v67
	v_cndmask_b32_e64 v67, 1.0, v58, s[80:81]
	v_cndmask_b32_e32 v58, 1.0, v21, vcc
	v_mul_f32_e32 v58, v68, v58
	v_cndmask_b32_e64 v68, 1.0, v58, s[82:83]
	v_mul_f32_e32 v58, v84, v83
	v_mul_f32_e32 v58, v58, v85
	;; [unrolled: 1-line block ×15, first 2 shown]
	s_waitcnt vmcnt(0)
	v_mul_f32_e32 v57, v59, v57
	v_fma_f32 v59, v84, v8, v9
	v_fma_f32 v59, v59, v85, v10
	v_fma_f32 v59, v59, v86, v11
	v_fma_f32 v59, v59, v87, v12
	v_fma_f32 v59, v59, v88, v13
	v_fma_f32 v59, v59, v89, v50
	v_fma_f32 v59, v59, v90, v51
	v_fma_f32 v59, v59, v73, v52
	v_fma_f32 v59, v59, v75, v53
	v_fma_f32 v59, v59, v26, v54
	v_fma_f32 v59, v59, v91, v55
	v_fma_f32 v59, v59, v66, v14
	v_fma_f32 v59, v59, v16, v15
	v_cndmask_b32_e64 v57, 0, v57, s[82:83]
	v_fma_f32 v59, v59, v67, v56
	v_fma_f32 v71, v59, v68, v57
	v_mov_b32_dpp v70, v58 row_shr:1 row_mask:0xf bank_mask:0xf
	s_nop 0
	v_mov_b32_dpp v69, v71 row_shr:1 row_mask:0xf bank_mask:0xf
	s_and_saveexec_b64 s[92:93], s[0:1]
; %bb.181:                              ;   in Loop: Header=BB85_110 Depth=2
	v_mul_f32_e32 v70, v58, v70
	v_fmac_f32_e32 v71, v58, v69
	v_mov_b32_e32 v58, v70
; %bb.182:                              ;   in Loop: Header=BB85_110 Depth=2
	s_or_b64 exec, exec, s[92:93]
	v_readlane_b32 s0, v95, 32
	v_mov_b32_dpp v69, v58 row_shr:2 row_mask:0xf bank_mask:0xf
	v_mov_b32_dpp v70, v71 row_shr:2 row_mask:0xf bank_mask:0xf
	v_readlane_b32 s1, v95, 33
	s_and_saveexec_b64 s[92:93], s[0:1]
; %bb.183:                              ;   in Loop: Header=BB85_110 Depth=2
	v_fmac_f32_e32 v71, v58, v70
	v_mul_f32_e32 v58, v58, v69
; %bb.184:                              ;   in Loop: Header=BB85_110 Depth=2
	s_or_b64 exec, exec, s[92:93]
	s_nop 0
	v_mov_b32_dpp v69, v58 row_shr:4 row_mask:0xf bank_mask:0xf
	v_mov_b32_dpp v70, v71 row_shr:4 row_mask:0xf bank_mask:0xf
	s_and_saveexec_b64 s[92:93], s[84:85]
; %bb.185:                              ;   in Loop: Header=BB85_110 Depth=2
	v_fmac_f32_e32 v71, v58, v70
	v_mul_f32_e32 v58, v58, v69
; %bb.186:                              ;   in Loop: Header=BB85_110 Depth=2
	s_or_b64 exec, exec, s[92:93]
	v_readlane_b32 s0, v95, 34
	v_mov_b32_dpp v69, v58 row_shr:8 row_mask:0xf bank_mask:0xf
	v_mov_b32_dpp v70, v71 row_shr:8 row_mask:0xf bank_mask:0xf
	v_readlane_b32 s1, v95, 35
	s_and_saveexec_b64 s[92:93], s[0:1]
; %bb.187:                              ;   in Loop: Header=BB85_110 Depth=2
	v_fmac_f32_e32 v71, v58, v70
	v_mul_f32_e32 v58, v58, v69
; %bb.188:                              ;   in Loop: Header=BB85_110 Depth=2
	s_or_b64 exec, exec, s[92:93]
	v_readlane_b32 s0, v95, 36
	v_mov_b32_dpp v69, v58 row_bcast:15 row_mask:0xf bank_mask:0xf
	v_mov_b32_dpp v70, v71 row_bcast:15 row_mask:0xf bank_mask:0xf
	v_readlane_b32 s1, v95, 37
	s_and_saveexec_b64 s[92:93], s[0:1]
; %bb.189:                              ;   in Loop: Header=BB85_110 Depth=2
	v_fmac_f32_e32 v71, v58, v70
	v_mul_f32_e32 v58, v58, v69
; %bb.190:                              ;   in Loop: Header=BB85_110 Depth=2
	s_or_b64 exec, exec, s[92:93]
	s_nop 0
	v_mov_b32_dpp v69, v58 row_bcast:31 row_mask:0xf bank_mask:0xf
	v_mov_b32_dpp v70, v71 row_bcast:31 row_mask:0xf bank_mask:0xf
	v_mov_b32_e32 v59, v71
	v_mul_f32_e32 v69, v58, v69
	v_fmac_f32_e32 v59, v58, v70
	v_readlane_b32 s0, v95, 38
	v_cndmask_b32_e64 v58, v58, v69, s[12:13]
	v_cndmask_b32_e64 v59, v71, v59, s[12:13]
	v_readlane_b32 s1, v95, 39
	s_and_saveexec_b64 s[92:93], s[0:1]
	s_cbranch_execz .LBB85_192
; %bb.191:                              ;   in Loop: Header=BB85_110 Depth=2
	ds_write_b64 v17, v[58:59] offset:4224
.LBB85_192:                             ;   in Loop: Header=BB85_110 Depth=2
	s_or_b64 exec, exec, s[92:93]
	scratch_load_dword v70, off, off offset:160 ; 4-byte Folded Reload
	s_waitcnt lgkmcnt(0)
	; wave barrier
	s_waitcnt vmcnt(0) lgkmcnt(0)
	ds_bpermute_b32 v69, v70, v58
	ds_bpermute_b32 v70, v70, v59
	v_mov_b32_e32 v59, v49
	s_and_saveexec_b64 s[92:93], s[14:15]
	s_cbranch_execz .LBB85_196
; %bb.193:                              ;   in Loop: Header=BB85_110 Depth=2
	ds_read_b64 v[58:59], v17 offset:4224
	s_and_saveexec_b64 vcc, s[16:17]
	s_cbranch_execz .LBB85_195
; %bb.194:                              ;   in Loop: Header=BB85_110 Depth=2
	ds_write_b64 v17, v[48:49] offset:4224
.LBB85_195:                             ;   in Loop: Header=BB85_110 Depth=2
	s_or_b64 exec, exec, vcc
	s_waitcnt lgkmcnt(0)
	v_fmac_f32_e32 v59, v49, v58
	v_mul_f32_e32 v48, v48, v58
	v_mov_b32_e32 v49, v59
.LBB85_196:                             ;   in Loop: Header=BB85_110 Depth=2
	s_or_b64 exec, exec, s[92:93]
	s_waitcnt lgkmcnt(0)
	; wave barrier
	s_waitcnt lgkmcnt(0)
	ds_read_b32 v58, v17 offset:4228
	s_and_saveexec_b64 s[92:93], s[16:17]
	s_cbranch_execz .LBB85_109
; %bb.197:                              ;   in Loop: Header=BB85_110 Depth=2
	v_mov_b32_e32 v71, s90
	s_andn2_b64 vcc, exec, s[94:95]
	ds_write_b64 v71, v[48:49]
	s_cbranch_vccnz .LBB85_109
; %bb.198:                              ;   in Loop: Header=BB85_110 Depth=2
	s_mov_b32 s87, s89
	v_cvt_f16_f32_e32 v48, v59
	s_lshl_b64 s[0:1], s[86:87], 1
	v_readlane_b32 s4, v95, 20
	s_add_u32 s0, s4, s0
	v_readlane_b32 s4, v95, 21
	v_readlane_b32 s87, v95, 49
	s_addc_u32 s1, s4, s1
	global_store_short v17, v48, s[0:1]
	s_branch .LBB85_109
.LBB85_199:                             ;   in Loop: Header=BB85_13 Depth=1
	v_readlane_b32 s6, v95, 50
	v_readlane_b32 s7, v95, 51
	s_mov_b32 s4, 0x41a00000
	s_mov_b32 s5, 0x3fb8aa3b
	;; [unrolled: 1-line block ×8, first 2 shown]
.LBB85_200:                             ;   in Loop: Header=BB85_13 Depth=1
	v_cvt_f16_f32_e32 v0, v40
	v_cvt_f16_f32_e32 v4, v41
	s_waitcnt lgkmcnt(0)
	; wave barrier
	v_cvt_f16_f32_e32 v1, v42
	v_pack_b32_f16 v0, v0, v4
	scratch_load_dword v4, off, off offset:4 ; 4-byte Folded Reload
	v_cvt_f16_f32_e32 v5, v43
	v_cvt_f16_f32_e32 v2, v36
	;; [unrolled: 1-line block ×13, first 2 shown]
	v_pack_b32_f16 v3, v3, v7
	v_pack_b32_f16 v2, v2, v6
	;; [unrolled: 1-line block ×3, first 2 shown]
	v_readlane_b32 s0, v95, 53
	v_readlane_b32 s1, v95, 54
	s_mov_b32 s1, s89
	s_mov_b64 s[56:57], s[0:1]
	s_waitcnt vmcnt(0)
	ds_write_b128 v4, v[0:3]
	v_pack_b32_f16 v3, v14, v15
	v_pack_b32_f16 v2, v12, v13
	;; [unrolled: 1-line block ×4, first 2 shown]
	ds_write_b128 v4, v[0:3] offset:16
	; wave barrier
	scratch_load_dword v0, off, off offset:8 ; 4-byte Folded Reload
	s_waitcnt vmcnt(0)
	ds_read_u16 v16, v0 offset:128
	scratch_load_dword v0, off, off offset:12 ; 4-byte Folded Reload
	s_waitcnt vmcnt(0)
	ds_read_u16 v15, v0 offset:256
	;; [unrolled: 3-line block ×15, first 2 shown]
	scratch_load_dwordx2 v[0:1], off, off offset:240 ; 8-byte Folded Reload
	s_waitcnt vmcnt(0)
	v_lshl_add_u64 v[0:1], s[0:1], 1, v[0:1]
	s_and_saveexec_b64 s[2:3], s[18:19]
	s_cbranch_execnz .LBB85_269
; %bb.201:                              ;   in Loop: Header=BB85_13 Depth=1
	s_or_b64 exec, exec, s[2:3]
	s_and_saveexec_b64 s[2:3], s[20:21]
	s_cbranch_execnz .LBB85_270
.LBB85_202:                             ;   in Loop: Header=BB85_13 Depth=1
	s_or_b64 exec, exec, s[2:3]
	s_and_saveexec_b64 s[2:3], s[22:23]
	s_cbranch_execnz .LBB85_271
.LBB85_203:                             ;   in Loop: Header=BB85_13 Depth=1
	s_or_b64 exec, exec, s[2:3]
	s_and_saveexec_b64 s[2:3], s[24:25]
	s_cbranch_execnz .LBB85_272
.LBB85_204:                             ;   in Loop: Header=BB85_13 Depth=1
	s_or_b64 exec, exec, s[2:3]
	s_and_saveexec_b64 s[2:3], s[26:27]
	s_cbranch_execnz .LBB85_273
.LBB85_205:                             ;   in Loop: Header=BB85_13 Depth=1
	s_or_b64 exec, exec, s[2:3]
	s_and_saveexec_b64 s[2:3], s[28:29]
	s_cbranch_execnz .LBB85_274
.LBB85_206:                             ;   in Loop: Header=BB85_13 Depth=1
	s_or_b64 exec, exec, s[2:3]
	s_and_saveexec_b64 s[2:3], s[30:31]
	s_cbranch_execnz .LBB85_275
.LBB85_207:                             ;   in Loop: Header=BB85_13 Depth=1
	s_or_b64 exec, exec, s[2:3]
	s_and_saveexec_b64 s[2:3], s[34:35]
	s_cbranch_execnz .LBB85_276
.LBB85_208:                             ;   in Loop: Header=BB85_13 Depth=1
	s_or_b64 exec, exec, s[2:3]
	s_and_saveexec_b64 s[2:3], s[36:37]
	s_cbranch_execnz .LBB85_277
.LBB85_209:                             ;   in Loop: Header=BB85_13 Depth=1
	s_or_b64 exec, exec, s[2:3]
	s_and_saveexec_b64 s[2:3], s[38:39]
	s_cbranch_execnz .LBB85_278
.LBB85_210:                             ;   in Loop: Header=BB85_13 Depth=1
	s_or_b64 exec, exec, s[2:3]
	s_and_saveexec_b64 s[2:3], s[40:41]
	s_cbranch_execnz .LBB85_279
.LBB85_211:                             ;   in Loop: Header=BB85_13 Depth=1
	s_or_b64 exec, exec, s[2:3]
	s_and_saveexec_b64 s[2:3], s[42:43]
	s_cbranch_execnz .LBB85_280
.LBB85_212:                             ;   in Loop: Header=BB85_13 Depth=1
	s_or_b64 exec, exec, s[2:3]
	s_and_saveexec_b64 s[2:3], s[44:45]
	s_cbranch_execnz .LBB85_281
.LBB85_213:                             ;   in Loop: Header=BB85_13 Depth=1
	s_or_b64 exec, exec, s[2:3]
	s_and_saveexec_b64 s[2:3], s[46:47]
	s_cbranch_execnz .LBB85_282
.LBB85_214:                             ;   in Loop: Header=BB85_13 Depth=1
	s_or_b64 exec, exec, s[2:3]
	s_and_saveexec_b64 s[2:3], s[48:49]
	s_cbranch_execnz .LBB85_283
.LBB85_215:                             ;   in Loop: Header=BB85_13 Depth=1
	s_or_b64 exec, exec, s[2:3]
	s_and_saveexec_b64 s[2:3], s[50:51]
	s_cbranch_execz .LBB85_217
.LBB85_216:                             ;   in Loop: Header=BB85_13 Depth=1
	s_waitcnt lgkmcnt(0)
	global_store_short v[0:1], v2, off offset:1920
.LBB85_217:                             ;   in Loop: Header=BB85_13 Depth=1
	s_or_b64 exec, exec, s[2:3]
	s_waitcnt lgkmcnt(0)
	; wave barrier
	s_waitcnt lgkmcnt(0)
	scratch_load_dwordx2 v[0:1], off, off offset:248 ; 8-byte Folded Reload
	v_mov_b32_e32 v2, 0
	v_mov_b32_e32 v3, 0
	s_waitcnt vmcnt(0)
	v_lshl_add_u64 v[0:1], s[56:57], 1, v[0:1]
	s_and_saveexec_b64 s[2:3], s[18:19]
	s_cbranch_execz .LBB85_219
; %bb.218:                              ;   in Loop: Header=BB85_13 Depth=1
	global_load_ushort v3, v[0:1], off
.LBB85_219:                             ;   in Loop: Header=BB85_13 Depth=1
	s_or_b64 exec, exec, s[2:3]
	s_and_saveexec_b64 s[2:3], s[20:21]
	s_cbranch_execz .LBB85_221
; %bb.220:                              ;   in Loop: Header=BB85_13 Depth=1
	global_load_ushort v2, v[0:1], off offset:128
.LBB85_221:                             ;   in Loop: Header=BB85_13 Depth=1
	s_or_b64 exec, exec, s[2:3]
	v_mov_b32_e32 v4, 0
	v_mov_b32_e32 v5, 0
	s_and_saveexec_b64 s[2:3], s[22:23]
	s_cbranch_execz .LBB85_223
; %bb.222:                              ;   in Loop: Header=BB85_13 Depth=1
	global_load_ushort v5, v[0:1], off offset:256
.LBB85_223:                             ;   in Loop: Header=BB85_13 Depth=1
	s_or_b64 exec, exec, s[2:3]
	s_and_saveexec_b64 s[2:3], s[24:25]
	s_cbranch_execz .LBB85_225
; %bb.224:                              ;   in Loop: Header=BB85_13 Depth=1
	global_load_ushort v4, v[0:1], off offset:384
.LBB85_225:                             ;   in Loop: Header=BB85_13 Depth=1
	s_or_b64 exec, exec, s[2:3]
	v_mov_b32_e32 v6, 0
	v_mov_b32_e32 v7, 0
	s_and_saveexec_b64 s[2:3], s[26:27]
	s_cbranch_execz .LBB85_227
; %bb.226:                              ;   in Loop: Header=BB85_13 Depth=1
	global_load_ushort v7, v[0:1], off offset:512
.LBB85_227:                             ;   in Loop: Header=BB85_13 Depth=1
	;; [unrolled: 14-line block ×7, first 2 shown]
	s_or_b64 exec, exec, s[2:3]
	s_and_saveexec_b64 s[2:3], s[50:51]
	s_cbranch_execz .LBB85_249
; %bb.248:                              ;   in Loop: Header=BB85_13 Depth=1
	global_load_ushort v16, v[0:1], off offset:1920
.LBB85_249:                             ;   in Loop: Header=BB85_13 Depth=1
	s_or_b64 exec, exec, s[2:3]
	scratch_load_dword v0, off, off         ; 4-byte Folded Reload
	scratch_load_dword v44, off, off offset:8 ; 4-byte Folded Reload
	scratch_load_dword v45, off, off offset:12 ; 4-byte Folded Reload
	;; [unrolled: 1-line block ×15, first 2 shown]
	s_mov_b32 s0, 0xbfb8aa3b
	s_mov_b32 s1, 0xb2a5705f
	;; [unrolled: 1-line block ×4, first 2 shown]
	v_mov_b32_e32 v26, 0x7f800000
	s_waitcnt vmcnt(15)
	ds_write_b16 v0, v3
	s_waitcnt vmcnt(14)
	ds_write_b16 v44, v2 offset:128
	s_waitcnt vmcnt(13)
	ds_write_b16 v45, v5 offset:256
	;; [unrolled: 2-line block ×15, first 2 shown]
	; wave barrier
	scratch_load_dword v59, off, off offset:4 ; 4-byte Folded Reload
	s_waitcnt vmcnt(0)
	ds_read_b128 v[4:7], v59
	ds_read_b128 v[0:3], v59 offset:16
	s_waitcnt lgkmcnt(0)
	; wave barrier
	s_waitcnt lgkmcnt(0)
	v_cvt_f32_f16_e32 v12, v4
	v_cvt_f32_f16_sdwa v13, v4 dst_sel:DWORD dst_unused:UNUSED_PAD src0_sel:WORD_1
	v_cvt_f32_f16_e32 v10, v5
	v_cvt_f32_f16_sdwa v11, v5 dst_sel:DWORD dst_unused:UNUSED_PAD src0_sel:WORD_1
	v_mul_f32_e32 v8, 0xbfb8aa3b, v12
	v_rndne_f32_e32 v9, v8
	v_sub_f32_e32 v14, v8, v9
	v_fma_mix_f32 v8, v4, s0, -v8 op_sel_hi:[1,0,0]
	v_cvt_i32_f32_e32 v9, v9
	v_fma_mix_f32 v8, v4, s1, v8 op_sel_hi:[1,0,0]
	v_cmp_nlt_f32_e32 vcc, s52, v12
	v_add_f32_e32 v8, v14, v8
	v_exp_f32_e32 v8, v8
	s_nop 0
	v_ldexp_f32 v8, v8, v9
	v_mul_f32_e32 v9, 0xbfb8aa3b, v13
	v_rndne_f32_e32 v14, v9
	v_sub_f32_e32 v15, v9, v14
	v_fma_mix_f32 v9, v4, s0, -v9 op_sel:[1,0,0] op_sel_hi:[1,0,0]
	v_cndmask_b32_e32 v8, 0, v8, vcc
	v_fma_mix_f32 v4, v4, s1, v9 op_sel:[1,0,0] op_sel_hi:[1,0,0]
	v_cvt_i32_f32_e32 v9, v14
	v_add_f32_e32 v4, v15, v4
	v_exp_f32_e32 v4, v4
	v_cmp_ngt_f32_e32 vcc, s53, v12
	v_ldexp_f32 v4, v4, v9
	s_nop 0
	v_cndmask_b32_e32 v8, v26, v8, vcc
	v_cmp_nlt_f32_e32 vcc, s52, v13
	s_nop 1
	v_cndmask_b32_e32 v4, 0, v4, vcc
	v_cmp_ngt_f32_e32 vcc, s53, v13
	s_nop 1
	v_cndmask_b32_e32 v9, v26, v4, vcc
	v_mul_f32_e32 v4, 0xbfb8aa3b, v10
	v_rndne_f32_e32 v14, v4
	v_sub_f32_e32 v15, v4, v14
	v_fma_mix_f32 v4, v5, s0, -v4 op_sel_hi:[1,0,0]
	v_cvt_i32_f32_e32 v14, v14
	v_fma_mix_f32 v4, v5, s1, v4 op_sel_hi:[1,0,0]
	v_pk_add_f32 v[8:9], v[8:9], 1.0 op_sel_hi:[1,0]
	v_add_f32_e32 v4, v15, v4
	v_exp_f32_e32 v4, v4
	v_cmp_nlt_f32_e32 vcc, s52, v10
	v_ldexp_f32 v4, v4, v14
	v_mul_f32_e32 v14, 0xbfb8aa3b, v11
	v_rndne_f32_e32 v15, v14
	v_sub_f32_e32 v16, v14, v15
	v_fma_mix_f32 v14, v5, s0, -v14 op_sel:[1,0,0] op_sel_hi:[1,0,0]
	v_cndmask_b32_e32 v4, 0, v4, vcc
	v_fma_mix_f32 v5, v5, s1, v14 op_sel:[1,0,0] op_sel_hi:[1,0,0]
	v_cvt_i32_f32_e32 v14, v15
	v_add_f32_e32 v5, v16, v5
	v_exp_f32_e32 v5, v5
	v_cmp_ngt_f32_e32 vcc, s53, v10
	v_ldexp_f32 v5, v5, v14
	v_div_scale_f32 v14, s[2:3], v9, v9, v13
	v_rcp_f32_e32 v15, v14
	v_cndmask_b32_e32 v4, v26, v4, vcc
	v_cmp_nlt_f32_e32 vcc, s52, v11
	v_fma_f32 v16, -v14, v15, 1.0
	s_nop 0
	v_cndmask_b32_e32 v5, 0, v5, vcc
	v_cmp_ngt_f32_e32 vcc, s53, v11
	v_fmac_f32_e32 v15, v16, v15
	s_nop 0
	v_cndmask_b32_e32 v5, v26, v5, vcc
	v_div_scale_f32 v16, vcc, v13, v9, v13
	v_mul_f32_e32 v18, v16, v15
	v_fma_f32 v19, -v14, v18, v16
	v_fmac_f32_e32 v18, v19, v15
	v_fma_f32 v14, -v14, v18, v16
	v_div_fmas_f32 v14, v14, v15, v18
	v_div_fixup_f32 v9, v14, v9, v13
	v_div_scale_f32 v13, s[2:3], v8, v8, v12
	v_rcp_f32_e32 v14, v13
	v_pk_add_f32 v[4:5], v[4:5], 1.0 op_sel_hi:[1,0]
	v_fma_f32 v15, -v13, v14, 1.0
	v_fmac_f32_e32 v14, v15, v14
	v_div_scale_f32 v15, vcc, v12, v8, v12
	v_mul_f32_e32 v16, v15, v14
	v_fma_f32 v18, -v13, v16, v15
	v_fmac_f32_e32 v16, v18, v14
	v_fma_f32 v13, -v13, v16, v15
	v_div_fmas_f32 v13, v13, v14, v16
	v_div_fixup_f32 v8, v13, v8, v12
	v_div_scale_f32 v12, s[2:3], v5, v5, v11
	v_rcp_f32_e32 v13, v12
	v_pk_mul_f32 v[8:9], v[40:41], v[8:9]
	v_cvt_f32_f16_sdwa v18, v6 dst_sel:DWORD dst_unused:UNUSED_PAD src0_sel:WORD_1
	v_fma_f32 v14, -v12, v13, 1.0
	v_fmac_f32_e32 v13, v14, v13
	v_div_scale_f32 v14, vcc, v11, v5, v11
	v_mul_f32_e32 v15, v14, v13
	v_fma_f32 v16, -v12, v15, v14
	v_fmac_f32_e32 v15, v16, v13
	v_fma_f32 v12, -v12, v15, v14
	v_div_fmas_f32 v12, v12, v13, v15
	v_div_fixup_f32 v5, v12, v5, v11
	v_div_scale_f32 v11, s[2:3], v4, v4, v10
	v_rcp_f32_e32 v12, v11
	v_cvt_f32_f16_e32 v16, v6
	v_fma_f32 v13, -v11, v12, 1.0
	v_fmac_f32_e32 v12, v13, v12
	v_div_scale_f32 v13, vcc, v10, v4, v10
	v_mul_f32_e32 v14, v13, v12
	v_fma_f32 v15, -v11, v14, v13
	v_fmac_f32_e32 v14, v15, v12
	v_fma_f32 v11, -v11, v14, v13
	v_div_fmas_f32 v11, v11, v12, v14
	v_div_fixup_f32 v4, v11, v4, v10
	v_pk_mul_f32 v[4:5], v[42:43], v[4:5]
	v_cvt_f16_f32_e32 v11, v8
	v_cvt_f16_f32_e32 v13, v4
	v_mul_f32_e32 v4, 0xbfb8aa3b, v16
	v_cvt_f16_f32_e32 v12, v5
	v_rndne_f32_e32 v5, v4
	v_sub_f32_e32 v8, v4, v5
	v_fma_mix_f32 v4, v6, s0, -v4 op_sel_hi:[1,0,0]
	v_cvt_i32_f32_e32 v5, v5
	v_fma_mix_f32 v4, v6, s1, v4 op_sel_hi:[1,0,0]
	v_cmp_nlt_f32_e32 vcc, s52, v16
	v_add_f32_e32 v4, v8, v4
	v_exp_f32_e32 v4, v4
	v_cvt_f16_f32_e32 v10, v9
	v_cvt_f32_f16_e32 v14, v7
	v_cvt_f32_f16_sdwa v15, v7 dst_sel:DWORD dst_unused:UNUSED_PAD src0_sel:WORD_1
	v_ldexp_f32 v4, v4, v5
	v_cndmask_b32_e32 v4, 0, v4, vcc
	v_cmp_ngt_f32_e32 vcc, s53, v16
	s_nop 1
	v_cndmask_b32_e32 v8, v26, v4, vcc
	v_mul_f32_e32 v4, 0xbfb8aa3b, v18
	v_rndne_f32_e32 v5, v4
	v_sub_f32_e32 v9, v4, v5
	v_fma_mix_f32 v4, v6, s0, -v4 op_sel:[1,0,0] op_sel_hi:[1,0,0]
	v_cvt_i32_f32_e32 v5, v5
	v_fma_mix_f32 v4, v6, s1, v4 op_sel:[1,0,0] op_sel_hi:[1,0,0]
	v_cmp_nlt_f32_e32 vcc, s52, v18
	v_add_f32_e32 v4, v9, v4
	v_exp_f32_e32 v4, v4
	s_nop 0
	v_ldexp_f32 v4, v4, v5
	v_cndmask_b32_e32 v4, 0, v4, vcc
	v_cmp_ngt_f32_e32 vcc, s53, v18
	s_nop 1
	v_cndmask_b32_e32 v9, v26, v4, vcc
	v_mul_f32_e32 v4, 0xbfb8aa3b, v14
	v_rndne_f32_e32 v5, v4
	v_sub_f32_e32 v6, v4, v5
	v_fma_mix_f32 v4, v7, s0, -v4 op_sel_hi:[1,0,0]
	v_cvt_i32_f32_e32 v5, v5
	v_fma_mix_f32 v4, v7, s1, v4 op_sel_hi:[1,0,0]
	v_cmp_nlt_f32_e32 vcc, s52, v14
	v_add_f32_e32 v4, v6, v4
	v_exp_f32_e32 v4, v4
	s_nop 0
	v_ldexp_f32 v4, v4, v5
	v_mul_f32_e32 v5, 0xbfb8aa3b, v15
	v_rndne_f32_e32 v6, v5
	v_sub_f32_e32 v19, v5, v6
	v_fma_mix_f32 v5, v7, s0, -v5 op_sel:[1,0,0] op_sel_hi:[1,0,0]
	v_cvt_i32_f32_e32 v6, v6
	v_fma_mix_f32 v5, v7, s1, v5 op_sel:[1,0,0] op_sel_hi:[1,0,0]
	v_cndmask_b32_e32 v4, 0, v4, vcc
	v_add_f32_e32 v5, v19, v5
	v_exp_f32_e32 v5, v5
	v_cmp_ngt_f32_e32 vcc, s53, v14
	v_ldexp_f32 v5, v5, v6
	v_pk_add_f32 v[6:7], v[8:9], 1.0 op_sel_hi:[1,0]
	v_cndmask_b32_e32 v4, v26, v4, vcc
	v_div_scale_f32 v8, s[2:3], v7, v7, v18
	v_rcp_f32_e32 v9, v8
	v_cmp_nlt_f32_e32 vcc, s52, v15
	v_fma_f32 v19, -v8, v9, 1.0
	s_nop 0
	v_cndmask_b32_e32 v5, 0, v5, vcc
	v_cmp_ngt_f32_e32 vcc, s53, v15
	v_fmac_f32_e32 v9, v19, v9
	s_nop 0
	v_cndmask_b32_e32 v5, v26, v5, vcc
	v_div_scale_f32 v19, vcc, v18, v7, v18
	v_mul_f32_e32 v22, v19, v9
	v_fma_f32 v23, -v8, v22, v19
	v_fmac_f32_e32 v22, v23, v9
	v_fma_f32 v8, -v8, v22, v19
	v_div_fmas_f32 v8, v8, v9, v22
	v_div_fixup_f32 v7, v8, v7, v18
	v_div_scale_f32 v8, s[2:3], v6, v6, v16
	v_rcp_f32_e32 v9, v8
	v_pk_add_f32 v[4:5], v[4:5], 1.0 op_sel_hi:[1,0]
	v_fma_f32 v18, -v8, v9, 1.0
	v_fmac_f32_e32 v9, v18, v9
	v_div_scale_f32 v18, vcc, v16, v6, v16
	v_mul_f32_e32 v19, v18, v9
	v_fma_f32 v22, -v8, v19, v18
	v_fmac_f32_e32 v19, v22, v9
	v_fma_f32 v8, -v8, v19, v18
	v_div_fmas_f32 v8, v8, v9, v19
	v_div_fixup_f32 v6, v8, v6, v16
	v_div_scale_f32 v8, s[2:3], v5, v5, v15
	v_rcp_f32_e32 v9, v8
	s_nop 0
	v_fma_f32 v16, -v8, v9, 1.0
	v_fmac_f32_e32 v9, v16, v9
	v_div_scale_f32 v16, vcc, v15, v5, v15
	v_mul_f32_e32 v18, v16, v9
	v_fma_f32 v19, -v8, v18, v16
	v_fmac_f32_e32 v18, v19, v9
	v_fma_f32 v8, -v8, v18, v16
	v_div_fmas_f32 v8, v8, v9, v18
	v_div_fixup_f32 v5, v8, v5, v15
	v_div_scale_f32 v8, s[2:3], v4, v4, v14
	v_rcp_f32_e32 v9, v8
	s_nop 0
	v_fma_f32 v15, -v8, v9, 1.0
	v_fmac_f32_e32 v9, v15, v9
	v_div_scale_f32 v15, vcc, v14, v4, v14
	v_mul_f32_e32 v16, v15, v9
	v_fma_f32 v18, -v8, v16, v15
	v_fmac_f32_e32 v16, v18, v9
	v_fma_f32 v8, -v8, v16, v15
	v_div_fmas_f32 v8, v8, v9, v16
	v_cvt_f32_f16_e32 v16, v0
	v_div_fixup_f32 v4, v8, v4, v14
	v_pk_mul_f32 v[4:5], v[38:39], v[4:5]
	v_pk_mul_f32 v[8:9], v[36:37], v[6:7]
	v_cvt_f32_f16_sdwa v18, v0 dst_sel:DWORD dst_unused:UNUSED_PAD src0_sel:WORD_1
	v_cvt_f16_f32_e32 v6, v9
	v_cvt_f16_f32_e32 v9, v4
	v_mul_f32_e32 v4, 0xbfb8aa3b, v16
	v_cvt_f16_f32_e32 v7, v8
	v_cvt_f16_f32_e32 v8, v5
	v_rndne_f32_e32 v5, v4
	v_sub_f32_e32 v19, v4, v5
	v_fma_mix_f32 v4, v0, s0, -v4 op_sel_hi:[1,0,0]
	v_cvt_i32_f32_e32 v5, v5
	v_fma_mix_f32 v4, v0, s1, v4 op_sel_hi:[1,0,0]
	v_cvt_f32_f16_e32 v14, v1
	v_add_f32_e32 v4, v19, v4
	v_exp_f32_e32 v4, v4
	v_cmp_nlt_f32_e32 vcc, s52, v16
	v_cvt_f32_f16_sdwa v15, v1 dst_sel:DWORD dst_unused:UNUSED_PAD src0_sel:WORD_1
	v_ldexp_f32 v4, v4, v5
	v_mul_f32_e32 v5, 0xbfb8aa3b, v18
	v_rndne_f32_e32 v19, v5
	v_sub_f32_e32 v22, v5, v19
	v_fma_mix_f32 v5, v0, s0, -v5 op_sel:[1,0,0] op_sel_hi:[1,0,0]
	v_cndmask_b32_e32 v4, 0, v4, vcc
	v_fma_mix_f32 v0, v0, s1, v5 op_sel:[1,0,0] op_sel_hi:[1,0,0]
	v_cvt_i32_f32_e32 v5, v19
	v_add_f32_e32 v0, v22, v0
	v_exp_f32_e32 v0, v0
	v_cmp_ngt_f32_e32 vcc, s53, v16
	v_ldexp_f32 v0, v0, v5
	s_nop 0
	v_cndmask_b32_e32 v4, v26, v4, vcc
	v_cmp_nlt_f32_e32 vcc, s52, v18
	s_nop 1
	v_cndmask_b32_e32 v0, 0, v0, vcc
	v_cmp_ngt_f32_e32 vcc, s53, v18
	s_nop 1
	v_cndmask_b32_e32 v5, v26, v0, vcc
	v_mul_f32_e32 v0, 0xbfb8aa3b, v14
	v_rndne_f32_e32 v19, v0
	v_sub_f32_e32 v22, v0, v19
	v_fma_mix_f32 v0, v1, s0, -v0 op_sel_hi:[1,0,0]
	v_cvt_i32_f32_e32 v19, v19
	v_fma_mix_f32 v0, v1, s1, v0 op_sel_hi:[1,0,0]
	v_pk_add_f32 v[4:5], v[4:5], 1.0 op_sel_hi:[1,0]
	v_add_f32_e32 v0, v22, v0
	v_exp_f32_e32 v0, v0
	v_cmp_nlt_f32_e32 vcc, s52, v14
	v_ldexp_f32 v0, v0, v19
	v_mul_f32_e32 v19, 0xbfb8aa3b, v15
	v_rndne_f32_e32 v22, v19
	v_sub_f32_e32 v23, v19, v22
	v_fma_mix_f32 v19, v1, s0, -v19 op_sel:[1,0,0] op_sel_hi:[1,0,0]
	v_cndmask_b32_e32 v0, 0, v0, vcc
	v_fma_mix_f32 v1, v1, s1, v19 op_sel:[1,0,0] op_sel_hi:[1,0,0]
	v_cvt_i32_f32_e32 v19, v22
	v_add_f32_e32 v1, v23, v1
	v_exp_f32_e32 v1, v1
	v_cmp_ngt_f32_e32 vcc, s53, v14
	v_ldexp_f32 v1, v1, v19
	v_div_scale_f32 v19, s[2:3], v5, v5, v18
	v_rcp_f32_e32 v22, v19
	v_cndmask_b32_e32 v0, v26, v0, vcc
	v_cmp_nlt_f32_e32 vcc, s52, v15
	v_fma_f32 v23, -v19, v22, 1.0
	s_nop 0
	v_cndmask_b32_e32 v1, 0, v1, vcc
	v_cmp_ngt_f32_e32 vcc, s53, v15
	v_fmac_f32_e32 v22, v23, v22
	s_nop 0
	v_cndmask_b32_e32 v1, v26, v1, vcc
	v_div_scale_f32 v23, vcc, v18, v5, v18
	v_mul_f32_e32 v24, v23, v22
	v_fma_f32 v25, -v19, v24, v23
	v_fmac_f32_e32 v24, v25, v22
	v_fma_f32 v19, -v19, v24, v23
	v_div_fmas_f32 v19, v19, v22, v24
	v_div_fixup_f32 v5, v19, v5, v18
	v_div_scale_f32 v18, s[2:3], v4, v4, v16
	v_rcp_f32_e32 v19, v18
	v_pk_add_f32 v[0:1], v[0:1], 1.0 op_sel_hi:[1,0]
	v_fma_f32 v22, -v18, v19, 1.0
	v_fmac_f32_e32 v19, v22, v19
	v_div_scale_f32 v22, vcc, v16, v4, v16
	v_mul_f32_e32 v23, v22, v19
	v_fma_f32 v24, -v18, v23, v22
	v_fmac_f32_e32 v23, v24, v19
	v_fma_f32 v18, -v18, v23, v22
	v_div_fmas_f32 v18, v18, v19, v23
	v_div_fixup_f32 v4, v18, v4, v16
	v_div_scale_f32 v16, s[2:3], v1, v1, v15
	v_rcp_f32_e32 v18, v16
	v_pk_mul_f32 v[4:5], v[32:33], v[4:5]
	v_cvt_f32_f16_sdwa v24, v2 dst_sel:DWORD dst_unused:UNUSED_PAD src0_sel:WORD_1
	v_fma_f32 v19, -v16, v18, 1.0
	v_fmac_f32_e32 v18, v19, v18
	v_div_scale_f32 v19, vcc, v15, v1, v15
	v_mul_f32_e32 v22, v19, v18
	v_fma_f32 v23, -v16, v22, v19
	v_fmac_f32_e32 v22, v23, v18
	v_fma_f32 v16, -v16, v22, v19
	v_div_fmas_f32 v16, v16, v18, v22
	v_div_fixup_f32 v1, v16, v1, v15
	v_div_scale_f32 v15, s[2:3], v0, v0, v14
	v_rcp_f32_e32 v16, v15
	v_cvt_f32_f16_e32 v23, v2
	v_fma_f32 v18, -v15, v16, 1.0
	v_fmac_f32_e32 v16, v18, v16
	v_div_scale_f32 v18, vcc, v14, v0, v14
	v_mul_f32_e32 v19, v18, v16
	v_fma_f32 v22, -v15, v19, v18
	v_fmac_f32_e32 v19, v22, v16
	v_fma_f32 v15, -v15, v19, v18
	v_div_fmas_f32 v15, v15, v16, v19
	v_div_fixup_f32 v0, v15, v0, v14
	v_pk_mul_f32 v[0:1], v[34:35], v[0:1]
	v_cvt_f16_f32_e32 v15, v4
	v_cvt_f16_f32_e32 v18, v0
	v_mul_f32_e32 v0, 0xbfb8aa3b, v23
	v_cvt_f16_f32_e32 v16, v1
	v_rndne_f32_e32 v1, v0
	v_sub_f32_e32 v4, v0, v1
	v_fma_mix_f32 v0, v2, s0, -v0 op_sel_hi:[1,0,0]
	v_cvt_i32_f32_e32 v1, v1
	v_fma_mix_f32 v0, v2, s1, v0 op_sel_hi:[1,0,0]
	v_cmp_nlt_f32_e32 vcc, s52, v23
	v_add_f32_e32 v0, v4, v0
	v_exp_f32_e32 v0, v0
	v_cvt_f16_f32_e32 v14, v5
	v_cvt_f32_f16_e32 v19, v3
	v_cvt_f32_f16_sdwa v22, v3 dst_sel:DWORD dst_unused:UNUSED_PAD src0_sel:WORD_1
	v_ldexp_f32 v0, v0, v1
	v_cndmask_b32_e32 v0, 0, v0, vcc
	v_cmp_ngt_f32_e32 vcc, s53, v23
	s_nop 1
	v_cndmask_b32_e32 v4, v26, v0, vcc
	v_mul_f32_e32 v0, 0xbfb8aa3b, v24
	v_rndne_f32_e32 v1, v0
	v_sub_f32_e32 v5, v0, v1
	v_fma_mix_f32 v0, v2, s0, -v0 op_sel:[1,0,0] op_sel_hi:[1,0,0]
	v_cvt_i32_f32_e32 v1, v1
	v_fma_mix_f32 v0, v2, s1, v0 op_sel:[1,0,0] op_sel_hi:[1,0,0]
	v_cmp_nlt_f32_e32 vcc, s52, v24
	v_add_f32_e32 v0, v5, v0
	v_exp_f32_e32 v0, v0
	s_nop 0
	v_ldexp_f32 v0, v0, v1
	v_cndmask_b32_e32 v0, 0, v0, vcc
	v_cmp_ngt_f32_e32 vcc, s53, v24
	s_nop 1
	v_cndmask_b32_e32 v5, v26, v0, vcc
	v_mul_f32_e32 v0, 0xbfb8aa3b, v19
	v_rndne_f32_e32 v1, v0
	v_sub_f32_e32 v2, v0, v1
	v_fma_mix_f32 v0, v3, s0, -v0 op_sel_hi:[1,0,0]
	v_cvt_i32_f32_e32 v1, v1
	v_fma_mix_f32 v0, v3, s1, v0 op_sel_hi:[1,0,0]
	v_cmp_nlt_f32_e32 vcc, s52, v19
	v_add_f32_e32 v0, v2, v0
	v_exp_f32_e32 v0, v0
	s_nop 0
	v_ldexp_f32 v0, v0, v1
	v_mul_f32_e32 v1, 0xbfb8aa3b, v22
	v_rndne_f32_e32 v2, v1
	v_sub_f32_e32 v25, v1, v2
	v_fma_mix_f32 v1, v3, s0, -v1 op_sel:[1,0,0] op_sel_hi:[1,0,0]
	v_cvt_i32_f32_e32 v2, v2
	v_fma_mix_f32 v1, v3, s1, v1 op_sel:[1,0,0] op_sel_hi:[1,0,0]
	v_cndmask_b32_e32 v0, 0, v0, vcc
	v_add_f32_e32 v1, v25, v1
	v_exp_f32_e32 v1, v1
	v_cmp_ngt_f32_e32 vcc, s53, v19
	v_ldexp_f32 v1, v1, v2
	v_pk_add_f32 v[2:3], v[4:5], 1.0 op_sel_hi:[1,0]
	v_cndmask_b32_e32 v0, v26, v0, vcc
	v_div_scale_f32 v4, s[2:3], v3, v3, v24
	v_rcp_f32_e32 v5, v4
	v_cmp_nlt_f32_e32 vcc, s52, v22
	v_fma_f32 v25, -v4, v5, 1.0
	s_nop 0
	v_cndmask_b32_e32 v1, 0, v1, vcc
	v_cmp_ngt_f32_e32 vcc, s53, v22
	v_fmac_f32_e32 v5, v25, v5
	s_nop 0
	v_cndmask_b32_e32 v1, v26, v1, vcc
	v_div_scale_f32 v25, vcc, v24, v3, v24
	v_mul_f32_e32 v26, v25, v5
	v_fma_f32 v27, -v4, v26, v25
	v_fmac_f32_e32 v26, v27, v5
	v_fma_f32 v4, -v4, v26, v25
	v_div_fmas_f32 v4, v4, v5, v26
	v_div_fixup_f32 v3, v4, v3, v24
	v_div_scale_f32 v4, s[2:3], v2, v2, v23
	v_rcp_f32_e32 v5, v4
	v_pk_add_f32 v[0:1], v[0:1], 1.0 op_sel_hi:[1,0]
	v_fma_f32 v24, -v4, v5, 1.0
	v_fmac_f32_e32 v5, v24, v5
	v_div_scale_f32 v24, vcc, v23, v2, v23
	v_mul_f32_e32 v25, v24, v5
	v_fma_f32 v26, -v4, v25, v24
	v_fmac_f32_e32 v25, v26, v5
	v_fma_f32 v4, -v4, v25, v24
	v_div_fmas_f32 v4, v4, v5, v25
	v_div_fixup_f32 v2, v4, v2, v23
	v_div_scale_f32 v4, s[2:3], v1, v1, v22
	v_rcp_f32_e32 v5, v4
	v_pk_mul_f32 v[2:3], v[28:29], v[2:3]
	v_fma_f32 v23, -v4, v5, 1.0
	v_fmac_f32_e32 v5, v23, v5
	v_div_scale_f32 v23, vcc, v22, v1, v22
	v_mul_f32_e32 v24, v23, v5
	v_fma_f32 v25, -v4, v24, v23
	v_fmac_f32_e32 v24, v25, v5
	v_fma_f32 v4, -v4, v24, v23
	v_div_fmas_f32 v4, v4, v5, v24
	v_div_fixup_f32 v1, v4, v1, v22
	v_div_scale_f32 v4, s[2:3], v0, v0, v19
	v_rcp_f32_e32 v5, v4
	s_nop 0
	v_fma_f32 v22, -v4, v5, 1.0
	v_fmac_f32_e32 v5, v22, v5
	v_div_scale_f32 v22, vcc, v19, v0, v19
	v_mul_f32_e32 v23, v22, v5
	v_fma_f32 v24, -v4, v23, v22
	v_fmac_f32_e32 v23, v24, v5
	v_fma_f32 v4, -v4, v23, v22
	v_div_fmas_f32 v4, v4, v5, v23
	v_div_fixup_f32 v0, v4, v0, v19
	v_pk_mul_f32 v[0:1], v[30:31], v[0:1]
	v_cvt_f16_f32_e32 v4, v3
	v_cvt_f16_f32_e32 v5, v2
	;; [unrolled: 1-line block ×4, first 2 shown]
	v_pack_b32_f16 v3, v9, v8
	v_pack_b32_f16 v2, v7, v6
	;; [unrolled: 1-line block ×4, first 2 shown]
	ds_write_b128 v59, v[0:3]
	v_pack_b32_f16 v3, v22, v19
	v_pack_b32_f16 v2, v5, v4
	;; [unrolled: 1-line block ×4, first 2 shown]
	ds_write_b128 v59, v[0:3] offset:16
	; wave barrier
	ds_read_u16 v16, v44 offset:128
	ds_read_u16 v15, v45 offset:256
	;; [unrolled: 1-line block ×15, first 2 shown]
	scratch_load_dwordx2 v[0:1], off, off offset:256 ; 8-byte Folded Reload
	s_waitcnt vmcnt(0)
	v_lshl_add_u64 v[0:1], s[56:57], 1, v[0:1]
	s_and_saveexec_b64 s[2:3], s[18:19]
	s_cbranch_execz .LBB85_251
; %bb.250:                              ;   in Loop: Header=BB85_13 Depth=1
	scratch_load_dword v18, off, off        ; 4-byte Folded Reload
	s_waitcnt vmcnt(0)
	ds_read_u16 v18, v18
	s_waitcnt lgkmcnt(0)
	global_store_short v[0:1], v18, off
.LBB85_251:                             ;   in Loop: Header=BB85_13 Depth=1
	s_or_b64 exec, exec, s[2:3]
	s_and_saveexec_b64 s[2:3], s[20:21]
	s_cbranch_execz .LBB85_253
; %bb.252:                              ;   in Loop: Header=BB85_13 Depth=1
	s_waitcnt lgkmcnt(14)
	global_store_short v[0:1], v16, off offset:128
.LBB85_253:                             ;   in Loop: Header=BB85_13 Depth=1
	s_or_b64 exec, exec, s[2:3]
	s_mov_b64 s[2:3], exec
	s_and_b64 s[0:1], s[2:3], s[22:23]
	v_mov_b32_e32 v39, 0x7f800000
	s_mov_b64 exec, s[0:1]
	s_cbranch_execnz .LBB85_284
; %bb.254:                              ;   in Loop: Header=BB85_13 Depth=1
	s_or_b64 exec, exec, s[2:3]
	s_and_saveexec_b64 s[2:3], s[24:25]
	s_cbranch_execnz .LBB85_285
.LBB85_255:                             ;   in Loop: Header=BB85_13 Depth=1
	s_or_b64 exec, exec, s[2:3]
	s_and_saveexec_b64 s[2:3], s[26:27]
	s_cbranch_execnz .LBB85_286
.LBB85_256:                             ;   in Loop: Header=BB85_13 Depth=1
	s_or_b64 exec, exec, s[2:3]
	s_and_saveexec_b64 s[2:3], s[28:29]
	s_cbranch_execnz .LBB85_287
.LBB85_257:                             ;   in Loop: Header=BB85_13 Depth=1
	s_or_b64 exec, exec, s[2:3]
	s_and_saveexec_b64 s[2:3], s[30:31]
	s_cbranch_execnz .LBB85_288
.LBB85_258:                             ;   in Loop: Header=BB85_13 Depth=1
	s_or_b64 exec, exec, s[2:3]
	s_and_saveexec_b64 s[2:3], s[34:35]
	s_cbranch_execnz .LBB85_289
.LBB85_259:                             ;   in Loop: Header=BB85_13 Depth=1
	s_or_b64 exec, exec, s[2:3]
	s_and_saveexec_b64 s[2:3], s[36:37]
	s_cbranch_execnz .LBB85_290
.LBB85_260:                             ;   in Loop: Header=BB85_13 Depth=1
	s_or_b64 exec, exec, s[2:3]
	s_and_saveexec_b64 s[2:3], s[38:39]
	s_cbranch_execnz .LBB85_291
.LBB85_261:                             ;   in Loop: Header=BB85_13 Depth=1
	s_or_b64 exec, exec, s[2:3]
	s_and_saveexec_b64 s[2:3], s[40:41]
	s_cbranch_execnz .LBB85_292
.LBB85_262:                             ;   in Loop: Header=BB85_13 Depth=1
	s_or_b64 exec, exec, s[2:3]
	s_and_saveexec_b64 s[2:3], s[42:43]
	s_cbranch_execnz .LBB85_293
.LBB85_263:                             ;   in Loop: Header=BB85_13 Depth=1
	s_or_b64 exec, exec, s[2:3]
	s_and_saveexec_b64 s[2:3], s[44:45]
	s_cbranch_execnz .LBB85_294
.LBB85_264:                             ;   in Loop: Header=BB85_13 Depth=1
	s_or_b64 exec, exec, s[2:3]
	s_and_saveexec_b64 s[2:3], s[46:47]
	s_cbranch_execnz .LBB85_295
.LBB85_265:                             ;   in Loop: Header=BB85_13 Depth=1
	s_or_b64 exec, exec, s[2:3]
	s_and_saveexec_b64 s[2:3], s[48:49]
	s_cbranch_execnz .LBB85_296
.LBB85_266:                             ;   in Loop: Header=BB85_13 Depth=1
	s_or_b64 exec, exec, s[2:3]
	s_and_saveexec_b64 s[2:3], s[50:51]
	s_cbranch_execz .LBB85_12
	s_branch .LBB85_297
.LBB85_267:                             ;   in Loop: Header=BB85_13 Depth=1
	global_load_ushort v28, v[8:9], off offset:1664
	s_or_b64 exec, exec, s[2:3]
	s_and_saveexec_b64 s[2:3], s[48:49]
	s_cbranch_execz .LBB85_73
.LBB85_268:                             ;   in Loop: Header=BB85_13 Depth=1
	global_load_ushort v27, v[8:9], off offset:1792
	s_or_b64 exec, exec, s[2:3]
	v_mov_b32_e32 v29, 0
	s_and_saveexec_b64 s[2:3], s[50:51]
	s_cbranch_execnz .LBB85_74
	s_branch .LBB85_75
.LBB85_269:                             ;   in Loop: Header=BB85_13 Depth=1
	scratch_load_dword v18, off, off        ; 4-byte Folded Reload
	s_waitcnt vmcnt(0)
	ds_read_u16 v18, v18
	s_waitcnt lgkmcnt(0)
	global_store_short v[0:1], v18, off
	s_or_b64 exec, exec, s[2:3]
	s_and_saveexec_b64 s[2:3], s[20:21]
	s_cbranch_execz .LBB85_202
.LBB85_270:                             ;   in Loop: Header=BB85_13 Depth=1
	s_waitcnt lgkmcnt(14)
	global_store_short v[0:1], v16, off offset:128
	s_or_b64 exec, exec, s[2:3]
	s_and_saveexec_b64 s[2:3], s[22:23]
	s_cbranch_execz .LBB85_203
.LBB85_271:                             ;   in Loop: Header=BB85_13 Depth=1
	s_waitcnt lgkmcnt(13)
	global_store_short v[0:1], v15, off offset:256
	s_or_b64 exec, exec, s[2:3]
	s_and_saveexec_b64 s[2:3], s[24:25]
	s_cbranch_execz .LBB85_204
.LBB85_272:                             ;   in Loop: Header=BB85_13 Depth=1
	s_waitcnt lgkmcnt(12)
	global_store_short v[0:1], v14, off offset:384
	s_or_b64 exec, exec, s[2:3]
	s_and_saveexec_b64 s[2:3], s[26:27]
	s_cbranch_execz .LBB85_205
.LBB85_273:                             ;   in Loop: Header=BB85_13 Depth=1
	s_waitcnt lgkmcnt(11)
	global_store_short v[0:1], v13, off offset:512
	s_or_b64 exec, exec, s[2:3]
	s_and_saveexec_b64 s[2:3], s[28:29]
	s_cbranch_execz .LBB85_206
.LBB85_274:                             ;   in Loop: Header=BB85_13 Depth=1
	s_waitcnt lgkmcnt(10)
	global_store_short v[0:1], v12, off offset:640
	s_or_b64 exec, exec, s[2:3]
	s_and_saveexec_b64 s[2:3], s[30:31]
	s_cbranch_execz .LBB85_207
.LBB85_275:                             ;   in Loop: Header=BB85_13 Depth=1
	s_waitcnt lgkmcnt(9)
	global_store_short v[0:1], v11, off offset:768
	s_or_b64 exec, exec, s[2:3]
	s_and_saveexec_b64 s[2:3], s[34:35]
	s_cbranch_execz .LBB85_208
.LBB85_276:                             ;   in Loop: Header=BB85_13 Depth=1
	s_waitcnt lgkmcnt(8)
	global_store_short v[0:1], v10, off offset:896
	s_or_b64 exec, exec, s[2:3]
	s_and_saveexec_b64 s[2:3], s[36:37]
	s_cbranch_execz .LBB85_209
.LBB85_277:                             ;   in Loop: Header=BB85_13 Depth=1
	s_waitcnt lgkmcnt(7)
	global_store_short v[0:1], v9, off offset:1024
	s_or_b64 exec, exec, s[2:3]
	s_and_saveexec_b64 s[2:3], s[38:39]
	s_cbranch_execz .LBB85_210
.LBB85_278:                             ;   in Loop: Header=BB85_13 Depth=1
	s_waitcnt lgkmcnt(6)
	global_store_short v[0:1], v8, off offset:1152
	s_or_b64 exec, exec, s[2:3]
	s_and_saveexec_b64 s[2:3], s[40:41]
	s_cbranch_execz .LBB85_211
.LBB85_279:                             ;   in Loop: Header=BB85_13 Depth=1
	s_waitcnt lgkmcnt(5)
	global_store_short v[0:1], v7, off offset:1280
	s_or_b64 exec, exec, s[2:3]
	s_and_saveexec_b64 s[2:3], s[42:43]
	s_cbranch_execz .LBB85_212
.LBB85_280:                             ;   in Loop: Header=BB85_13 Depth=1
	s_waitcnt lgkmcnt(4)
	global_store_short v[0:1], v6, off offset:1408
	s_or_b64 exec, exec, s[2:3]
	s_and_saveexec_b64 s[2:3], s[44:45]
	s_cbranch_execz .LBB85_213
.LBB85_281:                             ;   in Loop: Header=BB85_13 Depth=1
	s_waitcnt lgkmcnt(3)
	global_store_short v[0:1], v5, off offset:1536
	s_or_b64 exec, exec, s[2:3]
	s_and_saveexec_b64 s[2:3], s[46:47]
	s_cbranch_execz .LBB85_214
.LBB85_282:                             ;   in Loop: Header=BB85_13 Depth=1
	s_waitcnt lgkmcnt(2)
	global_store_short v[0:1], v4, off offset:1664
	s_or_b64 exec, exec, s[2:3]
	s_and_saveexec_b64 s[2:3], s[48:49]
	s_cbranch_execz .LBB85_215
.LBB85_283:                             ;   in Loop: Header=BB85_13 Depth=1
	s_waitcnt lgkmcnt(1)
	global_store_short v[0:1], v3, off offset:1792
	s_or_b64 exec, exec, s[2:3]
	s_and_saveexec_b64 s[2:3], s[50:51]
	s_cbranch_execnz .LBB85_216
	s_branch .LBB85_217
.LBB85_284:                             ;   in Loop: Header=BB85_13 Depth=1
	s_waitcnt lgkmcnt(13)
	global_store_short v[0:1], v15, off offset:256
	s_or_b64 exec, exec, s[2:3]
	s_and_saveexec_b64 s[2:3], s[24:25]
	s_cbranch_execz .LBB85_255
.LBB85_285:                             ;   in Loop: Header=BB85_13 Depth=1
	s_waitcnt lgkmcnt(12)
	global_store_short v[0:1], v14, off offset:384
	s_or_b64 exec, exec, s[2:3]
	s_and_saveexec_b64 s[2:3], s[26:27]
	s_cbranch_execz .LBB85_256
.LBB85_286:                             ;   in Loop: Header=BB85_13 Depth=1
	s_waitcnt lgkmcnt(11)
	global_store_short v[0:1], v13, off offset:512
	s_or_b64 exec, exec, s[2:3]
	s_and_saveexec_b64 s[2:3], s[28:29]
	s_cbranch_execz .LBB85_257
.LBB85_287:                             ;   in Loop: Header=BB85_13 Depth=1
	s_waitcnt lgkmcnt(10)
	global_store_short v[0:1], v12, off offset:640
	s_or_b64 exec, exec, s[2:3]
	s_and_saveexec_b64 s[2:3], s[30:31]
	s_cbranch_execz .LBB85_258
.LBB85_288:                             ;   in Loop: Header=BB85_13 Depth=1
	s_waitcnt lgkmcnt(9)
	global_store_short v[0:1], v11, off offset:768
	s_or_b64 exec, exec, s[2:3]
	s_and_saveexec_b64 s[2:3], s[34:35]
	s_cbranch_execz .LBB85_259
.LBB85_289:                             ;   in Loop: Header=BB85_13 Depth=1
	s_waitcnt lgkmcnt(8)
	global_store_short v[0:1], v10, off offset:896
	s_or_b64 exec, exec, s[2:3]
	s_and_saveexec_b64 s[2:3], s[36:37]
	s_cbranch_execz .LBB85_260
.LBB85_290:                             ;   in Loop: Header=BB85_13 Depth=1
	s_waitcnt lgkmcnt(7)
	global_store_short v[0:1], v9, off offset:1024
	s_or_b64 exec, exec, s[2:3]
	s_and_saveexec_b64 s[2:3], s[38:39]
	s_cbranch_execz .LBB85_261
.LBB85_291:                             ;   in Loop: Header=BB85_13 Depth=1
	s_waitcnt lgkmcnt(6)
	global_store_short v[0:1], v8, off offset:1152
	s_or_b64 exec, exec, s[2:3]
	s_and_saveexec_b64 s[2:3], s[40:41]
	s_cbranch_execz .LBB85_262
.LBB85_292:                             ;   in Loop: Header=BB85_13 Depth=1
	s_waitcnt lgkmcnt(5)
	global_store_short v[0:1], v7, off offset:1280
	s_or_b64 exec, exec, s[2:3]
	s_and_saveexec_b64 s[2:3], s[42:43]
	s_cbranch_execz .LBB85_263
.LBB85_293:                             ;   in Loop: Header=BB85_13 Depth=1
	s_waitcnt lgkmcnt(4)
	global_store_short v[0:1], v6, off offset:1408
	s_or_b64 exec, exec, s[2:3]
	s_and_saveexec_b64 s[2:3], s[44:45]
	s_cbranch_execz .LBB85_264
.LBB85_294:                             ;   in Loop: Header=BB85_13 Depth=1
	s_waitcnt lgkmcnt(3)
	global_store_short v[0:1], v5, off offset:1536
	s_or_b64 exec, exec, s[2:3]
	s_and_saveexec_b64 s[2:3], s[46:47]
	s_cbranch_execz .LBB85_265
.LBB85_295:                             ;   in Loop: Header=BB85_13 Depth=1
	s_waitcnt lgkmcnt(2)
	global_store_short v[0:1], v4, off offset:1664
	s_or_b64 exec, exec, s[2:3]
	s_and_saveexec_b64 s[2:3], s[48:49]
	s_cbranch_execz .LBB85_266
.LBB85_296:                             ;   in Loop: Header=BB85_13 Depth=1
	s_waitcnt lgkmcnt(1)
	global_store_short v[0:1], v3, off offset:1792
	s_or_b64 exec, exec, s[2:3]
	s_and_saveexec_b64 s[2:3], s[50:51]
	s_cbranch_execz .LBB85_12
.LBB85_297:                             ;   in Loop: Header=BB85_13 Depth=1
	s_waitcnt lgkmcnt(0)
	global_store_short v[0:1], v2, off offset:1920
	s_branch .LBB85_12
.LBB85_298:
	s_endpgm
	.section	.rodata,"a",@progbits
	.p2align	6, 0x0
	.amdhsa_kernel _Z25selective_scan_fwd_kernelI32Selective_Scan_fwd_kernel_traitsILi64ELi16ELi1ELb0ELb1ELb1ELb1ELb0EN3c104HalfEfS2_EEv13SSMParamsBase
		.amdhsa_group_segment_fixed_size 0
		.amdhsa_private_segment_fixed_size 332
		.amdhsa_kernarg_size 248
		.amdhsa_user_sgpr_count 2
		.amdhsa_user_sgpr_dispatch_ptr 0
		.amdhsa_user_sgpr_queue_ptr 0
		.amdhsa_user_sgpr_kernarg_segment_ptr 1
		.amdhsa_user_sgpr_dispatch_id 0
		.amdhsa_user_sgpr_kernarg_preload_length 0
		.amdhsa_user_sgpr_kernarg_preload_offset 0
		.amdhsa_user_sgpr_private_segment_size 0
		.amdhsa_uses_dynamic_stack 0
		.amdhsa_enable_private_segment 1
		.amdhsa_system_sgpr_workgroup_id_x 1
		.amdhsa_system_sgpr_workgroup_id_y 1
		.amdhsa_system_sgpr_workgroup_id_z 0
		.amdhsa_system_sgpr_workgroup_info 0
		.amdhsa_system_vgpr_workitem_id 0
		.amdhsa_next_free_vgpr 96
		.amdhsa_next_free_sgpr 100
		.amdhsa_accum_offset 96
		.amdhsa_reserve_vcc 1
		.amdhsa_float_round_mode_32 0
		.amdhsa_float_round_mode_16_64 0
		.amdhsa_float_denorm_mode_32 3
		.amdhsa_float_denorm_mode_16_64 3
		.amdhsa_dx10_clamp 1
		.amdhsa_ieee_mode 1
		.amdhsa_fp16_overflow 0
		.amdhsa_tg_split 0
		.amdhsa_exception_fp_ieee_invalid_op 0
		.amdhsa_exception_fp_denorm_src 0
		.amdhsa_exception_fp_ieee_div_zero 0
		.amdhsa_exception_fp_ieee_overflow 0
		.amdhsa_exception_fp_ieee_underflow 0
		.amdhsa_exception_fp_ieee_inexact 0
		.amdhsa_exception_int_div_zero 0
	.end_amdhsa_kernel
	.section	.text._Z25selective_scan_fwd_kernelI32Selective_Scan_fwd_kernel_traitsILi64ELi16ELi1ELb0ELb1ELb1ELb1ELb0EN3c104HalfEfS2_EEv13SSMParamsBase,"axG",@progbits,_Z25selective_scan_fwd_kernelI32Selective_Scan_fwd_kernel_traitsILi64ELi16ELi1ELb0ELb1ELb1ELb1ELb0EN3c104HalfEfS2_EEv13SSMParamsBase,comdat
.Lfunc_end85:
	.size	_Z25selective_scan_fwd_kernelI32Selective_Scan_fwd_kernel_traitsILi64ELi16ELi1ELb0ELb1ELb1ELb1ELb0EN3c104HalfEfS2_EEv13SSMParamsBase, .Lfunc_end85-_Z25selective_scan_fwd_kernelI32Selective_Scan_fwd_kernel_traitsILi64ELi16ELi1ELb0ELb1ELb1ELb1ELb0EN3c104HalfEfS2_EEv13SSMParamsBase
                                        ; -- End function
	.section	.AMDGPU.csdata,"",@progbits
; Kernel info:
; codeLenInByte = 27216
; NumSgprs: 106
; NumVgprs: 96
; NumAgprs: 0
; TotalNumVgprs: 96
; ScratchSize: 332
; MemoryBound: 0
; FloatMode: 240
; IeeeMode: 1
; LDSByteSize: 0 bytes/workgroup (compile time only)
; SGPRBlocks: 13
; VGPRBlocks: 11
; NumSGPRsForWavesPerEU: 106
; NumVGPRsForWavesPerEU: 96
; AccumOffset: 96
; Occupancy: 5
; WaveLimiterHint : 0
; COMPUTE_PGM_RSRC2:SCRATCH_EN: 1
; COMPUTE_PGM_RSRC2:USER_SGPR: 2
; COMPUTE_PGM_RSRC2:TRAP_HANDLER: 0
; COMPUTE_PGM_RSRC2:TGID_X_EN: 1
; COMPUTE_PGM_RSRC2:TGID_Y_EN: 1
; COMPUTE_PGM_RSRC2:TGID_Z_EN: 0
; COMPUTE_PGM_RSRC2:TIDIG_COMP_CNT: 0
; COMPUTE_PGM_RSRC3_GFX90A:ACCUM_OFFSET: 23
; COMPUTE_PGM_RSRC3_GFX90A:TG_SPLIT: 0
	.section	.text._Z25selective_scan_fwd_kernelI32Selective_Scan_fwd_kernel_traitsILi64ELi16ELi1ELb0ELb1ELb1ELb0ELb1EN3c104HalfEfS2_EEv13SSMParamsBase,"axG",@progbits,_Z25selective_scan_fwd_kernelI32Selective_Scan_fwd_kernel_traitsILi64ELi16ELi1ELb0ELb1ELb1ELb0ELb1EN3c104HalfEfS2_EEv13SSMParamsBase,comdat
	.protected	_Z25selective_scan_fwd_kernelI32Selective_Scan_fwd_kernel_traitsILi64ELi16ELi1ELb0ELb1ELb1ELb0ELb1EN3c104HalfEfS2_EEv13SSMParamsBase ; -- Begin function _Z25selective_scan_fwd_kernelI32Selective_Scan_fwd_kernel_traitsILi64ELi16ELi1ELb0ELb1ELb1ELb0ELb1EN3c104HalfEfS2_EEv13SSMParamsBase
	.globl	_Z25selective_scan_fwd_kernelI32Selective_Scan_fwd_kernel_traitsILi64ELi16ELi1ELb0ELb1ELb1ELb0ELb1EN3c104HalfEfS2_EEv13SSMParamsBase
	.p2align	8
	.type	_Z25selective_scan_fwd_kernelI32Selective_Scan_fwd_kernel_traitsILi64ELi16ELi1ELb0ELb1ELb1ELb0ELb1EN3c104HalfEfS2_EEv13SSMParamsBase,@function
_Z25selective_scan_fwd_kernelI32Selective_Scan_fwd_kernel_traitsILi64ELi16ELi1ELb0ELb1ELb1ELb0ELb1EN3c104HalfEfS2_EEv13SSMParamsBase: ; @_Z25selective_scan_fwd_kernelI32Selective_Scan_fwd_kernel_traitsILi64ELi16ELi1ELb0ELb1ELb1ELb0ELb1EN3c104HalfEfS2_EEv13SSMParamsBase
; %bb.0:
	s_load_dword s27, s[0:1], 0x18
	s_load_dwordx4 s[4:7], s[0:1], 0xe0
	s_load_dwordx2 s[10:11], s[0:1], 0xf0
	s_mov_b32 s20, s3
	s_ashr_i32 s3, s2, 31
	s_waitcnt lgkmcnt(0)
	s_abs_i32 s26, s27
	v_cvt_f32_u32_e32 v1, s26
	s_lshl_b64 s[8:9], s[2:3], 2
	s_add_u32 s24, s4, s8
	s_addc_u32 s25, s5, s9
	v_rcp_iflag_f32_e32 v1, v1
	s_cmp_eq_u64 s[10:11], 0
                                        ; implicit-def: $vgpr95 : SGPR spill to VGPR lane
	v_mul_f32_e32 v1, 0x4f7ffffe, v1
	v_cvt_u32_f32_e32 v1, v1
	s_nop 0
	v_readfirstlane_b32 s28, v1
	s_cbranch_scc1 .LBB86_2
; %bb.1:
	s_add_u32 s4, s10, s2
	s_addc_u32 s5, s11, s3
	v_mov_b32_e32 v1, 0
	global_load_ubyte v1, v1, s[4:5]
	s_waitcnt vmcnt(0)
	v_and_b32_e32 v1, 1, v1
	v_cmp_eq_u32_e64 s[4:5], 1, v1
	s_branch .LBB86_3
.LBB86_2:
	s_mov_b64 s[4:5], 0
.LBB86_3:
	s_nop 0
	v_writelane_b32 v95, s4, 0
	s_cmp_eq_u64 s[6:7], 0
	s_nop 0
	v_writelane_b32 v95, s5, 1
	s_load_dwordx2 s[4:5], s[0:1], 0x20
	s_cbranch_scc1 .LBB86_5
; %bb.4:
	s_add_u32 s2, s6, s8
	s_addc_u32 s3, s7, s9
	s_load_dword s2, s[2:3], 0x0
	s_waitcnt lgkmcnt(0)
	s_ashr_i32 s3, s2, 31
.LBB86_5:
	s_waitcnt lgkmcnt(0)
	s_cmp_eq_u64 s[4:5], s[2:3]
	s_cbranch_scc1 .LBB86_234
; %bb.6:
	s_load_dwordx16 s[4:19], s[0:1], 0x88
	s_load_dwordx2 s[22:23], s[24:25], 0x0
	s_mov_b32 s3, 0
	v_writelane_b32 v95, s3, 2
	v_writelane_b32 v95, s3, 3
	s_waitcnt lgkmcnt(0)
	s_cmp_eq_u64 s[10:11], 0
	s_cbranch_scc1 .LBB86_8
; %bb.7:
	s_ashr_i32 s21, s20, 31
	s_lshl_b64 s[24:25], s[20:21], 2
	s_add_u32 s10, s10, s24
	s_addc_u32 s11, s11, s25
	s_load_dword s3, s[10:11], 0x0
	s_waitcnt lgkmcnt(0)
	v_writelane_b32 v95, s3, 3
.LBB86_8:
	s_cmp_eq_u64 s[16:17], 0
	s_cbranch_scc1 .LBB86_10
; %bb.9:
	s_ashr_i32 s21, s20, 31
	s_lshl_b64 s[10:11], s[20:21], 2
	s_add_u32 s10, s16, s10
	s_addc_u32 s11, s17, s11
	s_load_dword s3, s[10:11], 0x0
	s_waitcnt lgkmcnt(0)
	v_writelane_b32 v95, s3, 2
.LBB86_10:
	s_sub_i32 s29, s23, s22
	s_cmp_lt_i32 s29, 1
	s_cbranch_scc1 .LBB86_234
; %bb.11:
	v_mbcnt_lo_u32_b32 v1, -1, 0
	v_mbcnt_hi_u32_b32 v20, -1, v1
	s_sub_i32 s3, 0, s26
	v_lshrrev_b32_e32 v1, 5, v20
	s_mul_i32 s3, s3, s28
	v_and_b32_e32 v1, 2, v1
	s_mul_hi_u32 s3, s28, s3
	v_add_u32_e32 v1, v1, v20
	s_abs_i32 s21, s20
	s_add_i32 s28, s28, s3
	v_add_u32_e32 v2, 64, v20
	v_lshl_add_u32 v1, v1, 1, 0
	s_load_dwordx8 s[36:43], s[0:1], 0x2c
	s_load_dwordx2 s[10:11], s[0:1], 0x5c
	s_load_dwordx4 s[44:47], s[0:1], 0x4c
	s_load_dwordx4 s[48:51], s[0:1], 0x7c
	s_load_dwordx2 s[24:25], s[0:1], 0x6c
	s_load_dwordx2 s[16:17], s[0:1], 0xc8
	s_mul_hi_u32 s3, s21, s28
	s_load_dword s28, s[0:1], 0xc
	s_load_dword s23, s[0:1], 0x28
	scratch_store_dword off, v1, off offset:4 ; 4-byte Folded Spill
	scratch_store_dword off, v2, off offset:180 ; 4-byte Folded Spill
	v_lshrrev_b32_e32 v1, 5, v2
	s_ashr_i32 s0, s20, 31
	s_ashr_i32 s1, s27, 31
	v_and_b32_e32 v1, 6, v1
	s_xor_b32 s0, s0, s1
	s_mul_i32 s1, s3, s26
	v_add_lshl_u32 v1, v1, v20, 1
	s_sub_i32 s1, s21, s1
	v_or_b32_e32 v3, 0x80, v20
	v_add_u32_e32 v2, 0, v1
	s_add_i32 s21, s3, 1
	s_sub_i32 s27, s1, s26
	scratch_store_dword off, v2, off offset:8 ; 4-byte Folded Spill
	scratch_store_dword off, v3, off offset:184 ; 4-byte Folded Spill
	v_lshrrev_b32_e32 v2, 5, v3
	s_cmp_ge_u32 s1, s26
	v_and_b32_e32 v2, 6, v2
	s_cselect_b32 s3, s21, s3
	v_add_lshl_u32 v2, v2, v20, 1
	s_cselect_b32 s1, s27, s1
	s_add_i32 s21, s3, 1
	v_add_u32_e32 v4, 0xc0, v20
	v_add_u32_e32 v3, 0, v2
	s_cmp_ge_u32 s1, s26
	scratch_store_dword off, v3, off offset:12 ; 4-byte Folded Spill
	scratch_store_dword off, v4, off offset:188 ; 4-byte Folded Spill
	v_lshrrev_b32_e32 v3, 5, v4
	s_cselect_b32 s1, s21, s3
	v_and_b32_e32 v3, 14, v3
	s_xor_b32 s1, s1, s0
	s_waitcnt lgkmcnt(0)
	s_mul_i32 s92, s22, s46
	s_mov_b32 s93, 0
	v_add_lshl_u32 v3, v3, v20, 1
	s_sub_i32 s3, s1, s0
	s_lshl_b64 s[0:1], s[92:93], 1
	v_or_b32_e32 v5, 0x100, v20
	v_add_u32_e32 v4, 0, v3
	s_add_u32 s12, s12, s0
	s_mul_i32 s92, s47, s20
	scratch_store_dword off, v4, off offset:16 ; 4-byte Folded Spill
	scratch_store_dword off, v5, off offset:192 ; 4-byte Folded Spill
	v_lshrrev_b32_e32 v4, 5, v5
	s_addc_u32 s13, s13, s1
	s_lshl_b64 s[0:1], s[92:93], 1
	v_and_b32_e32 v4, 10, v4
	s_add_u32 s26, s12, s0
	s_mul_i32 s92, s22, s10
	v_add_lshl_u32 v4, v4, v20, 1
	s_addc_u32 s27, s13, s1
	s_lshl_b64 s[0:1], s[92:93], 1
	v_add_u32_e32 v6, 0x140, v20
	v_add_u32_e32 v5, 0, v4
	s_add_u32 s10, s14, s0
	s_mul_i32 s92, s11, s20
	scratch_store_dword off, v5, off offset:20 ; 4-byte Folded Spill
	scratch_store_dword off, v6, off offset:196 ; 4-byte Folded Spill
	v_lshrrev_b32_e32 v5, 5, v6
	s_addc_u32 s12, s15, s1
	s_lshl_b64 s[0:1], s[92:93], 1
	v_and_b32_e32 v5, 14, v5
	s_add_u32 s0, s10, s0
	v_add_lshl_u32 v5, v5, v20, 1
	s_addc_u32 s1, s12, s1
	v_or_b32_e32 v7, 0x180, v20
	v_add_u32_e32 v6, 0, v5
	v_writelane_b32 v95, s0, 4
	s_mul_i32 s92, s36, s20
	scratch_store_dword off, v6, off offset:24 ; 4-byte Folded Spill
	scratch_store_dword off, v7, off offset:200 ; 4-byte Folded Spill
	v_lshrrev_b32_e32 v6, 5, v7
	v_writelane_b32 v95, s1, 5
	s_lshl_b64 s[0:1], s[92:93], 2
	v_and_b32_e32 v6, 14, v6
	s_add_u32 s99, s4, s0
	v_add_lshl_u32 v6, v6, v20, 1
	s_addc_u32 s0, s5, s1
	s_mul_i32 s92, s22, s38
	v_add_u32_e32 v8, 0x1c0, v20
	v_add_u32_e32 v7, 0, v6
	v_writelane_b32 v95, s0, 6
	s_lshl_b64 s[0:1], s[92:93], 1
	scratch_store_dword off, v7, off offset:28 ; 4-byte Folded Spill
	scratch_store_dword off, v8, off offset:204 ; 4-byte Folded Spill
	v_lshrrev_b32_e32 v7, 5, v8
	s_add_u32 s4, s6, s0
	s_mul_i32 s92, s3, s41
	v_and_b32_e32 v7, 30, v7
	s_addc_u32 s5, s7, s1
	s_lshl_b64 s[0:1], s[92:93], 1
	v_add_lshl_u32 v7, v7, v20, 1
	s_add_u32 s0, s4, s0
	v_or_b32_e32 v9, 0x200, v20
	v_add_u32_e32 v8, 0, v7
	s_addc_u32 s1, s5, s1
	scratch_store_dword off, v8, off offset:32 ; 4-byte Folded Spill
	scratch_store_dword off, v9, off offset:208 ; 4-byte Folded Spill
	v_lshrrev_b32_e32 v8, 5, v9
	v_writelane_b32 v95, s0, 7
	v_and_b32_e32 v8, 18, v8
	v_add_lshl_u32 v8, v8, v20, 1
	v_writelane_b32 v95, s1, 8
	v_writelane_b32 v95, s36, 9
	v_add_u32_e32 v10, 0x240, v20
	v_add_u32_e32 v9, 0, v8
	v_writelane_b32 v95, s37, 10
	scratch_store_dword off, v9, off offset:36 ; 4-byte Folded Spill
	scratch_store_dword off, v10, off offset:212 ; 4-byte Folded Spill
	v_lshrrev_b32_e32 v9, 5, v10
	v_writelane_b32 v95, s38, 11
	v_and_b32_e32 v9, 22, v9
	v_writelane_b32 v95, s39, 12
	v_add_lshl_u32 v9, v9, v20, 1
	v_writelane_b32 v95, s40, 13
	v_or_b32_e32 v11, 0x280, v20
	v_add_u32_e32 v10, 0, v9
	v_writelane_b32 v95, s41, 14
	scratch_store_dword off, v10, off offset:40 ; 4-byte Folded Spill
	scratch_store_dword off, v11, off offset:216 ; 4-byte Folded Spill
	v_lshrrev_b32_e32 v10, 5, v11
	v_writelane_b32 v95, s42, 15
	s_mul_i32 s92, s22, s42
	v_and_b32_e32 v10, 22, v10
	v_writelane_b32 v95, s43, 16
	s_lshl_b64 s[0:1], s[92:93], 1
	v_add_lshl_u32 v10, v10, v20, 1
	s_add_u32 s4, s8, s0
	v_writelane_b32 v95, s44, 17
	s_mul_i32 s92, s3, s45
	v_add_u32_e32 v12, 0x2c0, v20
	v_add_u32_e32 v11, 0, v10
	s_addc_u32 s5, s9, s1
	v_writelane_b32 v95, s45, 18
	s_lshl_b64 s[0:1], s[92:93], 1
	scratch_store_dword off, v11, off offset:44 ; 4-byte Folded Spill
	scratch_store_dword off, v12, off offset:220 ; 4-byte Folded Spill
	v_lshrrev_b32_e32 v11, 5, v12
	v_writelane_b32 v95, s46, 19
	s_add_u32 s0, s4, s0
	v_and_b32_e32 v11, 30, v11
	v_writelane_b32 v95, s47, 20
	s_addc_u32 s1, s5, s1
	v_add_lshl_u32 v11, v11, v20, 1
	v_writelane_b32 v95, s0, 21
	v_or_b32_e32 v13, 0x300, v20
	v_add_u32_e32 v12, 0, v11
	v_writelane_b32 v95, s1, 22
	s_mul_i32 s92, s2, s48
	scratch_store_dword off, v12, off offset:48 ; 4-byte Folded Spill
	scratch_store_dword off, v13, off offset:224 ; 4-byte Folded Spill
	v_lshrrev_b32_e32 v12, 5, v13
	s_lshl_b64 s[0:1], s[92:93], 1
	v_writelane_b32 v95, s48, 23
	v_and_b32_e32 v12, 26, v12
	s_add_u32 s2, s16, s0
	v_writelane_b32 v95, s49, 24
	s_mul_i32 s92, s49, s20
	v_add_lshl_u32 v12, v12, v20, 1
	s_addc_u32 s3, s17, s1
	v_writelane_b32 v95, s50, 25
	s_lshl_b64 s[0:1], s[92:93], 1
	v_add_u32_e32 v14, 0x340, v20
	v_add_u32_e32 v13, 0, v12
	v_writelane_b32 v95, s51, 26
	s_add_u32 s0, s2, s0
	scratch_store_dword off, v13, off offset:52 ; 4-byte Folded Spill
	scratch_store_dword off, v14, off offset:228 ; 4-byte Folded Spill
	v_lshrrev_b32_e32 v13, 5, v14
	v_writelane_b32 v95, s0, 27
	s_addc_u32 s0, s3, s1
	v_and_b32_e32 v13, 30, v13
	v_writelane_b32 v95, s0, 28
	s_add_i32 s0, s29, 0x7ff
	v_add_lshl_u32 v13, v13, v20, 1
	s_lshr_b32 s1, s0, 11
	v_or_b32_e32 v15, 0x380, v20
	v_add_u32_e32 v14, 0, v13
	scratch_store_dword off, v14, off offset:56 ; 4-byte Folded Spill
	scratch_store_dword off, v15, off offset:232 ; 4-byte Folded Spill
	v_lshrrev_b32_e32 v14, 5, v15
	s_bitcmp1_b32 s23, 0
	v_and_b32_e32 v14, 30, v14
	s_cselect_b64 s[4:5], -1, 0
	s_cmp_gt_i32 s28, 0
	v_add_lshl_u32 v14, v14, v20, 1
	s_cselect_b64 s[2:3], -1, 0
	s_add_i32 s0, 0, 0x840
	v_add_u32_e32 v15, 0, v14
	v_add_u32_e32 v1, s0, v1
	;; [unrolled: 1-line block ×3, first 2 shown]
	scratch_store_dword off, v15, off offset:60 ; 4-byte Folded Spill
	scratch_store_dword off, v16, off offset:236 ; 4-byte Folded Spill
	;; [unrolled: 1-line block ×3, first 2 shown]
	v_add_u32_e32 v1, s0, v2
	scratch_store_dword off, v1, off offset:100 ; 4-byte Folded Spill
	v_add_u32_e32 v1, s0, v3
	scratch_store_dword off, v1, off offset:104 ; 4-byte Folded Spill
	;; [unrolled: 2-line block ×7, first 2 shown]
	v_add_u32_e32 v1, s0, v9
	v_lshrrev_b32_e32 v15, 5, v16
	scratch_store_dword off, v1, off offset:128 ; 4-byte Folded Spill
	v_add_u32_e32 v1, s0, v10
	v_and_b32_e32 v15, 62, v15
	scratch_store_dword off, v1, off offset:132 ; 4-byte Folded Spill
	v_add_u32_e32 v1, s0, v11
	v_add_lshl_u32 v15, v15, v20, 1
	scratch_store_dword off, v1, off offset:136 ; 4-byte Folded Spill
	v_add_u32_e32 v1, s0, v12
	v_add_u32_e32 v16, 0, v15
	v_lshrrev_b32_e32 v18, 1, v20
	scratch_store_dword off, v1, off offset:140 ; 4-byte Folded Spill
	v_add_u32_e32 v1, s0, v13
	scratch_store_dword off, v16, off offset:64 ; 4-byte Folded Spill
	v_lshlrev_b32_e32 v16, 4, v20
	v_and_b32_e32 v18, 62, v18
	scratch_store_dword off, v1, off offset:144 ; 4-byte Folded Spill
	v_add_u32_e32 v1, s0, v14
	v_add_lshl_u32 v16, v18, v16, 1
	v_writelane_b32 v95, s28, 29
	scratch_store_dword off, v1, off offset:148 ; 4-byte Folded Spill
	v_add_u32_e32 v1, s0, v15
	v_writelane_b32 v95, s2, 30
	scratch_store_dword off, v1, off offset:152 ; 4-byte Folded Spill
	v_add_u32_e32 v1, s0, v16
	s_and_b32 s0, s29, 0x3ff
	v_writelane_b32 v95, s3, 31
	s_cmp_eq_u32 s0, 0
	v_writelane_b32 v95, s29, 32
	s_cselect_b64 s[2:3], -1, 0
	scratch_store_dword off, v1, off offset:156 ; 4-byte Folded Spill
	v_writelane_b32 v95, s2, 33
	v_and_b32_e32 v1, 15, v20
	v_cmp_lt_u32_e64 s[6:7], 7, v1
	v_writelane_b32 v95, s3, 34
	v_cmp_ne_u32_e64 s[2:3], 0, v1
	s_add_i32 s0, s1, -1
	s_mul_i32 s92, s22, s24
	v_writelane_b32 v95, s2, 35
	v_and_b32_e32 v2, 64, v20
	v_lshlrev_b32_e32 v19, 4, v0
	v_writelane_b32 v95, s3, 36
	v_cmp_lt_u32_e64 s[2:3], 1, v1
	v_cmp_gt_u32_e64 s[14:15], 64, v0
	v_cmp_eq_u32_e64 s[16:17], 0, v0
	v_writelane_b32 v95, s2, 37
	v_add_u32_e32 v18, 0, v16
	v_mov_b32_e32 v17, 0
	v_writelane_b32 v95, s3, 38
	v_cmp_lt_u32_e64 s[2:3], 3, v1
	v_writelane_b32 v95, s6, 39
	v_and_b32_e32 v1, 16, v20
	scratch_store_dword off, v18, off       ; 4-byte Folded Spill
	v_writelane_b32 v95, s7, 40
	v_cmp_ne_u32_e64 s[6:7], 0, v1
	v_add_u32_e32 v1, -1, v20
	v_cmp_lt_i32_e32 vcc, v1, v2
	v_writelane_b32 v95, s6, 41
	v_lshlrev_b32_e32 v16, 1, v20
	v_cndmask_b32_e32 v1, v1, v20, vcc
	v_writelane_b32 v95, s7, 42
	v_writelane_b32 v95, s1, 43
	;; [unrolled: 1-line block ×3, first 2 shown]
	s_lshl_b64 s[0:1], s[92:93], 1
	s_add_u32 s18, s18, s0
	s_addc_u32 s19, s19, s1
	v_cmp_eq_u32_e64 s[0:1], 63, v0
	v_lshlrev_b32_e32 v1, 2, v1
	v_mov_b32_e32 v0, v20
	scratch_store_dwordx2 off, v[0:1], off offset:172 ; 8-byte Folded Spill
	v_or_b32_e32 v0, 1, v19
	scratch_store_dword off, v0, off offset:252 ; 4-byte Folded Spill
	v_or_b32_e32 v0, 2, v19
	scratch_store_dword off, v0, off offset:256 ; 4-byte Folded Spill
	;; [unrolled: 2-line block ×6, first 2 shown]
                                        ; implicit-def: $vgpr0
	v_writelane_b32 v95, s0, 45
	v_or_b32_e32 v0, 7, v19
	scratch_store_dword off, v0, off offset:276 ; 4-byte Folded Spill
	v_or_b32_e32 v0, 8, v19
	s_mul_i32 s92, s25, s20
	scratch_store_dword off, v0, off offset:280 ; 4-byte Folded Spill
	v_or_b32_e32 v0, 9, v19
	v_writelane_b32 v95, s1, 46
	s_lshl_b64 s[0:1], s[92:93], 1
	scratch_store_dword off, v0, off offset:284 ; 4-byte Folded Spill
	v_or_b32_e32 v0, 10, v19
	s_add_u32 s0, s18, s0
	scratch_store_dword off, v0, off offset:288 ; 4-byte Folded Spill
	v_or_b32_e32 v0, 11, v19
	s_addc_u32 s1, s19, s1
	s_add_i32 s18, 0, 0x1088
	scratch_store_dword off, v0, off offset:292 ; 4-byte Folded Spill
	v_or_b32_e32 v0, 12, v19
	v_writelane_b32 v95, s18, 47
	scratch_store_dword off, v0, off offset:296 ; 4-byte Folded Spill
	v_or_b32_e32 v0, 13, v19
	scratch_store_dword off, v0, off offset:300 ; 4-byte Folded Spill
	v_or_b32_e32 v0, 14, v19
	v_writelane_b32 v95, s99, 48
	scratch_store_dword off, v1, off offset:160 ; 4-byte Folded Spill
	scratch_store_dword off, v0, off offset:304 ; 4-byte Folded Spill
	;; [unrolled: 1-line block ×3, first 2 shown]
	v_or_b32_e32 v0, 15, v19
	v_writelane_b32 v95, s4, 49
	v_cmp_lt_u32_e64 s[12:13], 31, v20
	s_mov_b32 s6, 0x41a00000
	s_mov_b32 s7, 0x3fb8aa3b
	;; [unrolled: 1-line block ×10, first 2 shown]
	scratch_store_dword off, v0, off offset:308 ; 4-byte Folded Spill
	v_mov_b32_e32 v40, 0x3ecc95a3
	v_mov_b32_e32 v41, 0x7f800000
	;; [unrolled: 1-line block ×4, first 2 shown]
	v_lshl_add_u64 v[0:1], s[0:1], 0, v[16:17]
	v_mov_b32_e32 v42, 0x3f317218
	v_writelane_b32 v95, s5, 50
	scratch_store_dwordx2 off, v[0:1], off offset:240 ; 8-byte Folded Spill
	s_branch .LBB86_13
.LBB86_12:                              ;   in Loop: Header=BB86_13 Depth=1
	s_or_b64 exec, exec, s[18:19]
	v_readlane_b32 s0, v95, 4
	v_readlane_b32 s1, v95, 5
	s_add_u32 s0, s0, 0x800
	s_addc_u32 s1, s1, 0
	v_writelane_b32 v95, s0, 4
	s_nop 1
	v_writelane_b32 v95, s1, 5
	s_nop 0
	v_readlane_b32 s26, v95, 54
	v_readlane_b32 s27, v95, 55
	s_add_u32 s26, s26, 0x800
	s_addc_u32 s27, s27, 0
	v_readlane_b32 s0, v95, 7
	v_readlane_b32 s1, v95, 8
	s_add_u32 s0, s0, 0x800
	s_addc_u32 s1, s1, 0
	v_writelane_b32 v95, s0, 7
	s_nop 1
	v_writelane_b32 v95, s1, 8
	s_nop 0
	v_readlane_b32 s0, v95, 21
	v_readlane_b32 s1, v95, 22
	s_add_u32 s0, s0, 0x800
	s_addc_u32 s1, s1, 0
	v_writelane_b32 v95, s0, 21
	s_nop 1
	v_writelane_b32 v95, s1, 22
	s_nop 0
	v_readlane_b32 s18, v95, 51
	s_add_i32 s18, s18, 1
	v_readlane_b32 s0, v95, 43
	s_cmp_eq_u32 s18, s0
	s_cbranch_scc1 .LBB86_234
.LBB86_13:                              ; =>This Loop Header: Depth=1
                                        ;     Child Loop BB86_110 Depth 2
	s_waitcnt lgkmcnt(0)
	; wave barrier
	s_waitcnt vmcnt(63) expcnt(7) lgkmcnt(15)
	scratch_load_dwordx2 v[0:1], off, off offset:172 ; 8-byte Folded Reload
	s_lshl_b32 s20, s18, 10
	v_writelane_b32 v95, s18, 51
	s_mov_b32 s18, s20
	v_readlane_b32 s0, v95, 32
	v_writelane_b32 v95, s18, 52
	s_sub_i32 s82, s0, s20
	s_waitcnt vmcnt(0) lgkmcnt(0)
	v_mov_b32_e32 v2, v0
	v_writelane_b32 v95, s19, 53
	v_lshlrev_b32_e32 v16, 1, v2
	v_writelane_b32 v95, s26, 54
	v_cmp_gt_u32_e64 s[18:19], s82, v2
	v_mov_b32_e32 v2, 0
	v_writelane_b32 v95, s27, 55
	v_lshl_add_u64 v[0:1], s[26:27], 0, v[16:17]
	s_and_saveexec_b64 s[20:21], s[18:19]
	s_cbranch_execz .LBB86_15
; %bb.14:                               ;   in Loop: Header=BB86_13 Depth=1
	global_load_ushort v2, v[0:1], off
.LBB86_15:                              ;   in Loop: Header=BB86_13 Depth=1
	s_or_b64 exec, exec, s[20:21]
	scratch_load_dword v3, off, off offset:180 ; 4-byte Folded Reload
	v_mov_b32_e32 v4, 0
	s_waitcnt vmcnt(0)
	v_cmp_gt_u32_e64 s[20:21], s82, v3
	v_mov_b32_e32 v3, 0
	s_and_saveexec_b64 s[22:23], s[20:21]
	s_cbranch_execz .LBB86_17
; %bb.16:                               ;   in Loop: Header=BB86_13 Depth=1
	global_load_ushort v4, v[0:1], off offset:128
.LBB86_17:                              ;   in Loop: Header=BB86_13 Depth=1
	s_or_b64 exec, exec, s[22:23]
	scratch_load_dword v5, off, off offset:184 ; 4-byte Folded Reload
	s_waitcnt vmcnt(0)
	v_cmp_gt_u32_e64 s[22:23], s82, v5
	s_and_saveexec_b64 s[24:25], s[22:23]
	s_cbranch_execz .LBB86_19
; %bb.18:                               ;   in Loop: Header=BB86_13 Depth=1
	global_load_ushort v3, v[0:1], off offset:256
.LBB86_19:                              ;   in Loop: Header=BB86_13 Depth=1
	s_or_b64 exec, exec, s[24:25]
	scratch_load_dword v5, off, off offset:188 ; 4-byte Folded Reload
	v_mov_b32_e32 v6, 0
	s_waitcnt vmcnt(0)
	v_cmp_gt_u32_e64 s[24:25], s82, v5
	v_mov_b32_e32 v5, 0
	s_and_saveexec_b64 s[26:27], s[24:25]
	s_cbranch_execz .LBB86_21
; %bb.20:                               ;   in Loop: Header=BB86_13 Depth=1
	global_load_ushort v6, v[0:1], off offset:384
.LBB86_21:                              ;   in Loop: Header=BB86_13 Depth=1
	s_or_b64 exec, exec, s[26:27]
	scratch_load_dword v7, off, off offset:192 ; 4-byte Folded Reload
	s_waitcnt vmcnt(0)
	v_cmp_gt_u32_e64 s[26:27], s82, v7
	s_and_saveexec_b64 s[28:29], s[26:27]
	s_cbranch_execz .LBB86_23
; %bb.22:                               ;   in Loop: Header=BB86_13 Depth=1
	global_load_ushort v5, v[0:1], off offset:512
.LBB86_23:                              ;   in Loop: Header=BB86_13 Depth=1
	;; [unrolled: 20-line block ×4, first 2 shown]
	s_or_b64 exec, exec, s[38:39]
	scratch_load_dword v10, off, off offset:212 ; 4-byte Folded Reload
	v_mov_b32_e32 v12, 0
	v_mov_b32_e32 v13, 0
	s_waitcnt vmcnt(0)
	v_cmp_gt_u32_e64 s[38:39], s82, v10
	s_and_saveexec_b64 s[40:41], s[38:39]
	s_cbranch_execz .LBB86_33
; %bb.32:                               ;   in Loop: Header=BB86_13 Depth=1
	global_load_ushort v13, v[0:1], off offset:1152
.LBB86_33:                              ;   in Loop: Header=BB86_13 Depth=1
	s_or_b64 exec, exec, s[40:41]
	scratch_load_dword v10, off, off offset:216 ; 4-byte Folded Reload
	s_waitcnt vmcnt(0)
	v_cmp_gt_u32_e64 s[40:41], s82, v10
	s_and_saveexec_b64 s[42:43], s[40:41]
	s_cbranch_execz .LBB86_35
; %bb.34:                               ;   in Loop: Header=BB86_13 Depth=1
	global_load_ushort v12, v[0:1], off offset:1280
.LBB86_35:                              ;   in Loop: Header=BB86_13 Depth=1
	s_or_b64 exec, exec, s[42:43]
	scratch_load_dword v10, off, off offset:220 ; 4-byte Folded Reload
	v_mov_b32_e32 v14, 0
	v_mov_b32_e32 v15, 0
	s_waitcnt vmcnt(0)
	v_cmp_gt_u32_e64 s[42:43], s82, v10
	s_and_saveexec_b64 s[44:45], s[42:43]
	s_cbranch_execz .LBB86_37
; %bb.36:                               ;   in Loop: Header=BB86_13 Depth=1
	global_load_ushort v15, v[0:1], off offset:1408
.LBB86_37:                              ;   in Loop: Header=BB86_13 Depth=1
	s_or_b64 exec, exec, s[44:45]
	scratch_load_dword v10, off, off offset:224 ; 4-byte Folded Reload
	s_waitcnt vmcnt(0)
	v_cmp_gt_u32_e64 s[44:45], s82, v10
	s_and_saveexec_b64 s[46:47], s[44:45]
	s_cbranch_execz .LBB86_39
; %bb.38:                               ;   in Loop: Header=BB86_13 Depth=1
	global_load_ushort v14, v[0:1], off offset:1536
.LBB86_39:                              ;   in Loop: Header=BB86_13 Depth=1
	;; [unrolled: 20-line block ×3, first 2 shown]
	s_or_b64 exec, exec, s[50:51]
	scratch_load_dword v10, off, off offset:236 ; 4-byte Folded Reload
	v_mov_b32_e32 v20, 0
	s_waitcnt vmcnt(0)
	v_cmp_gt_u32_e64 s[50:51], s82, v10
	v_mov_b32_e32 v10, 0
	s_and_saveexec_b64 s[52:53], s[50:51]
	s_cbranch_execz .LBB86_45
; %bb.44:                               ;   in Loop: Header=BB86_13 Depth=1
	global_load_ushort v20, v[0:1], off offset:1920
.LBB86_45:                              ;   in Loop: Header=BB86_13 Depth=1
	s_or_b64 exec, exec, s[52:53]
	scratch_load_dword v0, off, off offset:4 ; 4-byte Folded Reload
	v_readlane_b32 s0, v95, 4
	v_readlane_b32 s1, v95, 5
	s_waitcnt vmcnt(0)
	ds_write_b16 v0, v2
	scratch_load_dword v0, off, off offset:8 ; 4-byte Folded Reload
	s_waitcnt vmcnt(0)
	ds_write_b16 v0, v4 offset:128
	scratch_load_dword v0, off, off offset:12 ; 4-byte Folded Reload
	s_waitcnt vmcnt(0)
	ds_write_b16 v0, v3 offset:256
	;; [unrolled: 3-line block ×8, first 2 shown]
	scratch_load_dword v0, off, off offset:40 ; 4-byte Folded Reload
	v_lshl_add_u64 v[8:9], s[0:1], 0, v[16:17]
	s_waitcnt vmcnt(0)
	ds_write_b16 v0, v13 offset:1152
	scratch_load_dword v0, off, off offset:44 ; 4-byte Folded Reload
	s_waitcnt vmcnt(0)
	ds_write_b16 v0, v12 offset:1280
	scratch_load_dword v0, off, off offset:48 ; 4-byte Folded Reload
	;; [unrolled: 3-line block ×6, first 2 shown]
	s_waitcnt vmcnt(0)
	ds_write_b16 v0, v20 offset:1920
	; wave barrier
	scratch_load_dword v4, off, off         ; 4-byte Folded Reload
	s_waitcnt vmcnt(0)
	ds_read_b128 v[0:3], v4
	ds_read_b128 v[4:7], v4 offset:16
	s_waitcnt lgkmcnt(0)
	; wave barrier
	s_waitcnt lgkmcnt(0)
	s_and_saveexec_b64 s[52:53], s[18:19]
	s_cbranch_execz .LBB86_47
; %bb.46:                               ;   in Loop: Header=BB86_13 Depth=1
	global_load_ushort v10, v[8:9], off
.LBB86_47:                              ;   in Loop: Header=BB86_13 Depth=1
	s_or_b64 exec, exec, s[52:53]
	v_mov_b32_e32 v11, 0
	v_mov_b32_e32 v12, 0
	s_and_saveexec_b64 s[52:53], s[20:21]
	s_cbranch_execz .LBB86_49
; %bb.48:                               ;   in Loop: Header=BB86_13 Depth=1
	global_load_ushort v12, v[8:9], off offset:128
.LBB86_49:                              ;   in Loop: Header=BB86_13 Depth=1
	s_or_b64 exec, exec, s[52:53]
	s_and_saveexec_b64 s[52:53], s[22:23]
	s_cbranch_execz .LBB86_51
; %bb.50:                               ;   in Loop: Header=BB86_13 Depth=1
	global_load_ushort v11, v[8:9], off offset:256
.LBB86_51:                              ;   in Loop: Header=BB86_13 Depth=1
	s_or_b64 exec, exec, s[52:53]
	v_mov_b32_e32 v13, 0
	v_mov_b32_e32 v14, 0
	s_and_saveexec_b64 s[52:53], s[24:25]
	s_cbranch_execz .LBB86_53
; %bb.52:                               ;   in Loop: Header=BB86_13 Depth=1
	global_load_ushort v14, v[8:9], off offset:384
.LBB86_53:                              ;   in Loop: Header=BB86_13 Depth=1
	s_or_b64 exec, exec, s[52:53]
	s_and_saveexec_b64 s[52:53], s[26:27]
	s_cbranch_execz .LBB86_55
; %bb.54:                               ;   in Loop: Header=BB86_13 Depth=1
	global_load_ushort v13, v[8:9], off offset:512
.LBB86_55:                              ;   in Loop: Header=BB86_13 Depth=1
	s_or_b64 exec, exec, s[52:53]
	v_mov_b32_e32 v15, 0
	v_mov_b32_e32 v18, 0
	s_and_saveexec_b64 s[52:53], s[28:29]
	s_cbranch_execz .LBB86_57
; %bb.56:                               ;   in Loop: Header=BB86_13 Depth=1
	global_load_ushort v18, v[8:9], off offset:640
.LBB86_57:                              ;   in Loop: Header=BB86_13 Depth=1
	s_or_b64 exec, exec, s[52:53]
	s_and_saveexec_b64 s[52:53], s[30:31]
	s_cbranch_execz .LBB86_59
; %bb.58:                               ;   in Loop: Header=BB86_13 Depth=1
	global_load_ushort v15, v[8:9], off offset:768
.LBB86_59:                              ;   in Loop: Header=BB86_13 Depth=1
	s_or_b64 exec, exec, s[52:53]
	v_mov_b32_e32 v19, 0
	v_mov_b32_e32 v20, 0
	s_and_saveexec_b64 s[52:53], s[34:35]
	s_cbranch_execz .LBB86_61
; %bb.60:                               ;   in Loop: Header=BB86_13 Depth=1
	global_load_ushort v20, v[8:9], off offset:896
.LBB86_61:                              ;   in Loop: Header=BB86_13 Depth=1
	s_or_b64 exec, exec, s[52:53]
	s_and_saveexec_b64 s[52:53], s[36:37]
	s_cbranch_execz .LBB86_63
; %bb.62:                               ;   in Loop: Header=BB86_13 Depth=1
	global_load_ushort v19, v[8:9], off offset:1024
.LBB86_63:                              ;   in Loop: Header=BB86_13 Depth=1
	s_or_b64 exec, exec, s[52:53]
	v_mov_b32_e32 v21, 0
	v_mov_b32_e32 v22, 0
	s_and_saveexec_b64 s[52:53], s[38:39]
	s_cbranch_execz .LBB86_65
; %bb.64:                               ;   in Loop: Header=BB86_13 Depth=1
	global_load_ushort v22, v[8:9], off offset:1152
.LBB86_65:                              ;   in Loop: Header=BB86_13 Depth=1
	s_or_b64 exec, exec, s[52:53]
	s_and_saveexec_b64 s[52:53], s[40:41]
	s_cbranch_execz .LBB86_67
; %bb.66:                               ;   in Loop: Header=BB86_13 Depth=1
	global_load_ushort v21, v[8:9], off offset:1280
.LBB86_67:                              ;   in Loop: Header=BB86_13 Depth=1
	s_or_b64 exec, exec, s[52:53]
	v_mov_b32_e32 v23, 0
	v_mov_b32_e32 v24, 0
	s_and_saveexec_b64 s[52:53], s[42:43]
	s_cbranch_execz .LBB86_69
; %bb.68:                               ;   in Loop: Header=BB86_13 Depth=1
	global_load_ushort v24, v[8:9], off offset:1408
.LBB86_69:                              ;   in Loop: Header=BB86_13 Depth=1
	s_or_b64 exec, exec, s[52:53]
	s_and_saveexec_b64 s[52:53], s[44:45]
	s_cbranch_execz .LBB86_71
; %bb.70:                               ;   in Loop: Header=BB86_13 Depth=1
	global_load_ushort v23, v[8:9], off offset:1536
.LBB86_71:                              ;   in Loop: Header=BB86_13 Depth=1
	s_or_b64 exec, exec, s[52:53]
	v_mov_b32_e32 v25, 0
	v_mov_b32_e32 v26, 0
	s_and_saveexec_b64 s[52:53], s[46:47]
	s_cbranch_execnz .LBB86_216
; %bb.72:                               ;   in Loop: Header=BB86_13 Depth=1
	s_or_b64 exec, exec, s[52:53]
	s_and_saveexec_b64 s[52:53], s[48:49]
	s_cbranch_execnz .LBB86_217
.LBB86_73:                              ;   in Loop: Header=BB86_13 Depth=1
	s_or_b64 exec, exec, s[52:53]
	v_mov_b32_e32 v27, 0
	s_and_saveexec_b64 s[52:53], s[50:51]
	s_cbranch_execz .LBB86_75
.LBB86_74:                              ;   in Loop: Header=BB86_13 Depth=1
	global_load_ushort v27, v[8:9], off offset:1920
.LBB86_75:                              ;   in Loop: Header=BB86_13 Depth=1
	s_or_b64 exec, exec, s[52:53]
	scratch_load_dword v8, off, off offset:4 ; 4-byte Folded Reload
	v_readlane_b32 s0, v95, 2
	s_waitcnt vmcnt(0)
	ds_write_b16 v8, v10
	scratch_load_dword v8, off, off offset:8 ; 4-byte Folded Reload
	s_waitcnt vmcnt(0)
	ds_write_b16 v8, v12 offset:128
	scratch_load_dword v8, off, off offset:12 ; 4-byte Folded Reload
	s_waitcnt vmcnt(0)
	ds_write_b16 v8, v11 offset:256
	;; [unrolled: 3-line block ×15, first 2 shown]
	; wave barrier
	scratch_load_dword v8, off, off         ; 4-byte Folded Reload
	s_waitcnt vmcnt(0)
	ds_read_b128 v[12:15], v8
	ds_read_b128 v[8:11], v8 offset:16
	s_waitcnt lgkmcnt(1)
	v_cvt_f32_f16_e32 v18, v12
	v_add_f32_e32 v70, s0, v18
	v_cmp_ge_f32_e32 vcc, s6, v70
	s_and_b64 s[0:1], s[4:5], vcc
	s_and_saveexec_b64 s[54:55], s[0:1]
	s_cbranch_execz .LBB86_77
; %bb.76:                               ;   in Loop: Header=BB86_13 Depth=1
	v_mul_f32_e32 v18, 0x3fb8aa3b, v70
	v_rndne_f32_e32 v19, v18
	v_sub_f32_e32 v20, v18, v19
	v_fma_f32 v18, v70, s7, -v18
	v_fmac_f32_e32 v18, 0x32a5705f, v70
	v_add_f32_e32 v18, v20, v18
	v_cvt_i32_f32_e32 v19, v19
	v_exp_f32_e32 v18, v18
	v_cmp_ngt_f32_e32 vcc, s8, v70
	v_ldexp_f32 v18, v18, v19
	s_nop 0
	v_cndmask_b32_e32 v18, 0, v18, vcc
	v_cmp_nlt_f32_e32 vcc, s9, v70
	s_nop 1
	v_cndmask_b32_e32 v34, v41, v18, vcc
	v_add_f32_e32 v20, 1.0, v34
	v_add_f32_e32 v18, -1.0, v20
	v_sub_f32_e32 v19, v18, v20
	v_add_f32_e32 v19, 1.0, v19
	v_sub_f32_e32 v18, v34, v18
	v_add_f32_e32 v21, v18, v19
	v_frexp_mant_f32_e32 v22, v20
	v_cvt_f64_f32_e32 v[18:19], v20
	v_frexp_exp_i32_f64_e32 v18, v[18:19]
	v_cmp_gt_f32_e32 vcc, s11, v22
	v_cmp_gt_f32_e64 s[52:53], s57, v34
	s_nop 0
	v_subbrev_co_u32_e32 v26, vcc, 0, v18, vcc
	v_sub_u32_e32 v18, 0, v26
	v_ldexp_f32 v19, v20, v18
	v_add_f32_e32 v20, -1.0, v19
	v_add_f32_e32 v22, 1.0, v19
	v_ldexp_f32 v18, v21, v18
	v_add_f32_e32 v21, 1.0, v20
	v_add_f32_e32 v23, -1.0, v22
	v_sub_f32_e32 v21, v19, v21
	v_sub_f32_e32 v19, v19, v23
	v_add_f32_e32 v21, v18, v21
	v_add_f32_e32 v18, v18, v19
	;; [unrolled: 1-line block ×3, first 2 shown]
	v_rcp_f32_e32 v29, v27
	v_sub_f32_e32 v19, v22, v27
	v_add_f32_e32 v28, v18, v19
	v_add_f32_e32 v19, v20, v21
	v_mul_f32_e32 v31, v19, v29
	v_sub_f32_e32 v18, v20, v19
	v_mul_f32_e32 v20, v27, v31
	v_fma_f32 v22, v31, v27, -v20
	v_fmac_f32_e32 v22, v31, v28
	v_add_f32_e32 v30, v21, v18
	v_add_f32_e32 v18, v20, v22
	v_sub_f32_e32 v21, v19, v18
	v_pk_add_f32 v[24:25], v[18:19], v[20:21] neg_lo:[0,1] neg_hi:[0,1]
	v_mov_b32_e32 v23, v18
	v_pk_add_f32 v[18:19], v[24:25], v[22:23] neg_lo:[0,1] neg_hi:[0,1]
	v_cmp_eq_f32_e32 vcc, s10, v34
	v_add_f32_e32 v19, v30, v19
	v_add_f32_e32 v18, v18, v19
	;; [unrolled: 1-line block ×3, first 2 shown]
	v_mul_f32_e32 v30, v29, v19
	v_mul_f32_e32 v20, v27, v30
	v_fma_f32 v22, v30, v27, -v20
	v_fmac_f32_e32 v22, v30, v28
	v_sub_f32_e32 v21, v21, v19
	v_add_f32_e32 v27, v18, v21
	v_add_f32_e32 v18, v20, v22
	v_sub_f32_e32 v21, v19, v18
	v_pk_add_f32 v[24:25], v[18:19], v[20:21] neg_lo:[0,1] neg_hi:[0,1]
	v_mov_b32_e32 v23, v18
	v_pk_add_f32 v[18:19], v[24:25], v[22:23] neg_lo:[0,1] neg_hi:[0,1]
	s_or_b64 vcc, s[52:53], vcc
	v_add_f32_e32 v19, v27, v19
	v_add_f32_e32 v18, v18, v19
	;; [unrolled: 1-line block ×4, first 2 shown]
	v_sub_f32_e32 v20, v19, v31
	v_mul_f32_e32 v18, v29, v18
	v_sub_f32_e32 v20, v30, v20
	v_add_f32_e32 v20, v20, v18
	v_add_f32_e32 v22, v19, v20
	v_mul_f32_e32 v23, v22, v22
	v_fmamk_f32 v18, v23, 0x3e9b6dac, v40
	v_fmaak_f32 v43, v23, v18, 0x3f2aaada
	v_cvt_f32_i32_e32 v18, v26
	v_sub_f32_e32 v19, v22, v19
	v_sub_f32_e32 v19, v20, v19
	v_ldexp_f32 v24, v19, 1
	v_mul_f32_e32 v19, v22, v23
	v_ldexp_f32 v21, v22, 1
	v_pk_mul_f32 v[22:23], v[18:19], v[42:43]
	s_nop 0
	v_fma_f32 v20, v18, s56, -v22
	v_fmac_f32_e32 v20, 0xb102e308, v18
	v_pk_add_f32 v[18:19], v[22:23], v[20:21]
	s_nop 0
	v_sub_f32_e32 v21, v19, v21
	v_sub_f32_e32 v21, v23, v21
	v_add_f32_e32 v25, v24, v21
	v_mov_b32_e32 v24, v22
	v_pk_add_f32 v[22:23], v[18:19], v[22:23] neg_lo:[0,1] neg_hi:[0,1]
	v_pk_add_f32 v[26:27], v[18:19], v[24:25]
	v_mov_b32_e32 v21, v18
	v_mov_b32_e32 v23, v27
	v_pk_add_f32 v[28:29], v[20:21], v[22:23] neg_lo:[0,1] neg_hi:[0,1]
	v_pk_add_f32 v[20:21], v[20:21], v[22:23]
	v_mov_b32_e32 v24, v25
	v_mov_b32_e32 v22, v21
	v_pk_add_f32 v[30:31], v[22:23], v[18:19] neg_lo:[0,1] neg_hi:[0,1]
	v_mov_b32_e32 v20, v27
	v_mov_b32_e32 v23, v30
	v_pk_add_f32 v[32:33], v[26:27], v[22:23] neg_lo:[0,1] neg_hi:[0,1]
	v_mov_b32_e32 v26, v19
	v_mov_b32_e32 v27, v30
	v_mov_b32_e32 v29, v21
	v_pk_add_f32 v[20:21], v[20:21], v[26:27] neg_lo:[0,1] neg_hi:[0,1]
	v_mov_b32_e32 v25, v18
	v_pk_add_f32 v[18:19], v[24:25], v[20:21] neg_lo:[0,1] neg_hi:[0,1]
	v_mov_b32_e32 v32, v28
	v_pk_add_f32 v[20:21], v[32:33], v[18:19]
	s_nop 0
	v_mov_b32_e32 v24, v21
	v_pk_add_f32 v[24:25], v[20:21], v[24:25]
	s_nop 0
	v_pk_add_f32 v[22:23], v[22:23], v[24:25]
	v_mov_b32_e32 v19, v24
	v_mov_b32_e32 v21, v22
	v_pk_add_f32 v[26:27], v[20:21], v[28:29] neg_lo:[0,1] neg_hi:[0,1]
	s_nop 0
	v_sub_f32_e32 v20, v20, v26
	v_pk_add_f32 v[18:19], v[18:19], v[26:27] neg_lo:[0,1] neg_hi:[0,1]
	v_sub_f32_e32 v20, v28, v20
	v_add_f32_e32 v18, v18, v20
	v_add_f32_e32 v18, v18, v19
	;; [unrolled: 1-line block ×3, first 2 shown]
	v_cndmask_b32_e32 v70, v18, v34, vcc
.LBB86_77:                              ;   in Loop: Header=BB86_13 Depth=1
	s_or_b64 exec, exec, s[54:55]
	v_cvt_f32_f16_sdwa v12, v12 dst_sel:DWORD dst_unused:UNUSED_PAD src0_sel:WORD_1
	v_readlane_b32 s0, v95, 2
	s_nop 1
	v_add_f32_e32 v19, s0, v12
	v_cmp_ge_f32_e32 vcc, s6, v19
	s_and_b64 s[0:1], s[4:5], vcc
	s_and_saveexec_b64 s[54:55], s[0:1]
	s_cbranch_execz .LBB86_79
; %bb.78:                               ;   in Loop: Header=BB86_13 Depth=1
	v_mul_f32_e32 v12, 0x3fb8aa3b, v19
	v_rndne_f32_e32 v18, v12
	v_sub_f32_e32 v20, v12, v18
	v_fma_f32 v12, v19, s7, -v12
	v_fmac_f32_e32 v12, 0x32a5705f, v19
	v_add_f32_e32 v12, v20, v12
	v_cvt_i32_f32_e32 v18, v18
	v_exp_f32_e32 v12, v12
	v_cmp_ngt_f32_e32 vcc, s8, v19
	v_ldexp_f32 v12, v12, v18
	s_nop 0
	v_cndmask_b32_e32 v12, 0, v12, vcc
	v_cmp_nlt_f32_e32 vcc, s9, v19
	s_nop 1
	v_cndmask_b32_e32 v32, v41, v12, vcc
	v_add_f32_e32 v12, 1.0, v32
	v_add_f32_e32 v18, -1.0, v12
	v_sub_f32_e32 v19, v18, v12
	v_add_f32_e32 v19, 1.0, v19
	v_sub_f32_e32 v18, v32, v18
	v_add_f32_e32 v20, v18, v19
	v_frexp_mant_f32_e32 v21, v12
	v_cvt_f64_f32_e32 v[18:19], v12
	v_frexp_exp_i32_f64_e32 v18, v[18:19]
	v_cmp_gt_f32_e32 vcc, s11, v21
	v_cmp_gt_f32_e64 s[52:53], s57, v32
	s_nop 0
	v_subbrev_co_u32_e32 v26, vcc, 0, v18, vcc
	v_sub_u32_e32 v18, 0, v26
	v_ldexp_f32 v12, v12, v18
	v_ldexp_f32 v18, v20, v18
	v_add_f32_e32 v20, -1.0, v12
	v_add_f32_e32 v19, 1.0, v20
	v_sub_f32_e32 v19, v12, v19
	v_add_f32_e32 v21, v18, v19
	v_add_f32_e32 v19, 1.0, v12
	v_add_f32_e32 v22, -1.0, v19
	v_sub_f32_e32 v12, v12, v22
	v_add_f32_e32 v12, v18, v12
	v_add_f32_e32 v27, v19, v12
	v_rcp_f32_e32 v28, v27
	v_sub_f32_e32 v18, v19, v27
	v_add_f32_e32 v19, v20, v21
	v_add_f32_e32 v12, v12, v18
	v_mul_f32_e32 v30, v19, v28
	v_sub_f32_e32 v18, v20, v19
	v_mul_f32_e32 v20, v27, v30
	v_fma_f32 v22, v30, v27, -v20
	v_fmac_f32_e32 v22, v30, v12
	v_add_f32_e32 v29, v21, v18
	v_add_f32_e32 v18, v20, v22
	v_sub_f32_e32 v21, v19, v18
	v_pk_add_f32 v[24:25], v[18:19], v[20:21] neg_lo:[0,1] neg_hi:[0,1]
	v_mov_b32_e32 v23, v18
	v_pk_add_f32 v[18:19], v[24:25], v[22:23] neg_lo:[0,1] neg_hi:[0,1]
	v_cmp_eq_f32_e32 vcc, s10, v32
	v_add_f32_e32 v19, v29, v19
	v_add_f32_e32 v18, v18, v19
	;; [unrolled: 1-line block ×3, first 2 shown]
	v_mul_f32_e32 v29, v28, v19
	v_mul_f32_e32 v20, v27, v29
	v_fma_f32 v22, v29, v27, -v20
	v_fmac_f32_e32 v22, v29, v12
	v_sub_f32_e32 v12, v21, v19
	v_add_f32_e32 v12, v18, v12
	v_add_f32_e32 v18, v20, v22
	v_sub_f32_e32 v21, v19, v18
	v_pk_add_f32 v[24:25], v[18:19], v[20:21] neg_lo:[0,1] neg_hi:[0,1]
	v_mov_b32_e32 v23, v18
	v_pk_add_f32 v[18:19], v[24:25], v[22:23] neg_lo:[0,1] neg_hi:[0,1]
	s_or_b64 vcc, s[52:53], vcc
	v_add_f32_e32 v12, v12, v19
	v_add_f32_e32 v12, v18, v12
	;; [unrolled: 1-line block ×4, first 2 shown]
	v_sub_f32_e32 v18, v19, v30
	v_mul_f32_e32 v12, v28, v12
	v_sub_f32_e32 v18, v29, v18
	v_add_f32_e32 v12, v18, v12
	v_add_f32_e32 v20, v19, v12
	v_mul_f32_e32 v22, v20, v20
	v_fmamk_f32 v18, v22, 0x3e9b6dac, v40
	v_fmaak_f32 v43, v22, v18, 0x3f2aaada
	v_cvt_f32_i32_e32 v18, v26
	v_sub_f32_e32 v19, v20, v19
	v_sub_f32_e32 v12, v12, v19
	v_mul_f32_e32 v19, v20, v22
	v_pk_mul_f32 v[22:23], v[18:19], v[42:43]
	v_ldexp_f32 v21, v20, 1
	v_fma_f32 v20, v18, s56, -v22
	v_fmac_f32_e32 v20, 0xb102e308, v18
	v_pk_add_f32 v[18:19], v[22:23], v[20:21]
	v_ldexp_f32 v12, v12, 1
	v_sub_f32_e32 v21, v19, v21
	v_sub_f32_e32 v21, v23, v21
	v_add_f32_e32 v25, v12, v21
	v_mov_b32_e32 v24, v22
	v_pk_add_f32 v[22:23], v[18:19], v[22:23] neg_lo:[0,1] neg_hi:[0,1]
	v_pk_add_f32 v[26:27], v[18:19], v[24:25]
	v_mov_b32_e32 v21, v18
	v_mov_b32_e32 v23, v27
	v_pk_add_f32 v[28:29], v[20:21], v[22:23] neg_lo:[0,1] neg_hi:[0,1]
	v_pk_add_f32 v[20:21], v[20:21], v[22:23]
	s_nop 0
	v_mov_b32_e32 v12, v21
	v_pk_add_f32 v[22:23], v[12:13], v[18:19] neg_lo:[0,1] neg_hi:[0,1]
	v_mov_b32_e32 v20, v27
	v_mov_b32_e32 v23, v22
	v_pk_add_f32 v[30:31], v[26:27], v[22:23] neg_lo:[0,1] neg_hi:[0,1]
	v_mov_b32_e32 v26, v19
	v_mov_b32_e32 v27, v22
	;; [unrolled: 1-line block ×3, first 2 shown]
	v_pk_add_f32 v[20:21], v[20:21], v[26:27] neg_lo:[0,1] neg_hi:[0,1]
	v_mov_b32_e32 v22, v25
	v_mov_b32_e32 v23, v18
	v_pk_add_f32 v[18:19], v[22:23], v[20:21] neg_lo:[0,1] neg_hi:[0,1]
	v_mov_b32_e32 v30, v28
	v_pk_add_f32 v[20:21], v[30:31], v[18:19]
	s_nop 0
	v_mov_b32_e32 v22, v21
	v_pk_add_f32 v[22:23], v[20:21], v[22:23]
	s_nop 0
	v_pk_add_f32 v[24:25], v[12:13], v[22:23]
	v_mov_b32_e32 v19, v22
	v_mov_b32_e32 v21, v24
	v_pk_add_f32 v[26:27], v[20:21], v[28:29] neg_lo:[0,1] neg_hi:[0,1]
	s_nop 0
	v_sub_f32_e32 v12, v20, v26
	v_pk_add_f32 v[18:19], v[18:19], v[26:27] neg_lo:[0,1] neg_hi:[0,1]
	v_sub_f32_e32 v12, v28, v12
	v_add_f32_e32 v12, v18, v12
	v_add_f32_e32 v12, v12, v19
	v_add_f32_e32 v12, v24, v12
	v_cndmask_b32_e32 v19, v12, v32, vcc
.LBB86_79:                              ;   in Loop: Header=BB86_13 Depth=1
	s_or_b64 exec, exec, s[54:55]
	v_cvt_f32_f16_e32 v12, v13
	v_readlane_b32 s0, v95, 2
	s_nop 1
	v_add_f32_e32 v20, s0, v12
	v_cmp_ge_f32_e32 vcc, s6, v20
	s_and_b64 s[0:1], s[4:5], vcc
	s_and_saveexec_b64 s[54:55], s[0:1]
	s_cbranch_execz .LBB86_81
; %bb.80:                               ;   in Loop: Header=BB86_13 Depth=1
	v_mul_f32_e32 v12, 0x3fb8aa3b, v20
	v_rndne_f32_e32 v18, v12
	v_sub_f32_e32 v21, v12, v18
	v_fma_f32 v12, v20, s7, -v12
	v_fmac_f32_e32 v12, 0x32a5705f, v20
	v_add_f32_e32 v12, v21, v12
	v_cvt_i32_f32_e32 v18, v18
	v_exp_f32_e32 v12, v12
	v_cmp_ngt_f32_e32 vcc, s8, v20
	v_ldexp_f32 v12, v12, v18
	s_nop 0
	v_cndmask_b32_e32 v12, 0, v12, vcc
	v_cmp_nlt_f32_e32 vcc, s9, v20
	s_nop 1
	v_cndmask_b32_e32 v34, v41, v12, vcc
	v_add_f32_e32 v12, 1.0, v34
	v_add_f32_e32 v18, -1.0, v12
	v_sub_f32_e32 v20, v18, v12
	v_add_f32_e32 v20, 1.0, v20
	v_sub_f32_e32 v18, v34, v18
	v_add_f32_e32 v18, v18, v20
	v_frexp_mant_f32_e32 v22, v12
	v_cvt_f64_f32_e32 v[20:21], v12
	v_frexp_exp_i32_f64_e32 v20, v[20:21]
	v_cmp_gt_f32_e32 vcc, s11, v22
	v_cmp_gt_f32_e64 s[52:53], s57, v34
	s_nop 0
	v_subbrev_co_u32_e32 v28, vcc, 0, v20, vcc
	v_sub_u32_e32 v20, 0, v28
	v_ldexp_f32 v12, v12, v20
	v_ldexp_f32 v18, v18, v20
	v_add_f32_e32 v20, -1.0, v12
	v_add_f32_e32 v21, 1.0, v20
	v_sub_f32_e32 v21, v12, v21
	v_add_f32_e32 v22, v18, v21
	v_add_f32_e32 v21, 1.0, v12
	v_add_f32_e32 v23, -1.0, v21
	v_sub_f32_e32 v12, v12, v23
	v_add_f32_e32 v12, v18, v12
	v_add_f32_e32 v18, v21, v12
	v_rcp_f32_e32 v29, v18
	v_sub_f32_e32 v21, v21, v18
	v_add_f32_e32 v12, v12, v21
	v_add_f32_e32 v21, v20, v22
	v_sub_f32_e32 v20, v20, v21
	v_mul_f32_e32 v31, v21, v29
	v_add_f32_e32 v30, v22, v20
	v_mul_f32_e32 v22, v18, v31
	v_fma_f32 v24, v31, v18, -v22
	v_fmac_f32_e32 v24, v31, v12
	v_add_f32_e32 v20, v22, v24
	v_sub_f32_e32 v23, v21, v20
	v_pk_add_f32 v[26:27], v[20:21], v[22:23] neg_lo:[0,1] neg_hi:[0,1]
	v_mov_b32_e32 v25, v20
	v_pk_add_f32 v[20:21], v[26:27], v[24:25] neg_lo:[0,1] neg_hi:[0,1]
	v_cmp_eq_f32_e32 vcc, s10, v34
	v_add_f32_e32 v21, v30, v21
	v_add_f32_e32 v20, v20, v21
	v_add_f32_e32 v21, v23, v20
	v_mul_f32_e32 v30, v29, v21
	v_mul_f32_e32 v22, v18, v30
	v_fma_f32 v24, v30, v18, -v22
	v_fmac_f32_e32 v24, v30, v12
	v_sub_f32_e32 v12, v23, v21
	v_add_f32_e32 v12, v20, v12
	v_add_f32_e32 v20, v22, v24
	v_sub_f32_e32 v23, v21, v20
	v_pk_add_f32 v[26:27], v[20:21], v[22:23] neg_lo:[0,1] neg_hi:[0,1]
	v_mov_b32_e32 v25, v20
	v_pk_add_f32 v[20:21], v[26:27], v[24:25] neg_lo:[0,1] neg_hi:[0,1]
	v_add_f32_e32 v18, v31, v30
	v_add_f32_e32 v12, v12, v21
	;; [unrolled: 1-line block ×4, first 2 shown]
	v_sub_f32_e32 v20, v18, v31
	v_mul_f32_e32 v12, v29, v12
	v_sub_f32_e32 v20, v30, v20
	v_add_f32_e32 v12, v20, v12
	v_add_f32_e32 v21, v18, v12
	v_mul_f32_e32 v22, v21, v21
	v_fmamk_f32 v20, v22, 0x3e9b6dac, v40
	v_fmaak_f32 v43, v22, v20, 0x3f2aaada
	v_cvt_f32_i32_e32 v20, v28
	v_sub_f32_e32 v18, v21, v18
	v_ldexp_f32 v23, v21, 1
	v_mul_f32_e32 v21, v21, v22
	v_pk_mul_f32 v[24:25], v[20:21], v[42:43]
	v_sub_f32_e32 v12, v12, v18
	v_fma_f32 v22, v20, s56, -v24
	v_fmac_f32_e32 v22, 0xb102e308, v20
	v_pk_add_f32 v[20:21], v[24:25], v[22:23]
	v_ldexp_f32 v12, v12, 1
	v_sub_f32_e32 v18, v21, v23
	v_sub_f32_e32 v18, v25, v18
	v_add_f32_e32 v27, v12, v18
	v_mov_b32_e32 v26, v24
	v_pk_add_f32 v[24:25], v[20:21], v[24:25] neg_lo:[0,1] neg_hi:[0,1]
	v_pk_add_f32 v[28:29], v[20:21], v[26:27]
	v_mov_b32_e32 v23, v20
	v_mov_b32_e32 v25, v29
	v_pk_add_f32 v[30:31], v[22:23], v[24:25] neg_lo:[0,1] neg_hi:[0,1]
	v_pk_add_f32 v[22:23], v[22:23], v[24:25]
	s_or_b64 vcc, s[52:53], vcc
	v_mov_b32_e32 v12, v23
	v_pk_add_f32 v[24:25], v[12:13], v[20:21] neg_lo:[0,1] neg_hi:[0,1]
	v_mov_b32_e32 v22, v29
	v_mov_b32_e32 v25, v24
	v_pk_add_f32 v[32:33], v[28:29], v[24:25] neg_lo:[0,1] neg_hi:[0,1]
	v_mov_b32_e32 v28, v21
	v_mov_b32_e32 v29, v24
	;; [unrolled: 1-line block ×3, first 2 shown]
	v_pk_add_f32 v[22:23], v[22:23], v[28:29] neg_lo:[0,1] neg_hi:[0,1]
	v_mov_b32_e32 v24, v27
	v_mov_b32_e32 v25, v20
	v_pk_add_f32 v[20:21], v[24:25], v[22:23] neg_lo:[0,1] neg_hi:[0,1]
	v_mov_b32_e32 v32, v30
	v_pk_add_f32 v[22:23], v[32:33], v[20:21]
	s_nop 0
	v_mov_b32_e32 v18, v23
	v_pk_add_f32 v[24:25], v[22:23], v[18:19]
	s_nop 0
	v_pk_add_f32 v[26:27], v[12:13], v[24:25]
	v_mov_b32_e32 v21, v24
	v_mov_b32_e32 v23, v26
	v_pk_add_f32 v[28:29], v[22:23], v[30:31] neg_lo:[0,1] neg_hi:[0,1]
	s_nop 0
	v_sub_f32_e32 v12, v22, v28
	v_pk_add_f32 v[20:21], v[20:21], v[28:29] neg_lo:[0,1] neg_hi:[0,1]
	v_sub_f32_e32 v12, v30, v12
	v_add_f32_e32 v12, v20, v12
	v_add_f32_e32 v12, v12, v21
	;; [unrolled: 1-line block ×3, first 2 shown]
	v_cndmask_b32_e32 v20, v12, v34, vcc
.LBB86_81:                              ;   in Loop: Header=BB86_13 Depth=1
	s_or_b64 exec, exec, s[54:55]
	v_cvt_f32_f16_sdwa v12, v13 dst_sel:DWORD dst_unused:UNUSED_PAD src0_sel:WORD_1
	v_readlane_b32 s0, v95, 2
	s_nop 1
	v_add_f32_e32 v21, s0, v12
	v_cmp_ge_f32_e32 vcc, s6, v21
	s_and_b64 s[0:1], s[4:5], vcc
	s_and_saveexec_b64 s[54:55], s[0:1]
	s_cbranch_execz .LBB86_83
; %bb.82:                               ;   in Loop: Header=BB86_13 Depth=1
	v_mul_f32_e32 v12, 0x3fb8aa3b, v21
	v_rndne_f32_e32 v13, v12
	v_sub_f32_e32 v18, v12, v13
	v_fma_f32 v12, v21, s7, -v12
	v_fmac_f32_e32 v12, 0x32a5705f, v21
	v_add_f32_e32 v12, v18, v12
	v_cvt_i32_f32_e32 v13, v13
	v_exp_f32_e32 v12, v12
	v_cmp_ngt_f32_e32 vcc, s8, v21
	v_ldexp_f32 v12, v12, v13
	s_nop 0
	v_cndmask_b32_e32 v12, 0, v12, vcc
	v_cmp_nlt_f32_e32 vcc, s9, v21
	s_nop 1
	v_cndmask_b32_e32 v34, v41, v12, vcc
	v_add_f32_e32 v18, 1.0, v34
	v_add_f32_e32 v12, -1.0, v18
	v_sub_f32_e32 v13, v12, v18
	v_add_f32_e32 v13, 1.0, v13
	v_sub_f32_e32 v12, v34, v12
	v_add_f32_e32 v21, v12, v13
	v_frexp_mant_f32_e32 v22, v18
	v_cvt_f64_f32_e32 v[12:13], v18
	v_frexp_exp_i32_f64_e32 v12, v[12:13]
	v_cmp_gt_f32_e32 vcc, s11, v22
	v_cmp_gt_f32_e64 s[52:53], s57, v34
	s_nop 0
	v_subbrev_co_u32_e32 v28, vcc, 0, v12, vcc
	v_sub_u32_e32 v12, 0, v28
	v_ldexp_f32 v13, v18, v12
	v_add_f32_e32 v18, -1.0, v13
	v_add_f32_e32 v22, 1.0, v13
	v_ldexp_f32 v12, v21, v12
	v_add_f32_e32 v21, 1.0, v18
	v_add_f32_e32 v23, -1.0, v22
	v_sub_f32_e32 v21, v13, v21
	v_sub_f32_e32 v13, v13, v23
	v_add_f32_e32 v21, v12, v21
	v_add_f32_e32 v12, v12, v13
	;; [unrolled: 1-line block ×3, first 2 shown]
	v_rcp_f32_e32 v31, v29
	v_sub_f32_e32 v13, v22, v29
	v_add_f32_e32 v30, v12, v13
	v_add_f32_e32 v13, v18, v21
	v_sub_f32_e32 v12, v18, v13
	v_add_f32_e32 v18, v21, v12
	v_mul_f32_e32 v21, v13, v31
	v_mul_f32_e32 v22, v29, v21
	v_fma_f32 v24, v21, v29, -v22
	v_fmac_f32_e32 v24, v21, v30
	v_add_f32_e32 v12, v22, v24
	v_sub_f32_e32 v23, v13, v12
	v_pk_add_f32 v[26:27], v[12:13], v[22:23] neg_lo:[0,1] neg_hi:[0,1]
	v_mov_b32_e32 v25, v12
	v_pk_add_f32 v[12:13], v[26:27], v[24:25] neg_lo:[0,1] neg_hi:[0,1]
	v_cmp_eq_f32_e32 vcc, s10, v34
	v_add_f32_e32 v13, v18, v13
	v_add_f32_e32 v12, v12, v13
	;; [unrolled: 1-line block ×3, first 2 shown]
	v_mul_f32_e32 v18, v31, v13
	v_mul_f32_e32 v22, v29, v18
	v_fma_f32 v24, v18, v29, -v22
	v_fmac_f32_e32 v24, v18, v30
	v_sub_f32_e32 v23, v23, v13
	v_add_f32_e32 v29, v12, v23
	v_add_f32_e32 v12, v22, v24
	v_sub_f32_e32 v23, v13, v12
	v_pk_add_f32 v[26:27], v[12:13], v[22:23] neg_lo:[0,1] neg_hi:[0,1]
	v_mov_b32_e32 v25, v12
	v_pk_add_f32 v[12:13], v[26:27], v[24:25] neg_lo:[0,1] neg_hi:[0,1]
	s_or_b64 vcc, s[52:53], vcc
	v_add_f32_e32 v13, v29, v13
	v_add_f32_e32 v12, v12, v13
	;; [unrolled: 1-line block ×4, first 2 shown]
	v_sub_f32_e32 v21, v13, v21
	v_mul_f32_e32 v12, v31, v12
	v_sub_f32_e32 v18, v18, v21
	v_add_f32_e32 v18, v18, v12
	v_add_f32_e32 v21, v13, v18
	v_mul_f32_e32 v22, v21, v21
	v_fmamk_f32 v12, v22, 0x3e9b6dac, v40
	v_fmaak_f32 v43, v22, v12, 0x3f2aaada
	v_cvt_f32_i32_e32 v12, v28
	v_sub_f32_e32 v13, v21, v13
	v_sub_f32_e32 v13, v18, v13
	v_ldexp_f32 v18, v13, 1
	v_mul_f32_e32 v13, v21, v22
	v_pk_mul_f32 v[24:25], v[12:13], v[42:43]
	v_ldexp_f32 v23, v21, 1
	v_fma_f32 v22, v12, s56, -v24
	v_fmac_f32_e32 v22, 0xb102e308, v12
	v_pk_add_f32 v[12:13], v[24:25], v[22:23]
	v_mov_b32_e32 v26, v24
	v_sub_f32_e32 v21, v13, v23
	v_sub_f32_e32 v21, v25, v21
	v_add_f32_e32 v27, v18, v21
	v_pk_add_f32 v[24:25], v[12:13], v[24:25] neg_lo:[0,1] neg_hi:[0,1]
	v_pk_add_f32 v[28:29], v[12:13], v[26:27]
	v_mov_b32_e32 v23, v12
	v_mov_b32_e32 v25, v29
	v_pk_add_f32 v[30:31], v[22:23], v[24:25] neg_lo:[0,1] neg_hi:[0,1]
	v_pk_add_f32 v[22:23], v[22:23], v[24:25]
	s_nop 0
	v_mov_b32_e32 v18, v23
	v_pk_add_f32 v[24:25], v[18:19], v[12:13] neg_lo:[0,1] neg_hi:[0,1]
	v_mov_b32_e32 v22, v29
	v_mov_b32_e32 v21, v24
	v_pk_add_f32 v[32:33], v[28:29], v[20:21] neg_lo:[0,1] neg_hi:[0,1]
	v_mov_b32_e32 v28, v13
	v_mov_b32_e32 v29, v24
	;; [unrolled: 1-line block ×3, first 2 shown]
	v_pk_add_f32 v[22:23], v[22:23], v[28:29] neg_lo:[0,1] neg_hi:[0,1]
	v_mov_b32_e32 v24, v27
	v_mov_b32_e32 v25, v12
	v_pk_add_f32 v[12:13], v[24:25], v[22:23] neg_lo:[0,1] neg_hi:[0,1]
	v_mov_b32_e32 v32, v30
	v_pk_add_f32 v[22:23], v[32:33], v[12:13]
	s_nop 0
	v_mov_b32_e32 v24, v23
	v_pk_add_f32 v[24:25], v[22:23], v[24:25]
	s_nop 0
	v_pk_add_f32 v[26:27], v[18:19], v[24:25]
	v_mov_b32_e32 v13, v24
	v_mov_b32_e32 v23, v26
	v_pk_add_f32 v[28:29], v[22:23], v[30:31] neg_lo:[0,1] neg_hi:[0,1]
	s_nop 0
	v_sub_f32_e32 v18, v22, v28
	v_pk_add_f32 v[12:13], v[12:13], v[28:29] neg_lo:[0,1] neg_hi:[0,1]
	v_sub_f32_e32 v18, v30, v18
	v_add_f32_e32 v12, v12, v18
	v_add_f32_e32 v12, v12, v13
	;; [unrolled: 1-line block ×3, first 2 shown]
	v_cndmask_b32_e32 v21, v12, v34, vcc
.LBB86_83:                              ;   in Loop: Header=BB86_13 Depth=1
	s_or_b64 exec, exec, s[54:55]
	v_cvt_f32_f16_e32 v12, v14
	v_readlane_b32 s0, v95, 2
	s_nop 1
	v_add_f32_e32 v18, s0, v12
	v_cmp_ge_f32_e32 vcc, s6, v18
	s_and_b64 s[0:1], s[4:5], vcc
	s_and_saveexec_b64 s[54:55], s[0:1]
	s_cbranch_execz .LBB86_85
; %bb.84:                               ;   in Loop: Header=BB86_13 Depth=1
	v_mul_f32_e32 v12, 0x3fb8aa3b, v18
	v_rndne_f32_e32 v13, v12
	v_sub_f32_e32 v22, v12, v13
	v_fma_f32 v12, v18, s7, -v12
	v_fmac_f32_e32 v12, 0x32a5705f, v18
	v_add_f32_e32 v12, v22, v12
	v_cvt_i32_f32_e32 v13, v13
	v_exp_f32_e32 v12, v12
	v_cmp_ngt_f32_e32 vcc, s8, v18
	v_ldexp_f32 v12, v12, v13
	s_nop 0
	v_cndmask_b32_e32 v12, 0, v12, vcc
	v_cmp_nlt_f32_e32 vcc, s9, v18
	s_nop 1
	v_cndmask_b32_e32 v34, v41, v12, vcc
	v_add_f32_e32 v18, 1.0, v34
	v_add_f32_e32 v12, -1.0, v18
	v_sub_f32_e32 v13, v12, v18
	v_add_f32_e32 v13, 1.0, v13
	v_sub_f32_e32 v12, v34, v12
	v_add_f32_e32 v22, v12, v13
	v_frexp_mant_f32_e32 v23, v18
	v_cvt_f64_f32_e32 v[12:13], v18
	v_frexp_exp_i32_f64_e32 v12, v[12:13]
	v_cmp_gt_f32_e32 vcc, s11, v23
	v_cmp_gt_f32_e64 s[52:53], s57, v34
	s_nop 0
	v_subbrev_co_u32_e32 v28, vcc, 0, v12, vcc
	v_sub_u32_e32 v12, 0, v28
	v_ldexp_f32 v13, v18, v12
	v_add_f32_e32 v18, -1.0, v13
	v_add_f32_e32 v23, 1.0, v13
	v_ldexp_f32 v12, v22, v12
	v_add_f32_e32 v22, 1.0, v18
	v_add_f32_e32 v24, -1.0, v23
	v_sub_f32_e32 v22, v13, v22
	v_sub_f32_e32 v13, v13, v24
	v_add_f32_e32 v22, v12, v22
	v_add_f32_e32 v12, v12, v13
	;; [unrolled: 1-line block ×3, first 2 shown]
	v_rcp_f32_e32 v31, v29
	v_sub_f32_e32 v13, v23, v29
	v_add_f32_e32 v30, v12, v13
	v_add_f32_e32 v13, v18, v22
	v_sub_f32_e32 v12, v18, v13
	v_mul_f32_e32 v32, v13, v31
	v_add_f32_e32 v18, v22, v12
	v_mul_f32_e32 v22, v29, v32
	v_fma_f32 v24, v32, v29, -v22
	v_fmac_f32_e32 v24, v32, v30
	v_add_f32_e32 v12, v22, v24
	v_sub_f32_e32 v23, v13, v12
	v_pk_add_f32 v[26:27], v[12:13], v[22:23] neg_lo:[0,1] neg_hi:[0,1]
	v_mov_b32_e32 v25, v12
	v_pk_add_f32 v[12:13], v[26:27], v[24:25] neg_lo:[0,1] neg_hi:[0,1]
	v_cmp_eq_f32_e32 vcc, s10, v34
	v_add_f32_e32 v13, v18, v13
	v_add_f32_e32 v12, v12, v13
	;; [unrolled: 1-line block ×3, first 2 shown]
	v_mul_f32_e32 v18, v31, v13
	v_mul_f32_e32 v22, v29, v18
	v_fma_f32 v24, v18, v29, -v22
	v_fmac_f32_e32 v24, v18, v30
	v_sub_f32_e32 v23, v23, v13
	v_add_f32_e32 v29, v12, v23
	v_add_f32_e32 v12, v22, v24
	v_sub_f32_e32 v23, v13, v12
	v_pk_add_f32 v[26:27], v[12:13], v[22:23] neg_lo:[0,1] neg_hi:[0,1]
	v_mov_b32_e32 v25, v12
	v_pk_add_f32 v[12:13], v[26:27], v[24:25] neg_lo:[0,1] neg_hi:[0,1]
	s_or_b64 vcc, s[52:53], vcc
	v_add_f32_e32 v13, v29, v13
	v_add_f32_e32 v12, v12, v13
	;; [unrolled: 1-line block ×4, first 2 shown]
	v_sub_f32_e32 v22, v13, v32
	v_mul_f32_e32 v12, v31, v12
	v_sub_f32_e32 v18, v18, v22
	v_add_f32_e32 v18, v18, v12
	v_add_f32_e32 v22, v13, v18
	v_mul_f32_e32 v24, v22, v22
	v_fmamk_f32 v12, v24, 0x3e9b6dac, v40
	v_fmaak_f32 v43, v24, v12, 0x3f2aaada
	v_cvt_f32_i32_e32 v12, v28
	v_sub_f32_e32 v13, v22, v13
	v_sub_f32_e32 v13, v18, v13
	v_ldexp_f32 v18, v13, 1
	v_mul_f32_e32 v13, v22, v24
	v_pk_mul_f32 v[24:25], v[12:13], v[42:43]
	v_ldexp_f32 v23, v22, 1
	v_fma_f32 v22, v12, s56, -v24
	v_fmac_f32_e32 v22, 0xb102e308, v12
	v_pk_add_f32 v[12:13], v[24:25], v[22:23]
	v_mov_b32_e32 v26, v24
	v_sub_f32_e32 v23, v13, v23
	v_sub_f32_e32 v23, v25, v23
	v_add_f32_e32 v27, v18, v23
	v_pk_add_f32 v[24:25], v[12:13], v[24:25] neg_lo:[0,1] neg_hi:[0,1]
	v_pk_add_f32 v[28:29], v[12:13], v[26:27]
	v_mov_b32_e32 v23, v12
	v_mov_b32_e32 v25, v29
	v_pk_add_f32 v[30:31], v[22:23], v[24:25] neg_lo:[0,1] neg_hi:[0,1]
	v_pk_add_f32 v[22:23], v[22:23], v[24:25]
	s_nop 0
	v_mov_b32_e32 v18, v23
	v_pk_add_f32 v[24:25], v[18:19], v[12:13] neg_lo:[0,1] neg_hi:[0,1]
	v_mov_b32_e32 v22, v29
	v_mov_b32_e32 v25, v24
	v_pk_add_f32 v[32:33], v[28:29], v[24:25] neg_lo:[0,1] neg_hi:[0,1]
	v_mov_b32_e32 v28, v13
	v_mov_b32_e32 v29, v24
	;; [unrolled: 1-line block ×3, first 2 shown]
	v_pk_add_f32 v[22:23], v[22:23], v[28:29] neg_lo:[0,1] neg_hi:[0,1]
	v_mov_b32_e32 v24, v27
	v_mov_b32_e32 v25, v12
	v_pk_add_f32 v[12:13], v[24:25], v[22:23] neg_lo:[0,1] neg_hi:[0,1]
	v_mov_b32_e32 v32, v30
	v_pk_add_f32 v[22:23], v[32:33], v[12:13]
	s_nop 0
	v_mov_b32_e32 v24, v23
	v_pk_add_f32 v[24:25], v[22:23], v[24:25]
	s_nop 0
	v_pk_add_f32 v[26:27], v[18:19], v[24:25]
	v_mov_b32_e32 v13, v24
	v_mov_b32_e32 v23, v26
	v_pk_add_f32 v[28:29], v[22:23], v[30:31] neg_lo:[0,1] neg_hi:[0,1]
	s_nop 0
	v_sub_f32_e32 v18, v22, v28
	v_pk_add_f32 v[12:13], v[12:13], v[28:29] neg_lo:[0,1] neg_hi:[0,1]
	v_sub_f32_e32 v18, v30, v18
	v_add_f32_e32 v12, v12, v18
	v_add_f32_e32 v12, v12, v13
	;; [unrolled: 1-line block ×3, first 2 shown]
	v_cndmask_b32_e32 v18, v12, v34, vcc
.LBB86_85:                              ;   in Loop: Header=BB86_13 Depth=1
	s_or_b64 exec, exec, s[54:55]
	v_cvt_f32_f16_sdwa v12, v14 dst_sel:DWORD dst_unused:UNUSED_PAD src0_sel:WORD_1
	v_readlane_b32 s0, v95, 2
	s_nop 1
	v_add_f32_e32 v66, s0, v12
	v_cmp_ge_f32_e32 vcc, s6, v66
	s_and_b64 s[0:1], s[4:5], vcc
	s_and_saveexec_b64 s[54:55], s[0:1]
	s_cbranch_execz .LBB86_87
; %bb.86:                               ;   in Loop: Header=BB86_13 Depth=1
	v_mul_f32_e32 v12, 0x3fb8aa3b, v66
	v_rndne_f32_e32 v13, v12
	v_sub_f32_e32 v14, v12, v13
	v_fma_f32 v12, v66, s7, -v12
	v_fmac_f32_e32 v12, 0x32a5705f, v66
	v_add_f32_e32 v12, v14, v12
	v_cvt_i32_f32_e32 v13, v13
	v_exp_f32_e32 v12, v12
	v_cmp_ngt_f32_e32 vcc, s8, v66
	v_ldexp_f32 v12, v12, v13
	s_nop 0
	v_cndmask_b32_e32 v12, 0, v12, vcc
	v_cmp_nlt_f32_e32 vcc, s9, v66
	s_nop 1
	v_cndmask_b32_e32 v34, v41, v12, vcc
	v_add_f32_e32 v14, 1.0, v34
	v_add_f32_e32 v12, -1.0, v14
	v_sub_f32_e32 v13, v12, v14
	v_add_f32_e32 v13, 1.0, v13
	v_sub_f32_e32 v12, v34, v12
	v_add_f32_e32 v22, v12, v13
	v_frexp_mant_f32_e32 v23, v14
	v_cvt_f64_f32_e32 v[12:13], v14
	v_frexp_exp_i32_f64_e32 v12, v[12:13]
	v_cmp_gt_f32_e32 vcc, s11, v23
	v_cmp_gt_f32_e64 s[52:53], s57, v34
	s_nop 0
	v_subbrev_co_u32_e32 v28, vcc, 0, v12, vcc
	v_sub_u32_e32 v12, 0, v28
	v_ldexp_f32 v13, v14, v12
	v_add_f32_e32 v14, -1.0, v13
	v_add_f32_e32 v23, 1.0, v13
	v_ldexp_f32 v12, v22, v12
	v_add_f32_e32 v22, 1.0, v14
	v_add_f32_e32 v24, -1.0, v23
	v_sub_f32_e32 v22, v13, v22
	v_sub_f32_e32 v13, v13, v24
	v_add_f32_e32 v22, v12, v22
	v_add_f32_e32 v12, v12, v13
	;; [unrolled: 1-line block ×3, first 2 shown]
	v_rcp_f32_e32 v31, v29
	v_sub_f32_e32 v13, v23, v29
	v_add_f32_e32 v30, v12, v13
	v_add_f32_e32 v13, v14, v22
	v_sub_f32_e32 v12, v14, v13
	v_mul_f32_e32 v32, v13, v31
	v_add_f32_e32 v14, v22, v12
	v_mul_f32_e32 v22, v29, v32
	v_fma_f32 v24, v32, v29, -v22
	v_fmac_f32_e32 v24, v32, v30
	v_add_f32_e32 v12, v22, v24
	v_sub_f32_e32 v23, v13, v12
	v_pk_add_f32 v[26:27], v[12:13], v[22:23] neg_lo:[0,1] neg_hi:[0,1]
	v_mov_b32_e32 v25, v12
	v_pk_add_f32 v[12:13], v[26:27], v[24:25] neg_lo:[0,1] neg_hi:[0,1]
	v_cmp_eq_f32_e32 vcc, s10, v34
	v_add_f32_e32 v13, v14, v13
	v_add_f32_e32 v12, v12, v13
	;; [unrolled: 1-line block ×3, first 2 shown]
	v_mul_f32_e32 v14, v31, v13
	v_mul_f32_e32 v22, v29, v14
	v_fma_f32 v24, v14, v29, -v22
	v_fmac_f32_e32 v24, v14, v30
	v_sub_f32_e32 v23, v23, v13
	v_add_f32_e32 v29, v12, v23
	v_add_f32_e32 v12, v22, v24
	v_sub_f32_e32 v23, v13, v12
	v_pk_add_f32 v[26:27], v[12:13], v[22:23] neg_lo:[0,1] neg_hi:[0,1]
	v_mov_b32_e32 v25, v12
	v_pk_add_f32 v[12:13], v[26:27], v[24:25] neg_lo:[0,1] neg_hi:[0,1]
	s_or_b64 vcc, s[52:53], vcc
	v_add_f32_e32 v13, v29, v13
	v_add_f32_e32 v12, v12, v13
	;; [unrolled: 1-line block ×4, first 2 shown]
	v_sub_f32_e32 v22, v13, v32
	v_mul_f32_e32 v12, v31, v12
	v_sub_f32_e32 v14, v14, v22
	v_add_f32_e32 v14, v14, v12
	v_add_f32_e32 v22, v13, v14
	v_mul_f32_e32 v24, v22, v22
	v_fmamk_f32 v12, v24, 0x3e9b6dac, v40
	v_fmaak_f32 v43, v24, v12, 0x3f2aaada
	v_cvt_f32_i32_e32 v12, v28
	v_sub_f32_e32 v13, v22, v13
	v_sub_f32_e32 v13, v14, v13
	v_ldexp_f32 v14, v13, 1
	v_mul_f32_e32 v13, v22, v24
	v_pk_mul_f32 v[24:25], v[12:13], v[42:43]
	v_ldexp_f32 v23, v22, 1
	v_fma_f32 v22, v12, s56, -v24
	v_fmac_f32_e32 v22, 0xb102e308, v12
	v_pk_add_f32 v[12:13], v[24:25], v[22:23]
	v_mov_b32_e32 v26, v24
	v_sub_f32_e32 v23, v13, v23
	v_sub_f32_e32 v23, v25, v23
	v_add_f32_e32 v27, v14, v23
	v_pk_add_f32 v[24:25], v[12:13], v[24:25] neg_lo:[0,1] neg_hi:[0,1]
	v_pk_add_f32 v[28:29], v[12:13], v[26:27]
	v_mov_b32_e32 v23, v12
	v_mov_b32_e32 v25, v29
	v_pk_add_f32 v[30:31], v[22:23], v[24:25] neg_lo:[0,1] neg_hi:[0,1]
	v_pk_add_f32 v[22:23], v[22:23], v[24:25]
	s_nop 0
	v_mov_b32_e32 v14, v23
	v_pk_add_f32 v[24:25], v[14:15], v[12:13] neg_lo:[0,1] neg_hi:[0,1]
	v_mov_b32_e32 v22, v29
	v_mov_b32_e32 v25, v24
	v_pk_add_f32 v[32:33], v[28:29], v[24:25] neg_lo:[0,1] neg_hi:[0,1]
	v_mov_b32_e32 v28, v13
	v_mov_b32_e32 v29, v24
	v_mov_b32_e32 v31, v23
	v_pk_add_f32 v[22:23], v[22:23], v[28:29] neg_lo:[0,1] neg_hi:[0,1]
	v_mov_b32_e32 v24, v27
	v_mov_b32_e32 v25, v12
	v_pk_add_f32 v[12:13], v[24:25], v[22:23] neg_lo:[0,1] neg_hi:[0,1]
	v_mov_b32_e32 v32, v30
	v_pk_add_f32 v[22:23], v[32:33], v[12:13]
	s_nop 0
	v_mov_b32_e32 v24, v23
	v_pk_add_f32 v[24:25], v[22:23], v[24:25]
	s_nop 0
	v_pk_add_f32 v[26:27], v[14:15], v[24:25]
	v_mov_b32_e32 v13, v24
	v_mov_b32_e32 v23, v26
	v_pk_add_f32 v[28:29], v[22:23], v[30:31] neg_lo:[0,1] neg_hi:[0,1]
	s_nop 0
	v_sub_f32_e32 v14, v22, v28
	v_pk_add_f32 v[12:13], v[12:13], v[28:29] neg_lo:[0,1] neg_hi:[0,1]
	v_sub_f32_e32 v14, v30, v14
	v_add_f32_e32 v12, v12, v14
	v_add_f32_e32 v12, v12, v13
	;; [unrolled: 1-line block ×3, first 2 shown]
	v_cndmask_b32_e32 v66, v12, v34, vcc
.LBB86_87:                              ;   in Loop: Header=BB86_13 Depth=1
	s_or_b64 exec, exec, s[54:55]
	v_cvt_f32_f16_e32 v12, v15
	v_readlane_b32 s0, v95, 2
	s_nop 1
	v_add_f32_e32 v67, s0, v12
	v_cmp_ge_f32_e32 vcc, s6, v67
	s_and_b64 s[0:1], s[4:5], vcc
	s_and_saveexec_b64 s[54:55], s[0:1]
	s_cbranch_execz .LBB86_89
; %bb.88:                               ;   in Loop: Header=BB86_13 Depth=1
	v_mul_f32_e32 v12, 0x3fb8aa3b, v67
	v_rndne_f32_e32 v13, v12
	v_sub_f32_e32 v14, v12, v13
	v_fma_f32 v12, v67, s7, -v12
	v_fmac_f32_e32 v12, 0x32a5705f, v67
	v_add_f32_e32 v12, v14, v12
	v_cvt_i32_f32_e32 v13, v13
	v_exp_f32_e32 v12, v12
	v_cmp_ngt_f32_e32 vcc, s8, v67
	v_ldexp_f32 v12, v12, v13
	s_nop 0
	v_cndmask_b32_e32 v12, 0, v12, vcc
	v_cmp_nlt_f32_e32 vcc, s9, v67
	s_nop 1
	v_cndmask_b32_e32 v34, v41, v12, vcc
	v_add_f32_e32 v14, 1.0, v34
	v_add_f32_e32 v12, -1.0, v14
	v_sub_f32_e32 v13, v12, v14
	v_add_f32_e32 v13, 1.0, v13
	v_sub_f32_e32 v12, v34, v12
	v_add_f32_e32 v22, v12, v13
	v_frexp_mant_f32_e32 v23, v14
	v_cvt_f64_f32_e32 v[12:13], v14
	v_frexp_exp_i32_f64_e32 v12, v[12:13]
	v_cmp_gt_f32_e32 vcc, s11, v23
	v_cmp_gt_f32_e64 s[52:53], s57, v34
	s_nop 0
	v_subbrev_co_u32_e32 v28, vcc, 0, v12, vcc
	v_sub_u32_e32 v12, 0, v28
	v_ldexp_f32 v13, v14, v12
	v_add_f32_e32 v14, -1.0, v13
	v_add_f32_e32 v23, 1.0, v13
	v_ldexp_f32 v12, v22, v12
	v_add_f32_e32 v22, 1.0, v14
	v_add_f32_e32 v24, -1.0, v23
	v_sub_f32_e32 v22, v13, v22
	v_sub_f32_e32 v13, v13, v24
	v_add_f32_e32 v22, v12, v22
	v_add_f32_e32 v12, v12, v13
	;; [unrolled: 1-line block ×3, first 2 shown]
	v_rcp_f32_e32 v31, v29
	v_sub_f32_e32 v13, v23, v29
	v_add_f32_e32 v30, v12, v13
	v_add_f32_e32 v13, v14, v22
	v_sub_f32_e32 v12, v14, v13
	v_mul_f32_e32 v32, v13, v31
	v_add_f32_e32 v14, v22, v12
	v_mul_f32_e32 v22, v29, v32
	v_fma_f32 v24, v32, v29, -v22
	v_fmac_f32_e32 v24, v32, v30
	v_add_f32_e32 v12, v22, v24
	v_sub_f32_e32 v23, v13, v12
	v_pk_add_f32 v[26:27], v[12:13], v[22:23] neg_lo:[0,1] neg_hi:[0,1]
	v_mov_b32_e32 v25, v12
	v_pk_add_f32 v[12:13], v[26:27], v[24:25] neg_lo:[0,1] neg_hi:[0,1]
	v_cmp_eq_f32_e32 vcc, s10, v34
	v_add_f32_e32 v13, v14, v13
	v_add_f32_e32 v12, v12, v13
	;; [unrolled: 1-line block ×3, first 2 shown]
	v_mul_f32_e32 v14, v31, v13
	v_mul_f32_e32 v22, v29, v14
	v_fma_f32 v24, v14, v29, -v22
	v_fmac_f32_e32 v24, v14, v30
	v_sub_f32_e32 v23, v23, v13
	v_add_f32_e32 v29, v12, v23
	v_add_f32_e32 v12, v22, v24
	v_sub_f32_e32 v23, v13, v12
	v_pk_add_f32 v[26:27], v[12:13], v[22:23] neg_lo:[0,1] neg_hi:[0,1]
	v_mov_b32_e32 v25, v12
	v_pk_add_f32 v[12:13], v[26:27], v[24:25] neg_lo:[0,1] neg_hi:[0,1]
	s_or_b64 vcc, s[52:53], vcc
	v_add_f32_e32 v13, v29, v13
	v_add_f32_e32 v12, v12, v13
	;; [unrolled: 1-line block ×4, first 2 shown]
	v_sub_f32_e32 v22, v13, v32
	v_mul_f32_e32 v12, v31, v12
	v_sub_f32_e32 v14, v14, v22
	v_add_f32_e32 v14, v14, v12
	v_add_f32_e32 v22, v13, v14
	v_mul_f32_e32 v24, v22, v22
	v_fmamk_f32 v12, v24, 0x3e9b6dac, v40
	v_fmaak_f32 v43, v24, v12, 0x3f2aaada
	v_cvt_f32_i32_e32 v12, v28
	v_sub_f32_e32 v13, v22, v13
	v_sub_f32_e32 v13, v14, v13
	v_ldexp_f32 v14, v13, 1
	v_mul_f32_e32 v13, v22, v24
	v_pk_mul_f32 v[24:25], v[12:13], v[42:43]
	v_ldexp_f32 v23, v22, 1
	v_fma_f32 v22, v12, s56, -v24
	v_fmac_f32_e32 v22, 0xb102e308, v12
	v_pk_add_f32 v[12:13], v[24:25], v[22:23]
	v_mov_b32_e32 v26, v24
	v_sub_f32_e32 v23, v13, v23
	v_sub_f32_e32 v23, v25, v23
	v_add_f32_e32 v27, v14, v23
	v_pk_add_f32 v[24:25], v[12:13], v[24:25] neg_lo:[0,1] neg_hi:[0,1]
	v_pk_add_f32 v[28:29], v[12:13], v[26:27]
	v_mov_b32_e32 v23, v12
	v_mov_b32_e32 v25, v29
	v_pk_add_f32 v[30:31], v[22:23], v[24:25] neg_lo:[0,1] neg_hi:[0,1]
	v_pk_add_f32 v[22:23], v[22:23], v[24:25]
	s_nop 0
	v_mov_b32_e32 v14, v23
	v_pk_add_f32 v[24:25], v[14:15], v[12:13] neg_lo:[0,1] neg_hi:[0,1]
	v_mov_b32_e32 v22, v29
	v_mov_b32_e32 v25, v24
	v_pk_add_f32 v[32:33], v[28:29], v[24:25] neg_lo:[0,1] neg_hi:[0,1]
	v_mov_b32_e32 v28, v13
	v_mov_b32_e32 v29, v24
	;; [unrolled: 1-line block ×3, first 2 shown]
	v_pk_add_f32 v[22:23], v[22:23], v[28:29] neg_lo:[0,1] neg_hi:[0,1]
	v_mov_b32_e32 v24, v27
	v_mov_b32_e32 v25, v12
	v_pk_add_f32 v[12:13], v[24:25], v[22:23] neg_lo:[0,1] neg_hi:[0,1]
	v_mov_b32_e32 v32, v30
	v_pk_add_f32 v[22:23], v[32:33], v[12:13]
	s_nop 0
	v_mov_b32_e32 v24, v23
	v_pk_add_f32 v[24:25], v[22:23], v[24:25]
	s_nop 0
	v_pk_add_f32 v[26:27], v[14:15], v[24:25]
	v_mov_b32_e32 v13, v24
	v_mov_b32_e32 v23, v26
	v_pk_add_f32 v[28:29], v[22:23], v[30:31] neg_lo:[0,1] neg_hi:[0,1]
	s_nop 0
	v_sub_f32_e32 v14, v22, v28
	v_pk_add_f32 v[12:13], v[12:13], v[28:29] neg_lo:[0,1] neg_hi:[0,1]
	v_sub_f32_e32 v14, v30, v14
	v_add_f32_e32 v12, v12, v14
	v_add_f32_e32 v12, v12, v13
	;; [unrolled: 1-line block ×3, first 2 shown]
	v_cndmask_b32_e32 v67, v12, v34, vcc
.LBB86_89:                              ;   in Loop: Header=BB86_13 Depth=1
	s_or_b64 exec, exec, s[54:55]
	v_cvt_f32_f16_sdwa v12, v15 dst_sel:DWORD dst_unused:UNUSED_PAD src0_sel:WORD_1
	v_readlane_b32 s0, v95, 2
	s_nop 1
	v_add_f32_e32 v88, s0, v12
	v_cmp_ge_f32_e32 vcc, s6, v88
	s_and_b64 s[0:1], s[4:5], vcc
	s_and_saveexec_b64 s[54:55], s[0:1]
	s_cbranch_execz .LBB86_91
; %bb.90:                               ;   in Loop: Header=BB86_13 Depth=1
	v_mul_f32_e32 v12, 0x3fb8aa3b, v88
	v_rndne_f32_e32 v13, v12
	v_sub_f32_e32 v14, v12, v13
	v_fma_f32 v12, v88, s7, -v12
	v_fmac_f32_e32 v12, 0x32a5705f, v88
	v_add_f32_e32 v12, v14, v12
	v_cvt_i32_f32_e32 v13, v13
	v_exp_f32_e32 v12, v12
	v_cmp_ngt_f32_e32 vcc, s8, v88
	v_ldexp_f32 v12, v12, v13
	s_nop 0
	v_cndmask_b32_e32 v12, 0, v12, vcc
	v_cmp_nlt_f32_e32 vcc, s9, v88
	s_nop 1
	v_cndmask_b32_e32 v34, v41, v12, vcc
	v_add_f32_e32 v14, 1.0, v34
	v_add_f32_e32 v12, -1.0, v14
	v_sub_f32_e32 v13, v12, v14
	v_add_f32_e32 v13, 1.0, v13
	v_sub_f32_e32 v12, v34, v12
	v_add_f32_e32 v15, v12, v13
	v_frexp_mant_f32_e32 v22, v14
	v_cvt_f64_f32_e32 v[12:13], v14
	v_frexp_exp_i32_f64_e32 v12, v[12:13]
	v_cmp_gt_f32_e32 vcc, s11, v22
	v_cmp_gt_f32_e64 s[52:53], s57, v34
	s_nop 0
	v_subbrev_co_u32_e32 v26, vcc, 0, v12, vcc
	v_sub_u32_e32 v12, 0, v26
	v_ldexp_f32 v13, v14, v12
	v_add_f32_e32 v14, -1.0, v13
	v_add_f32_e32 v22, 1.0, v13
	v_ldexp_f32 v12, v15, v12
	v_add_f32_e32 v15, 1.0, v14
	v_add_f32_e32 v23, -1.0, v22
	v_sub_f32_e32 v15, v13, v15
	v_sub_f32_e32 v13, v13, v23
	v_add_f32_e32 v15, v12, v15
	v_add_f32_e32 v12, v12, v13
	v_add_f32_e32 v27, v22, v12
	v_rcp_f32_e32 v29, v27
	v_sub_f32_e32 v13, v22, v27
	v_add_f32_e32 v28, v12, v13
	v_add_f32_e32 v13, v14, v15
	v_mul_f32_e32 v31, v13, v29
	v_sub_f32_e32 v12, v14, v13
	v_mul_f32_e32 v14, v27, v31
	v_fma_f32 v22, v31, v27, -v14
	v_fmac_f32_e32 v22, v31, v28
	v_add_f32_e32 v30, v15, v12
	v_add_f32_e32 v12, v14, v22
	v_sub_f32_e32 v15, v13, v12
	v_pk_add_f32 v[24:25], v[12:13], v[14:15] neg_lo:[0,1] neg_hi:[0,1]
	v_mov_b32_e32 v23, v12
	v_pk_add_f32 v[12:13], v[24:25], v[22:23] neg_lo:[0,1] neg_hi:[0,1]
	v_cmp_eq_f32_e32 vcc, s10, v34
	v_add_f32_e32 v13, v30, v13
	v_add_f32_e32 v12, v12, v13
	;; [unrolled: 1-line block ×3, first 2 shown]
	v_mul_f32_e32 v30, v29, v13
	v_mul_f32_e32 v14, v27, v30
	v_fma_f32 v22, v30, v27, -v14
	v_fmac_f32_e32 v22, v30, v28
	v_sub_f32_e32 v15, v15, v13
	v_add_f32_e32 v27, v12, v15
	v_add_f32_e32 v12, v14, v22
	v_sub_f32_e32 v15, v13, v12
	v_pk_add_f32 v[24:25], v[12:13], v[14:15] neg_lo:[0,1] neg_hi:[0,1]
	v_mov_b32_e32 v23, v12
	v_pk_add_f32 v[12:13], v[24:25], v[22:23] neg_lo:[0,1] neg_hi:[0,1]
	s_or_b64 vcc, s[52:53], vcc
	v_add_f32_e32 v13, v27, v13
	v_add_f32_e32 v12, v12, v13
	;; [unrolled: 1-line block ×4, first 2 shown]
	v_sub_f32_e32 v14, v13, v31
	v_mul_f32_e32 v12, v29, v12
	v_sub_f32_e32 v14, v30, v14
	v_add_f32_e32 v14, v14, v12
	v_add_f32_e32 v22, v13, v14
	v_mul_f32_e32 v23, v22, v22
	v_fmamk_f32 v12, v23, 0x3e9b6dac, v40
	v_fmaak_f32 v43, v23, v12, 0x3f2aaada
	v_cvt_f32_i32_e32 v12, v26
	v_sub_f32_e32 v13, v22, v13
	v_sub_f32_e32 v13, v14, v13
	v_ldexp_f32 v24, v13, 1
	v_mul_f32_e32 v13, v22, v23
	v_ldexp_f32 v15, v22, 1
	v_pk_mul_f32 v[22:23], v[12:13], v[42:43]
	s_nop 0
	v_fma_f32 v14, v12, s56, -v22
	v_fmac_f32_e32 v14, 0xb102e308, v12
	v_pk_add_f32 v[12:13], v[22:23], v[14:15]
	s_nop 0
	v_sub_f32_e32 v15, v13, v15
	v_sub_f32_e32 v15, v23, v15
	v_add_f32_e32 v25, v24, v15
	v_mov_b32_e32 v24, v22
	v_pk_add_f32 v[22:23], v[12:13], v[22:23] neg_lo:[0,1] neg_hi:[0,1]
	v_pk_add_f32 v[26:27], v[12:13], v[24:25]
	v_mov_b32_e32 v15, v12
	v_mov_b32_e32 v23, v27
	v_pk_add_f32 v[28:29], v[14:15], v[22:23] neg_lo:[0,1] neg_hi:[0,1]
	v_pk_add_f32 v[14:15], v[14:15], v[22:23]
	v_mov_b32_e32 v24, v25
	v_mov_b32_e32 v22, v15
	v_pk_add_f32 v[30:31], v[22:23], v[12:13] neg_lo:[0,1] neg_hi:[0,1]
	v_mov_b32_e32 v14, v27
	v_mov_b32_e32 v23, v30
	v_pk_add_f32 v[32:33], v[26:27], v[22:23] neg_lo:[0,1] neg_hi:[0,1]
	v_mov_b32_e32 v26, v13
	v_mov_b32_e32 v27, v30
	v_mov_b32_e32 v29, v15
	v_pk_add_f32 v[14:15], v[14:15], v[26:27] neg_lo:[0,1] neg_hi:[0,1]
	v_mov_b32_e32 v25, v12
	v_pk_add_f32 v[12:13], v[24:25], v[14:15] neg_lo:[0,1] neg_hi:[0,1]
	v_mov_b32_e32 v32, v28
	v_pk_add_f32 v[14:15], v[32:33], v[12:13]
	s_nop 0
	v_mov_b32_e32 v24, v15
	v_pk_add_f32 v[24:25], v[14:15], v[24:25]
	s_nop 0
	v_pk_add_f32 v[22:23], v[22:23], v[24:25]
	v_mov_b32_e32 v13, v24
	v_mov_b32_e32 v15, v22
	v_pk_add_f32 v[26:27], v[14:15], v[28:29] neg_lo:[0,1] neg_hi:[0,1]
	s_nop 0
	v_sub_f32_e32 v14, v14, v26
	v_pk_add_f32 v[12:13], v[12:13], v[26:27] neg_lo:[0,1] neg_hi:[0,1]
	v_sub_f32_e32 v14, v28, v14
	v_add_f32_e32 v12, v12, v14
	v_add_f32_e32 v12, v12, v13
	;; [unrolled: 1-line block ×3, first 2 shown]
	v_cndmask_b32_e32 v88, v12, v34, vcc
.LBB86_91:                              ;   in Loop: Header=BB86_13 Depth=1
	s_or_b64 exec, exec, s[54:55]
	s_waitcnt lgkmcnt(0)
	v_cvt_f32_f16_e32 v12, v8
	v_readlane_b32 s0, v95, 2
	s_nop 1
	v_add_f32_e32 v89, s0, v12
	v_cmp_ge_f32_e32 vcc, s6, v89
	s_and_b64 s[0:1], s[4:5], vcc
	s_and_saveexec_b64 s[54:55], s[0:1]
	s_cbranch_execz .LBB86_93
; %bb.92:                               ;   in Loop: Header=BB86_13 Depth=1
	v_mul_f32_e32 v12, 0x3fb8aa3b, v89
	v_rndne_f32_e32 v13, v12
	v_sub_f32_e32 v14, v12, v13
	v_fma_f32 v12, v89, s7, -v12
	v_fmac_f32_e32 v12, 0x32a5705f, v89
	v_add_f32_e32 v12, v14, v12
	v_cvt_i32_f32_e32 v13, v13
	v_exp_f32_e32 v12, v12
	v_cmp_ngt_f32_e32 vcc, s8, v89
	v_ldexp_f32 v12, v12, v13
	s_nop 0
	v_cndmask_b32_e32 v12, 0, v12, vcc
	v_cmp_nlt_f32_e32 vcc, s9, v89
	s_nop 1
	v_cndmask_b32_e32 v34, v41, v12, vcc
	v_add_f32_e32 v14, 1.0, v34
	v_add_f32_e32 v12, -1.0, v14
	v_sub_f32_e32 v13, v12, v14
	v_add_f32_e32 v13, 1.0, v13
	v_sub_f32_e32 v12, v34, v12
	v_add_f32_e32 v15, v12, v13
	v_frexp_mant_f32_e32 v22, v14
	v_cvt_f64_f32_e32 v[12:13], v14
	v_frexp_exp_i32_f64_e32 v12, v[12:13]
	v_cmp_gt_f32_e32 vcc, s11, v22
	v_cmp_gt_f32_e64 s[52:53], s57, v34
	s_nop 0
	v_subbrev_co_u32_e32 v26, vcc, 0, v12, vcc
	v_sub_u32_e32 v12, 0, v26
	v_ldexp_f32 v13, v14, v12
	v_add_f32_e32 v14, -1.0, v13
	v_add_f32_e32 v22, 1.0, v13
	v_ldexp_f32 v12, v15, v12
	v_add_f32_e32 v15, 1.0, v14
	v_add_f32_e32 v23, -1.0, v22
	v_sub_f32_e32 v15, v13, v15
	v_sub_f32_e32 v13, v13, v23
	v_add_f32_e32 v15, v12, v15
	v_add_f32_e32 v12, v12, v13
	;; [unrolled: 1-line block ×3, first 2 shown]
	v_rcp_f32_e32 v29, v27
	v_sub_f32_e32 v13, v22, v27
	v_add_f32_e32 v28, v12, v13
	v_add_f32_e32 v13, v14, v15
	v_mul_f32_e32 v31, v13, v29
	v_sub_f32_e32 v12, v14, v13
	v_mul_f32_e32 v14, v27, v31
	v_fma_f32 v22, v31, v27, -v14
	v_fmac_f32_e32 v22, v31, v28
	v_add_f32_e32 v30, v15, v12
	v_add_f32_e32 v12, v14, v22
	v_sub_f32_e32 v15, v13, v12
	v_pk_add_f32 v[24:25], v[12:13], v[14:15] neg_lo:[0,1] neg_hi:[0,1]
	v_mov_b32_e32 v23, v12
	v_pk_add_f32 v[12:13], v[24:25], v[22:23] neg_lo:[0,1] neg_hi:[0,1]
	v_cmp_eq_f32_e32 vcc, s10, v34
	v_add_f32_e32 v13, v30, v13
	v_add_f32_e32 v12, v12, v13
	;; [unrolled: 1-line block ×3, first 2 shown]
	v_mul_f32_e32 v30, v29, v13
	v_mul_f32_e32 v14, v27, v30
	v_fma_f32 v22, v30, v27, -v14
	v_fmac_f32_e32 v22, v30, v28
	v_sub_f32_e32 v15, v15, v13
	v_add_f32_e32 v27, v12, v15
	v_add_f32_e32 v12, v14, v22
	v_sub_f32_e32 v15, v13, v12
	v_pk_add_f32 v[24:25], v[12:13], v[14:15] neg_lo:[0,1] neg_hi:[0,1]
	v_mov_b32_e32 v23, v12
	v_pk_add_f32 v[12:13], v[24:25], v[22:23] neg_lo:[0,1] neg_hi:[0,1]
	s_or_b64 vcc, s[52:53], vcc
	v_add_f32_e32 v13, v27, v13
	v_add_f32_e32 v12, v12, v13
	;; [unrolled: 1-line block ×4, first 2 shown]
	v_sub_f32_e32 v14, v13, v31
	v_mul_f32_e32 v12, v29, v12
	v_sub_f32_e32 v14, v30, v14
	v_add_f32_e32 v14, v14, v12
	v_add_f32_e32 v22, v13, v14
	v_mul_f32_e32 v23, v22, v22
	v_fmamk_f32 v12, v23, 0x3e9b6dac, v40
	v_fmaak_f32 v43, v23, v12, 0x3f2aaada
	v_cvt_f32_i32_e32 v12, v26
	v_sub_f32_e32 v13, v22, v13
	v_sub_f32_e32 v13, v14, v13
	v_ldexp_f32 v24, v13, 1
	v_mul_f32_e32 v13, v22, v23
	v_ldexp_f32 v15, v22, 1
	v_pk_mul_f32 v[22:23], v[12:13], v[42:43]
	s_nop 0
	v_fma_f32 v14, v12, s56, -v22
	v_fmac_f32_e32 v14, 0xb102e308, v12
	v_pk_add_f32 v[12:13], v[22:23], v[14:15]
	s_nop 0
	v_sub_f32_e32 v15, v13, v15
	v_sub_f32_e32 v15, v23, v15
	v_add_f32_e32 v25, v24, v15
	v_mov_b32_e32 v24, v22
	v_pk_add_f32 v[22:23], v[12:13], v[22:23] neg_lo:[0,1] neg_hi:[0,1]
	v_pk_add_f32 v[26:27], v[12:13], v[24:25]
	v_mov_b32_e32 v15, v12
	v_mov_b32_e32 v23, v27
	v_pk_add_f32 v[28:29], v[14:15], v[22:23] neg_lo:[0,1] neg_hi:[0,1]
	v_pk_add_f32 v[14:15], v[14:15], v[22:23]
	v_mov_b32_e32 v24, v25
	v_mov_b32_e32 v22, v15
	v_pk_add_f32 v[30:31], v[22:23], v[12:13] neg_lo:[0,1] neg_hi:[0,1]
	v_mov_b32_e32 v14, v27
	v_mov_b32_e32 v23, v30
	v_pk_add_f32 v[32:33], v[26:27], v[22:23] neg_lo:[0,1] neg_hi:[0,1]
	v_mov_b32_e32 v26, v13
	v_mov_b32_e32 v27, v30
	v_mov_b32_e32 v29, v15
	v_pk_add_f32 v[14:15], v[14:15], v[26:27] neg_lo:[0,1] neg_hi:[0,1]
	v_mov_b32_e32 v25, v12
	v_pk_add_f32 v[12:13], v[24:25], v[14:15] neg_lo:[0,1] neg_hi:[0,1]
	v_mov_b32_e32 v32, v28
	v_pk_add_f32 v[14:15], v[32:33], v[12:13]
	s_nop 0
	v_mov_b32_e32 v24, v15
	v_pk_add_f32 v[24:25], v[14:15], v[24:25]
	s_nop 0
	v_pk_add_f32 v[22:23], v[22:23], v[24:25]
	v_mov_b32_e32 v13, v24
	v_mov_b32_e32 v15, v22
	v_pk_add_f32 v[26:27], v[14:15], v[28:29] neg_lo:[0,1] neg_hi:[0,1]
	s_nop 0
	v_sub_f32_e32 v14, v14, v26
	v_pk_add_f32 v[12:13], v[12:13], v[26:27] neg_lo:[0,1] neg_hi:[0,1]
	v_sub_f32_e32 v14, v28, v14
	v_add_f32_e32 v12, v12, v14
	v_add_f32_e32 v12, v12, v13
	;; [unrolled: 1-line block ×3, first 2 shown]
	v_cndmask_b32_e32 v89, v12, v34, vcc
.LBB86_93:                              ;   in Loop: Header=BB86_13 Depth=1
	s_or_b64 exec, exec, s[54:55]
	v_cvt_f32_f16_sdwa v8, v8 dst_sel:DWORD dst_unused:UNUSED_PAD src0_sel:WORD_1
	v_readlane_b32 s0, v95, 2
	s_nop 1
	v_add_f32_e32 v90, s0, v8
	v_cmp_ge_f32_e32 vcc, s6, v90
	s_and_b64 s[0:1], s[4:5], vcc
	s_and_saveexec_b64 s[54:55], s[0:1]
	s_cbranch_execz .LBB86_95
; %bb.94:                               ;   in Loop: Header=BB86_13 Depth=1
	v_mul_f32_e32 v8, 0x3fb8aa3b, v90
	v_rndne_f32_e32 v12, v8
	v_sub_f32_e32 v13, v8, v12
	v_fma_f32 v8, v90, s7, -v8
	v_fmac_f32_e32 v8, 0x32a5705f, v90
	v_add_f32_e32 v8, v13, v8
	v_cvt_i32_f32_e32 v12, v12
	v_exp_f32_e32 v8, v8
	v_cmp_ngt_f32_e32 vcc, s8, v90
	v_ldexp_f32 v8, v8, v12
	s_nop 0
	v_cndmask_b32_e32 v8, 0, v8, vcc
	v_cmp_nlt_f32_e32 vcc, s9, v90
	s_nop 1
	v_cndmask_b32_e32 v32, v41, v8, vcc
	v_add_f32_e32 v8, 1.0, v32
	v_add_f32_e32 v12, -1.0, v8
	v_sub_f32_e32 v13, v12, v8
	v_add_f32_e32 v13, 1.0, v13
	v_sub_f32_e32 v12, v32, v12
	v_add_f32_e32 v14, v12, v13
	v_frexp_mant_f32_e32 v15, v8
	v_cvt_f64_f32_e32 v[12:13], v8
	v_frexp_exp_i32_f64_e32 v12, v[12:13]
	v_cmp_gt_f32_e32 vcc, s11, v15
	v_cmp_gt_f32_e64 s[52:53], s57, v32
	s_nop 0
	v_subbrev_co_u32_e32 v26, vcc, 0, v12, vcc
	v_sub_u32_e32 v12, 0, v26
	v_ldexp_f32 v8, v8, v12
	v_ldexp_f32 v12, v14, v12
	v_add_f32_e32 v14, -1.0, v8
	v_add_f32_e32 v13, 1.0, v14
	v_sub_f32_e32 v13, v8, v13
	v_add_f32_e32 v15, v12, v13
	v_add_f32_e32 v13, 1.0, v8
	v_add_f32_e32 v22, -1.0, v13
	v_sub_f32_e32 v8, v8, v22
	v_add_f32_e32 v8, v12, v8
	v_add_f32_e32 v27, v13, v8
	v_rcp_f32_e32 v28, v27
	v_sub_f32_e32 v12, v13, v27
	v_add_f32_e32 v13, v14, v15
	v_add_f32_e32 v8, v8, v12
	v_mul_f32_e32 v30, v13, v28
	v_sub_f32_e32 v12, v14, v13
	v_mul_f32_e32 v14, v27, v30
	v_fma_f32 v22, v30, v27, -v14
	v_fmac_f32_e32 v22, v30, v8
	v_add_f32_e32 v29, v15, v12
	v_add_f32_e32 v12, v14, v22
	v_sub_f32_e32 v15, v13, v12
	v_pk_add_f32 v[24:25], v[12:13], v[14:15] neg_lo:[0,1] neg_hi:[0,1]
	v_mov_b32_e32 v23, v12
	v_pk_add_f32 v[12:13], v[24:25], v[22:23] neg_lo:[0,1] neg_hi:[0,1]
	v_cmp_eq_f32_e32 vcc, s10, v32
	v_add_f32_e32 v13, v29, v13
	v_add_f32_e32 v12, v12, v13
	;; [unrolled: 1-line block ×3, first 2 shown]
	v_mul_f32_e32 v29, v28, v13
	v_mul_f32_e32 v14, v27, v29
	v_fma_f32 v22, v29, v27, -v14
	v_fmac_f32_e32 v22, v29, v8
	v_sub_f32_e32 v8, v15, v13
	v_add_f32_e32 v8, v12, v8
	v_add_f32_e32 v12, v14, v22
	v_sub_f32_e32 v15, v13, v12
	v_pk_add_f32 v[24:25], v[12:13], v[14:15] neg_lo:[0,1] neg_hi:[0,1]
	v_mov_b32_e32 v23, v12
	v_pk_add_f32 v[12:13], v[24:25], v[22:23] neg_lo:[0,1] neg_hi:[0,1]
	s_or_b64 vcc, s[52:53], vcc
	v_add_f32_e32 v8, v8, v13
	v_add_f32_e32 v8, v12, v8
	;; [unrolled: 1-line block ×4, first 2 shown]
	v_sub_f32_e32 v12, v13, v30
	v_mul_f32_e32 v8, v28, v8
	v_sub_f32_e32 v12, v29, v12
	v_add_f32_e32 v8, v12, v8
	v_add_f32_e32 v14, v13, v8
	v_mul_f32_e32 v22, v14, v14
	v_fmamk_f32 v12, v22, 0x3e9b6dac, v40
	v_fmaak_f32 v43, v22, v12, 0x3f2aaada
	v_cvt_f32_i32_e32 v12, v26
	v_sub_f32_e32 v13, v14, v13
	v_sub_f32_e32 v8, v8, v13
	v_mul_f32_e32 v13, v14, v22
	v_pk_mul_f32 v[22:23], v[12:13], v[42:43]
	v_ldexp_f32 v15, v14, 1
	v_fma_f32 v14, v12, s56, -v22
	v_fmac_f32_e32 v14, 0xb102e308, v12
	v_pk_add_f32 v[12:13], v[22:23], v[14:15]
	v_ldexp_f32 v8, v8, 1
	v_sub_f32_e32 v15, v13, v15
	v_sub_f32_e32 v15, v23, v15
	v_add_f32_e32 v25, v8, v15
	v_mov_b32_e32 v24, v22
	v_pk_add_f32 v[22:23], v[12:13], v[22:23] neg_lo:[0,1] neg_hi:[0,1]
	v_pk_add_f32 v[26:27], v[12:13], v[24:25]
	v_mov_b32_e32 v15, v12
	v_mov_b32_e32 v23, v27
	v_pk_add_f32 v[28:29], v[14:15], v[22:23] neg_lo:[0,1] neg_hi:[0,1]
	v_pk_add_f32 v[14:15], v[14:15], v[22:23]
	s_nop 0
	v_mov_b32_e32 v8, v15
	v_pk_add_f32 v[22:23], v[8:9], v[12:13] neg_lo:[0,1] neg_hi:[0,1]
	v_mov_b32_e32 v14, v27
	v_mov_b32_e32 v23, v22
	v_pk_add_f32 v[30:31], v[26:27], v[22:23] neg_lo:[0,1] neg_hi:[0,1]
	v_mov_b32_e32 v26, v13
	v_mov_b32_e32 v27, v22
	;; [unrolled: 1-line block ×3, first 2 shown]
	v_pk_add_f32 v[14:15], v[14:15], v[26:27] neg_lo:[0,1] neg_hi:[0,1]
	v_mov_b32_e32 v22, v25
	v_mov_b32_e32 v23, v12
	v_pk_add_f32 v[12:13], v[22:23], v[14:15] neg_lo:[0,1] neg_hi:[0,1]
	v_mov_b32_e32 v30, v28
	v_pk_add_f32 v[14:15], v[30:31], v[12:13]
	s_nop 0
	v_mov_b32_e32 v22, v15
	v_pk_add_f32 v[22:23], v[14:15], v[22:23]
	s_nop 0
	v_pk_add_f32 v[24:25], v[8:9], v[22:23]
	v_mov_b32_e32 v13, v22
	v_mov_b32_e32 v15, v24
	v_pk_add_f32 v[26:27], v[14:15], v[28:29] neg_lo:[0,1] neg_hi:[0,1]
	s_nop 0
	v_sub_f32_e32 v8, v14, v26
	v_pk_add_f32 v[12:13], v[12:13], v[26:27] neg_lo:[0,1] neg_hi:[0,1]
	v_sub_f32_e32 v8, v28, v8
	v_add_f32_e32 v8, v12, v8
	v_add_f32_e32 v8, v8, v13
	;; [unrolled: 1-line block ×3, first 2 shown]
	v_cndmask_b32_e32 v90, v8, v32, vcc
.LBB86_95:                              ;   in Loop: Header=BB86_13 Depth=1
	s_or_b64 exec, exec, s[54:55]
	v_cvt_f32_f16_e32 v8, v9
	v_readlane_b32 s0, v95, 2
	s_nop 1
	v_add_f32_e32 v91, s0, v8
	v_cmp_ge_f32_e32 vcc, s6, v91
	s_and_b64 s[0:1], s[4:5], vcc
	s_and_saveexec_b64 s[54:55], s[0:1]
	s_cbranch_execz .LBB86_97
; %bb.96:                               ;   in Loop: Header=BB86_13 Depth=1
	v_mul_f32_e32 v8, 0x3fb8aa3b, v91
	v_rndne_f32_e32 v12, v8
	v_sub_f32_e32 v13, v8, v12
	v_fma_f32 v8, v91, s7, -v8
	v_fmac_f32_e32 v8, 0x32a5705f, v91
	v_add_f32_e32 v8, v13, v8
	v_cvt_i32_f32_e32 v12, v12
	v_exp_f32_e32 v8, v8
	v_cmp_ngt_f32_e32 vcc, s8, v91
	v_ldexp_f32 v8, v8, v12
	s_nop 0
	v_cndmask_b32_e32 v8, 0, v8, vcc
	v_cmp_nlt_f32_e32 vcc, s9, v91
	s_nop 1
	v_cndmask_b32_e32 v32, v41, v8, vcc
	v_add_f32_e32 v8, 1.0, v32
	v_add_f32_e32 v12, -1.0, v8
	v_sub_f32_e32 v13, v12, v8
	v_add_f32_e32 v13, 1.0, v13
	v_sub_f32_e32 v12, v32, v12
	v_add_f32_e32 v14, v12, v13
	v_frexp_mant_f32_e32 v15, v8
	v_cvt_f64_f32_e32 v[12:13], v8
	v_frexp_exp_i32_f64_e32 v12, v[12:13]
	v_cmp_gt_f32_e32 vcc, s11, v15
	v_cmp_gt_f32_e64 s[52:53], s57, v32
	s_nop 0
	v_subbrev_co_u32_e32 v26, vcc, 0, v12, vcc
	v_sub_u32_e32 v12, 0, v26
	v_ldexp_f32 v8, v8, v12
	v_ldexp_f32 v12, v14, v12
	v_add_f32_e32 v14, -1.0, v8
	v_add_f32_e32 v13, 1.0, v14
	v_sub_f32_e32 v13, v8, v13
	v_add_f32_e32 v15, v12, v13
	v_add_f32_e32 v13, 1.0, v8
	v_add_f32_e32 v22, -1.0, v13
	v_sub_f32_e32 v8, v8, v22
	v_add_f32_e32 v8, v12, v8
	v_add_f32_e32 v27, v13, v8
	v_rcp_f32_e32 v28, v27
	v_sub_f32_e32 v12, v13, v27
	v_add_f32_e32 v13, v14, v15
	v_add_f32_e32 v8, v8, v12
	v_mul_f32_e32 v30, v13, v28
	v_sub_f32_e32 v12, v14, v13
	v_mul_f32_e32 v14, v27, v30
	v_fma_f32 v22, v30, v27, -v14
	v_fmac_f32_e32 v22, v30, v8
	v_add_f32_e32 v29, v15, v12
	v_add_f32_e32 v12, v14, v22
	v_sub_f32_e32 v15, v13, v12
	v_pk_add_f32 v[24:25], v[12:13], v[14:15] neg_lo:[0,1] neg_hi:[0,1]
	v_mov_b32_e32 v23, v12
	v_pk_add_f32 v[12:13], v[24:25], v[22:23] neg_lo:[0,1] neg_hi:[0,1]
	v_cmp_eq_f32_e32 vcc, s10, v32
	v_add_f32_e32 v13, v29, v13
	v_add_f32_e32 v12, v12, v13
	;; [unrolled: 1-line block ×3, first 2 shown]
	v_mul_f32_e32 v29, v28, v13
	v_mul_f32_e32 v14, v27, v29
	v_fma_f32 v22, v29, v27, -v14
	v_fmac_f32_e32 v22, v29, v8
	v_sub_f32_e32 v8, v15, v13
	v_add_f32_e32 v8, v12, v8
	v_add_f32_e32 v12, v14, v22
	v_sub_f32_e32 v15, v13, v12
	v_pk_add_f32 v[24:25], v[12:13], v[14:15] neg_lo:[0,1] neg_hi:[0,1]
	v_mov_b32_e32 v23, v12
	v_pk_add_f32 v[12:13], v[24:25], v[22:23] neg_lo:[0,1] neg_hi:[0,1]
	s_or_b64 vcc, s[52:53], vcc
	v_add_f32_e32 v8, v8, v13
	v_add_f32_e32 v8, v12, v8
	;; [unrolled: 1-line block ×4, first 2 shown]
	v_sub_f32_e32 v12, v13, v30
	v_mul_f32_e32 v8, v28, v8
	v_sub_f32_e32 v12, v29, v12
	v_add_f32_e32 v8, v12, v8
	v_add_f32_e32 v14, v13, v8
	v_mul_f32_e32 v22, v14, v14
	v_fmamk_f32 v12, v22, 0x3e9b6dac, v40
	v_fmaak_f32 v43, v22, v12, 0x3f2aaada
	v_cvt_f32_i32_e32 v12, v26
	v_sub_f32_e32 v13, v14, v13
	v_sub_f32_e32 v8, v8, v13
	v_mul_f32_e32 v13, v14, v22
	v_pk_mul_f32 v[22:23], v[12:13], v[42:43]
	v_ldexp_f32 v15, v14, 1
	v_fma_f32 v14, v12, s56, -v22
	v_fmac_f32_e32 v14, 0xb102e308, v12
	v_pk_add_f32 v[12:13], v[22:23], v[14:15]
	v_ldexp_f32 v8, v8, 1
	v_sub_f32_e32 v15, v13, v15
	v_sub_f32_e32 v15, v23, v15
	v_add_f32_e32 v25, v8, v15
	v_mov_b32_e32 v24, v22
	v_pk_add_f32 v[22:23], v[12:13], v[22:23] neg_lo:[0,1] neg_hi:[0,1]
	v_pk_add_f32 v[26:27], v[12:13], v[24:25]
	v_mov_b32_e32 v15, v12
	v_mov_b32_e32 v23, v27
	v_pk_add_f32 v[28:29], v[14:15], v[22:23] neg_lo:[0,1] neg_hi:[0,1]
	v_pk_add_f32 v[14:15], v[14:15], v[22:23]
	s_nop 0
	v_mov_b32_e32 v8, v15
	v_pk_add_f32 v[22:23], v[8:9], v[12:13] neg_lo:[0,1] neg_hi:[0,1]
	v_mov_b32_e32 v14, v27
	v_mov_b32_e32 v23, v22
	v_pk_add_f32 v[30:31], v[26:27], v[22:23] neg_lo:[0,1] neg_hi:[0,1]
	v_mov_b32_e32 v26, v13
	v_mov_b32_e32 v27, v22
	;; [unrolled: 1-line block ×3, first 2 shown]
	v_pk_add_f32 v[14:15], v[14:15], v[26:27] neg_lo:[0,1] neg_hi:[0,1]
	v_mov_b32_e32 v22, v25
	v_mov_b32_e32 v23, v12
	v_pk_add_f32 v[12:13], v[22:23], v[14:15] neg_lo:[0,1] neg_hi:[0,1]
	v_mov_b32_e32 v30, v28
	v_pk_add_f32 v[14:15], v[30:31], v[12:13]
	s_nop 0
	v_mov_b32_e32 v22, v15
	v_pk_add_f32 v[22:23], v[14:15], v[22:23]
	s_nop 0
	v_pk_add_f32 v[24:25], v[8:9], v[22:23]
	v_mov_b32_e32 v13, v22
	v_mov_b32_e32 v15, v24
	v_pk_add_f32 v[26:27], v[14:15], v[28:29] neg_lo:[0,1] neg_hi:[0,1]
	s_nop 0
	v_sub_f32_e32 v8, v14, v26
	v_pk_add_f32 v[12:13], v[12:13], v[26:27] neg_lo:[0,1] neg_hi:[0,1]
	v_sub_f32_e32 v8, v28, v8
	v_add_f32_e32 v8, v12, v8
	v_add_f32_e32 v8, v8, v13
	;; [unrolled: 1-line block ×3, first 2 shown]
	v_cndmask_b32_e32 v91, v8, v32, vcc
.LBB86_97:                              ;   in Loop: Header=BB86_13 Depth=1
	s_or_b64 exec, exec, s[54:55]
	v_cvt_f32_f16_sdwa v8, v9 dst_sel:DWORD dst_unused:UNUSED_PAD src0_sel:WORD_1
	v_readlane_b32 s0, v95, 2
	s_nop 1
	v_add_f32_e32 v92, s0, v8
	v_cmp_ge_f32_e32 vcc, s6, v92
	s_and_b64 s[0:1], s[4:5], vcc
	s_and_saveexec_b64 s[54:55], s[0:1]
	s_cbranch_execz .LBB86_99
; %bb.98:                               ;   in Loop: Header=BB86_13 Depth=1
	v_mul_f32_e32 v8, 0x3fb8aa3b, v92
	v_rndne_f32_e32 v9, v8
	v_sub_f32_e32 v12, v8, v9
	v_fma_f32 v8, v92, s7, -v8
	v_fmac_f32_e32 v8, 0x32a5705f, v92
	v_add_f32_e32 v8, v12, v8
	v_cvt_i32_f32_e32 v9, v9
	v_exp_f32_e32 v8, v8
	v_cmp_ngt_f32_e32 vcc, s8, v92
	v_ldexp_f32 v8, v8, v9
	s_nop 0
	v_cndmask_b32_e32 v8, 0, v8, vcc
	v_cmp_nlt_f32_e32 vcc, s9, v92
	s_nop 1
	v_cndmask_b32_e32 v32, v41, v8, vcc
	v_add_f32_e32 v12, 1.0, v32
	v_add_f32_e32 v8, -1.0, v12
	v_sub_f32_e32 v9, v8, v12
	v_add_f32_e32 v9, 1.0, v9
	v_sub_f32_e32 v8, v32, v8
	v_add_f32_e32 v13, v8, v9
	v_frexp_mant_f32_e32 v14, v12
	v_cvt_f64_f32_e32 v[8:9], v12
	v_frexp_exp_i32_f64_e32 v8, v[8:9]
	v_cmp_gt_f32_e32 vcc, s11, v14
	v_cmp_gt_f32_e64 s[52:53], s57, v32
	s_nop 0
	v_subbrev_co_u32_e32 v24, vcc, 0, v8, vcc
	v_sub_u32_e32 v8, 0, v24
	v_ldexp_f32 v9, v12, v8
	v_add_f32_e32 v12, -1.0, v9
	v_add_f32_e32 v14, 1.0, v9
	v_ldexp_f32 v8, v13, v8
	v_add_f32_e32 v13, 1.0, v12
	v_add_f32_e32 v15, -1.0, v14
	v_sub_f32_e32 v13, v9, v13
	v_sub_f32_e32 v9, v9, v15
	v_add_f32_e32 v13, v8, v13
	v_add_f32_e32 v8, v8, v9
	;; [unrolled: 1-line block ×3, first 2 shown]
	v_rcp_f32_e32 v27, v25
	v_sub_f32_e32 v9, v14, v25
	v_add_f32_e32 v26, v8, v9
	v_add_f32_e32 v9, v12, v13
	v_mul_f32_e32 v29, v9, v27
	v_sub_f32_e32 v8, v12, v9
	v_mul_f32_e32 v12, v25, v29
	v_fma_f32 v14, v29, v25, -v12
	v_fmac_f32_e32 v14, v29, v26
	v_add_f32_e32 v28, v13, v8
	v_add_f32_e32 v8, v12, v14
	v_sub_f32_e32 v13, v9, v8
	v_pk_add_f32 v[22:23], v[8:9], v[12:13] neg_lo:[0,1] neg_hi:[0,1]
	v_mov_b32_e32 v15, v8
	v_pk_add_f32 v[8:9], v[22:23], v[14:15] neg_lo:[0,1] neg_hi:[0,1]
	v_cmp_eq_f32_e32 vcc, s10, v32
	v_add_f32_e32 v9, v28, v9
	v_add_f32_e32 v8, v8, v9
	;; [unrolled: 1-line block ×3, first 2 shown]
	v_mul_f32_e32 v28, v27, v9
	v_mul_f32_e32 v12, v25, v28
	v_fma_f32 v14, v28, v25, -v12
	v_fmac_f32_e32 v14, v28, v26
	v_sub_f32_e32 v13, v13, v9
	v_add_f32_e32 v25, v8, v13
	v_add_f32_e32 v8, v12, v14
	v_sub_f32_e32 v13, v9, v8
	v_pk_add_f32 v[22:23], v[8:9], v[12:13] neg_lo:[0,1] neg_hi:[0,1]
	v_mov_b32_e32 v15, v8
	v_pk_add_f32 v[8:9], v[22:23], v[14:15] neg_lo:[0,1] neg_hi:[0,1]
	s_or_b64 vcc, s[52:53], vcc
	v_add_f32_e32 v9, v25, v9
	v_add_f32_e32 v8, v8, v9
	;; [unrolled: 1-line block ×4, first 2 shown]
	v_sub_f32_e32 v12, v9, v29
	v_mul_f32_e32 v8, v27, v8
	v_sub_f32_e32 v12, v28, v12
	v_add_f32_e32 v12, v12, v8
	v_add_f32_e32 v14, v9, v12
	v_mul_f32_e32 v15, v14, v14
	v_fmamk_f32 v8, v15, 0x3e9b6dac, v40
	v_fmaak_f32 v43, v15, v8, 0x3f2aaada
	v_cvt_f32_i32_e32 v8, v24
	v_sub_f32_e32 v9, v14, v9
	v_sub_f32_e32 v9, v12, v9
	v_ldexp_f32 v22, v9, 1
	v_mul_f32_e32 v9, v14, v15
	v_ldexp_f32 v13, v14, 1
	v_pk_mul_f32 v[14:15], v[8:9], v[42:43]
	s_nop 0
	v_fma_f32 v12, v8, s56, -v14
	v_fmac_f32_e32 v12, 0xb102e308, v8
	v_pk_add_f32 v[8:9], v[14:15], v[12:13]
	s_nop 0
	v_sub_f32_e32 v13, v9, v13
	v_sub_f32_e32 v13, v15, v13
	v_add_f32_e32 v23, v22, v13
	v_mov_b32_e32 v22, v14
	v_pk_add_f32 v[14:15], v[8:9], v[14:15] neg_lo:[0,1] neg_hi:[0,1]
	v_pk_add_f32 v[24:25], v[8:9], v[22:23]
	v_mov_b32_e32 v13, v8
	v_mov_b32_e32 v15, v25
	v_pk_add_f32 v[26:27], v[12:13], v[14:15] neg_lo:[0,1] neg_hi:[0,1]
	v_pk_add_f32 v[12:13], v[12:13], v[14:15]
	v_mov_b32_e32 v22, v23
	v_mov_b32_e32 v14, v13
	v_pk_add_f32 v[28:29], v[14:15], v[8:9] neg_lo:[0,1] neg_hi:[0,1]
	v_mov_b32_e32 v12, v25
	v_mov_b32_e32 v15, v28
	v_pk_add_f32 v[30:31], v[24:25], v[14:15] neg_lo:[0,1] neg_hi:[0,1]
	v_mov_b32_e32 v24, v9
	v_mov_b32_e32 v25, v28
	;; [unrolled: 1-line block ×3, first 2 shown]
	v_pk_add_f32 v[12:13], v[12:13], v[24:25] neg_lo:[0,1] neg_hi:[0,1]
	v_mov_b32_e32 v23, v8
	v_pk_add_f32 v[8:9], v[22:23], v[12:13] neg_lo:[0,1] neg_hi:[0,1]
	v_mov_b32_e32 v30, v26
	v_pk_add_f32 v[12:13], v[30:31], v[8:9]
	s_nop 0
	v_mov_b32_e32 v22, v13
	v_pk_add_f32 v[22:23], v[12:13], v[22:23]
	s_nop 0
	v_pk_add_f32 v[14:15], v[14:15], v[22:23]
	v_mov_b32_e32 v9, v22
	v_mov_b32_e32 v13, v14
	v_pk_add_f32 v[24:25], v[12:13], v[26:27] neg_lo:[0,1] neg_hi:[0,1]
	s_nop 0
	v_sub_f32_e32 v12, v12, v24
	v_pk_add_f32 v[8:9], v[8:9], v[24:25] neg_lo:[0,1] neg_hi:[0,1]
	v_sub_f32_e32 v12, v26, v12
	v_add_f32_e32 v8, v8, v12
	v_add_f32_e32 v8, v8, v9
	;; [unrolled: 1-line block ×3, first 2 shown]
	v_cndmask_b32_e32 v92, v8, v32, vcc
.LBB86_99:                              ;   in Loop: Header=BB86_13 Depth=1
	s_or_b64 exec, exec, s[54:55]
	v_cvt_f32_f16_e32 v8, v10
	v_readlane_b32 s0, v95, 2
	s_nop 1
	v_add_f32_e32 v93, s0, v8
	v_cmp_ge_f32_e32 vcc, s6, v93
	s_and_b64 s[0:1], s[4:5], vcc
	s_and_saveexec_b64 s[54:55], s[0:1]
	s_cbranch_execz .LBB86_101
; %bb.100:                              ;   in Loop: Header=BB86_13 Depth=1
	v_mul_f32_e32 v8, 0x3fb8aa3b, v93
	v_rndne_f32_e32 v9, v8
	v_sub_f32_e32 v12, v8, v9
	v_fma_f32 v8, v93, s7, -v8
	v_fmac_f32_e32 v8, 0x32a5705f, v93
	v_add_f32_e32 v8, v12, v8
	v_cvt_i32_f32_e32 v9, v9
	v_exp_f32_e32 v8, v8
	v_cmp_ngt_f32_e32 vcc, s8, v93
	v_ldexp_f32 v8, v8, v9
	s_nop 0
	v_cndmask_b32_e32 v8, 0, v8, vcc
	v_cmp_nlt_f32_e32 vcc, s9, v93
	s_nop 1
	v_cndmask_b32_e32 v32, v41, v8, vcc
	v_add_f32_e32 v12, 1.0, v32
	v_add_f32_e32 v8, -1.0, v12
	v_sub_f32_e32 v9, v8, v12
	v_add_f32_e32 v9, 1.0, v9
	v_sub_f32_e32 v8, v32, v8
	v_add_f32_e32 v13, v8, v9
	v_frexp_mant_f32_e32 v14, v12
	v_cvt_f64_f32_e32 v[8:9], v12
	v_frexp_exp_i32_f64_e32 v8, v[8:9]
	v_cmp_gt_f32_e32 vcc, s11, v14
	v_cmp_gt_f32_e64 s[52:53], s57, v32
	s_nop 0
	v_subbrev_co_u32_e32 v24, vcc, 0, v8, vcc
	v_sub_u32_e32 v8, 0, v24
	v_ldexp_f32 v9, v12, v8
	v_add_f32_e32 v12, -1.0, v9
	v_add_f32_e32 v14, 1.0, v9
	v_ldexp_f32 v8, v13, v8
	v_add_f32_e32 v13, 1.0, v12
	v_add_f32_e32 v15, -1.0, v14
	v_sub_f32_e32 v13, v9, v13
	v_sub_f32_e32 v9, v9, v15
	v_add_f32_e32 v13, v8, v13
	v_add_f32_e32 v8, v8, v9
	;; [unrolled: 1-line block ×3, first 2 shown]
	v_rcp_f32_e32 v27, v25
	v_sub_f32_e32 v9, v14, v25
	v_add_f32_e32 v26, v8, v9
	v_add_f32_e32 v9, v12, v13
	v_mul_f32_e32 v29, v9, v27
	v_sub_f32_e32 v8, v12, v9
	v_mul_f32_e32 v12, v25, v29
	v_fma_f32 v14, v29, v25, -v12
	v_fmac_f32_e32 v14, v29, v26
	v_add_f32_e32 v28, v13, v8
	v_add_f32_e32 v8, v12, v14
	v_sub_f32_e32 v13, v9, v8
	v_pk_add_f32 v[22:23], v[8:9], v[12:13] neg_lo:[0,1] neg_hi:[0,1]
	v_mov_b32_e32 v15, v8
	v_pk_add_f32 v[8:9], v[22:23], v[14:15] neg_lo:[0,1] neg_hi:[0,1]
	v_cmp_eq_f32_e32 vcc, s10, v32
	v_add_f32_e32 v9, v28, v9
	v_add_f32_e32 v8, v8, v9
	;; [unrolled: 1-line block ×3, first 2 shown]
	v_mul_f32_e32 v28, v27, v9
	v_mul_f32_e32 v12, v25, v28
	v_fma_f32 v14, v28, v25, -v12
	v_fmac_f32_e32 v14, v28, v26
	v_sub_f32_e32 v13, v13, v9
	v_add_f32_e32 v25, v8, v13
	v_add_f32_e32 v8, v12, v14
	v_sub_f32_e32 v13, v9, v8
	v_pk_add_f32 v[22:23], v[8:9], v[12:13] neg_lo:[0,1] neg_hi:[0,1]
	v_mov_b32_e32 v15, v8
	v_pk_add_f32 v[8:9], v[22:23], v[14:15] neg_lo:[0,1] neg_hi:[0,1]
	s_or_b64 vcc, s[52:53], vcc
	v_add_f32_e32 v9, v25, v9
	v_add_f32_e32 v8, v8, v9
	;; [unrolled: 1-line block ×4, first 2 shown]
	v_sub_f32_e32 v12, v9, v29
	v_mul_f32_e32 v8, v27, v8
	v_sub_f32_e32 v12, v28, v12
	v_add_f32_e32 v12, v12, v8
	v_add_f32_e32 v14, v9, v12
	v_mul_f32_e32 v15, v14, v14
	v_fmamk_f32 v8, v15, 0x3e9b6dac, v40
	v_fmaak_f32 v43, v15, v8, 0x3f2aaada
	v_cvt_f32_i32_e32 v8, v24
	v_sub_f32_e32 v9, v14, v9
	v_sub_f32_e32 v9, v12, v9
	v_ldexp_f32 v22, v9, 1
	v_mul_f32_e32 v9, v14, v15
	v_ldexp_f32 v13, v14, 1
	v_pk_mul_f32 v[14:15], v[8:9], v[42:43]
	s_nop 0
	v_fma_f32 v12, v8, s56, -v14
	v_fmac_f32_e32 v12, 0xb102e308, v8
	v_pk_add_f32 v[8:9], v[14:15], v[12:13]
	s_nop 0
	v_sub_f32_e32 v13, v9, v13
	v_sub_f32_e32 v13, v15, v13
	v_add_f32_e32 v23, v22, v13
	v_mov_b32_e32 v22, v14
	v_pk_add_f32 v[14:15], v[8:9], v[14:15] neg_lo:[0,1] neg_hi:[0,1]
	v_pk_add_f32 v[24:25], v[8:9], v[22:23]
	v_mov_b32_e32 v13, v8
	v_mov_b32_e32 v15, v25
	v_pk_add_f32 v[26:27], v[12:13], v[14:15] neg_lo:[0,1] neg_hi:[0,1]
	v_pk_add_f32 v[12:13], v[12:13], v[14:15]
	v_mov_b32_e32 v22, v23
	v_mov_b32_e32 v14, v13
	v_pk_add_f32 v[28:29], v[14:15], v[8:9] neg_lo:[0,1] neg_hi:[0,1]
	v_mov_b32_e32 v12, v25
	v_mov_b32_e32 v15, v28
	v_pk_add_f32 v[30:31], v[24:25], v[14:15] neg_lo:[0,1] neg_hi:[0,1]
	v_mov_b32_e32 v24, v9
	v_mov_b32_e32 v25, v28
	;; [unrolled: 1-line block ×3, first 2 shown]
	v_pk_add_f32 v[12:13], v[12:13], v[24:25] neg_lo:[0,1] neg_hi:[0,1]
	v_mov_b32_e32 v23, v8
	v_pk_add_f32 v[8:9], v[22:23], v[12:13] neg_lo:[0,1] neg_hi:[0,1]
	v_mov_b32_e32 v30, v26
	v_pk_add_f32 v[12:13], v[30:31], v[8:9]
	s_nop 0
	v_mov_b32_e32 v22, v13
	v_pk_add_f32 v[22:23], v[12:13], v[22:23]
	s_nop 0
	v_pk_add_f32 v[14:15], v[14:15], v[22:23]
	v_mov_b32_e32 v9, v22
	v_mov_b32_e32 v13, v14
	v_pk_add_f32 v[24:25], v[12:13], v[26:27] neg_lo:[0,1] neg_hi:[0,1]
	s_nop 0
	v_sub_f32_e32 v12, v12, v24
	v_pk_add_f32 v[8:9], v[8:9], v[24:25] neg_lo:[0,1] neg_hi:[0,1]
	v_sub_f32_e32 v12, v26, v12
	v_add_f32_e32 v8, v8, v12
	v_add_f32_e32 v8, v8, v9
	;; [unrolled: 1-line block ×3, first 2 shown]
	v_cndmask_b32_e32 v93, v8, v32, vcc
.LBB86_101:                             ;   in Loop: Header=BB86_13 Depth=1
	s_or_b64 exec, exec, s[54:55]
	v_cvt_f32_f16_sdwa v8, v10 dst_sel:DWORD dst_unused:UNUSED_PAD src0_sel:WORD_1
	v_readlane_b32 s0, v95, 2
	s_nop 1
	v_add_f32_e32 v94, s0, v8
	v_cmp_ge_f32_e32 vcc, s6, v94
	s_and_b64 s[0:1], s[4:5], vcc
	s_and_saveexec_b64 s[54:55], s[0:1]
	s_cbranch_execz .LBB86_103
; %bb.102:                              ;   in Loop: Header=BB86_13 Depth=1
	v_mul_f32_e32 v8, 0x3fb8aa3b, v94
	v_rndne_f32_e32 v9, v8
	v_sub_f32_e32 v10, v8, v9
	v_fma_f32 v8, v94, s7, -v8
	v_fmac_f32_e32 v8, 0x32a5705f, v94
	v_add_f32_e32 v8, v10, v8
	v_cvt_i32_f32_e32 v9, v9
	v_exp_f32_e32 v8, v8
	v_cmp_ngt_f32_e32 vcc, s8, v94
	v_ldexp_f32 v8, v8, v9
	s_nop 0
	v_cndmask_b32_e32 v8, 0, v8, vcc
	v_cmp_nlt_f32_e32 vcc, s9, v94
	s_nop 1
	v_cndmask_b32_e32 v30, v41, v8, vcc
	v_add_f32_e32 v10, 1.0, v30
	v_add_f32_e32 v8, -1.0, v10
	v_sub_f32_e32 v9, v8, v10
	v_add_f32_e32 v9, 1.0, v9
	v_sub_f32_e32 v8, v30, v8
	v_add_f32_e32 v12, v8, v9
	v_frexp_mant_f32_e32 v13, v10
	v_cvt_f64_f32_e32 v[8:9], v10
	v_frexp_exp_i32_f64_e32 v8, v[8:9]
	v_cmp_gt_f32_e32 vcc, s11, v13
	v_cmp_gt_f32_e64 s[52:53], s57, v30
	s_nop 0
	v_subbrev_co_u32_e32 v24, vcc, 0, v8, vcc
	v_sub_u32_e32 v8, 0, v24
	v_ldexp_f32 v9, v10, v8
	v_add_f32_e32 v10, -1.0, v9
	v_add_f32_e32 v13, 1.0, v9
	v_ldexp_f32 v8, v12, v8
	v_add_f32_e32 v12, 1.0, v10
	v_add_f32_e32 v14, -1.0, v13
	v_sub_f32_e32 v12, v9, v12
	v_sub_f32_e32 v9, v9, v14
	v_add_f32_e32 v12, v8, v12
	v_add_f32_e32 v8, v8, v9
	;; [unrolled: 1-line block ×3, first 2 shown]
	v_rcp_f32_e32 v27, v25
	v_sub_f32_e32 v9, v13, v25
	v_add_f32_e32 v26, v8, v9
	v_add_f32_e32 v9, v10, v12
	v_sub_f32_e32 v8, v10, v9
	v_mul_f32_e32 v28, v9, v27
	v_add_f32_e32 v10, v12, v8
	v_mul_f32_e32 v12, v25, v28
	v_fma_f32 v14, v28, v25, -v12
	v_fmac_f32_e32 v14, v28, v26
	v_add_f32_e32 v8, v12, v14
	v_sub_f32_e32 v13, v9, v8
	v_pk_add_f32 v[22:23], v[8:9], v[12:13] neg_lo:[0,1] neg_hi:[0,1]
	v_mov_b32_e32 v15, v8
	v_pk_add_f32 v[8:9], v[22:23], v[14:15] neg_lo:[0,1] neg_hi:[0,1]
	v_cmp_eq_f32_e32 vcc, s10, v30
	v_add_f32_e32 v9, v10, v9
	v_add_f32_e32 v8, v8, v9
	;; [unrolled: 1-line block ×3, first 2 shown]
	v_mul_f32_e32 v10, v27, v9
	v_mul_f32_e32 v12, v25, v10
	v_fma_f32 v14, v10, v25, -v12
	v_fmac_f32_e32 v14, v10, v26
	v_sub_f32_e32 v13, v13, v9
	v_add_f32_e32 v25, v8, v13
	v_add_f32_e32 v8, v12, v14
	v_sub_f32_e32 v13, v9, v8
	v_pk_add_f32 v[22:23], v[8:9], v[12:13] neg_lo:[0,1] neg_hi:[0,1]
	v_mov_b32_e32 v15, v8
	v_pk_add_f32 v[8:9], v[22:23], v[14:15] neg_lo:[0,1] neg_hi:[0,1]
	s_or_b64 vcc, s[52:53], vcc
	v_add_f32_e32 v9, v25, v9
	v_add_f32_e32 v8, v8, v9
	v_add_f32_e32 v9, v28, v10
	v_add_f32_e32 v8, v13, v8
	v_sub_f32_e32 v12, v9, v28
	v_mul_f32_e32 v8, v27, v8
	v_sub_f32_e32 v10, v10, v12
	v_add_f32_e32 v10, v10, v8
	v_add_f32_e32 v12, v9, v10
	v_mul_f32_e32 v14, v12, v12
	v_fmamk_f32 v8, v14, 0x3e9b6dac, v40
	v_fmaak_f32 v43, v14, v8, 0x3f2aaada
	v_cvt_f32_i32_e32 v8, v24
	v_sub_f32_e32 v9, v12, v9
	v_sub_f32_e32 v9, v10, v9
	v_ldexp_f32 v10, v9, 1
	v_mul_f32_e32 v9, v12, v14
	v_pk_mul_f32 v[14:15], v[8:9], v[42:43]
	v_ldexp_f32 v13, v12, 1
	v_fma_f32 v12, v8, s56, -v14
	v_fmac_f32_e32 v12, 0xb102e308, v8
	v_pk_add_f32 v[8:9], v[14:15], v[12:13]
	v_mov_b32_e32 v22, v14
	v_sub_f32_e32 v13, v9, v13
	v_sub_f32_e32 v13, v15, v13
	v_add_f32_e32 v23, v10, v13
	v_pk_add_f32 v[14:15], v[8:9], v[14:15] neg_lo:[0,1] neg_hi:[0,1]
	v_pk_add_f32 v[24:25], v[8:9], v[22:23]
	v_mov_b32_e32 v13, v8
	v_mov_b32_e32 v15, v25
	v_pk_add_f32 v[26:27], v[12:13], v[14:15] neg_lo:[0,1] neg_hi:[0,1]
	v_pk_add_f32 v[12:13], v[12:13], v[14:15]
	s_nop 0
	v_mov_b32_e32 v10, v13
	v_pk_add_f32 v[14:15], v[10:11], v[8:9] neg_lo:[0,1] neg_hi:[0,1]
	v_mov_b32_e32 v12, v25
	v_mov_b32_e32 v15, v14
	v_pk_add_f32 v[28:29], v[24:25], v[14:15] neg_lo:[0,1] neg_hi:[0,1]
	v_mov_b32_e32 v24, v9
	v_mov_b32_e32 v25, v14
	;; [unrolled: 1-line block ×3, first 2 shown]
	v_pk_add_f32 v[12:13], v[12:13], v[24:25] neg_lo:[0,1] neg_hi:[0,1]
	v_mov_b32_e32 v14, v23
	v_mov_b32_e32 v15, v8
	v_pk_add_f32 v[8:9], v[14:15], v[12:13] neg_lo:[0,1] neg_hi:[0,1]
	v_mov_b32_e32 v28, v26
	v_pk_add_f32 v[12:13], v[28:29], v[8:9]
	s_nop 0
	v_mov_b32_e32 v14, v13
	v_pk_add_f32 v[14:15], v[12:13], v[14:15]
	s_nop 0
	v_pk_add_f32 v[22:23], v[10:11], v[14:15]
	v_mov_b32_e32 v9, v14
	v_mov_b32_e32 v13, v22
	v_pk_add_f32 v[24:25], v[12:13], v[26:27] neg_lo:[0,1] neg_hi:[0,1]
	s_nop 0
	v_sub_f32_e32 v10, v12, v24
	v_pk_add_f32 v[8:9], v[8:9], v[24:25] neg_lo:[0,1] neg_hi:[0,1]
	v_sub_f32_e32 v10, v26, v10
	v_add_f32_e32 v8, v8, v10
	v_add_f32_e32 v8, v8, v9
	;; [unrolled: 1-line block ×3, first 2 shown]
	v_cndmask_b32_e32 v94, v8, v30, vcc
.LBB86_103:                             ;   in Loop: Header=BB86_13 Depth=1
	s_or_b64 exec, exec, s[54:55]
	v_cvt_f32_f16_e32 v8, v11
	v_readlane_b32 s0, v95, 2
	s_nop 1
	v_add_f32_e32 v56, s0, v8
	v_cmp_ge_f32_e32 vcc, s6, v56
	s_and_b64 s[0:1], s[4:5], vcc
	s_and_saveexec_b64 s[54:55], s[0:1]
	s_cbranch_execz .LBB86_105
; %bb.104:                              ;   in Loop: Header=BB86_13 Depth=1
	v_mul_f32_e32 v8, 0x3fb8aa3b, v56
	v_rndne_f32_e32 v9, v8
	v_sub_f32_e32 v10, v8, v9
	v_fma_f32 v8, v56, s7, -v8
	v_fmac_f32_e32 v8, 0x32a5705f, v56
	v_add_f32_e32 v8, v10, v8
	v_cvt_i32_f32_e32 v9, v9
	v_exp_f32_e32 v8, v8
	v_cmp_ngt_f32_e32 vcc, s8, v56
	v_ldexp_f32 v8, v8, v9
	s_nop 0
	v_cndmask_b32_e32 v8, 0, v8, vcc
	v_cmp_nlt_f32_e32 vcc, s9, v56
	s_nop 1
	v_cndmask_b32_e32 v30, v41, v8, vcc
	v_add_f32_e32 v10, 1.0, v30
	v_add_f32_e32 v8, -1.0, v10
	v_sub_f32_e32 v9, v8, v10
	v_add_f32_e32 v9, 1.0, v9
	v_sub_f32_e32 v8, v30, v8
	v_add_f32_e32 v12, v8, v9
	v_frexp_mant_f32_e32 v13, v10
	v_cvt_f64_f32_e32 v[8:9], v10
	v_frexp_exp_i32_f64_e32 v8, v[8:9]
	v_cmp_gt_f32_e32 vcc, s11, v13
	v_cmp_gt_f32_e64 s[52:53], s57, v30
	s_nop 0
	v_subbrev_co_u32_e32 v24, vcc, 0, v8, vcc
	v_sub_u32_e32 v8, 0, v24
	v_ldexp_f32 v9, v10, v8
	v_add_f32_e32 v10, -1.0, v9
	v_add_f32_e32 v13, 1.0, v9
	v_ldexp_f32 v8, v12, v8
	v_add_f32_e32 v12, 1.0, v10
	v_add_f32_e32 v14, -1.0, v13
	v_sub_f32_e32 v12, v9, v12
	v_sub_f32_e32 v9, v9, v14
	v_add_f32_e32 v12, v8, v12
	v_add_f32_e32 v8, v8, v9
	;; [unrolled: 1-line block ×3, first 2 shown]
	v_rcp_f32_e32 v27, v25
	v_sub_f32_e32 v9, v13, v25
	v_add_f32_e32 v26, v8, v9
	v_add_f32_e32 v9, v10, v12
	v_sub_f32_e32 v8, v10, v9
	v_mul_f32_e32 v28, v9, v27
	v_add_f32_e32 v10, v12, v8
	v_mul_f32_e32 v12, v25, v28
	v_fma_f32 v14, v28, v25, -v12
	v_fmac_f32_e32 v14, v28, v26
	v_add_f32_e32 v8, v12, v14
	v_sub_f32_e32 v13, v9, v8
	v_pk_add_f32 v[22:23], v[8:9], v[12:13] neg_lo:[0,1] neg_hi:[0,1]
	v_mov_b32_e32 v15, v8
	v_pk_add_f32 v[8:9], v[22:23], v[14:15] neg_lo:[0,1] neg_hi:[0,1]
	v_cmp_eq_f32_e32 vcc, s10, v30
	v_add_f32_e32 v9, v10, v9
	v_add_f32_e32 v8, v8, v9
	;; [unrolled: 1-line block ×3, first 2 shown]
	v_mul_f32_e32 v10, v27, v9
	v_mul_f32_e32 v12, v25, v10
	v_fma_f32 v14, v10, v25, -v12
	v_fmac_f32_e32 v14, v10, v26
	v_sub_f32_e32 v13, v13, v9
	v_add_f32_e32 v25, v8, v13
	v_add_f32_e32 v8, v12, v14
	v_sub_f32_e32 v13, v9, v8
	v_pk_add_f32 v[22:23], v[8:9], v[12:13] neg_lo:[0,1] neg_hi:[0,1]
	v_mov_b32_e32 v15, v8
	v_pk_add_f32 v[8:9], v[22:23], v[14:15] neg_lo:[0,1] neg_hi:[0,1]
	s_or_b64 vcc, s[52:53], vcc
	v_add_f32_e32 v9, v25, v9
	v_add_f32_e32 v8, v8, v9
	;; [unrolled: 1-line block ×4, first 2 shown]
	v_sub_f32_e32 v12, v9, v28
	v_mul_f32_e32 v8, v27, v8
	v_sub_f32_e32 v10, v10, v12
	v_add_f32_e32 v10, v10, v8
	v_add_f32_e32 v12, v9, v10
	v_mul_f32_e32 v14, v12, v12
	v_fmamk_f32 v8, v14, 0x3e9b6dac, v40
	v_fmaak_f32 v43, v14, v8, 0x3f2aaada
	v_cvt_f32_i32_e32 v8, v24
	v_sub_f32_e32 v9, v12, v9
	v_sub_f32_e32 v9, v10, v9
	v_ldexp_f32 v10, v9, 1
	v_mul_f32_e32 v9, v12, v14
	v_pk_mul_f32 v[14:15], v[8:9], v[42:43]
	v_ldexp_f32 v13, v12, 1
	v_fma_f32 v12, v8, s56, -v14
	v_fmac_f32_e32 v12, 0xb102e308, v8
	v_pk_add_f32 v[8:9], v[14:15], v[12:13]
	v_mov_b32_e32 v22, v14
	v_sub_f32_e32 v13, v9, v13
	v_sub_f32_e32 v13, v15, v13
	v_add_f32_e32 v23, v10, v13
	v_pk_add_f32 v[14:15], v[8:9], v[14:15] neg_lo:[0,1] neg_hi:[0,1]
	v_pk_add_f32 v[24:25], v[8:9], v[22:23]
	v_mov_b32_e32 v13, v8
	v_mov_b32_e32 v15, v25
	v_pk_add_f32 v[26:27], v[12:13], v[14:15] neg_lo:[0,1] neg_hi:[0,1]
	v_pk_add_f32 v[12:13], v[12:13], v[14:15]
	s_nop 0
	v_mov_b32_e32 v10, v13
	v_pk_add_f32 v[14:15], v[10:11], v[8:9] neg_lo:[0,1] neg_hi:[0,1]
	v_mov_b32_e32 v12, v25
	v_mov_b32_e32 v15, v14
	v_pk_add_f32 v[28:29], v[24:25], v[14:15] neg_lo:[0,1] neg_hi:[0,1]
	v_mov_b32_e32 v24, v9
	v_mov_b32_e32 v25, v14
	;; [unrolled: 1-line block ×3, first 2 shown]
	v_pk_add_f32 v[12:13], v[12:13], v[24:25] neg_lo:[0,1] neg_hi:[0,1]
	v_mov_b32_e32 v14, v23
	v_mov_b32_e32 v15, v8
	v_pk_add_f32 v[8:9], v[14:15], v[12:13] neg_lo:[0,1] neg_hi:[0,1]
	v_mov_b32_e32 v28, v26
	v_pk_add_f32 v[12:13], v[28:29], v[8:9]
	s_nop 0
	v_mov_b32_e32 v14, v13
	v_pk_add_f32 v[14:15], v[12:13], v[14:15]
	s_nop 0
	v_pk_add_f32 v[22:23], v[10:11], v[14:15]
	v_mov_b32_e32 v9, v14
	v_mov_b32_e32 v13, v22
	v_pk_add_f32 v[24:25], v[12:13], v[26:27] neg_lo:[0,1] neg_hi:[0,1]
	s_nop 0
	v_sub_f32_e32 v10, v12, v24
	v_pk_add_f32 v[8:9], v[8:9], v[24:25] neg_lo:[0,1] neg_hi:[0,1]
	v_sub_f32_e32 v10, v26, v10
	v_add_f32_e32 v8, v8, v10
	v_add_f32_e32 v8, v8, v9
	;; [unrolled: 1-line block ×3, first 2 shown]
	v_cndmask_b32_e32 v56, v8, v30, vcc
.LBB86_105:                             ;   in Loop: Header=BB86_13 Depth=1
	s_or_b64 exec, exec, s[54:55]
	v_cvt_f32_f16_sdwa v8, v11 dst_sel:DWORD dst_unused:UNUSED_PAD src0_sel:WORD_1
	v_readlane_b32 s0, v95, 2
	s_nop 1
	v_add_f32_e32 v23, s0, v8
	v_cmp_ge_f32_e32 vcc, s6, v23
	s_and_b64 s[0:1], s[4:5], vcc
	s_and_saveexec_b64 s[54:55], s[0:1]
	s_cbranch_execz .LBB86_107
; %bb.106:                              ;   in Loop: Header=BB86_13 Depth=1
	v_mul_f32_e32 v8, 0x3fb8aa3b, v23
	v_rndne_f32_e32 v9, v8
	v_sub_f32_e32 v10, v8, v9
	v_fma_f32 v8, v23, s7, -v8
	v_fmac_f32_e32 v8, 0x32a5705f, v23
	v_add_f32_e32 v8, v10, v8
	v_cvt_i32_f32_e32 v9, v9
	v_exp_f32_e32 v8, v8
	v_cmp_ngt_f32_e32 vcc, s8, v23
	v_ldexp_f32 v8, v8, v9
	s_nop 0
	v_cndmask_b32_e32 v8, 0, v8, vcc
	v_cmp_nlt_f32_e32 vcc, s9, v23
	s_nop 1
	v_cndmask_b32_e32 v30, v41, v8, vcc
	v_add_f32_e32 v10, 1.0, v30
	v_add_f32_e32 v8, -1.0, v10
	v_sub_f32_e32 v9, v8, v10
	v_add_f32_e32 v9, 1.0, v9
	v_sub_f32_e32 v8, v30, v8
	v_add_f32_e32 v11, v8, v9
	v_frexp_mant_f32_e32 v12, v10
	v_cvt_f64_f32_e32 v[8:9], v10
	v_frexp_exp_i32_f64_e32 v8, v[8:9]
	v_cmp_gt_f32_e32 vcc, s11, v12
	v_cmp_gt_f32_e64 s[52:53], s57, v30
	s_nop 0
	v_subbrev_co_u32_e32 v22, vcc, 0, v8, vcc
	v_sub_u32_e32 v8, 0, v22
	v_ldexp_f32 v9, v10, v8
	v_add_f32_e32 v10, -1.0, v9
	v_add_f32_e32 v12, 1.0, v9
	v_ldexp_f32 v8, v11, v8
	v_add_f32_e32 v11, 1.0, v10
	v_add_f32_e32 v13, -1.0, v12
	v_sub_f32_e32 v11, v9, v11
	v_sub_f32_e32 v9, v9, v13
	v_add_f32_e32 v11, v8, v11
	v_add_f32_e32 v8, v8, v9
	;; [unrolled: 1-line block ×3, first 2 shown]
	v_rcp_f32_e32 v25, v23
	v_sub_f32_e32 v9, v12, v23
	v_add_f32_e32 v24, v8, v9
	v_add_f32_e32 v9, v10, v11
	v_mul_f32_e32 v27, v9, v25
	v_sub_f32_e32 v8, v10, v9
	v_mul_f32_e32 v10, v23, v27
	v_fma_f32 v12, v27, v23, -v10
	v_fmac_f32_e32 v12, v27, v24
	v_add_f32_e32 v26, v11, v8
	v_add_f32_e32 v8, v10, v12
	v_sub_f32_e32 v11, v9, v8
	v_pk_add_f32 v[14:15], v[8:9], v[10:11] neg_lo:[0,1] neg_hi:[0,1]
	v_mov_b32_e32 v13, v8
	v_pk_add_f32 v[8:9], v[14:15], v[12:13] neg_lo:[0,1] neg_hi:[0,1]
	v_cmp_eq_f32_e32 vcc, s10, v30
	v_add_f32_e32 v9, v26, v9
	v_add_f32_e32 v8, v8, v9
	;; [unrolled: 1-line block ×3, first 2 shown]
	v_mul_f32_e32 v26, v25, v9
	v_mul_f32_e32 v10, v23, v26
	v_fma_f32 v12, v26, v23, -v10
	v_fmac_f32_e32 v12, v26, v24
	v_sub_f32_e32 v11, v11, v9
	v_add_f32_e32 v23, v8, v11
	v_add_f32_e32 v8, v10, v12
	v_sub_f32_e32 v11, v9, v8
	v_pk_add_f32 v[14:15], v[8:9], v[10:11] neg_lo:[0,1] neg_hi:[0,1]
	v_mov_b32_e32 v13, v8
	v_pk_add_f32 v[8:9], v[14:15], v[12:13] neg_lo:[0,1] neg_hi:[0,1]
	s_or_b64 vcc, s[52:53], vcc
	v_add_f32_e32 v9, v23, v9
	v_add_f32_e32 v8, v8, v9
	;; [unrolled: 1-line block ×4, first 2 shown]
	v_sub_f32_e32 v10, v9, v27
	v_mul_f32_e32 v8, v25, v8
	v_sub_f32_e32 v10, v26, v10
	v_add_f32_e32 v10, v10, v8
	v_add_f32_e32 v12, v9, v10
	v_mul_f32_e32 v13, v12, v12
	v_fmamk_f32 v8, v13, 0x3e9b6dac, v40
	v_fmaak_f32 v43, v13, v8, 0x3f2aaada
	v_cvt_f32_i32_e32 v8, v22
	v_sub_f32_e32 v9, v12, v9
	v_sub_f32_e32 v9, v10, v9
	v_ldexp_f32 v14, v9, 1
	v_mul_f32_e32 v9, v12, v13
	v_ldexp_f32 v11, v12, 1
	v_pk_mul_f32 v[12:13], v[8:9], v[42:43]
	s_nop 0
	v_fma_f32 v10, v8, s56, -v12
	v_fmac_f32_e32 v10, 0xb102e308, v8
	v_pk_add_f32 v[8:9], v[12:13], v[10:11]
	s_nop 0
	v_sub_f32_e32 v11, v9, v11
	v_sub_f32_e32 v11, v13, v11
	v_add_f32_e32 v15, v14, v11
	v_mov_b32_e32 v14, v12
	v_pk_add_f32 v[12:13], v[8:9], v[12:13] neg_lo:[0,1] neg_hi:[0,1]
	v_pk_add_f32 v[22:23], v[8:9], v[14:15]
	v_mov_b32_e32 v11, v8
	v_mov_b32_e32 v13, v23
	v_pk_add_f32 v[24:25], v[10:11], v[12:13] neg_lo:[0,1] neg_hi:[0,1]
	v_pk_add_f32 v[10:11], v[10:11], v[12:13]
	v_mov_b32_e32 v14, v15
	v_mov_b32_e32 v12, v11
	v_pk_add_f32 v[26:27], v[12:13], v[8:9] neg_lo:[0,1] neg_hi:[0,1]
	v_mov_b32_e32 v10, v23
	v_mov_b32_e32 v13, v26
	v_pk_add_f32 v[28:29], v[22:23], v[12:13] neg_lo:[0,1] neg_hi:[0,1]
	v_mov_b32_e32 v22, v9
	v_mov_b32_e32 v23, v26
	;; [unrolled: 1-line block ×3, first 2 shown]
	v_pk_add_f32 v[10:11], v[10:11], v[22:23] neg_lo:[0,1] neg_hi:[0,1]
	v_mov_b32_e32 v15, v8
	v_pk_add_f32 v[8:9], v[14:15], v[10:11] neg_lo:[0,1] neg_hi:[0,1]
	v_mov_b32_e32 v28, v24
	v_pk_add_f32 v[10:11], v[28:29], v[8:9]
	s_nop 0
	v_mov_b32_e32 v14, v11
	v_pk_add_f32 v[14:15], v[10:11], v[14:15]
	s_nop 0
	v_pk_add_f32 v[12:13], v[12:13], v[14:15]
	v_mov_b32_e32 v9, v14
	v_mov_b32_e32 v11, v12
	v_pk_add_f32 v[22:23], v[10:11], v[24:25] neg_lo:[0,1] neg_hi:[0,1]
	s_nop 0
	v_sub_f32_e32 v10, v10, v22
	v_pk_add_f32 v[8:9], v[8:9], v[22:23] neg_lo:[0,1] neg_hi:[0,1]
	v_sub_f32_e32 v10, v24, v10
	v_add_f32_e32 v8, v8, v10
	v_add_f32_e32 v8, v8, v9
	v_add_f32_e32 v8, v12, v8
	v_cndmask_b32_e32 v23, v8, v30, vcc
.LBB86_107:                             ;   in Loop: Header=BB86_13 Depth=1
	s_or_b64 exec, exec, s[54:55]
	v_cvt_f32_f16_e32 v8, v7
	v_cvt_f32_f16_sdwa v9, v6 dst_sel:DWORD dst_unused:UNUSED_PAD src0_sel:WORD_1
	v_cvt_f32_f16_e32 v6, v6
	v_cvt_f32_f16_sdwa v11, v7 dst_sel:DWORD dst_unused:UNUSED_PAD src0_sel:WORD_1
	v_cvt_f32_f16_sdwa v7, v5 dst_sel:DWORD dst_unused:UNUSED_PAD src0_sel:WORD_1
	v_cvt_f32_f16_e32 v5, v5
	v_cvt_f32_f16_sdwa v10, v4 dst_sel:DWORD dst_unused:UNUSED_PAD src0_sel:WORD_1
	v_cvt_f32_f16_e32 v4, v4
	;; [unrolled: 2-line block ×6, first 2 shown]
	v_readlane_b32 s0, v95, 3
	s_waitcnt lgkmcnt(0)
	; wave barrier
	s_nop 0
	v_mul_f32_e32 v24, s0, v8
	v_mul_f32_e32 v27, s0, v9
	;; [unrolled: 1-line block ×16, first 2 shown]
	v_readlane_b32 s0, v95, 30
	v_readlane_b32 s1, v95, 31
	s_and_b64 vcc, exec, s[0:1]
	s_cbranch_vccz .LBB86_200
; %bb.108:                              ;   in Loop: Header=BB86_13 Depth=1
	v_mul_f32_e32 v78, v70, v0
	scratch_load_dword v0, off, off offset:248 ; 4-byte Folded Reload
	v_readlane_b32 s0, v95, 7
	v_readlane_b32 s1, v95, 8
	scratch_store_dwordx2 off, v[42:43], off offset:164 ; 8-byte Folded Spill
	v_mul_f32_e32 v8, v56, v8
	v_lshl_add_u64 v[40:41], s[0:1], 0, v[16:17]
	v_readlane_b32 s0, v95, 21
	v_readlane_b32 s1, v95, 22
	v_mul_f32_e32 v6, v93, v6
	v_mul_f32_e32 v5, v91, v5
	v_lshl_add_u64 v[42:43], s[0:1], 0, v[16:17]
	v_readlane_b32 s1, v95, 51
	s_cmp_lg_u32 s1, 0
	v_readlane_b32 s0, v95, 44
	s_cselect_b64 s[86:87], -1, 0
	s_cmp_eq_u32 s1, s0
	v_readlane_b32 s0, v95, 33
	v_readlane_b32 s1, v95, 34
	s_cselect_b64 s[90:91], -1, 0
	s_mov_b32 s92, 0
	v_mul_f32_e32 v11, v23, v11
	scratch_store_dword off, v8, off offset:72 ; 4-byte Folded Spill
	v_mul_f32_e32 v8, v94, v9
	scratch_store_dword off, v6, off offset:80 ; 4-byte Folded Spill
	;; [unrolled: 2-line block ×3, first 2 shown]
	v_mul_f32_e32 v5, v90, v10
	v_mul_f32_e32 v63, v89, v4
	;; [unrolled: 1-line block ×9, first 2 shown]
	s_mov_b32 s96, s92
	s_mov_b32 s94, s92
	;; [unrolled: 1-line block ×3, first 2 shown]
	scratch_store_dword off, v11, off offset:68 ; 4-byte Folded Spill
	scratch_store_dword off, v8, off offset:76 ; 4-byte Folded Spill
	;; [unrolled: 1-line block ×4, first 2 shown]
	s_waitcnt vmcnt(8)
	v_cmp_gt_u32_e32 vcc, s82, v0
	scratch_load_dword v0, off, off offset:252 ; 4-byte Folded Reload
	s_or_b64 s[52:53], s[0:1], vcc
	s_waitcnt vmcnt(0)
	v_cmp_gt_u32_e32 vcc, s82, v0
	scratch_load_dword v0, off, off offset:256 ; 4-byte Folded Reload
	s_or_b64 s[54:55], s[0:1], vcc
	s_waitcnt vmcnt(0)
	v_cmp_gt_u32_e32 vcc, s82, v0
	scratch_load_dword v0, off, off offset:260 ; 4-byte Folded Reload
	s_or_b64 s[56:57], s[0:1], vcc
	s_waitcnt vmcnt(0)
	v_cmp_gt_u32_e32 vcc, s82, v0
	scratch_load_dword v0, off, off offset:264 ; 4-byte Folded Reload
	s_or_b64 s[58:59], s[0:1], vcc
	s_waitcnt vmcnt(0)
	v_cmp_gt_u32_e32 vcc, s82, v0
	scratch_load_dword v0, off, off offset:268 ; 4-byte Folded Reload
	s_or_b64 s[60:61], s[0:1], vcc
	s_waitcnt vmcnt(0)
	v_cmp_gt_u32_e32 vcc, s82, v0
	scratch_load_dword v0, off, off offset:272 ; 4-byte Folded Reload
	s_or_b64 s[62:63], s[0:1], vcc
	s_waitcnt vmcnt(0)
	v_cmp_gt_u32_e32 vcc, s82, v0
	scratch_load_dword v0, off, off offset:276 ; 4-byte Folded Reload
	s_or_b64 s[64:65], s[0:1], vcc
	s_waitcnt vmcnt(0)
	v_cmp_gt_u32_e32 vcc, s82, v0
	scratch_load_dword v0, off, off offset:280 ; 4-byte Folded Reload
	s_or_b64 s[66:67], s[0:1], vcc
	s_waitcnt vmcnt(0)
	v_cmp_gt_u32_e32 vcc, s82, v0
	scratch_load_dword v0, off, off offset:284 ; 4-byte Folded Reload
	s_or_b64 s[68:69], s[0:1], vcc
	s_waitcnt vmcnt(0)
	v_cmp_gt_u32_e32 vcc, s82, v0
	scratch_load_dword v0, off, off offset:288 ; 4-byte Folded Reload
	s_or_b64 s[70:71], s[0:1], vcc
	s_waitcnt vmcnt(0)
	v_cmp_gt_u32_e32 vcc, s82, v0
	scratch_load_dword v0, off, off offset:292 ; 4-byte Folded Reload
	s_or_b64 s[72:73], s[0:1], vcc
	s_waitcnt vmcnt(0)
	v_cmp_gt_u32_e32 vcc, s82, v0
	scratch_load_dword v0, off, off offset:296 ; 4-byte Folded Reload
	s_or_b64 s[74:75], s[0:1], vcc
	s_waitcnt vmcnt(0)
	v_cmp_gt_u32_e32 vcc, s82, v0
	scratch_load_dword v0, off, off offset:300 ; 4-byte Folded Reload
	s_or_b64 s[76:77], s[0:1], vcc
	s_waitcnt vmcnt(0)
	v_cmp_gt_u32_e32 vcc, s82, v0
	scratch_load_dword v0, off, off offset:304 ; 4-byte Folded Reload
	s_or_b64 s[78:79], s[0:1], vcc
	s_waitcnt vmcnt(0)
	v_cmp_gt_u32_e32 vcc, s82, v0
	scratch_load_dword v0, off, off offset:308 ; 4-byte Folded Reload
	s_or_b64 s[80:81], s[0:1], vcc
	s_waitcnt vmcnt(0)
	v_cmp_gt_u32_e32 vcc, s82, v0
	s_or_b64 s[82:83], s[0:1], vcc
	v_readlane_b32 s0, v95, 29
	v_readlane_b32 s1, v95, 47
	s_branch .LBB86_110
.LBB86_109:                             ;   in Loop: Header=BB86_110 Depth=2
	s_or_b64 exec, exec, s[84:85]
	v_mul_f32_e32 v44, v79, v60
	v_fma_f32 v45, v79, v61, v8
	v_cndmask_b32_e64 v8, v45, v8, s[16:17]
	v_cndmask_b32_e64 v44, v44, v79, s[16:17]
	s_waitcnt lgkmcnt(0)
	v_fmac_f32_e32 v8, v54, v44
	v_fmac_f32_e32 v9, v8, v80
	;; [unrolled: 1-line block ×13, first 2 shown]
	v_readlane_b32 s4, v95, 23
	v_fmac_f32_e32 v47, v46, v16
	v_readlane_b32 s5, v95, 24
	v_readlane_b32 s6, v95, 25
	;; [unrolled: 1-line block ×3, first 2 shown]
	v_fmac_f32_e32 v52, v47, v58
	s_add_i32 s98, s98, s6
	v_readlane_b32 s4, v95, 17
	v_fmac_f32_e32 v53, v52, v59
	v_cvt_f32_f16_sdwa v45, v4 dst_sel:DWORD dst_unused:UNUSED_PAD src0_sel:WORD_1
	v_cvt_f32_f16_sdwa v55, v5 dst_sel:DWORD dst_unused:UNUSED_PAD src0_sel:WORD_1
	v_cvt_f32_f16_e32 v44, v4
	v_cvt_f32_f16_e32 v54, v5
	v_cvt_f32_f16_sdwa v5, v6 dst_sel:DWORD dst_unused:UNUSED_PAD src0_sel:WORD_1
	v_cvt_f32_f16_sdwa v59, v7 dst_sel:DWORD dst_unused:UNUSED_PAD src0_sel:WORD_1
	v_cvt_f32_f16_e32 v4, v6
	v_cvt_f32_f16_e32 v58, v7
	;; [unrolled: 4-line block ×4, first 2 shown]
	v_readlane_b32 s5, v95, 18
	v_readlane_b32 s6, v95, 19
	;; [unrolled: 1-line block ×3, first 2 shown]
	s_add_i32 s94, s94, s4
	v_readlane_b32 s4, v95, 9
	v_readlane_b32 s5, v95, 10
	;; [unrolled: 1-line block ×3, first 2 shown]
	s_add_i32 s1, s1, 8
	s_add_i32 s0, s0, -1
	s_add_i32 s96, s96, s8
	s_add_i32 s92, s92, s5
	v_pk_fma_f32 v[36:37], v[10:11], v[54:55], v[36:37]
	v_pk_fma_f32 v[38:39], v[8:9], v[44:45], v[38:39]
	;; [unrolled: 1-line block ×7, first 2 shown]
	s_cmp_eq_u32 s0, 0
	v_pk_fma_f32 v[26:27], v[46:47], v[0:1], v[26:27]
	v_readlane_b32 s6, v95, 11
	v_readlane_b32 s7, v95, 12
	;; [unrolled: 1-line block ×5, first 2 shown]
	s_cbranch_scc1 .LBB86_199
.LBB86_110:                             ;   Parent Loop BB86_13 Depth=1
                                        ; =>  This Inner Loop Header: Depth=2
	s_lshl_b64 s[84:85], s[92:93], 2
	s_add_u32 s84, s99, s84
	v_readlane_b32 s4, v95, 6
	s_addc_u32 s85, s4, s85
	global_load_dword v46, v17, s[84:85]
	s_mov_b32 s97, s93
	v_lshl_add_u64 v[0:1], s[96:97], 1, v[40:41]
	v_mov_b32_e32 v2, 0
	v_mov_b32_e32 v3, 0
	s_and_saveexec_b64 s[84:85], s[18:19]
	s_cbranch_execnz .LBB86_146
; %bb.111:                              ;   in Loop: Header=BB86_110 Depth=2
	s_or_b64 exec, exec, s[84:85]
	s_and_saveexec_b64 s[84:85], s[20:21]
	s_cbranch_execnz .LBB86_147
.LBB86_112:                             ;   in Loop: Header=BB86_110 Depth=2
	s_or_b64 exec, exec, s[84:85]
	v_mov_b32_e32 v4, 0
	s_and_saveexec_b64 s[84:85], s[22:23]
	s_cbranch_execnz .LBB86_148
.LBB86_113:                             ;   in Loop: Header=BB86_110 Depth=2
	s_or_b64 exec, exec, s[84:85]
	s_and_saveexec_b64 s[84:85], s[24:25]
	s_cbranch_execnz .LBB86_149
.LBB86_114:                             ;   in Loop: Header=BB86_110 Depth=2
	s_or_b64 exec, exec, s[84:85]
	v_mov_b32_e32 v5, 0
	s_and_saveexec_b64 s[84:85], s[26:27]
	s_cbranch_execnz .LBB86_150
.LBB86_115:                             ;   in Loop: Header=BB86_110 Depth=2
	s_or_b64 exec, exec, s[84:85]
	s_and_saveexec_b64 s[84:85], s[28:29]
	s_cbranch_execnz .LBB86_151
.LBB86_116:                             ;   in Loop: Header=BB86_110 Depth=2
	s_or_b64 exec, exec, s[84:85]
	v_mov_b32_e32 v6, 0
	s_and_saveexec_b64 s[84:85], s[30:31]
	s_cbranch_execnz .LBB86_152
.LBB86_117:                             ;   in Loop: Header=BB86_110 Depth=2
	s_or_b64 exec, exec, s[84:85]
	s_and_saveexec_b64 s[84:85], s[34:35]
	s_cbranch_execnz .LBB86_153
.LBB86_118:                             ;   in Loop: Header=BB86_110 Depth=2
	s_or_b64 exec, exec, s[84:85]
	v_mov_b32_e32 v7, 0
	s_and_saveexec_b64 s[84:85], s[36:37]
	s_cbranch_execnz .LBB86_154
.LBB86_119:                             ;   in Loop: Header=BB86_110 Depth=2
	s_or_b64 exec, exec, s[84:85]
	s_and_saveexec_b64 s[84:85], s[38:39]
	s_cbranch_execnz .LBB86_155
.LBB86_120:                             ;   in Loop: Header=BB86_110 Depth=2
	s_or_b64 exec, exec, s[84:85]
	v_mov_b32_e32 v8, 0
	s_and_saveexec_b64 s[84:85], s[40:41]
	s_cbranch_execnz .LBB86_156
.LBB86_121:                             ;   in Loop: Header=BB86_110 Depth=2
	s_or_b64 exec, exec, s[84:85]
	s_and_saveexec_b64 s[84:85], s[42:43]
	s_cbranch_execnz .LBB86_157
.LBB86_122:                             ;   in Loop: Header=BB86_110 Depth=2
	s_or_b64 exec, exec, s[84:85]
	v_mov_b32_e32 v9, 0
	s_and_saveexec_b64 s[84:85], s[44:45]
	s_cbranch_execnz .LBB86_158
.LBB86_123:                             ;   in Loop: Header=BB86_110 Depth=2
	s_or_b64 exec, exec, s[84:85]
	s_and_saveexec_b64 s[84:85], s[46:47]
	s_cbranch_execnz .LBB86_159
.LBB86_124:                             ;   in Loop: Header=BB86_110 Depth=2
	s_or_b64 exec, exec, s[84:85]
	v_mov_b32_e32 v10, 0
	s_and_saveexec_b64 s[84:85], s[48:49]
	s_cbranch_execnz .LBB86_160
.LBB86_125:                             ;   in Loop: Header=BB86_110 Depth=2
	s_or_b64 exec, exec, s[84:85]
	s_and_saveexec_b64 s[84:85], s[50:51]
	s_cbranch_execz .LBB86_127
.LBB86_126:                             ;   in Loop: Header=BB86_110 Depth=2
	global_load_ushort v0, v[0:1], off offset:1920
	s_waitcnt vmcnt(0)
	v_lshl_or_b32 v10, v0, 16, v10
.LBB86_127:                             ;   in Loop: Header=BB86_110 Depth=2
	s_or_b64 exec, exec, s[84:85]
	scratch_load_dword v0, off, off offset:4 ; 4-byte Folded Reload
	s_mov_b32 s95, s93
	s_waitcnt vmcnt(0)
	ds_write_b16 v0, v3
	scratch_load_dword v0, off, off offset:8 ; 4-byte Folded Reload
	v_mov_b32_e32 v3, 0
	s_waitcnt vmcnt(0)
	ds_write_b16 v0, v2 offset:128
	scratch_load_dword v0, off, off offset:12 ; 4-byte Folded Reload
	v_mov_b32_e32 v2, 0
	s_waitcnt vmcnt(0)
	ds_write_b16 v0, v4 offset:256
	scratch_load_dword v0, off, off offset:16 ; 4-byte Folded Reload
	s_waitcnt vmcnt(0)
	ds_write_b16_d16_hi v0, v4 offset:384
	scratch_load_dword v0, off, off offset:20 ; 4-byte Folded Reload
	s_waitcnt vmcnt(0)
	ds_write_b16 v0, v5 offset:512
	scratch_load_dword v0, off, off offset:24 ; 4-byte Folded Reload
	s_waitcnt vmcnt(0)
	ds_write_b16_d16_hi v0, v5 offset:640
	scratch_load_dword v0, off, off offset:28 ; 4-byte Folded Reload
	;; [unrolled: 6-line block ×6, first 2 shown]
	s_waitcnt vmcnt(0)
	ds_write_b16 v0, v10 offset:1792
	scratch_load_dword v0, off, off offset:64 ; 4-byte Folded Reload
	s_waitcnt vmcnt(0)
	ds_write_b16_d16_hi v0, v10 offset:1920
	; wave barrier
	scratch_load_dword v0, off, off         ; 4-byte Folded Reload
	s_waitcnt vmcnt(0)
	ds_read_b128 v[12:15], v0
	ds_read_b128 v[8:11], v0 offset:16
	v_lshl_add_u64 v[0:1], s[94:95], 1, v[42:43]
	s_and_saveexec_b64 s[84:85], s[18:19]
	s_cbranch_execnz .LBB86_161
; %bb.128:                              ;   in Loop: Header=BB86_110 Depth=2
	s_or_b64 exec, exec, s[84:85]
	s_and_saveexec_b64 s[84:85], s[20:21]
	s_cbranch_execnz .LBB86_162
.LBB86_129:                             ;   in Loop: Header=BB86_110 Depth=2
	s_or_b64 exec, exec, s[84:85]
	v_mov_b32_e32 v4, 0
	s_and_saveexec_b64 s[84:85], s[22:23]
	s_cbranch_execnz .LBB86_163
.LBB86_130:                             ;   in Loop: Header=BB86_110 Depth=2
	s_or_b64 exec, exec, s[84:85]
	s_and_saveexec_b64 s[84:85], s[24:25]
	s_cbranch_execnz .LBB86_164
.LBB86_131:                             ;   in Loop: Header=BB86_110 Depth=2
	s_or_b64 exec, exec, s[84:85]
	v_mov_b32_e32 v5, 0
	s_and_saveexec_b64 s[84:85], s[26:27]
	s_cbranch_execnz .LBB86_165
.LBB86_132:                             ;   in Loop: Header=BB86_110 Depth=2
	s_or_b64 exec, exec, s[84:85]
	s_and_saveexec_b64 s[84:85], s[28:29]
	s_cbranch_execnz .LBB86_166
.LBB86_133:                             ;   in Loop: Header=BB86_110 Depth=2
	s_or_b64 exec, exec, s[84:85]
	v_mov_b32_e32 v6, 0
	s_and_saveexec_b64 s[84:85], s[30:31]
	s_cbranch_execnz .LBB86_167
.LBB86_134:                             ;   in Loop: Header=BB86_110 Depth=2
	s_or_b64 exec, exec, s[84:85]
	s_and_saveexec_b64 s[84:85], s[34:35]
	s_cbranch_execnz .LBB86_168
.LBB86_135:                             ;   in Loop: Header=BB86_110 Depth=2
	s_or_b64 exec, exec, s[84:85]
	v_mov_b32_e32 v7, 0
	s_and_saveexec_b64 s[84:85], s[36:37]
	s_cbranch_execnz .LBB86_169
.LBB86_136:                             ;   in Loop: Header=BB86_110 Depth=2
	s_or_b64 exec, exec, s[84:85]
	s_and_saveexec_b64 s[84:85], s[38:39]
	s_cbranch_execnz .LBB86_170
.LBB86_137:                             ;   in Loop: Header=BB86_110 Depth=2
	s_or_b64 exec, exec, s[84:85]
	v_mov_b32_e32 v16, 0
	s_and_saveexec_b64 s[84:85], s[40:41]
	s_cbranch_execnz .LBB86_171
.LBB86_138:                             ;   in Loop: Header=BB86_110 Depth=2
	s_or_b64 exec, exec, s[84:85]
	s_and_saveexec_b64 s[84:85], s[42:43]
	s_cbranch_execnz .LBB86_172
.LBB86_139:                             ;   in Loop: Header=BB86_110 Depth=2
	s_or_b64 exec, exec, s[84:85]
	v_mov_b32_e32 v22, 0
	s_and_saveexec_b64 s[84:85], s[44:45]
	s_cbranch_execnz .LBB86_173
.LBB86_140:                             ;   in Loop: Header=BB86_110 Depth=2
	s_or_b64 exec, exec, s[84:85]
	s_and_saveexec_b64 s[84:85], s[46:47]
	s_cbranch_execnz .LBB86_174
.LBB86_141:                             ;   in Loop: Header=BB86_110 Depth=2
	s_or_b64 exec, exec, s[84:85]
	v_mov_b32_e32 v44, 0
	s_and_saveexec_b64 s[84:85], s[48:49]
	s_cbranch_execnz .LBB86_175
.LBB86_142:                             ;   in Loop: Header=BB86_110 Depth=2
	s_or_b64 exec, exec, s[84:85]
	s_and_saveexec_b64 s[84:85], s[50:51]
	s_cbranch_execz .LBB86_144
.LBB86_143:                             ;   in Loop: Header=BB86_110 Depth=2
	global_load_ushort v0, v[0:1], off offset:1920
	s_waitcnt vmcnt(0)
	v_lshl_or_b32 v44, v0, 16, v44
.LBB86_144:                             ;   in Loop: Header=BB86_110 Depth=2
	s_or_b64 exec, exec, s[84:85]
	scratch_load_dword v0, off, off offset:4 ; 4-byte Folded Reload
	s_andn2_b64 vcc, exec, s[86:87]
	s_waitcnt vmcnt(0)
	ds_write_b16 v0, v3 offset:2112
	scratch_load_dword v0, off, off offset:96 ; 4-byte Folded Reload
	s_waitcnt vmcnt(0)
	ds_write_b16 v0, v2 offset:128
	scratch_load_dword v0, off, off offset:100 ; 4-byte Folded Reload
	;; [unrolled: 3-line block ×3, first 2 shown]
	s_waitcnt vmcnt(0)
	ds_write_b16_d16_hi v0, v4 offset:384
	scratch_load_dword v0, off, off offset:108 ; 4-byte Folded Reload
	s_waitcnt vmcnt(0)
	ds_write_b16 v0, v5 offset:512
	scratch_load_dword v0, off, off offset:112 ; 4-byte Folded Reload
	s_waitcnt vmcnt(0)
	ds_write_b16_d16_hi v0, v5 offset:640
	scratch_load_dword v0, off, off offset:116 ; 4-byte Folded Reload
	s_waitcnt vmcnt(0)
	ds_write_b16 v0, v6 offset:768
	scratch_load_dword v0, off, off offset:120 ; 4-byte Folded Reload
	;; [unrolled: 6-line block ×6, first 2 shown]
	s_waitcnt vmcnt(0)
	ds_write_b16_d16_hi v0, v44 offset:1920
	; wave barrier
	scratch_load_dword v0, off, off         ; 4-byte Folded Reload
	s_waitcnt vmcnt(0)
	ds_read_b128 v[4:7], v0 offset:2112
	scratch_load_dword v0, off, off offset:156 ; 4-byte Folded Reload
	s_waitcnt vmcnt(0)
	ds_read_b128 v[0:3], v0 offset:16
	s_cbranch_vccnz .LBB86_176
; %bb.145:                              ;   in Loop: Header=BB86_110 Depth=2
	v_mov_b32_e32 v16, s1
	ds_read_b64 v[44:45], v16
	s_cbranch_execz .LBB86_177
	s_branch .LBB86_180
.LBB86_146:                             ;   in Loop: Header=BB86_110 Depth=2
	global_load_ushort v3, v[0:1], off
	s_or_b64 exec, exec, s[84:85]
	s_and_saveexec_b64 s[84:85], s[20:21]
	s_cbranch_execz .LBB86_112
.LBB86_147:                             ;   in Loop: Header=BB86_110 Depth=2
	global_load_ushort v2, v[0:1], off offset:128
	s_or_b64 exec, exec, s[84:85]
	v_mov_b32_e32 v4, 0
	s_and_saveexec_b64 s[84:85], s[22:23]
	s_cbranch_execz .LBB86_113
.LBB86_148:                             ;   in Loop: Header=BB86_110 Depth=2
	global_load_ushort v4, v[0:1], off offset:256
	s_or_b64 exec, exec, s[84:85]
	s_and_saveexec_b64 s[84:85], s[24:25]
	s_cbranch_execz .LBB86_114
.LBB86_149:                             ;   in Loop: Header=BB86_110 Depth=2
	global_load_ushort v5, v[0:1], off offset:384
	s_waitcnt vmcnt(0)
	v_lshl_or_b32 v4, v5, 16, v4
	s_or_b64 exec, exec, s[84:85]
	v_mov_b32_e32 v5, 0
	s_and_saveexec_b64 s[84:85], s[26:27]
	s_cbranch_execz .LBB86_115
.LBB86_150:                             ;   in Loop: Header=BB86_110 Depth=2
	global_load_ushort v5, v[0:1], off offset:512
	s_or_b64 exec, exec, s[84:85]
	s_and_saveexec_b64 s[84:85], s[28:29]
	s_cbranch_execz .LBB86_116
.LBB86_151:                             ;   in Loop: Header=BB86_110 Depth=2
	global_load_ushort v6, v[0:1], off offset:640
	s_waitcnt vmcnt(0)
	v_lshl_or_b32 v5, v6, 16, v5
	s_or_b64 exec, exec, s[84:85]
	v_mov_b32_e32 v6, 0
	s_and_saveexec_b64 s[84:85], s[30:31]
	s_cbranch_execz .LBB86_117
.LBB86_152:                             ;   in Loop: Header=BB86_110 Depth=2
	global_load_ushort v6, v[0:1], off offset:768
	s_or_b64 exec, exec, s[84:85]
	s_and_saveexec_b64 s[84:85], s[34:35]
	s_cbranch_execz .LBB86_118
.LBB86_153:                             ;   in Loop: Header=BB86_110 Depth=2
	global_load_ushort v7, v[0:1], off offset:896
	s_waitcnt vmcnt(0)
	v_lshl_or_b32 v6, v7, 16, v6
	s_or_b64 exec, exec, s[84:85]
	v_mov_b32_e32 v7, 0
	s_and_saveexec_b64 s[84:85], s[36:37]
	s_cbranch_execz .LBB86_119
.LBB86_154:                             ;   in Loop: Header=BB86_110 Depth=2
	global_load_ushort v7, v[0:1], off offset:1024
	s_or_b64 exec, exec, s[84:85]
	s_and_saveexec_b64 s[84:85], s[38:39]
	s_cbranch_execz .LBB86_120
.LBB86_155:                             ;   in Loop: Header=BB86_110 Depth=2
	global_load_ushort v8, v[0:1], off offset:1152
	s_waitcnt vmcnt(0)
	v_lshl_or_b32 v7, v8, 16, v7
	s_or_b64 exec, exec, s[84:85]
	v_mov_b32_e32 v8, 0
	s_and_saveexec_b64 s[84:85], s[40:41]
	s_cbranch_execz .LBB86_121
.LBB86_156:                             ;   in Loop: Header=BB86_110 Depth=2
	global_load_ushort v8, v[0:1], off offset:1280
	s_or_b64 exec, exec, s[84:85]
	s_and_saveexec_b64 s[84:85], s[42:43]
	s_cbranch_execz .LBB86_122
.LBB86_157:                             ;   in Loop: Header=BB86_110 Depth=2
	global_load_ushort v9, v[0:1], off offset:1408
	s_waitcnt vmcnt(0)
	v_lshl_or_b32 v8, v9, 16, v8
	s_or_b64 exec, exec, s[84:85]
	v_mov_b32_e32 v9, 0
	s_and_saveexec_b64 s[84:85], s[44:45]
	s_cbranch_execz .LBB86_123
.LBB86_158:                             ;   in Loop: Header=BB86_110 Depth=2
	global_load_ushort v9, v[0:1], off offset:1536
	s_or_b64 exec, exec, s[84:85]
	s_and_saveexec_b64 s[84:85], s[46:47]
	s_cbranch_execz .LBB86_124
.LBB86_159:                             ;   in Loop: Header=BB86_110 Depth=2
	global_load_ushort v10, v[0:1], off offset:1664
	s_waitcnt vmcnt(0)
	v_lshl_or_b32 v9, v10, 16, v9
	s_or_b64 exec, exec, s[84:85]
	v_mov_b32_e32 v10, 0
	s_and_saveexec_b64 s[84:85], s[48:49]
	s_cbranch_execz .LBB86_125
.LBB86_160:                             ;   in Loop: Header=BB86_110 Depth=2
	global_load_ushort v10, v[0:1], off offset:1792
	s_or_b64 exec, exec, s[84:85]
	s_and_saveexec_b64 s[84:85], s[50:51]
	s_cbranch_execnz .LBB86_126
	s_branch .LBB86_127
.LBB86_161:                             ;   in Loop: Header=BB86_110 Depth=2
	global_load_ushort v3, v[0:1], off
	s_or_b64 exec, exec, s[84:85]
	s_and_saveexec_b64 s[84:85], s[20:21]
	s_cbranch_execz .LBB86_129
.LBB86_162:                             ;   in Loop: Header=BB86_110 Depth=2
	global_load_ushort v2, v[0:1], off offset:128
	s_or_b64 exec, exec, s[84:85]
	v_mov_b32_e32 v4, 0
	s_and_saveexec_b64 s[84:85], s[22:23]
	s_cbranch_execz .LBB86_130
.LBB86_163:                             ;   in Loop: Header=BB86_110 Depth=2
	global_load_ushort v4, v[0:1], off offset:256
	s_or_b64 exec, exec, s[84:85]
	s_and_saveexec_b64 s[84:85], s[24:25]
	s_cbranch_execz .LBB86_131
.LBB86_164:                             ;   in Loop: Header=BB86_110 Depth=2
	global_load_ushort v5, v[0:1], off offset:384
	s_waitcnt vmcnt(0)
	v_lshl_or_b32 v4, v5, 16, v4
	s_or_b64 exec, exec, s[84:85]
	v_mov_b32_e32 v5, 0
	s_and_saveexec_b64 s[84:85], s[26:27]
	s_cbranch_execz .LBB86_132
.LBB86_165:                             ;   in Loop: Header=BB86_110 Depth=2
	global_load_ushort v5, v[0:1], off offset:512
	s_or_b64 exec, exec, s[84:85]
	s_and_saveexec_b64 s[84:85], s[28:29]
	s_cbranch_execz .LBB86_133
.LBB86_166:                             ;   in Loop: Header=BB86_110 Depth=2
	global_load_ushort v6, v[0:1], off offset:640
	s_waitcnt vmcnt(0)
	v_lshl_or_b32 v5, v6, 16, v5
	s_or_b64 exec, exec, s[84:85]
	v_mov_b32_e32 v6, 0
	s_and_saveexec_b64 s[84:85], s[30:31]
	s_cbranch_execz .LBB86_134
.LBB86_167:                             ;   in Loop: Header=BB86_110 Depth=2
	global_load_ushort v6, v[0:1], off offset:768
	s_or_b64 exec, exec, s[84:85]
	s_and_saveexec_b64 s[84:85], s[34:35]
	s_cbranch_execz .LBB86_135
.LBB86_168:                             ;   in Loop: Header=BB86_110 Depth=2
	global_load_ushort v7, v[0:1], off offset:896
	s_waitcnt vmcnt(0)
	v_lshl_or_b32 v6, v7, 16, v6
	s_or_b64 exec, exec, s[84:85]
	v_mov_b32_e32 v7, 0
	s_and_saveexec_b64 s[84:85], s[36:37]
	s_cbranch_execz .LBB86_136
.LBB86_169:                             ;   in Loop: Header=BB86_110 Depth=2
	global_load_ushort v7, v[0:1], off offset:1024
	s_or_b64 exec, exec, s[84:85]
	s_and_saveexec_b64 s[84:85], s[38:39]
	s_cbranch_execz .LBB86_137
.LBB86_170:                             ;   in Loop: Header=BB86_110 Depth=2
	global_load_ushort v16, v[0:1], off offset:1152
	s_waitcnt vmcnt(0)
	v_lshl_or_b32 v7, v16, 16, v7
	s_or_b64 exec, exec, s[84:85]
	v_mov_b32_e32 v16, 0
	s_and_saveexec_b64 s[84:85], s[40:41]
	s_cbranch_execz .LBB86_138
.LBB86_171:                             ;   in Loop: Header=BB86_110 Depth=2
	global_load_ushort v16, v[0:1], off offset:1280
	s_or_b64 exec, exec, s[84:85]
	s_and_saveexec_b64 s[84:85], s[42:43]
	s_cbranch_execz .LBB86_139
.LBB86_172:                             ;   in Loop: Header=BB86_110 Depth=2
	global_load_ushort v22, v[0:1], off offset:1408
	s_waitcnt vmcnt(0)
	v_lshl_or_b32 v16, v22, 16, v16
	s_or_b64 exec, exec, s[84:85]
	v_mov_b32_e32 v22, 0
	s_and_saveexec_b64 s[84:85], s[44:45]
	s_cbranch_execz .LBB86_140
.LBB86_173:                             ;   in Loop: Header=BB86_110 Depth=2
	global_load_ushort v22, v[0:1], off offset:1536
	s_or_b64 exec, exec, s[84:85]
	s_and_saveexec_b64 s[84:85], s[46:47]
	s_cbranch_execz .LBB86_141
.LBB86_174:                             ;   in Loop: Header=BB86_110 Depth=2
	global_load_ushort v44, v[0:1], off offset:1664
	s_waitcnt vmcnt(0)
	v_lshl_or_b32 v22, v44, 16, v22
	s_or_b64 exec, exec, s[84:85]
	v_mov_b32_e32 v44, 0
	s_and_saveexec_b64 s[84:85], s[48:49]
	s_cbranch_execz .LBB86_142
.LBB86_175:                             ;   in Loop: Header=BB86_110 Depth=2
	global_load_ushort v44, v[0:1], off offset:1792
	s_or_b64 exec, exec, s[84:85]
	s_and_saveexec_b64 s[84:85], s[50:51]
	s_cbranch_execnz .LBB86_143
	s_branch .LBB86_144
.LBB86_176:                             ;   in Loop: Header=BB86_110 Depth=2
                                        ; implicit-def: $vgpr45
.LBB86_177:                             ;   in Loop: Header=BB86_110 Depth=2
	v_readlane_b32 s84, v95, 0
	v_readlane_b32 s85, v95, 1
	s_andn2_b64 vcc, exec, s[84:85]
	s_waitcnt lgkmcnt(0)
	v_mov_b32_e32 v45, 0
	s_cbranch_vccnz .LBB86_179
; %bb.178:                              ;   in Loop: Header=BB86_110 Depth=2
	s_mov_b32 s99, s93
	s_lshl_b64 s[84:85], s[98:99], 1
	v_readlane_b32 s4, v95, 27
	s_add_u32 s84, s4, s84
	v_readlane_b32 s4, v95, 28
	s_addc_u32 s85, s4, s85
	global_load_ushort v16, v17, s[84:85]
	v_readlane_b32 s99, v95, 48
	s_waitcnt vmcnt(0)
	v_cvt_f32_f16_e32 v45, v16
.LBB86_179:                             ;   in Loop: Header=BB86_110 Depth=2
	v_mov_b32_e32 v44, 1.0
.LBB86_180:                             ;   in Loop: Header=BB86_110 Depth=2
	v_mul_f32_e32 v52, 0x3fb8aa3b, v46
	s_waitcnt lgkmcnt(14)
	v_cvt_f32_f16_e32 v49, v8
	v_cvt_f32_f16_sdwa v50, v8 dst_sel:DWORD dst_unused:UNUSED_PAD src0_sel:WORD_1
	v_mul_f32_e32 v8, v52, v70
	v_cmp_gt_f32_e32 vcc, s33, v8
	v_cvt_f32_f16_e32 v55, v10
	v_cvt_f32_f16_sdwa v58, v10 dst_sel:DWORD dst_unused:UNUSED_PAD src0_sel:WORD_1
	v_cndmask_b32_e32 v8, 0, v68, vcc
	v_mul_f32_e32 v10, v52, v19
	v_cvt_f32_f16_e32 v51, v9
	v_cvt_f32_f16_sdwa v54, v9 dst_sel:DWORD dst_unused:UNUSED_PAD src0_sel:WORD_1
	v_fmac_f32_e32 v8, v52, v70
	v_cndmask_b32_e32 v9, 1.0, v69, vcc
	v_cmp_gt_f32_e32 vcc, s33, v10
	v_exp_f32_e32 v8, v8
	v_cvt_f32_f16_e32 v16, v12
	v_cndmask_b32_e32 v10, 0, v68, vcc
	v_fmac_f32_e32 v10, v52, v19
	v_cvt_f32_f16_sdwa v12, v12 dst_sel:DWORD dst_unused:UNUSED_PAD src0_sel:WORD_1
	v_exp_f32_e32 v10, v10
	v_cvt_f32_f16_e32 v59, v11
	v_cvt_f32_f16_sdwa v53, v11 dst_sel:DWORD dst_unused:UNUSED_PAD src0_sel:WORD_1
	v_mul_f32_e32 v9, v8, v9
	v_mul_f32_e32 v11, v52, v20
	v_cndmask_b32_e64 v79, 1.0, v9, s[52:53]
	v_cndmask_b32_e32 v9, 1.0, v69, vcc
	v_cmp_gt_f32_e32 vcc, s33, v11
	v_mul_f32_e32 v10, v10, v9
	v_mul_f32_e32 v9, v77, v12
	v_cndmask_b32_e32 v11, 0, v68, vcc
	v_mul_f32_e32 v12, v52, v21
	v_fmac_f32_e32 v11, v52, v20
	v_cndmask_b32_e64 v80, 1.0, v10, s[54:55]
	v_cndmask_b32_e32 v10, 1.0, v69, vcc
	v_cmp_gt_f32_e32 vcc, s33, v12
	v_exp_f32_e32 v11, v11
	v_cvt_f32_f16_e32 v22, v13
	v_cndmask_b32_e32 v12, 0, v68, vcc
	v_fmac_f32_e32 v12, v52, v21
	v_cvt_f32_f16_sdwa v13, v13 dst_sel:DWORD dst_unused:UNUSED_PAD src0_sel:WORD_1
	v_exp_f32_e32 v12, v12
	v_mul_f32_e32 v11, v11, v10
	v_cndmask_b32_e64 v81, 1.0, v11, s[56:57]
	v_cndmask_b32_e32 v11, 1.0, v69, vcc
	v_mul_f32_e32 v12, v12, v11
	v_mul_f32_e32 v11, v75, v13
	;; [unrolled: 1-line block ×3, first 2 shown]
	v_cmp_gt_f32_e32 vcc, s33, v13
	v_mul_f32_e32 v8, v78, v16
	v_mul_f32_e32 v16, v52, v66
	v_cndmask_b32_e32 v13, 0, v68, vcc
	v_fmac_f32_e32 v13, v52, v18
	v_cndmask_b32_e64 v82, 1.0, v12, s[58:59]
	v_cndmask_b32_e32 v12, 1.0, v69, vcc
	v_cmp_gt_f32_e32 vcc, s33, v16
	v_exp_f32_e32 v13, v13
	v_cvt_f32_f16_e32 v47, v14
	v_cndmask_b32_e32 v16, 0, v68, vcc
	v_fmac_f32_e32 v16, v52, v66
	v_cvt_f32_f16_sdwa v14, v14 dst_sel:DWORD dst_unused:UNUSED_PAD src0_sel:WORD_1
	v_exp_f32_e32 v16, v16
	v_mul_f32_e32 v13, v13, v12
	v_cndmask_b32_e64 v83, 1.0, v13, s[60:61]
	v_cndmask_b32_e32 v13, 1.0, v69, vcc
	v_mul_f32_e32 v16, v16, v13
	v_mul_f32_e32 v13, v73, v14
	;; [unrolled: 1-line block ×3, first 2 shown]
	v_cmp_gt_f32_e32 vcc, s33, v14
	v_mul_f32_e32 v10, v76, v22
	v_mul_f32_e32 v22, v52, v88
	v_cndmask_b32_e32 v14, 0, v68, vcc
	v_fmac_f32_e32 v14, v52, v67
	v_cndmask_b32_e64 v84, 1.0, v16, s[62:63]
	v_cndmask_b32_e32 v16, 1.0, v69, vcc
	v_cmp_gt_f32_e32 vcc, s33, v22
	v_exp_f32_e32 v14, v14
	v_cvt_f32_f16_e32 v48, v15
	v_cndmask_b32_e32 v22, 0, v68, vcc
	v_fmac_f32_e32 v22, v52, v88
	v_exp_f32_e32 v22, v22
	v_mul_f32_e32 v16, v14, v16
	v_cndmask_b32_e64 v85, 1.0, v16, s[64:65]
	v_cndmask_b32_e32 v16, 1.0, v69, vcc
	v_mul_f32_e32 v16, v22, v16
	v_mul_f32_e32 v22, v52, v89
	v_cmp_gt_f32_e32 vcc, s33, v22
	v_cndmask_b32_e64 v86, 1.0, v16, s[66:67]
	v_mul_f32_e32 v14, v72, v48
	v_cndmask_b32_e32 v22, 0, v68, vcc
	v_fmac_f32_e32 v22, v52, v89
	v_exp_f32_e32 v22, v22
	v_cndmask_b32_e32 v16, 1.0, v69, vcc
	v_mul_f32_e32 v46, v52, v90
	v_cmp_gt_f32_e32 vcc, s33, v46
	v_mul_f32_e32 v16, v22, v16
	v_mul_f32_e32 v22, v63, v49
	v_cndmask_b32_e64 v48, 0, v22, s[68:69]
	scratch_load_dword v22, off, off offset:92 ; 4-byte Folded Reload
	v_cndmask_b32_e32 v46, 0, v68, vcc
	v_fmac_f32_e32 v46, v52, v90
	v_exp_f32_e32 v46, v46
	v_cndmask_b32_e64 v65, 1.0, v16, s[68:69]
	v_cndmask_b32_e32 v16, 1.0, v69, vcc
	v_mul_f32_e32 v12, v74, v47
	v_mul_f32_e32 v16, v46, v16
	;; [unrolled: 1-line block ×3, first 2 shown]
	v_cmp_gt_f32_e32 vcc, s33, v46
	v_cndmask_b32_e64 v71, 1.0, v16, s[70:71]
	v_mul_f32_e32 v47, v52, v93
	v_cndmask_b32_e32 v46, 0, v68, vcc
	v_fmac_f32_e32 v46, v52, v91
	v_exp_f32_e32 v46, v46
	v_cndmask_b32_e32 v16, 1.0, v69, vcc
	v_cndmask_b32_e64 v8, 0, v8, s[52:53]
	v_cndmask_b32_e64 v9, 0, v9, s[54:55]
	v_mul_f32_e32 v16, v46, v16
	v_mul_f32_e32 v46, v52, v92
	v_cmp_gt_f32_e32 vcc, s33, v46
	v_cvt_f32_f16_sdwa v15, v15 dst_sel:DWORD dst_unused:UNUSED_PAD src0_sel:WORD_1
	v_cndmask_b32_e64 v10, 0, v10, s[56:57]
	v_cndmask_b32_e32 v46, 0, v68, vcc
	v_fmac_f32_e32 v46, v52, v92
	v_exp_f32_e32 v46, v46
	v_cndmask_b32_e64 v11, 0, v11, s[58:59]
	v_cndmask_b32_e64 v12, 0, v12, s[60:61]
	;; [unrolled: 1-line block ×4, first 2 shown]
	v_mul_f32_e32 v15, v64, v15
	v_cndmask_b32_e64 v15, 0, v15, s[66:67]
	v_readlane_b32 s4, v95, 35
	v_readlane_b32 s5, v95, 36
	s_waitcnt vmcnt(0)
	v_mul_f32_e32 v22, v22, v50
	v_cndmask_b32_e64 v49, 0, v22, s[70:71]
	scratch_load_dword v22, off, off offset:88 ; 4-byte Folded Reload
	s_waitcnt vmcnt(0)
	v_mul_f32_e32 v22, v22, v51
	v_cndmask_b32_e64 v50, 0, v22, s[72:73]
	v_cndmask_b32_e64 v22, 1.0, v16, s[72:73]
	v_cndmask_b32_e32 v16, 1.0, v69, vcc
	v_mul_f32_e32 v16, v46, v16
	scratch_load_dword v46, off, off offset:84 ; 4-byte Folded Reload
	v_cmp_gt_f32_e32 vcc, s33, v47
	v_cndmask_b32_e64 v87, 1.0, v16, s[74:75]
	s_waitcnt vmcnt(0)
	v_mul_f32_e32 v46, v46, v54
	v_cndmask_b32_e64 v51, 0, v46, s[74:75]
	scratch_load_dword v46, off, off offset:80 ; 4-byte Folded Reload
	v_cndmask_b32_e32 v47, 0, v68, vcc
	v_fmac_f32_e32 v47, v52, v93
	v_exp_f32_e32 v47, v47
	v_cndmask_b32_e32 v16, 1.0, v69, vcc
	v_mul_f32_e32 v54, v52, v56
	v_mul_f32_e32 v16, v47, v16
	;; [unrolled: 1-line block ×3, first 2 shown]
	v_cmp_gt_f32_e32 vcc, s33, v47
	v_cndmask_b32_e64 v57, 1.0, v16, s[76:77]
	s_nop 0
	v_cndmask_b32_e32 v47, 0, v68, vcc
	v_fmac_f32_e32 v47, v52, v94
	v_cndmask_b32_e32 v16, 1.0, v69, vcc
	v_cmp_gt_f32_e32 vcc, s33, v54
	v_exp_f32_e32 v47, v47
	s_nop 0
	v_cndmask_b32_e32 v54, 0, v68, vcc
	v_fmac_f32_e32 v54, v52, v56
	v_exp_f32_e32 v54, v54
	v_mul_f32_e32 v16, v47, v16
	scratch_load_dword v47, off, off offset:76 ; 4-byte Folded Reload
	v_cndmask_b32_e64 v16, 1.0, v16, s[78:79]
	s_waitcnt vmcnt(1)
	v_mul_f32_e32 v46, v46, v55
	v_cndmask_b32_e32 v55, 1.0, v69, vcc
	v_mul_f32_e32 v54, v54, v55
	scratch_load_dword v55, off, off offset:72 ; 4-byte Folded Reload
	v_cndmask_b32_e64 v46, 0, v46, s[76:77]
	s_waitcnt vmcnt(1)
	v_mul_f32_e32 v47, v47, v58
	v_mul_f32_e32 v58, v52, v23
	v_cmp_gt_f32_e32 vcc, s33, v58
	v_cndmask_b32_e64 v47, 0, v47, s[78:79]
	s_waitcnt vmcnt(0)
	v_mul_f32_e32 v55, v55, v59
	v_cndmask_b32_e32 v58, 0, v68, vcc
	v_fmac_f32_e32 v58, v52, v23
	v_cndmask_b32_e64 v52, 0, v55, s[80:81]
	scratch_load_dword v55, off, off offset:68 ; 4-byte Folded Reload
	v_exp_f32_e32 v59, v58
	v_cndmask_b32_e64 v58, 1.0, v54, s[80:81]
	v_cndmask_b32_e32 v54, 1.0, v69, vcc
	v_mul_f32_e32 v54, v59, v54
	v_cndmask_b32_e64 v59, 1.0, v54, s[82:83]
	v_mul_f32_e32 v54, v80, v79
	v_mul_f32_e32 v54, v54, v81
	;; [unrolled: 1-line block ×15, first 2 shown]
	s_waitcnt vmcnt(0)
	v_mul_f32_e32 v53, v55, v53
	v_fma_f32 v55, v80, v8, v9
	v_fma_f32 v55, v55, v81, v10
	;; [unrolled: 1-line block ×13, first 2 shown]
	v_cndmask_b32_e64 v53, 0, v53, s[82:83]
	v_fma_f32 v55, v55, v58, v52
	v_fma_f32 v62, v55, v59, v53
	v_mov_b32_dpp v61, v54 row_shr:1 row_mask:0xf bank_mask:0xf
	s_nop 0
	v_mov_b32_dpp v60, v62 row_shr:1 row_mask:0xf bank_mask:0xf
	s_and_saveexec_b64 s[84:85], s[4:5]
; %bb.181:                              ;   in Loop: Header=BB86_110 Depth=2
	v_mul_f32_e32 v61, v54, v61
	v_fmac_f32_e32 v62, v54, v60
	v_mov_b32_e32 v54, v61
; %bb.182:                              ;   in Loop: Header=BB86_110 Depth=2
	s_or_b64 exec, exec, s[84:85]
	v_readlane_b32 s4, v95, 37
	v_mov_b32_dpp v60, v54 row_shr:2 row_mask:0xf bank_mask:0xf
	v_mov_b32_dpp v61, v62 row_shr:2 row_mask:0xf bank_mask:0xf
	v_readlane_b32 s5, v95, 38
	s_and_saveexec_b64 s[84:85], s[4:5]
; %bb.183:                              ;   in Loop: Header=BB86_110 Depth=2
	v_fmac_f32_e32 v62, v54, v61
	v_mul_f32_e32 v54, v54, v60
; %bb.184:                              ;   in Loop: Header=BB86_110 Depth=2
	s_or_b64 exec, exec, s[84:85]
	s_nop 0
	v_mov_b32_dpp v60, v54 row_shr:4 row_mask:0xf bank_mask:0xf
	v_mov_b32_dpp v61, v62 row_shr:4 row_mask:0xf bank_mask:0xf
	s_and_saveexec_b64 s[84:85], s[2:3]
; %bb.185:                              ;   in Loop: Header=BB86_110 Depth=2
	v_fmac_f32_e32 v62, v54, v61
	v_mul_f32_e32 v54, v54, v60
; %bb.186:                              ;   in Loop: Header=BB86_110 Depth=2
	s_or_b64 exec, exec, s[84:85]
	v_readlane_b32 s4, v95, 39
	v_mov_b32_dpp v60, v54 row_shr:8 row_mask:0xf bank_mask:0xf
	v_mov_b32_dpp v61, v62 row_shr:8 row_mask:0xf bank_mask:0xf
	v_readlane_b32 s5, v95, 40
	s_and_saveexec_b64 s[84:85], s[4:5]
; %bb.187:                              ;   in Loop: Header=BB86_110 Depth=2
	v_fmac_f32_e32 v62, v54, v61
	v_mul_f32_e32 v54, v54, v60
; %bb.188:                              ;   in Loop: Header=BB86_110 Depth=2
	s_or_b64 exec, exec, s[84:85]
	v_readlane_b32 s4, v95, 41
	v_mov_b32_dpp v60, v54 row_bcast:15 row_mask:0xf bank_mask:0xf
	v_mov_b32_dpp v61, v62 row_bcast:15 row_mask:0xf bank_mask:0xf
	v_readlane_b32 s5, v95, 42
	s_and_saveexec_b64 s[84:85], s[4:5]
; %bb.189:                              ;   in Loop: Header=BB86_110 Depth=2
	v_fmac_f32_e32 v62, v54, v61
	v_mul_f32_e32 v54, v54, v60
; %bb.190:                              ;   in Loop: Header=BB86_110 Depth=2
	s_or_b64 exec, exec, s[84:85]
	s_nop 0
	v_mov_b32_dpp v60, v54 row_bcast:31 row_mask:0xf bank_mask:0xf
	v_mov_b32_dpp v61, v62 row_bcast:31 row_mask:0xf bank_mask:0xf
	v_mov_b32_e32 v55, v62
	v_mul_f32_e32 v60, v54, v60
	v_fmac_f32_e32 v55, v54, v61
	v_readlane_b32 s4, v95, 45
	v_cndmask_b32_e64 v54, v54, v60, s[12:13]
	v_cndmask_b32_e64 v55, v62, v55, s[12:13]
	v_readlane_b32 s5, v95, 46
	s_and_saveexec_b64 s[84:85], s[4:5]
	s_cbranch_execz .LBB86_192
; %bb.191:                              ;   in Loop: Header=BB86_110 Depth=2
	ds_write_b64 v17, v[54:55] offset:4224
.LBB86_192:                             ;   in Loop: Header=BB86_110 Depth=2
	s_or_b64 exec, exec, s[84:85]
	scratch_load_dword v61, off, off offset:160 ; 4-byte Folded Reload
	s_waitcnt lgkmcnt(0)
	; wave barrier
	s_waitcnt vmcnt(0) lgkmcnt(0)
	ds_bpermute_b32 v60, v61, v54
	ds_bpermute_b32 v61, v61, v55
	v_mov_b32_e32 v55, v45
	s_and_saveexec_b64 s[84:85], s[14:15]
	s_cbranch_execz .LBB86_196
; %bb.193:                              ;   in Loop: Header=BB86_110 Depth=2
	ds_read_b64 v[54:55], v17 offset:4224
	s_and_saveexec_b64 s[88:89], s[16:17]
	s_cbranch_execz .LBB86_195
; %bb.194:                              ;   in Loop: Header=BB86_110 Depth=2
	ds_write_b64 v17, v[44:45] offset:4224
.LBB86_195:                             ;   in Loop: Header=BB86_110 Depth=2
	s_or_b64 exec, exec, s[88:89]
	s_waitcnt lgkmcnt(0)
	v_fmac_f32_e32 v55, v45, v54
	v_mul_f32_e32 v44, v44, v54
	v_mov_b32_e32 v45, v55
.LBB86_196:                             ;   in Loop: Header=BB86_110 Depth=2
	s_or_b64 exec, exec, s[84:85]
	s_waitcnt lgkmcnt(0)
	; wave barrier
	s_waitcnt lgkmcnt(0)
	ds_read_b32 v54, v17 offset:4228
	s_and_saveexec_b64 s[84:85], s[16:17]
	s_cbranch_execz .LBB86_109
; %bb.197:                              ;   in Loop: Header=BB86_110 Depth=2
	v_mov_b32_e32 v62, s1
	s_andn2_b64 vcc, exec, s[90:91]
	ds_write_b64 v62, v[44:45]
	s_cbranch_vccnz .LBB86_109
; %bb.198:                              ;   in Loop: Header=BB86_110 Depth=2
	s_mov_b32 s99, s93
	v_cvt_f16_f32_e32 v44, v55
	s_lshl_b64 s[88:89], s[98:99], 1
	v_readlane_b32 s4, v95, 27
	s_add_u32 s88, s4, s88
	v_readlane_b32 s4, v95, 28
	v_readlane_b32 s99, v95, 48
	s_addc_u32 s89, s4, s89
	global_store_short v17, v44, s[88:89]
	s_branch .LBB86_109
.LBB86_199:                             ;   in Loop: Header=BB86_13 Depth=1
	scratch_load_dwordx2 v[42:43], off, off offset:164 ; 8-byte Folded Reload
	v_readlane_b32 s4, v95, 49
	v_readlane_b32 s5, v95, 50
	s_mov_b32 s6, 0x41a00000
	s_mov_b32 s7, 0x3fb8aa3b
	;; [unrolled: 1-line block ×8, first 2 shown]
	v_mov_b32_e32 v40, 0x3ecc95a3
	v_mov_b32_e32 v41, 0x7f800000
.LBB86_200:                             ;   in Loop: Header=BB86_13 Depth=1
	v_cvt_f16_f32_e32 v0, v39
	v_cvt_f16_f32_e32 v4, v38
	s_waitcnt lgkmcnt(0)
	; wave barrier
	v_cvt_f16_f32_e32 v1, v37
	v_pack_b32_f16 v0, v4, v0
	scratch_load_dword v4, off, off         ; 4-byte Folded Reload
	v_cvt_f16_f32_e32 v5, v36
	v_cvt_f16_f32_e32 v2, v35
	;; [unrolled: 1-line block ×13, first 2 shown]
	v_pack_b32_f16 v3, v7, v3
	v_pack_b32_f16 v2, v6, v2
	;; [unrolled: 1-line block ×3, first 2 shown]
	v_readlane_b32 s0, v95, 52
	v_readlane_b32 s1, v95, 53
	s_mov_b32 s1, s93
	s_waitcnt vmcnt(0)
	ds_write_b128 v4, v[0:3]
	v_pack_b32_f16 v3, v15, v14
	v_pack_b32_f16 v2, v13, v12
	;; [unrolled: 1-line block ×4, first 2 shown]
	ds_write_b128 v4, v[0:3] offset:16
	; wave barrier
	scratch_load_dword v0, off, off offset:8 ; 4-byte Folded Reload
	s_waitcnt vmcnt(0)
	ds_read_u16 v16, v0 offset:128
	scratch_load_dword v0, off, off offset:12 ; 4-byte Folded Reload
	s_waitcnt vmcnt(0)
	ds_read_u16 v15, v0 offset:256
	scratch_load_dword v0, off, off offset:16 ; 4-byte Folded Reload
	s_waitcnt vmcnt(0)
	ds_read_u16 v14, v0 offset:384
	scratch_load_dword v0, off, off offset:20 ; 4-byte Folded Reload
	s_waitcnt vmcnt(0)
	ds_read_u16 v13, v0 offset:512
	scratch_load_dword v0, off, off offset:24 ; 4-byte Folded Reload
	s_waitcnt vmcnt(0)
	ds_read_u16 v12, v0 offset:640
	scratch_load_dword v0, off, off offset:28 ; 4-byte Folded Reload
	s_waitcnt vmcnt(0)
	ds_read_u16 v11, v0 offset:768
	scratch_load_dword v0, off, off offset:32 ; 4-byte Folded Reload
	s_waitcnt vmcnt(0)
	ds_read_u16 v10, v0 offset:896
	scratch_load_dword v0, off, off offset:36 ; 4-byte Folded Reload
	s_waitcnt vmcnt(0)
	ds_read_u16 v9, v0 offset:1024
	scratch_load_dword v0, off, off offset:40 ; 4-byte Folded Reload
	s_waitcnt vmcnt(0)
	ds_read_u16 v8, v0 offset:1152
	scratch_load_dword v0, off, off offset:44 ; 4-byte Folded Reload
	s_waitcnt vmcnt(0)
	ds_read_u16 v7, v0 offset:1280
	scratch_load_dword v0, off, off offset:48 ; 4-byte Folded Reload
	s_waitcnt vmcnt(0)
	ds_read_u16 v6, v0 offset:1408
	scratch_load_dword v0, off, off offset:52 ; 4-byte Folded Reload
	s_waitcnt vmcnt(0)
	ds_read_u16 v5, v0 offset:1536
	scratch_load_dword v0, off, off offset:56 ; 4-byte Folded Reload
	s_waitcnt vmcnt(0)
	ds_read_u16 v4, v0 offset:1664
	scratch_load_dword v0, off, off offset:60 ; 4-byte Folded Reload
	s_waitcnt vmcnt(0)
	ds_read_u16 v3, v0 offset:1792
	scratch_load_dword v0, off, off offset:64 ; 4-byte Folded Reload
	s_waitcnt vmcnt(0)
	ds_read_u16 v2, v0 offset:1920
	scratch_load_dwordx2 v[0:1], off, off offset:240 ; 8-byte Folded Reload
	s_waitcnt vmcnt(0)
	v_lshl_add_u64 v[0:1], s[0:1], 1, v[0:1]
	s_and_saveexec_b64 s[52:53], s[18:19]
	s_cbranch_execnz .LBB86_218
; %bb.201:                              ;   in Loop: Header=BB86_13 Depth=1
	s_or_b64 exec, exec, s[52:53]
	s_and_saveexec_b64 s[18:19], s[20:21]
	s_cbranch_execnz .LBB86_219
.LBB86_202:                             ;   in Loop: Header=BB86_13 Depth=1
	s_or_b64 exec, exec, s[18:19]
	s_and_saveexec_b64 s[18:19], s[22:23]
	s_cbranch_execnz .LBB86_220
.LBB86_203:                             ;   in Loop: Header=BB86_13 Depth=1
	s_or_b64 exec, exec, s[18:19]
	s_and_saveexec_b64 s[18:19], s[24:25]
	s_cbranch_execnz .LBB86_221
.LBB86_204:                             ;   in Loop: Header=BB86_13 Depth=1
	s_or_b64 exec, exec, s[18:19]
	s_and_saveexec_b64 s[18:19], s[26:27]
	s_cbranch_execnz .LBB86_222
.LBB86_205:                             ;   in Loop: Header=BB86_13 Depth=1
	s_or_b64 exec, exec, s[18:19]
	s_and_saveexec_b64 s[18:19], s[28:29]
	s_cbranch_execnz .LBB86_223
.LBB86_206:                             ;   in Loop: Header=BB86_13 Depth=1
	s_or_b64 exec, exec, s[18:19]
	s_and_saveexec_b64 s[18:19], s[30:31]
	s_cbranch_execnz .LBB86_224
.LBB86_207:                             ;   in Loop: Header=BB86_13 Depth=1
	s_or_b64 exec, exec, s[18:19]
	s_and_saveexec_b64 s[18:19], s[34:35]
	s_cbranch_execnz .LBB86_225
.LBB86_208:                             ;   in Loop: Header=BB86_13 Depth=1
	s_or_b64 exec, exec, s[18:19]
	s_and_saveexec_b64 s[18:19], s[36:37]
	s_cbranch_execnz .LBB86_226
.LBB86_209:                             ;   in Loop: Header=BB86_13 Depth=1
	s_or_b64 exec, exec, s[18:19]
	s_and_saveexec_b64 s[18:19], s[38:39]
	s_cbranch_execnz .LBB86_227
.LBB86_210:                             ;   in Loop: Header=BB86_13 Depth=1
	s_or_b64 exec, exec, s[18:19]
	s_and_saveexec_b64 s[18:19], s[40:41]
	s_cbranch_execnz .LBB86_228
.LBB86_211:                             ;   in Loop: Header=BB86_13 Depth=1
	s_or_b64 exec, exec, s[18:19]
	s_and_saveexec_b64 s[18:19], s[42:43]
	s_cbranch_execnz .LBB86_229
.LBB86_212:                             ;   in Loop: Header=BB86_13 Depth=1
	s_or_b64 exec, exec, s[18:19]
	s_and_saveexec_b64 s[18:19], s[44:45]
	s_cbranch_execnz .LBB86_230
.LBB86_213:                             ;   in Loop: Header=BB86_13 Depth=1
	s_or_b64 exec, exec, s[18:19]
	s_and_saveexec_b64 s[18:19], s[46:47]
	s_cbranch_execnz .LBB86_231
.LBB86_214:                             ;   in Loop: Header=BB86_13 Depth=1
	s_or_b64 exec, exec, s[18:19]
	s_and_saveexec_b64 s[18:19], s[48:49]
	s_cbranch_execnz .LBB86_232
.LBB86_215:                             ;   in Loop: Header=BB86_13 Depth=1
	s_or_b64 exec, exec, s[18:19]
	s_and_saveexec_b64 s[18:19], s[50:51]
	s_cbranch_execz .LBB86_12
	s_branch .LBB86_233
.LBB86_216:                             ;   in Loop: Header=BB86_13 Depth=1
	global_load_ushort v26, v[8:9], off offset:1664
	s_or_b64 exec, exec, s[52:53]
	s_and_saveexec_b64 s[52:53], s[48:49]
	s_cbranch_execz .LBB86_73
.LBB86_217:                             ;   in Loop: Header=BB86_13 Depth=1
	global_load_ushort v25, v[8:9], off offset:1792
	s_or_b64 exec, exec, s[52:53]
	v_mov_b32_e32 v27, 0
	s_and_saveexec_b64 s[52:53], s[50:51]
	s_cbranch_execnz .LBB86_74
	s_branch .LBB86_75
.LBB86_218:                             ;   in Loop: Header=BB86_13 Depth=1
	scratch_load_dword v18, off, off offset:4 ; 4-byte Folded Reload
	s_waitcnt vmcnt(0)
	ds_read_u16 v18, v18
	s_waitcnt lgkmcnt(0)
	global_store_short v[0:1], v18, off
	s_or_b64 exec, exec, s[52:53]
	s_and_saveexec_b64 s[18:19], s[20:21]
	s_cbranch_execz .LBB86_202
.LBB86_219:                             ;   in Loop: Header=BB86_13 Depth=1
	s_waitcnt lgkmcnt(14)
	global_store_short v[0:1], v16, off offset:128
	s_or_b64 exec, exec, s[18:19]
	s_and_saveexec_b64 s[18:19], s[22:23]
	s_cbranch_execz .LBB86_203
.LBB86_220:                             ;   in Loop: Header=BB86_13 Depth=1
	s_waitcnt lgkmcnt(13)
	global_store_short v[0:1], v15, off offset:256
	s_or_b64 exec, exec, s[18:19]
	s_and_saveexec_b64 s[18:19], s[24:25]
	s_cbranch_execz .LBB86_204
.LBB86_221:                             ;   in Loop: Header=BB86_13 Depth=1
	s_waitcnt lgkmcnt(12)
	global_store_short v[0:1], v14, off offset:384
	s_or_b64 exec, exec, s[18:19]
	s_and_saveexec_b64 s[18:19], s[26:27]
	s_cbranch_execz .LBB86_205
.LBB86_222:                             ;   in Loop: Header=BB86_13 Depth=1
	s_waitcnt lgkmcnt(11)
	global_store_short v[0:1], v13, off offset:512
	s_or_b64 exec, exec, s[18:19]
	s_and_saveexec_b64 s[18:19], s[28:29]
	s_cbranch_execz .LBB86_206
.LBB86_223:                             ;   in Loop: Header=BB86_13 Depth=1
	s_waitcnt lgkmcnt(10)
	global_store_short v[0:1], v12, off offset:640
	s_or_b64 exec, exec, s[18:19]
	s_and_saveexec_b64 s[18:19], s[30:31]
	s_cbranch_execz .LBB86_207
.LBB86_224:                             ;   in Loop: Header=BB86_13 Depth=1
	s_waitcnt lgkmcnt(9)
	global_store_short v[0:1], v11, off offset:768
	s_or_b64 exec, exec, s[18:19]
	s_and_saveexec_b64 s[18:19], s[34:35]
	s_cbranch_execz .LBB86_208
.LBB86_225:                             ;   in Loop: Header=BB86_13 Depth=1
	s_waitcnt lgkmcnt(8)
	global_store_short v[0:1], v10, off offset:896
	s_or_b64 exec, exec, s[18:19]
	s_and_saveexec_b64 s[18:19], s[36:37]
	s_cbranch_execz .LBB86_209
.LBB86_226:                             ;   in Loop: Header=BB86_13 Depth=1
	s_waitcnt lgkmcnt(7)
	global_store_short v[0:1], v9, off offset:1024
	s_or_b64 exec, exec, s[18:19]
	s_and_saveexec_b64 s[18:19], s[38:39]
	s_cbranch_execz .LBB86_210
.LBB86_227:                             ;   in Loop: Header=BB86_13 Depth=1
	s_waitcnt lgkmcnt(6)
	global_store_short v[0:1], v8, off offset:1152
	s_or_b64 exec, exec, s[18:19]
	s_and_saveexec_b64 s[18:19], s[40:41]
	s_cbranch_execz .LBB86_211
.LBB86_228:                             ;   in Loop: Header=BB86_13 Depth=1
	s_waitcnt lgkmcnt(5)
	global_store_short v[0:1], v7, off offset:1280
	s_or_b64 exec, exec, s[18:19]
	s_and_saveexec_b64 s[18:19], s[42:43]
	s_cbranch_execz .LBB86_212
.LBB86_229:                             ;   in Loop: Header=BB86_13 Depth=1
	s_waitcnt lgkmcnt(4)
	global_store_short v[0:1], v6, off offset:1408
	s_or_b64 exec, exec, s[18:19]
	s_and_saveexec_b64 s[18:19], s[44:45]
	s_cbranch_execz .LBB86_213
.LBB86_230:                             ;   in Loop: Header=BB86_13 Depth=1
	s_waitcnt lgkmcnt(3)
	global_store_short v[0:1], v5, off offset:1536
	s_or_b64 exec, exec, s[18:19]
	s_and_saveexec_b64 s[18:19], s[46:47]
	s_cbranch_execz .LBB86_214
.LBB86_231:                             ;   in Loop: Header=BB86_13 Depth=1
	s_waitcnt lgkmcnt(2)
	global_store_short v[0:1], v4, off offset:1664
	s_or_b64 exec, exec, s[18:19]
	s_and_saveexec_b64 s[18:19], s[48:49]
	s_cbranch_execz .LBB86_215
.LBB86_232:                             ;   in Loop: Header=BB86_13 Depth=1
	s_waitcnt lgkmcnt(1)
	global_store_short v[0:1], v3, off offset:1792
	s_or_b64 exec, exec, s[18:19]
	s_and_saveexec_b64 s[18:19], s[50:51]
	s_cbranch_execz .LBB86_12
.LBB86_233:                             ;   in Loop: Header=BB86_13 Depth=1
	s_waitcnt lgkmcnt(0)
	global_store_short v[0:1], v2, off offset:1920
	s_branch .LBB86_12
.LBB86_234:
	s_endpgm
	.section	.rodata,"a",@progbits
	.p2align	6, 0x0
	.amdhsa_kernel _Z25selective_scan_fwd_kernelI32Selective_Scan_fwd_kernel_traitsILi64ELi16ELi1ELb0ELb1ELb1ELb0ELb1EN3c104HalfEfS2_EEv13SSMParamsBase
		.amdhsa_group_segment_fixed_size 0
		.amdhsa_private_segment_fixed_size 316
		.amdhsa_kernarg_size 248
		.amdhsa_user_sgpr_count 2
		.amdhsa_user_sgpr_dispatch_ptr 0
		.amdhsa_user_sgpr_queue_ptr 0
		.amdhsa_user_sgpr_kernarg_segment_ptr 1
		.amdhsa_user_sgpr_dispatch_id 0
		.amdhsa_user_sgpr_kernarg_preload_length 0
		.amdhsa_user_sgpr_kernarg_preload_offset 0
		.amdhsa_user_sgpr_private_segment_size 0
		.amdhsa_uses_dynamic_stack 0
		.amdhsa_enable_private_segment 1
		.amdhsa_system_sgpr_workgroup_id_x 1
		.amdhsa_system_sgpr_workgroup_id_y 1
		.amdhsa_system_sgpr_workgroup_id_z 0
		.amdhsa_system_sgpr_workgroup_info 0
		.amdhsa_system_vgpr_workitem_id 0
		.amdhsa_next_free_vgpr 96
		.amdhsa_next_free_sgpr 100
		.amdhsa_accum_offset 96
		.amdhsa_reserve_vcc 1
		.amdhsa_float_round_mode_32 0
		.amdhsa_float_round_mode_16_64 0
		.amdhsa_float_denorm_mode_32 3
		.amdhsa_float_denorm_mode_16_64 3
		.amdhsa_dx10_clamp 1
		.amdhsa_ieee_mode 1
		.amdhsa_fp16_overflow 0
		.amdhsa_tg_split 0
		.amdhsa_exception_fp_ieee_invalid_op 0
		.amdhsa_exception_fp_denorm_src 0
		.amdhsa_exception_fp_ieee_div_zero 0
		.amdhsa_exception_fp_ieee_overflow 0
		.amdhsa_exception_fp_ieee_underflow 0
		.amdhsa_exception_fp_ieee_inexact 0
		.amdhsa_exception_int_div_zero 0
	.end_amdhsa_kernel
	.section	.text._Z25selective_scan_fwd_kernelI32Selective_Scan_fwd_kernel_traitsILi64ELi16ELi1ELb0ELb1ELb1ELb0ELb1EN3c104HalfEfS2_EEv13SSMParamsBase,"axG",@progbits,_Z25selective_scan_fwd_kernelI32Selective_Scan_fwd_kernel_traitsILi64ELi16ELi1ELb0ELb1ELb1ELb0ELb1EN3c104HalfEfS2_EEv13SSMParamsBase,comdat
.Lfunc_end86:
	.size	_Z25selective_scan_fwd_kernelI32Selective_Scan_fwd_kernel_traitsILi64ELi16ELi1ELb0ELb1ELb1ELb0ELb1EN3c104HalfEfS2_EEv13SSMParamsBase, .Lfunc_end86-_Z25selective_scan_fwd_kernelI32Selective_Scan_fwd_kernel_traitsILi64ELi16ELi1ELb0ELb1ELb1ELb0ELb1EN3c104HalfEfS2_EEv13SSMParamsBase
                                        ; -- End function
	.section	.AMDGPU.csdata,"",@progbits
; Kernel info:
; codeLenInByte = 22368
; NumSgprs: 106
; NumVgprs: 96
; NumAgprs: 0
; TotalNumVgprs: 96
; ScratchSize: 316
; MemoryBound: 0
; FloatMode: 240
; IeeeMode: 1
; LDSByteSize: 0 bytes/workgroup (compile time only)
; SGPRBlocks: 13
; VGPRBlocks: 11
; NumSGPRsForWavesPerEU: 106
; NumVGPRsForWavesPerEU: 96
; AccumOffset: 96
; Occupancy: 5
; WaveLimiterHint : 1
; COMPUTE_PGM_RSRC2:SCRATCH_EN: 1
; COMPUTE_PGM_RSRC2:USER_SGPR: 2
; COMPUTE_PGM_RSRC2:TRAP_HANDLER: 0
; COMPUTE_PGM_RSRC2:TGID_X_EN: 1
; COMPUTE_PGM_RSRC2:TGID_Y_EN: 1
; COMPUTE_PGM_RSRC2:TGID_Z_EN: 0
; COMPUTE_PGM_RSRC2:TIDIG_COMP_CNT: 0
; COMPUTE_PGM_RSRC3_GFX90A:ACCUM_OFFSET: 23
; COMPUTE_PGM_RSRC3_GFX90A:TG_SPLIT: 0
	.section	.text._Z25selective_scan_fwd_kernelI32Selective_Scan_fwd_kernel_traitsILi64ELi16ELi1ELb0ELb1ELb1ELb0ELb0EN3c104HalfEfS2_EEv13SSMParamsBase,"axG",@progbits,_Z25selective_scan_fwd_kernelI32Selective_Scan_fwd_kernel_traitsILi64ELi16ELi1ELb0ELb1ELb1ELb0ELb0EN3c104HalfEfS2_EEv13SSMParamsBase,comdat
	.protected	_Z25selective_scan_fwd_kernelI32Selective_Scan_fwd_kernel_traitsILi64ELi16ELi1ELb0ELb1ELb1ELb0ELb0EN3c104HalfEfS2_EEv13SSMParamsBase ; -- Begin function _Z25selective_scan_fwd_kernelI32Selective_Scan_fwd_kernel_traitsILi64ELi16ELi1ELb0ELb1ELb1ELb0ELb0EN3c104HalfEfS2_EEv13SSMParamsBase
	.globl	_Z25selective_scan_fwd_kernelI32Selective_Scan_fwd_kernel_traitsILi64ELi16ELi1ELb0ELb1ELb1ELb0ELb0EN3c104HalfEfS2_EEv13SSMParamsBase
	.p2align	8
	.type	_Z25selective_scan_fwd_kernelI32Selective_Scan_fwd_kernel_traitsILi64ELi16ELi1ELb0ELb1ELb1ELb0ELb0EN3c104HalfEfS2_EEv13SSMParamsBase,@function
_Z25selective_scan_fwd_kernelI32Selective_Scan_fwd_kernel_traitsILi64ELi16ELi1ELb0ELb1ELb1ELb0ELb0EN3c104HalfEfS2_EEv13SSMParamsBase: ; @_Z25selective_scan_fwd_kernelI32Selective_Scan_fwd_kernel_traitsILi64ELi16ELi1ELb0ELb1ELb1ELb0ELb0EN3c104HalfEfS2_EEv13SSMParamsBase
; %bb.0:
	s_load_dword s27, s[0:1], 0x18
	s_load_dwordx4 s[4:7], s[0:1], 0xe8
	s_mov_b32 s20, s3
                                        ; implicit-def: $vgpr95 : SGPR spill to VGPR lane
	s_waitcnt lgkmcnt(0)
	s_abs_i32 s26, s27
	v_cvt_f32_u32_e32 v1, s26
	s_cmp_eq_u64 s[6:7], 0
	v_rcp_iflag_f32_e32 v1, v1
	s_nop 0
	v_mul_f32_e32 v1, 0x4f7ffffe, v1
	v_cvt_u32_f32_e32 v1, v1
	s_nop 0
	v_readfirstlane_b32 s22, v1
	s_cbranch_scc1 .LBB87_2
; %bb.1:
	s_ashr_i32 s3, s2, 31
	s_add_u32 s6, s6, s2
	s_addc_u32 s7, s7, s3
	v_mov_b32_e32 v1, 0
	global_load_ubyte v1, v1, s[6:7]
	s_waitcnt vmcnt(0)
	v_and_b32_e32 v1, 1, v1
	v_cmp_eq_u32_e64 s[6:7], 1, v1
	s_branch .LBB87_3
.LBB87_2:
	s_mov_b64 s[6:7], 0
.LBB87_3:
	s_nop 0
	v_writelane_b32 v95, s6, 0
	s_cmp_eq_u64 s[4:5], 0
	s_nop 0
	v_writelane_b32 v95, s7, 1
	s_load_dwordx2 s[6:7], s[0:1], 0x20
	s_cbranch_scc1 .LBB87_5
; %bb.4:
	s_ashr_i32 s3, s2, 31
	s_lshl_b64 s[8:9], s[2:3], 2
	s_add_u32 s4, s4, s8
	s_addc_u32 s5, s5, s9
	s_load_dword s24, s[4:5], 0x0
	s_waitcnt lgkmcnt(0)
	s_ashr_i32 s25, s24, 31
	s_cmp_eq_u64 s[6:7], s[24:25]
	s_cbranch_scc0 .LBB87_6
	s_branch .LBB87_234
.LBB87_5:
	s_mov_b32 s24, s2
	s_ashr_i32 s25, s24, 31
	s_waitcnt lgkmcnt(0)
	s_cmp_eq_u64 s[6:7], s[24:25]
	s_cbranch_scc1 .LBB87_234
.LBB87_6:
	s_load_dwordx16 s[4:19], s[0:1], 0x88
	s_load_dwordx2 s[30:31], s[0:1], 0x8
	s_mov_b32 s3, 0
	v_writelane_b32 v95, s3, 2
	v_writelane_b32 v95, s3, 3
	s_waitcnt lgkmcnt(0)
	s_cmp_eq_u64 s[10:11], 0
	s_cbranch_scc1 .LBB87_8
; %bb.7:
	s_ashr_i32 s21, s20, 31
	s_lshl_b64 s[28:29], s[20:21], 2
	s_add_u32 s10, s10, s28
	s_addc_u32 s11, s11, s29
	s_load_dword s3, s[10:11], 0x0
	s_waitcnt lgkmcnt(0)
	v_writelane_b32 v95, s3, 3
.LBB87_8:
	s_cmp_eq_u64 s[16:17], 0
	s_cbranch_scc1 .LBB87_10
; %bb.9:
	s_ashr_i32 s21, s20, 31
	s_lshl_b64 s[10:11], s[20:21], 2
	s_add_u32 s10, s16, s10
	s_addc_u32 s11, s17, s11
	s_load_dword s3, s[10:11], 0x0
	s_waitcnt lgkmcnt(0)
	v_writelane_b32 v95, s3, 2
.LBB87_10:
	s_cmp_lt_i32 s30, 1
	s_cbranch_scc1 .LBB87_234
; %bb.11:
	v_mbcnt_lo_u32_b32 v1, -1, 0
	v_mbcnt_hi_u32_b32 v20, -1, v1
	v_lshrrev_b32_e32 v1, 5, v20
	s_sub_i32 s3, 0, s26
	v_and_b32_e32 v1, 2, v1
	s_mul_i32 s3, s3, s22
	v_add_u32_e32 v1, v1, v20
	s_mul_hi_u32 s3, s22, s3
	v_add_u32_e32 v2, 64, v20
	v_lshl_add_u32 v1, v1, 1, 0
	s_load_dwordx8 s[36:43], s[0:1], 0x2c
	s_load_dwordx2 s[10:11], s[0:1], 0x5c
	s_load_dwordx4 s[44:47], s[0:1], 0x4c
	s_abs_i32 s21, s20
	s_add_i32 s3, s22, s3
	s_load_dwordx4 s[48:51], s[0:1], 0x7c
	s_load_dwordx2 s[22:23], s[0:1], 0x6c
	s_load_dwordx2 s[16:17], s[0:1], 0xc8
	scratch_store_dword off, v1, off offset:4 ; 4-byte Folded Spill
	scratch_store_dword off, v2, off offset:180 ; 4-byte Folded Spill
	v_lshrrev_b32_e32 v1, 5, v2
	s_mul_hi_u32 s3, s21, s3
	s_load_dword s25, s[0:1], 0x28
	s_ashr_i32 s0, s20, 31
	s_ashr_i32 s1, s27, 31
	v_and_b32_e32 v1, 6, v1
	s_xor_b32 s0, s0, s1
	s_mul_i32 s1, s3, s26
	v_add_lshl_u32 v1, v1, v20, 1
	s_sub_i32 s1, s21, s1
	v_or_b32_e32 v3, 0x80, v20
	v_add_u32_e32 v2, 0, v1
	s_add_i32 s21, s3, 1
	s_sub_i32 s27, s1, s26
	scratch_store_dword off, v2, off offset:8 ; 4-byte Folded Spill
	scratch_store_dword off, v3, off offset:184 ; 4-byte Folded Spill
	v_lshrrev_b32_e32 v2, 5, v3
	s_cmp_ge_u32 s1, s26
	v_and_b32_e32 v2, 6, v2
	s_cselect_b32 s3, s21, s3
	v_add_lshl_u32 v2, v2, v20, 1
	s_cselect_b32 s1, s27, s1
	s_add_i32 s21, s3, 1
	v_add_u32_e32 v4, 0xc0, v20
	v_add_u32_e32 v3, 0, v2
	s_cmp_ge_u32 s1, s26
	scratch_store_dword off, v3, off offset:12 ; 4-byte Folded Spill
	scratch_store_dword off, v4, off offset:188 ; 4-byte Folded Spill
	v_lshrrev_b32_e32 v3, 5, v4
	s_cselect_b32 s1, s21, s3
	v_and_b32_e32 v3, 14, v3
	s_xor_b32 s1, s1, s0
	s_waitcnt lgkmcnt(0)
	s_mul_i32 s88, s46, s2
	s_mov_b32 s89, 0
	v_add_lshl_u32 v3, v3, v20, 1
	s_sub_i32 s3, s1, s0
	s_lshl_b64 s[0:1], s[88:89], 1
	v_or_b32_e32 v5, 0x100, v20
	v_add_u32_e32 v4, 0, v3
	s_add_u32 s12, s12, s0
	s_mul_i32 s88, s47, s20
	scratch_store_dword off, v4, off offset:16 ; 4-byte Folded Spill
	scratch_store_dword off, v5, off offset:192 ; 4-byte Folded Spill
	v_lshrrev_b32_e32 v4, 5, v5
	s_addc_u32 s13, s13, s1
	s_lshl_b64 s[0:1], s[88:89], 1
	v_and_b32_e32 v4, 10, v4
	s_add_u32 s26, s12, s0
	s_mul_i32 s88, s10, s2
	v_add_lshl_u32 v4, v4, v20, 1
	s_addc_u32 s27, s13, s1
	s_lshl_b64 s[0:1], s[88:89], 1
	v_add_u32_e32 v6, 0x140, v20
	v_add_u32_e32 v5, 0, v4
	s_add_u32 s10, s14, s0
	s_mul_i32 s88, s11, s20
	scratch_store_dword off, v5, off offset:20 ; 4-byte Folded Spill
	scratch_store_dword off, v6, off offset:196 ; 4-byte Folded Spill
	v_lshrrev_b32_e32 v5, 5, v6
	s_addc_u32 s12, s15, s1
	s_lshl_b64 s[0:1], s[88:89], 1
	v_and_b32_e32 v5, 14, v5
	s_add_u32 s0, s10, s0
	v_add_lshl_u32 v5, v5, v20, 1
	s_addc_u32 s1, s12, s1
	v_or_b32_e32 v7, 0x180, v20
	v_add_u32_e32 v6, 0, v5
	v_writelane_b32 v95, s0, 4
	s_mul_i32 s88, s36, s20
	scratch_store_dword off, v6, off offset:24 ; 4-byte Folded Spill
	scratch_store_dword off, v7, off offset:200 ; 4-byte Folded Spill
	v_lshrrev_b32_e32 v6, 5, v7
	v_writelane_b32 v95, s1, 5
	s_lshl_b64 s[0:1], s[88:89], 2
	v_and_b32_e32 v6, 14, v6
	s_add_u32 s97, s4, s0
	v_add_lshl_u32 v6, v6, v20, 1
	s_addc_u32 s0, s5, s1
	s_mul_i32 s88, s38, s2
	v_add_u32_e32 v8, 0x1c0, v20
	v_add_u32_e32 v7, 0, v6
	v_writelane_b32 v95, s0, 6
	s_lshl_b64 s[0:1], s[88:89], 1
	scratch_store_dword off, v7, off offset:28 ; 4-byte Folded Spill
	scratch_store_dword off, v8, off offset:204 ; 4-byte Folded Spill
	v_lshrrev_b32_e32 v7, 5, v8
	s_add_u32 s4, s6, s0
	s_mul_i32 s88, s3, s41
	v_and_b32_e32 v7, 30, v7
	s_addc_u32 s5, s7, s1
	s_lshl_b64 s[0:1], s[88:89], 1
	v_add_lshl_u32 v7, v7, v20, 1
	s_add_u32 s0, s4, s0
	v_or_b32_e32 v9, 0x200, v20
	v_add_u32_e32 v8, 0, v7
	s_addc_u32 s1, s5, s1
	scratch_store_dword off, v8, off offset:32 ; 4-byte Folded Spill
	scratch_store_dword off, v9, off offset:208 ; 4-byte Folded Spill
	v_lshrrev_b32_e32 v8, 5, v9
	v_writelane_b32 v95, s0, 7
	v_and_b32_e32 v8, 18, v8
	v_add_lshl_u32 v8, v8, v20, 1
	v_writelane_b32 v95, s1, 8
	v_writelane_b32 v95, s36, 9
	v_add_u32_e32 v10, 0x240, v20
	v_add_u32_e32 v9, 0, v8
	v_writelane_b32 v95, s37, 10
	scratch_store_dword off, v9, off offset:36 ; 4-byte Folded Spill
	scratch_store_dword off, v10, off offset:212 ; 4-byte Folded Spill
	v_lshrrev_b32_e32 v9, 5, v10
	v_writelane_b32 v95, s38, 11
	v_and_b32_e32 v9, 22, v9
	v_writelane_b32 v95, s39, 12
	v_add_lshl_u32 v9, v9, v20, 1
	v_writelane_b32 v95, s40, 13
	v_or_b32_e32 v11, 0x280, v20
	v_add_u32_e32 v10, 0, v9
	v_writelane_b32 v95, s41, 14
	scratch_store_dword off, v10, off offset:40 ; 4-byte Folded Spill
	scratch_store_dword off, v11, off offset:216 ; 4-byte Folded Spill
	v_lshrrev_b32_e32 v10, 5, v11
	v_writelane_b32 v95, s42, 15
	s_mul_i32 s88, s42, s2
	v_and_b32_e32 v10, 22, v10
	v_writelane_b32 v95, s43, 16
	s_lshl_b64 s[0:1], s[88:89], 1
	v_add_lshl_u32 v10, v10, v20, 1
	s_add_u32 s4, s8, s0
	v_writelane_b32 v95, s44, 17
	s_mul_i32 s88, s3, s45
	v_add_u32_e32 v12, 0x2c0, v20
	v_add_u32_e32 v11, 0, v10
	s_addc_u32 s5, s9, s1
	v_writelane_b32 v95, s45, 18
	s_lshl_b64 s[0:1], s[88:89], 1
	scratch_store_dword off, v11, off offset:44 ; 4-byte Folded Spill
	scratch_store_dword off, v12, off offset:220 ; 4-byte Folded Spill
	v_lshrrev_b32_e32 v11, 5, v12
	v_writelane_b32 v95, s46, 19
	s_add_u32 s0, s4, s0
	v_and_b32_e32 v11, 30, v11
	v_writelane_b32 v95, s47, 20
	s_addc_u32 s1, s5, s1
	v_add_lshl_u32 v11, v11, v20, 1
	v_writelane_b32 v95, s0, 21
	v_or_b32_e32 v13, 0x300, v20
	v_add_u32_e32 v12, 0, v11
	v_writelane_b32 v95, s1, 22
	s_mul_i32 s88, s24, s48
	scratch_store_dword off, v12, off offset:48 ; 4-byte Folded Spill
	scratch_store_dword off, v13, off offset:224 ; 4-byte Folded Spill
	v_lshrrev_b32_e32 v12, 5, v13
	s_lshl_b64 s[0:1], s[88:89], 1
	v_writelane_b32 v95, s48, 23
	v_and_b32_e32 v12, 26, v12
	s_add_u32 s3, s16, s0
	v_writelane_b32 v95, s49, 24
	s_mul_i32 s88, s49, s20
	v_add_lshl_u32 v12, v12, v20, 1
	s_addc_u32 s4, s17, s1
	v_writelane_b32 v95, s50, 25
	s_lshl_b64 s[0:1], s[88:89], 1
	v_add_u32_e32 v14, 0x340, v20
	v_add_u32_e32 v13, 0, v12
	v_writelane_b32 v95, s51, 26
	s_add_u32 s0, s3, s0
	scratch_store_dword off, v13, off offset:52 ; 4-byte Folded Spill
	scratch_store_dword off, v14, off offset:228 ; 4-byte Folded Spill
	v_lshrrev_b32_e32 v13, 5, v14
	v_writelane_b32 v95, s0, 27
	s_addc_u32 s0, s4, s1
	v_and_b32_e32 v13, 30, v13
	v_writelane_b32 v95, s0, 28
	s_add_i32 s0, s30, 0x7ff
	v_add_lshl_u32 v13, v13, v20, 1
	s_lshr_b32 s1, s0, 11
	v_or_b32_e32 v15, 0x380, v20
	v_add_u32_e32 v14, 0, v13
	scratch_store_dword off, v14, off offset:56 ; 4-byte Folded Spill
	scratch_store_dword off, v15, off offset:232 ; 4-byte Folded Spill
	v_lshrrev_b32_e32 v14, 5, v15
	s_bitcmp1_b32 s25, 0
	v_and_b32_e32 v14, 30, v14
	s_cselect_b64 s[4:5], -1, 0
	s_cmp_gt_i32 s31, 0
	v_add_lshl_u32 v14, v14, v20, 1
	s_cselect_b64 s[6:7], -1, 0
	s_add_i32 s0, 0, 0x840
	v_add_u32_e32 v15, 0, v14
	v_add_u32_e32 v1, s0, v1
	;; [unrolled: 1-line block ×3, first 2 shown]
	scratch_store_dword off, v15, off offset:60 ; 4-byte Folded Spill
	scratch_store_dword off, v16, off offset:236 ; 4-byte Folded Spill
	;; [unrolled: 1-line block ×3, first 2 shown]
	v_add_u32_e32 v1, s0, v2
	scratch_store_dword off, v1, off offset:100 ; 4-byte Folded Spill
	v_add_u32_e32 v1, s0, v3
	scratch_store_dword off, v1, off offset:104 ; 4-byte Folded Spill
	;; [unrolled: 2-line block ×7, first 2 shown]
	v_add_u32_e32 v1, s0, v9
	v_lshrrev_b32_e32 v15, 5, v16
	scratch_store_dword off, v1, off offset:128 ; 4-byte Folded Spill
	v_add_u32_e32 v1, s0, v10
	v_and_b32_e32 v15, 62, v15
	scratch_store_dword off, v1, off offset:132 ; 4-byte Folded Spill
	v_add_u32_e32 v1, s0, v11
	v_add_lshl_u32 v15, v15, v20, 1
	scratch_store_dword off, v1, off offset:136 ; 4-byte Folded Spill
	v_add_u32_e32 v1, s0, v12
	v_add_u32_e32 v16, 0, v15
	v_lshrrev_b32_e32 v18, 1, v20
	scratch_store_dword off, v1, off offset:140 ; 4-byte Folded Spill
	v_add_u32_e32 v1, s0, v13
	scratch_store_dword off, v16, off offset:64 ; 4-byte Folded Spill
	v_lshlrev_b32_e32 v16, 4, v20
	v_and_b32_e32 v18, 62, v18
	v_writelane_b32 v95, s6, 29
	scratch_store_dword off, v1, off offset:144 ; 4-byte Folded Spill
	v_add_u32_e32 v1, s0, v14
	v_add_lshl_u32 v16, v18, v16, 1
	v_writelane_b32 v95, s7, 30
	scratch_store_dword off, v1, off offset:148 ; 4-byte Folded Spill
	v_add_u32_e32 v1, s0, v15
	scratch_store_dword off, v1, off offset:152 ; 4-byte Folded Spill
	v_add_u32_e32 v1, s0, v16
	v_writelane_b32 v95, s30, 31
	s_and_b32 s0, s30, 0x3ff
	s_cmp_eq_u32 s0, 0
	v_writelane_b32 v95, s31, 32
	s_cselect_b64 s[6:7], -1, 0
	scratch_store_dword off, v1, off offset:156 ; 4-byte Folded Spill
	v_writelane_b32 v95, s6, 33
	v_and_b32_e32 v1, 15, v20
	v_cmp_lt_u32_e64 s[84:85], 3, v1
	v_writelane_b32 v95, s7, 34
	v_cmp_ne_u32_e64 s[6:7], 0, v1
	s_mul_i32 s88, s22, s2
	v_and_b32_e32 v2, 64, v20
	v_writelane_b32 v95, s6, 35
	s_add_i32 s0, s1, -1
	s_lshl_b64 s[2:3], s[88:89], 1
	v_writelane_b32 v95, s7, 36
	v_cmp_lt_u32_e64 s[6:7], 1, v1
	v_lshlrev_b32_e32 v19, 4, v0
	v_cmp_gt_u32_e64 s[14:15], 64, v0
	v_writelane_b32 v95, s6, 37
	v_cmp_eq_u32_e64 s[16:17], 0, v0
	s_mul_i32 s88, s23, s20
	v_writelane_b32 v95, s7, 38
	v_cmp_lt_u32_e64 s[6:7], 7, v1
	v_and_b32_e32 v1, 16, v20
	v_add_u32_e32 v18, 0, v16
	v_writelane_b32 v95, s6, 39
	v_mov_b32_e32 v17, 0
	scratch_store_dword off, v18, off       ; 4-byte Folded Spill
	v_writelane_b32 v95, s7, 40
	v_cmp_ne_u32_e64 s[6:7], 0, v1
	v_add_u32_e32 v1, -1, v20
	v_cmp_lt_i32_e32 vcc, v1, v2
	v_writelane_b32 v95, s6, 41
	v_lshlrev_b32_e32 v16, 1, v20
	v_cndmask_b32_e32 v1, v1, v20, vcc
	v_writelane_b32 v95, s7, 42
	v_writelane_b32 v95, s1, 43
	;; [unrolled: 1-line block ×3, first 2 shown]
	s_add_u32 s0, s18, s2
	s_addc_u32 s1, s19, s3
	v_cmp_eq_u32_e64 s[2:3], 63, v0
	v_lshlrev_b32_e32 v1, 2, v1
	v_mov_b32_e32 v0, v20
	scratch_store_dwordx2 off, v[0:1], off offset:172 ; 8-byte Folded Spill
	v_or_b32_e32 v0, 1, v19
	scratch_store_dword off, v0, off offset:252 ; 4-byte Folded Spill
	v_or_b32_e32 v0, 2, v19
	scratch_store_dword off, v0, off offset:256 ; 4-byte Folded Spill
	;; [unrolled: 2-line block ×6, first 2 shown]
                                        ; implicit-def: $vgpr0
	v_writelane_b32 v95, s2, 45
	v_or_b32_e32 v0, 7, v19
	scratch_store_dword off, v0, off offset:276 ; 4-byte Folded Spill
	v_or_b32_e32 v0, 8, v19
	scratch_store_dword off, v0, off offset:280 ; 4-byte Folded Spill
	v_or_b32_e32 v0, 9, v19
	v_writelane_b32 v95, s3, 46
	s_lshl_b64 s[2:3], s[88:89], 1
	scratch_store_dword off, v0, off offset:284 ; 4-byte Folded Spill
	v_or_b32_e32 v0, 10, v19
	s_add_u32 s2, s0, s2
	scratch_store_dword off, v0, off offset:288 ; 4-byte Folded Spill
	v_or_b32_e32 v0, 11, v19
	s_addc_u32 s3, s1, s3
	s_add_i32 s0, 0, 0x1088
	scratch_store_dword off, v0, off offset:292 ; 4-byte Folded Spill
	v_or_b32_e32 v0, 12, v19
	v_writelane_b32 v95, s0, 47
	scratch_store_dword off, v0, off offset:296 ; 4-byte Folded Spill
	v_or_b32_e32 v0, 13, v19
	scratch_store_dword off, v0, off offset:300 ; 4-byte Folded Spill
	v_or_b32_e32 v0, 14, v19
	v_writelane_b32 v95, s97, 48
	scratch_store_dword off, v1, off offset:160 ; 4-byte Folded Spill
	scratch_store_dword off, v0, off offset:304 ; 4-byte Folded Spill
	;; [unrolled: 1-line block ×3, first 2 shown]
	v_or_b32_e32 v0, 15, v19
	v_writelane_b32 v95, s4, 49
	v_cmp_lt_u32_e64 s[12:13], 31, v20
	s_mov_b32 s6, 0x41a00000
	s_mov_b32 s7, 0x3fb8aa3b
	;; [unrolled: 1-line block ×10, first 2 shown]
	scratch_store_dword off, v0, off offset:308 ; 4-byte Folded Spill
	v_mov_b32_e32 v40, 0x3ecc95a3
	v_mov_b32_e32 v41, 0x7f800000
	;; [unrolled: 1-line block ×4, first 2 shown]
	v_lshl_add_u64 v[0:1], s[2:3], 0, v[16:17]
	v_mov_b32_e32 v42, 0x3f317218
	v_writelane_b32 v95, s5, 50
	scratch_store_dwordx2 off, v[0:1], off offset:240 ; 8-byte Folded Spill
	s_branch .LBB87_13
.LBB87_12:                              ;   in Loop: Header=BB87_13 Depth=1
	s_or_b64 exec, exec, s[2:3]
	v_readlane_b32 s0, v95, 4
	v_readlane_b32 s1, v95, 5
	s_add_u32 s0, s0, 0x800
	s_addc_u32 s1, s1, 0
	v_writelane_b32 v95, s0, 4
	s_nop 1
	v_writelane_b32 v95, s1, 5
	s_nop 0
	v_readlane_b32 s26, v95, 54
	v_readlane_b32 s27, v95, 55
	s_add_u32 s26, s26, 0x800
	s_addc_u32 s27, s27, 0
	v_readlane_b32 s0, v95, 7
	v_readlane_b32 s1, v95, 8
	s_add_u32 s0, s0, 0x800
	s_addc_u32 s1, s1, 0
	v_writelane_b32 v95, s0, 7
	s_nop 1
	v_writelane_b32 v95, s1, 8
	s_nop 0
	v_readlane_b32 s0, v95, 21
	v_readlane_b32 s1, v95, 22
	s_add_u32 s0, s0, 0x800
	s_addc_u32 s1, s1, 0
	v_writelane_b32 v95, s0, 21
	s_nop 1
	v_writelane_b32 v95, s1, 22
	s_nop 0
	v_readlane_b32 s1, v95, 51
	s_add_i32 s1, s1, 1
	v_readlane_b32 s0, v95, 43
	s_cmp_eq_u32 s1, s0
	s_cbranch_scc1 .LBB87_234
.LBB87_13:                              ; =>This Loop Header: Depth=1
                                        ;     Child Loop BB87_110 Depth 2
	s_waitcnt lgkmcnt(0)
	; wave barrier
	s_waitcnt vmcnt(63) expcnt(7) lgkmcnt(15)
	scratch_load_dwordx2 v[0:1], off, off offset:172 ; 8-byte Folded Reload
	v_writelane_b32 v95, s1, 51
	s_lshl_b32 s18, s1, 10
	v_readlane_b32 s0, v95, 31
	s_mov_b32 s2, s18
	v_readlane_b32 s1, v95, 32
	v_writelane_b32 v95, s2, 52
	s_sub_i32 s82, s0, s18
	s_waitcnt vmcnt(0) lgkmcnt(0)
	v_mov_b32_e32 v2, v0
	v_writelane_b32 v95, s3, 53
	v_lshlrev_b32_e32 v16, 1, v2
	v_writelane_b32 v95, s26, 54
	v_cmp_gt_u32_e64 s[18:19], s82, v2
	v_mov_b32_e32 v2, 0
	v_writelane_b32 v95, s27, 55
	v_lshl_add_u64 v[0:1], s[26:27], 0, v[16:17]
	s_and_saveexec_b64 s[2:3], s[18:19]
	s_cbranch_execz .LBB87_15
; %bb.14:                               ;   in Loop: Header=BB87_13 Depth=1
	global_load_ushort v2, v[0:1], off
.LBB87_15:                              ;   in Loop: Header=BB87_13 Depth=1
	s_or_b64 exec, exec, s[2:3]
	scratch_load_dword v3, off, off offset:180 ; 4-byte Folded Reload
	v_mov_b32_e32 v4, 0
	s_waitcnt vmcnt(0)
	v_cmp_gt_u32_e64 s[20:21], s82, v3
	v_mov_b32_e32 v3, 0
	s_and_saveexec_b64 s[2:3], s[20:21]
	s_cbranch_execz .LBB87_17
; %bb.16:                               ;   in Loop: Header=BB87_13 Depth=1
	global_load_ushort v4, v[0:1], off offset:128
.LBB87_17:                              ;   in Loop: Header=BB87_13 Depth=1
	s_or_b64 exec, exec, s[2:3]
	scratch_load_dword v5, off, off offset:184 ; 4-byte Folded Reload
	s_waitcnt vmcnt(0)
	v_cmp_gt_u32_e64 s[22:23], s82, v5
	s_and_saveexec_b64 s[2:3], s[22:23]
	s_cbranch_execz .LBB87_19
; %bb.18:                               ;   in Loop: Header=BB87_13 Depth=1
	global_load_ushort v3, v[0:1], off offset:256
.LBB87_19:                              ;   in Loop: Header=BB87_13 Depth=1
	s_or_b64 exec, exec, s[2:3]
	scratch_load_dword v5, off, off offset:188 ; 4-byte Folded Reload
	v_mov_b32_e32 v6, 0
	s_waitcnt vmcnt(0)
	v_cmp_gt_u32_e64 s[24:25], s82, v5
	v_mov_b32_e32 v5, 0
	s_and_saveexec_b64 s[2:3], s[24:25]
	s_cbranch_execz .LBB87_21
; %bb.20:                               ;   in Loop: Header=BB87_13 Depth=1
	global_load_ushort v6, v[0:1], off offset:384
.LBB87_21:                              ;   in Loop: Header=BB87_13 Depth=1
	s_or_b64 exec, exec, s[2:3]
	scratch_load_dword v7, off, off offset:192 ; 4-byte Folded Reload
	s_waitcnt vmcnt(0)
	v_cmp_gt_u32_e64 s[26:27], s82, v7
	s_and_saveexec_b64 s[2:3], s[26:27]
	s_cbranch_execz .LBB87_23
; %bb.22:                               ;   in Loop: Header=BB87_13 Depth=1
	global_load_ushort v5, v[0:1], off offset:512
.LBB87_23:                              ;   in Loop: Header=BB87_13 Depth=1
	;; [unrolled: 20-line block ×4, first 2 shown]
	s_or_b64 exec, exec, s[2:3]
	scratch_load_dword v10, off, off offset:212 ; 4-byte Folded Reload
	v_mov_b32_e32 v12, 0
	v_mov_b32_e32 v13, 0
	s_waitcnt vmcnt(0)
	v_cmp_gt_u32_e64 s[38:39], s82, v10
	s_and_saveexec_b64 s[2:3], s[38:39]
	s_cbranch_execz .LBB87_33
; %bb.32:                               ;   in Loop: Header=BB87_13 Depth=1
	global_load_ushort v13, v[0:1], off offset:1152
.LBB87_33:                              ;   in Loop: Header=BB87_13 Depth=1
	s_or_b64 exec, exec, s[2:3]
	scratch_load_dword v10, off, off offset:216 ; 4-byte Folded Reload
	s_waitcnt vmcnt(0)
	v_cmp_gt_u32_e64 s[40:41], s82, v10
	s_and_saveexec_b64 s[2:3], s[40:41]
	s_cbranch_execz .LBB87_35
; %bb.34:                               ;   in Loop: Header=BB87_13 Depth=1
	global_load_ushort v12, v[0:1], off offset:1280
.LBB87_35:                              ;   in Loop: Header=BB87_13 Depth=1
	s_or_b64 exec, exec, s[2:3]
	scratch_load_dword v10, off, off offset:220 ; 4-byte Folded Reload
	v_mov_b32_e32 v14, 0
	v_mov_b32_e32 v15, 0
	s_waitcnt vmcnt(0)
	v_cmp_gt_u32_e64 s[42:43], s82, v10
	s_and_saveexec_b64 s[2:3], s[42:43]
	s_cbranch_execz .LBB87_37
; %bb.36:                               ;   in Loop: Header=BB87_13 Depth=1
	global_load_ushort v15, v[0:1], off offset:1408
.LBB87_37:                              ;   in Loop: Header=BB87_13 Depth=1
	s_or_b64 exec, exec, s[2:3]
	scratch_load_dword v10, off, off offset:224 ; 4-byte Folded Reload
	s_waitcnt vmcnt(0)
	v_cmp_gt_u32_e64 s[44:45], s82, v10
	s_and_saveexec_b64 s[2:3], s[44:45]
	s_cbranch_execz .LBB87_39
; %bb.38:                               ;   in Loop: Header=BB87_13 Depth=1
	global_load_ushort v14, v[0:1], off offset:1536
.LBB87_39:                              ;   in Loop: Header=BB87_13 Depth=1
	;; [unrolled: 20-line block ×3, first 2 shown]
	s_or_b64 exec, exec, s[2:3]
	scratch_load_dword v10, off, off offset:236 ; 4-byte Folded Reload
	v_mov_b32_e32 v20, 0
	s_waitcnt vmcnt(0)
	v_cmp_gt_u32_e64 s[50:51], s82, v10
	v_mov_b32_e32 v10, 0
	s_and_saveexec_b64 s[2:3], s[50:51]
	s_cbranch_execz .LBB87_45
; %bb.44:                               ;   in Loop: Header=BB87_13 Depth=1
	global_load_ushort v20, v[0:1], off offset:1920
.LBB87_45:                              ;   in Loop: Header=BB87_13 Depth=1
	s_or_b64 exec, exec, s[2:3]
	scratch_load_dword v0, off, off offset:4 ; 4-byte Folded Reload
	v_readlane_b32 s0, v95, 4
	v_readlane_b32 s1, v95, 5
	s_waitcnt vmcnt(0)
	ds_write_b16 v0, v2
	scratch_load_dword v0, off, off offset:8 ; 4-byte Folded Reload
	s_waitcnt vmcnt(0)
	ds_write_b16 v0, v4 offset:128
	scratch_load_dword v0, off, off offset:12 ; 4-byte Folded Reload
	s_waitcnt vmcnt(0)
	ds_write_b16 v0, v3 offset:256
	scratch_load_dword v0, off, off offset:16 ; 4-byte Folded Reload
	s_waitcnt vmcnt(0)
	ds_write_b16 v0, v6 offset:384
	scratch_load_dword v0, off, off offset:20 ; 4-byte Folded Reload
	s_waitcnt vmcnt(0)
	ds_write_b16 v0, v5 offset:512
	scratch_load_dword v0, off, off offset:24 ; 4-byte Folded Reload
	s_waitcnt vmcnt(0)
	ds_write_b16 v0, v8 offset:640
	scratch_load_dword v0, off, off offset:28 ; 4-byte Folded Reload
	s_waitcnt vmcnt(0)
	ds_write_b16 v0, v7 offset:768
	scratch_load_dword v0, off, off offset:32 ; 4-byte Folded Reload
	s_waitcnt vmcnt(0)
	ds_write_b16 v0, v11 offset:896
	scratch_load_dword v0, off, off offset:36 ; 4-byte Folded Reload
	s_waitcnt vmcnt(0)
	ds_write_b16 v0, v9 offset:1024
	scratch_load_dword v0, off, off offset:40 ; 4-byte Folded Reload
	v_lshl_add_u64 v[8:9], s[0:1], 0, v[16:17]
	s_waitcnt vmcnt(0)
	ds_write_b16 v0, v13 offset:1152
	scratch_load_dword v0, off, off offset:44 ; 4-byte Folded Reload
	s_waitcnt vmcnt(0)
	ds_write_b16 v0, v12 offset:1280
	scratch_load_dword v0, off, off offset:48 ; 4-byte Folded Reload
	;; [unrolled: 3-line block ×6, first 2 shown]
	s_waitcnt vmcnt(0)
	ds_write_b16 v0, v20 offset:1920
	; wave barrier
	scratch_load_dword v4, off, off         ; 4-byte Folded Reload
	s_waitcnt vmcnt(0)
	ds_read_b128 v[0:3], v4
	ds_read_b128 v[4:7], v4 offset:16
	s_waitcnt lgkmcnt(0)
	; wave barrier
	s_waitcnt lgkmcnt(0)
	s_and_saveexec_b64 s[2:3], s[18:19]
	s_cbranch_execz .LBB87_47
; %bb.46:                               ;   in Loop: Header=BB87_13 Depth=1
	global_load_ushort v10, v[8:9], off
.LBB87_47:                              ;   in Loop: Header=BB87_13 Depth=1
	s_or_b64 exec, exec, s[2:3]
	v_mov_b32_e32 v11, 0
	v_mov_b32_e32 v12, 0
	s_and_saveexec_b64 s[2:3], s[20:21]
	s_cbranch_execz .LBB87_49
; %bb.48:                               ;   in Loop: Header=BB87_13 Depth=1
	global_load_ushort v12, v[8:9], off offset:128
.LBB87_49:                              ;   in Loop: Header=BB87_13 Depth=1
	s_or_b64 exec, exec, s[2:3]
	s_and_saveexec_b64 s[2:3], s[22:23]
	s_cbranch_execz .LBB87_51
; %bb.50:                               ;   in Loop: Header=BB87_13 Depth=1
	global_load_ushort v11, v[8:9], off offset:256
.LBB87_51:                              ;   in Loop: Header=BB87_13 Depth=1
	s_or_b64 exec, exec, s[2:3]
	v_mov_b32_e32 v13, 0
	v_mov_b32_e32 v14, 0
	s_and_saveexec_b64 s[2:3], s[24:25]
	s_cbranch_execz .LBB87_53
; %bb.52:                               ;   in Loop: Header=BB87_13 Depth=1
	global_load_ushort v14, v[8:9], off offset:384
.LBB87_53:                              ;   in Loop: Header=BB87_13 Depth=1
	s_or_b64 exec, exec, s[2:3]
	s_and_saveexec_b64 s[2:3], s[26:27]
	s_cbranch_execz .LBB87_55
; %bb.54:                               ;   in Loop: Header=BB87_13 Depth=1
	global_load_ushort v13, v[8:9], off offset:512
.LBB87_55:                              ;   in Loop: Header=BB87_13 Depth=1
	;; [unrolled: 14-line block ×6, first 2 shown]
	s_or_b64 exec, exec, s[2:3]
	v_mov_b32_e32 v25, 0
	v_mov_b32_e32 v26, 0
	s_and_saveexec_b64 s[2:3], s[46:47]
	s_cbranch_execnz .LBB87_216
; %bb.72:                               ;   in Loop: Header=BB87_13 Depth=1
	s_or_b64 exec, exec, s[2:3]
	s_and_saveexec_b64 s[2:3], s[48:49]
	s_cbranch_execnz .LBB87_217
.LBB87_73:                              ;   in Loop: Header=BB87_13 Depth=1
	s_or_b64 exec, exec, s[2:3]
	v_mov_b32_e32 v27, 0
	s_and_saveexec_b64 s[2:3], s[50:51]
	s_cbranch_execz .LBB87_75
.LBB87_74:                              ;   in Loop: Header=BB87_13 Depth=1
	global_load_ushort v27, v[8:9], off offset:1920
.LBB87_75:                              ;   in Loop: Header=BB87_13 Depth=1
	s_or_b64 exec, exec, s[2:3]
	scratch_load_dword v8, off, off offset:4 ; 4-byte Folded Reload
	v_readlane_b32 s0, v95, 2
	s_waitcnt vmcnt(0)
	ds_write_b16 v8, v10
	scratch_load_dword v8, off, off offset:8 ; 4-byte Folded Reload
	s_waitcnt vmcnt(0)
	ds_write_b16 v8, v12 offset:128
	scratch_load_dword v8, off, off offset:12 ; 4-byte Folded Reload
	s_waitcnt vmcnt(0)
	ds_write_b16 v8, v11 offset:256
	;; [unrolled: 3-line block ×15, first 2 shown]
	; wave barrier
	scratch_load_dword v8, off, off         ; 4-byte Folded Reload
	s_waitcnt vmcnt(0)
	ds_read_b128 v[12:15], v8
	ds_read_b128 v[8:11], v8 offset:16
	s_waitcnt lgkmcnt(1)
	v_cvt_f32_f16_e32 v18, v12
	v_add_f32_e32 v70, s0, v18
	v_cmp_ge_f32_e32 vcc, s6, v70
	s_and_b64 s[2:3], s[4:5], vcc
	s_and_saveexec_b64 s[52:53], s[2:3]
	s_cbranch_execz .LBB87_77
; %bb.76:                               ;   in Loop: Header=BB87_13 Depth=1
	v_mul_f32_e32 v18, 0x3fb8aa3b, v70
	v_rndne_f32_e32 v19, v18
	v_sub_f32_e32 v20, v18, v19
	v_fma_f32 v18, v70, s7, -v18
	v_fmac_f32_e32 v18, 0x32a5705f, v70
	v_add_f32_e32 v18, v20, v18
	v_cvt_i32_f32_e32 v19, v19
	v_exp_f32_e32 v18, v18
	v_cmp_ngt_f32_e32 vcc, s8, v70
	v_ldexp_f32 v18, v18, v19
	s_nop 0
	v_cndmask_b32_e32 v18, 0, v18, vcc
	v_cmp_nlt_f32_e32 vcc, s9, v70
	s_nop 1
	v_cndmask_b32_e32 v34, v41, v18, vcc
	v_add_f32_e32 v20, 1.0, v34
	v_add_f32_e32 v18, -1.0, v20
	v_sub_f32_e32 v19, v18, v20
	v_add_f32_e32 v19, 1.0, v19
	v_sub_f32_e32 v18, v34, v18
	v_add_f32_e32 v21, v18, v19
	v_frexp_mant_f32_e32 v22, v20
	v_cvt_f64_f32_e32 v[18:19], v20
	v_frexp_exp_i32_f64_e32 v18, v[18:19]
	v_cmp_gt_f32_e32 vcc, s11, v22
	v_cmp_gt_f32_e64 s[2:3], s54, v34
	s_nop 0
	v_subbrev_co_u32_e32 v26, vcc, 0, v18, vcc
	v_sub_u32_e32 v18, 0, v26
	v_ldexp_f32 v19, v20, v18
	v_add_f32_e32 v20, -1.0, v19
	v_add_f32_e32 v22, 1.0, v19
	v_ldexp_f32 v18, v21, v18
	v_add_f32_e32 v21, 1.0, v20
	v_add_f32_e32 v23, -1.0, v22
	v_sub_f32_e32 v21, v19, v21
	v_sub_f32_e32 v19, v19, v23
	v_add_f32_e32 v21, v18, v21
	v_add_f32_e32 v18, v18, v19
	v_add_f32_e32 v27, v22, v18
	v_rcp_f32_e32 v29, v27
	v_sub_f32_e32 v19, v22, v27
	v_add_f32_e32 v28, v18, v19
	v_add_f32_e32 v19, v20, v21
	v_mul_f32_e32 v31, v19, v29
	v_sub_f32_e32 v18, v20, v19
	v_mul_f32_e32 v20, v27, v31
	v_fma_f32 v22, v31, v27, -v20
	v_fmac_f32_e32 v22, v31, v28
	v_add_f32_e32 v30, v21, v18
	v_add_f32_e32 v18, v20, v22
	v_sub_f32_e32 v21, v19, v18
	v_pk_add_f32 v[24:25], v[18:19], v[20:21] neg_lo:[0,1] neg_hi:[0,1]
	v_mov_b32_e32 v23, v18
	v_pk_add_f32 v[18:19], v[24:25], v[22:23] neg_lo:[0,1] neg_hi:[0,1]
	v_cmp_eq_f32_e32 vcc, s10, v34
	v_add_f32_e32 v19, v30, v19
	v_add_f32_e32 v18, v18, v19
	;; [unrolled: 1-line block ×3, first 2 shown]
	v_mul_f32_e32 v30, v29, v19
	v_mul_f32_e32 v20, v27, v30
	v_fma_f32 v22, v30, v27, -v20
	v_fmac_f32_e32 v22, v30, v28
	v_sub_f32_e32 v21, v21, v19
	v_add_f32_e32 v27, v18, v21
	v_add_f32_e32 v18, v20, v22
	v_sub_f32_e32 v21, v19, v18
	v_pk_add_f32 v[24:25], v[18:19], v[20:21] neg_lo:[0,1] neg_hi:[0,1]
	v_mov_b32_e32 v23, v18
	v_pk_add_f32 v[18:19], v[24:25], v[22:23] neg_lo:[0,1] neg_hi:[0,1]
	s_or_b64 vcc, s[2:3], vcc
	v_add_f32_e32 v19, v27, v19
	v_add_f32_e32 v18, v18, v19
	v_add_f32_e32 v19, v31, v30
	v_add_f32_e32 v18, v21, v18
	v_sub_f32_e32 v20, v19, v31
	v_mul_f32_e32 v18, v29, v18
	v_sub_f32_e32 v20, v30, v20
	v_add_f32_e32 v20, v20, v18
	v_add_f32_e32 v22, v19, v20
	v_mul_f32_e32 v23, v22, v22
	v_fmamk_f32 v18, v23, 0x3e9b6dac, v40
	v_fmaak_f32 v43, v23, v18, 0x3f2aaada
	v_cvt_f32_i32_e32 v18, v26
	v_sub_f32_e32 v19, v22, v19
	v_sub_f32_e32 v19, v20, v19
	v_ldexp_f32 v24, v19, 1
	v_mul_f32_e32 v19, v22, v23
	v_ldexp_f32 v21, v22, 1
	v_pk_mul_f32 v[22:23], v[18:19], v[42:43]
	s_nop 0
	v_fma_f32 v20, v18, s33, -v22
	v_fmac_f32_e32 v20, 0xb102e308, v18
	v_pk_add_f32 v[18:19], v[22:23], v[20:21]
	s_nop 0
	v_sub_f32_e32 v21, v19, v21
	v_sub_f32_e32 v21, v23, v21
	v_add_f32_e32 v25, v24, v21
	v_mov_b32_e32 v24, v22
	v_pk_add_f32 v[22:23], v[18:19], v[22:23] neg_lo:[0,1] neg_hi:[0,1]
	v_pk_add_f32 v[26:27], v[18:19], v[24:25]
	v_mov_b32_e32 v21, v18
	v_mov_b32_e32 v23, v27
	v_pk_add_f32 v[28:29], v[20:21], v[22:23] neg_lo:[0,1] neg_hi:[0,1]
	v_pk_add_f32 v[20:21], v[20:21], v[22:23]
	v_mov_b32_e32 v24, v25
	v_mov_b32_e32 v22, v21
	v_pk_add_f32 v[30:31], v[22:23], v[18:19] neg_lo:[0,1] neg_hi:[0,1]
	v_mov_b32_e32 v20, v27
	v_mov_b32_e32 v23, v30
	v_pk_add_f32 v[32:33], v[26:27], v[22:23] neg_lo:[0,1] neg_hi:[0,1]
	v_mov_b32_e32 v26, v19
	v_mov_b32_e32 v27, v30
	;; [unrolled: 1-line block ×3, first 2 shown]
	v_pk_add_f32 v[20:21], v[20:21], v[26:27] neg_lo:[0,1] neg_hi:[0,1]
	v_mov_b32_e32 v25, v18
	v_pk_add_f32 v[18:19], v[24:25], v[20:21] neg_lo:[0,1] neg_hi:[0,1]
	v_mov_b32_e32 v32, v28
	v_pk_add_f32 v[20:21], v[32:33], v[18:19]
	s_nop 0
	v_mov_b32_e32 v24, v21
	v_pk_add_f32 v[24:25], v[20:21], v[24:25]
	s_nop 0
	v_pk_add_f32 v[22:23], v[22:23], v[24:25]
	v_mov_b32_e32 v19, v24
	v_mov_b32_e32 v21, v22
	v_pk_add_f32 v[26:27], v[20:21], v[28:29] neg_lo:[0,1] neg_hi:[0,1]
	s_nop 0
	v_sub_f32_e32 v20, v20, v26
	v_pk_add_f32 v[18:19], v[18:19], v[26:27] neg_lo:[0,1] neg_hi:[0,1]
	v_sub_f32_e32 v20, v28, v20
	v_add_f32_e32 v18, v18, v20
	v_add_f32_e32 v18, v18, v19
	;; [unrolled: 1-line block ×3, first 2 shown]
	v_cndmask_b32_e32 v70, v18, v34, vcc
.LBB87_77:                              ;   in Loop: Header=BB87_13 Depth=1
	s_or_b64 exec, exec, s[52:53]
	v_cvt_f32_f16_sdwa v12, v12 dst_sel:DWORD dst_unused:UNUSED_PAD src0_sel:WORD_1
	v_readlane_b32 s0, v95, 2
	s_nop 1
	v_add_f32_e32 v19, s0, v12
	v_cmp_ge_f32_e32 vcc, s6, v19
	s_and_b64 s[2:3], s[4:5], vcc
	s_and_saveexec_b64 s[52:53], s[2:3]
	s_cbranch_execz .LBB87_79
; %bb.78:                               ;   in Loop: Header=BB87_13 Depth=1
	v_mul_f32_e32 v12, 0x3fb8aa3b, v19
	v_rndne_f32_e32 v18, v12
	v_sub_f32_e32 v20, v12, v18
	v_fma_f32 v12, v19, s7, -v12
	v_fmac_f32_e32 v12, 0x32a5705f, v19
	v_add_f32_e32 v12, v20, v12
	v_cvt_i32_f32_e32 v18, v18
	v_exp_f32_e32 v12, v12
	v_cmp_ngt_f32_e32 vcc, s8, v19
	v_ldexp_f32 v12, v12, v18
	s_nop 0
	v_cndmask_b32_e32 v12, 0, v12, vcc
	v_cmp_nlt_f32_e32 vcc, s9, v19
	s_nop 1
	v_cndmask_b32_e32 v32, v41, v12, vcc
	v_add_f32_e32 v12, 1.0, v32
	v_add_f32_e32 v18, -1.0, v12
	v_sub_f32_e32 v19, v18, v12
	v_add_f32_e32 v19, 1.0, v19
	v_sub_f32_e32 v18, v32, v18
	v_add_f32_e32 v20, v18, v19
	v_frexp_mant_f32_e32 v21, v12
	v_cvt_f64_f32_e32 v[18:19], v12
	v_frexp_exp_i32_f64_e32 v18, v[18:19]
	v_cmp_gt_f32_e32 vcc, s11, v21
	v_cmp_gt_f32_e64 s[2:3], s54, v32
	s_nop 0
	v_subbrev_co_u32_e32 v26, vcc, 0, v18, vcc
	v_sub_u32_e32 v18, 0, v26
	v_ldexp_f32 v12, v12, v18
	v_ldexp_f32 v18, v20, v18
	v_add_f32_e32 v20, -1.0, v12
	v_add_f32_e32 v19, 1.0, v20
	v_sub_f32_e32 v19, v12, v19
	v_add_f32_e32 v21, v18, v19
	v_add_f32_e32 v19, 1.0, v12
	v_add_f32_e32 v22, -1.0, v19
	v_sub_f32_e32 v12, v12, v22
	v_add_f32_e32 v12, v18, v12
	v_add_f32_e32 v27, v19, v12
	v_rcp_f32_e32 v28, v27
	v_sub_f32_e32 v18, v19, v27
	v_add_f32_e32 v19, v20, v21
	v_add_f32_e32 v12, v12, v18
	v_mul_f32_e32 v30, v19, v28
	v_sub_f32_e32 v18, v20, v19
	v_mul_f32_e32 v20, v27, v30
	v_fma_f32 v22, v30, v27, -v20
	v_fmac_f32_e32 v22, v30, v12
	v_add_f32_e32 v29, v21, v18
	v_add_f32_e32 v18, v20, v22
	v_sub_f32_e32 v21, v19, v18
	v_pk_add_f32 v[24:25], v[18:19], v[20:21] neg_lo:[0,1] neg_hi:[0,1]
	v_mov_b32_e32 v23, v18
	v_pk_add_f32 v[18:19], v[24:25], v[22:23] neg_lo:[0,1] neg_hi:[0,1]
	v_cmp_eq_f32_e32 vcc, s10, v32
	v_add_f32_e32 v19, v29, v19
	v_add_f32_e32 v18, v18, v19
	;; [unrolled: 1-line block ×3, first 2 shown]
	v_mul_f32_e32 v29, v28, v19
	v_mul_f32_e32 v20, v27, v29
	v_fma_f32 v22, v29, v27, -v20
	v_fmac_f32_e32 v22, v29, v12
	v_sub_f32_e32 v12, v21, v19
	v_add_f32_e32 v12, v18, v12
	v_add_f32_e32 v18, v20, v22
	v_sub_f32_e32 v21, v19, v18
	v_pk_add_f32 v[24:25], v[18:19], v[20:21] neg_lo:[0,1] neg_hi:[0,1]
	v_mov_b32_e32 v23, v18
	v_pk_add_f32 v[18:19], v[24:25], v[22:23] neg_lo:[0,1] neg_hi:[0,1]
	s_or_b64 vcc, s[2:3], vcc
	v_add_f32_e32 v12, v12, v19
	v_add_f32_e32 v12, v18, v12
	;; [unrolled: 1-line block ×4, first 2 shown]
	v_sub_f32_e32 v18, v19, v30
	v_mul_f32_e32 v12, v28, v12
	v_sub_f32_e32 v18, v29, v18
	v_add_f32_e32 v12, v18, v12
	v_add_f32_e32 v20, v19, v12
	v_mul_f32_e32 v22, v20, v20
	v_fmamk_f32 v18, v22, 0x3e9b6dac, v40
	v_fmaak_f32 v43, v22, v18, 0x3f2aaada
	v_cvt_f32_i32_e32 v18, v26
	v_sub_f32_e32 v19, v20, v19
	v_sub_f32_e32 v12, v12, v19
	v_mul_f32_e32 v19, v20, v22
	v_pk_mul_f32 v[22:23], v[18:19], v[42:43]
	v_ldexp_f32 v21, v20, 1
	v_fma_f32 v20, v18, s33, -v22
	v_fmac_f32_e32 v20, 0xb102e308, v18
	v_pk_add_f32 v[18:19], v[22:23], v[20:21]
	v_ldexp_f32 v12, v12, 1
	v_sub_f32_e32 v21, v19, v21
	v_sub_f32_e32 v21, v23, v21
	v_add_f32_e32 v25, v12, v21
	v_mov_b32_e32 v24, v22
	v_pk_add_f32 v[22:23], v[18:19], v[22:23] neg_lo:[0,1] neg_hi:[0,1]
	v_pk_add_f32 v[26:27], v[18:19], v[24:25]
	v_mov_b32_e32 v21, v18
	v_mov_b32_e32 v23, v27
	v_pk_add_f32 v[28:29], v[20:21], v[22:23] neg_lo:[0,1] neg_hi:[0,1]
	v_pk_add_f32 v[20:21], v[20:21], v[22:23]
	s_nop 0
	v_mov_b32_e32 v12, v21
	v_pk_add_f32 v[22:23], v[12:13], v[18:19] neg_lo:[0,1] neg_hi:[0,1]
	v_mov_b32_e32 v20, v27
	v_mov_b32_e32 v23, v22
	v_pk_add_f32 v[30:31], v[26:27], v[22:23] neg_lo:[0,1] neg_hi:[0,1]
	v_mov_b32_e32 v26, v19
	v_mov_b32_e32 v27, v22
	;; [unrolled: 1-line block ×3, first 2 shown]
	v_pk_add_f32 v[20:21], v[20:21], v[26:27] neg_lo:[0,1] neg_hi:[0,1]
	v_mov_b32_e32 v22, v25
	v_mov_b32_e32 v23, v18
	v_pk_add_f32 v[18:19], v[22:23], v[20:21] neg_lo:[0,1] neg_hi:[0,1]
	v_mov_b32_e32 v30, v28
	v_pk_add_f32 v[20:21], v[30:31], v[18:19]
	s_nop 0
	v_mov_b32_e32 v22, v21
	v_pk_add_f32 v[22:23], v[20:21], v[22:23]
	s_nop 0
	v_pk_add_f32 v[24:25], v[12:13], v[22:23]
	v_mov_b32_e32 v19, v22
	v_mov_b32_e32 v21, v24
	v_pk_add_f32 v[26:27], v[20:21], v[28:29] neg_lo:[0,1] neg_hi:[0,1]
	s_nop 0
	v_sub_f32_e32 v12, v20, v26
	v_pk_add_f32 v[18:19], v[18:19], v[26:27] neg_lo:[0,1] neg_hi:[0,1]
	v_sub_f32_e32 v12, v28, v12
	v_add_f32_e32 v12, v18, v12
	v_add_f32_e32 v12, v12, v19
	;; [unrolled: 1-line block ×3, first 2 shown]
	v_cndmask_b32_e32 v19, v12, v32, vcc
.LBB87_79:                              ;   in Loop: Header=BB87_13 Depth=1
	s_or_b64 exec, exec, s[52:53]
	v_cvt_f32_f16_e32 v12, v13
	v_readlane_b32 s0, v95, 2
	s_nop 1
	v_add_f32_e32 v20, s0, v12
	v_cmp_ge_f32_e32 vcc, s6, v20
	s_and_b64 s[2:3], s[4:5], vcc
	s_and_saveexec_b64 s[52:53], s[2:3]
	s_cbranch_execz .LBB87_81
; %bb.80:                               ;   in Loop: Header=BB87_13 Depth=1
	v_mul_f32_e32 v12, 0x3fb8aa3b, v20
	v_rndne_f32_e32 v18, v12
	v_sub_f32_e32 v21, v12, v18
	v_fma_f32 v12, v20, s7, -v12
	v_fmac_f32_e32 v12, 0x32a5705f, v20
	v_add_f32_e32 v12, v21, v12
	v_cvt_i32_f32_e32 v18, v18
	v_exp_f32_e32 v12, v12
	v_cmp_ngt_f32_e32 vcc, s8, v20
	v_ldexp_f32 v12, v12, v18
	s_nop 0
	v_cndmask_b32_e32 v12, 0, v12, vcc
	v_cmp_nlt_f32_e32 vcc, s9, v20
	s_nop 1
	v_cndmask_b32_e32 v34, v41, v12, vcc
	v_add_f32_e32 v12, 1.0, v34
	v_add_f32_e32 v18, -1.0, v12
	v_sub_f32_e32 v20, v18, v12
	v_add_f32_e32 v20, 1.0, v20
	v_sub_f32_e32 v18, v34, v18
	v_add_f32_e32 v18, v18, v20
	v_frexp_mant_f32_e32 v22, v12
	v_cvt_f64_f32_e32 v[20:21], v12
	v_frexp_exp_i32_f64_e32 v20, v[20:21]
	v_cmp_gt_f32_e32 vcc, s11, v22
	v_cmp_gt_f32_e64 s[2:3], s54, v34
	s_nop 0
	v_subbrev_co_u32_e32 v28, vcc, 0, v20, vcc
	v_sub_u32_e32 v20, 0, v28
	v_ldexp_f32 v12, v12, v20
	v_ldexp_f32 v18, v18, v20
	v_add_f32_e32 v20, -1.0, v12
	v_add_f32_e32 v21, 1.0, v20
	v_sub_f32_e32 v21, v12, v21
	v_add_f32_e32 v22, v18, v21
	v_add_f32_e32 v21, 1.0, v12
	v_add_f32_e32 v23, -1.0, v21
	v_sub_f32_e32 v12, v12, v23
	v_add_f32_e32 v12, v18, v12
	v_add_f32_e32 v18, v21, v12
	v_rcp_f32_e32 v29, v18
	v_sub_f32_e32 v21, v21, v18
	v_add_f32_e32 v12, v12, v21
	v_add_f32_e32 v21, v20, v22
	v_sub_f32_e32 v20, v20, v21
	v_mul_f32_e32 v31, v21, v29
	v_add_f32_e32 v30, v22, v20
	v_mul_f32_e32 v22, v18, v31
	v_fma_f32 v24, v31, v18, -v22
	v_fmac_f32_e32 v24, v31, v12
	v_add_f32_e32 v20, v22, v24
	v_sub_f32_e32 v23, v21, v20
	v_pk_add_f32 v[26:27], v[20:21], v[22:23] neg_lo:[0,1] neg_hi:[0,1]
	v_mov_b32_e32 v25, v20
	v_pk_add_f32 v[20:21], v[26:27], v[24:25] neg_lo:[0,1] neg_hi:[0,1]
	v_cmp_eq_f32_e32 vcc, s10, v34
	v_add_f32_e32 v21, v30, v21
	v_add_f32_e32 v20, v20, v21
	;; [unrolled: 1-line block ×3, first 2 shown]
	v_mul_f32_e32 v30, v29, v21
	v_mul_f32_e32 v22, v18, v30
	v_fma_f32 v24, v30, v18, -v22
	v_fmac_f32_e32 v24, v30, v12
	v_sub_f32_e32 v12, v23, v21
	v_add_f32_e32 v12, v20, v12
	v_add_f32_e32 v20, v22, v24
	v_sub_f32_e32 v23, v21, v20
	v_pk_add_f32 v[26:27], v[20:21], v[22:23] neg_lo:[0,1] neg_hi:[0,1]
	v_mov_b32_e32 v25, v20
	v_pk_add_f32 v[20:21], v[26:27], v[24:25] neg_lo:[0,1] neg_hi:[0,1]
	v_add_f32_e32 v18, v31, v30
	v_add_f32_e32 v12, v12, v21
	;; [unrolled: 1-line block ×4, first 2 shown]
	v_sub_f32_e32 v20, v18, v31
	v_mul_f32_e32 v12, v29, v12
	v_sub_f32_e32 v20, v30, v20
	v_add_f32_e32 v12, v20, v12
	v_add_f32_e32 v21, v18, v12
	v_mul_f32_e32 v22, v21, v21
	v_fmamk_f32 v20, v22, 0x3e9b6dac, v40
	v_fmaak_f32 v43, v22, v20, 0x3f2aaada
	v_cvt_f32_i32_e32 v20, v28
	v_sub_f32_e32 v18, v21, v18
	v_ldexp_f32 v23, v21, 1
	v_mul_f32_e32 v21, v21, v22
	v_pk_mul_f32 v[24:25], v[20:21], v[42:43]
	v_sub_f32_e32 v12, v12, v18
	v_fma_f32 v22, v20, s33, -v24
	v_fmac_f32_e32 v22, 0xb102e308, v20
	v_pk_add_f32 v[20:21], v[24:25], v[22:23]
	v_ldexp_f32 v12, v12, 1
	v_sub_f32_e32 v18, v21, v23
	v_sub_f32_e32 v18, v25, v18
	v_add_f32_e32 v27, v12, v18
	v_mov_b32_e32 v26, v24
	v_pk_add_f32 v[24:25], v[20:21], v[24:25] neg_lo:[0,1] neg_hi:[0,1]
	v_pk_add_f32 v[28:29], v[20:21], v[26:27]
	v_mov_b32_e32 v23, v20
	v_mov_b32_e32 v25, v29
	v_pk_add_f32 v[30:31], v[22:23], v[24:25] neg_lo:[0,1] neg_hi:[0,1]
	v_pk_add_f32 v[22:23], v[22:23], v[24:25]
	s_or_b64 vcc, s[2:3], vcc
	v_mov_b32_e32 v12, v23
	v_pk_add_f32 v[24:25], v[12:13], v[20:21] neg_lo:[0,1] neg_hi:[0,1]
	v_mov_b32_e32 v22, v29
	v_mov_b32_e32 v25, v24
	v_pk_add_f32 v[32:33], v[28:29], v[24:25] neg_lo:[0,1] neg_hi:[0,1]
	v_mov_b32_e32 v28, v21
	v_mov_b32_e32 v29, v24
	;; [unrolled: 1-line block ×3, first 2 shown]
	v_pk_add_f32 v[22:23], v[22:23], v[28:29] neg_lo:[0,1] neg_hi:[0,1]
	v_mov_b32_e32 v24, v27
	v_mov_b32_e32 v25, v20
	v_pk_add_f32 v[20:21], v[24:25], v[22:23] neg_lo:[0,1] neg_hi:[0,1]
	v_mov_b32_e32 v32, v30
	v_pk_add_f32 v[22:23], v[32:33], v[20:21]
	s_nop 0
	v_mov_b32_e32 v18, v23
	v_pk_add_f32 v[24:25], v[22:23], v[18:19]
	s_nop 0
	v_pk_add_f32 v[26:27], v[12:13], v[24:25]
	v_mov_b32_e32 v21, v24
	v_mov_b32_e32 v23, v26
	v_pk_add_f32 v[28:29], v[22:23], v[30:31] neg_lo:[0,1] neg_hi:[0,1]
	s_nop 0
	v_sub_f32_e32 v12, v22, v28
	v_pk_add_f32 v[20:21], v[20:21], v[28:29] neg_lo:[0,1] neg_hi:[0,1]
	v_sub_f32_e32 v12, v30, v12
	v_add_f32_e32 v12, v20, v12
	v_add_f32_e32 v12, v12, v21
	v_add_f32_e32 v12, v26, v12
	v_cndmask_b32_e32 v20, v12, v34, vcc
.LBB87_81:                              ;   in Loop: Header=BB87_13 Depth=1
	s_or_b64 exec, exec, s[52:53]
	v_cvt_f32_f16_sdwa v12, v13 dst_sel:DWORD dst_unused:UNUSED_PAD src0_sel:WORD_1
	v_readlane_b32 s0, v95, 2
	s_nop 1
	v_add_f32_e32 v21, s0, v12
	v_cmp_ge_f32_e32 vcc, s6, v21
	s_and_b64 s[2:3], s[4:5], vcc
	s_and_saveexec_b64 s[52:53], s[2:3]
	s_cbranch_execz .LBB87_83
; %bb.82:                               ;   in Loop: Header=BB87_13 Depth=1
	v_mul_f32_e32 v12, 0x3fb8aa3b, v21
	v_rndne_f32_e32 v13, v12
	v_sub_f32_e32 v18, v12, v13
	v_fma_f32 v12, v21, s7, -v12
	v_fmac_f32_e32 v12, 0x32a5705f, v21
	v_add_f32_e32 v12, v18, v12
	v_cvt_i32_f32_e32 v13, v13
	v_exp_f32_e32 v12, v12
	v_cmp_ngt_f32_e32 vcc, s8, v21
	v_ldexp_f32 v12, v12, v13
	s_nop 0
	v_cndmask_b32_e32 v12, 0, v12, vcc
	v_cmp_nlt_f32_e32 vcc, s9, v21
	s_nop 1
	v_cndmask_b32_e32 v34, v41, v12, vcc
	v_add_f32_e32 v18, 1.0, v34
	v_add_f32_e32 v12, -1.0, v18
	v_sub_f32_e32 v13, v12, v18
	v_add_f32_e32 v13, 1.0, v13
	v_sub_f32_e32 v12, v34, v12
	v_add_f32_e32 v21, v12, v13
	v_frexp_mant_f32_e32 v22, v18
	v_cvt_f64_f32_e32 v[12:13], v18
	v_frexp_exp_i32_f64_e32 v12, v[12:13]
	v_cmp_gt_f32_e32 vcc, s11, v22
	v_cmp_gt_f32_e64 s[2:3], s54, v34
	s_nop 0
	v_subbrev_co_u32_e32 v28, vcc, 0, v12, vcc
	v_sub_u32_e32 v12, 0, v28
	v_ldexp_f32 v13, v18, v12
	v_add_f32_e32 v18, -1.0, v13
	v_add_f32_e32 v22, 1.0, v13
	v_ldexp_f32 v12, v21, v12
	v_add_f32_e32 v21, 1.0, v18
	v_add_f32_e32 v23, -1.0, v22
	v_sub_f32_e32 v21, v13, v21
	v_sub_f32_e32 v13, v13, v23
	v_add_f32_e32 v21, v12, v21
	v_add_f32_e32 v12, v12, v13
	;; [unrolled: 1-line block ×3, first 2 shown]
	v_rcp_f32_e32 v31, v29
	v_sub_f32_e32 v13, v22, v29
	v_add_f32_e32 v30, v12, v13
	v_add_f32_e32 v13, v18, v21
	v_sub_f32_e32 v12, v18, v13
	v_add_f32_e32 v18, v21, v12
	v_mul_f32_e32 v21, v13, v31
	v_mul_f32_e32 v22, v29, v21
	v_fma_f32 v24, v21, v29, -v22
	v_fmac_f32_e32 v24, v21, v30
	v_add_f32_e32 v12, v22, v24
	v_sub_f32_e32 v23, v13, v12
	v_pk_add_f32 v[26:27], v[12:13], v[22:23] neg_lo:[0,1] neg_hi:[0,1]
	v_mov_b32_e32 v25, v12
	v_pk_add_f32 v[12:13], v[26:27], v[24:25] neg_lo:[0,1] neg_hi:[0,1]
	v_cmp_eq_f32_e32 vcc, s10, v34
	v_add_f32_e32 v13, v18, v13
	v_add_f32_e32 v12, v12, v13
	;; [unrolled: 1-line block ×3, first 2 shown]
	v_mul_f32_e32 v18, v31, v13
	v_mul_f32_e32 v22, v29, v18
	v_fma_f32 v24, v18, v29, -v22
	v_fmac_f32_e32 v24, v18, v30
	v_sub_f32_e32 v23, v23, v13
	v_add_f32_e32 v29, v12, v23
	v_add_f32_e32 v12, v22, v24
	v_sub_f32_e32 v23, v13, v12
	v_pk_add_f32 v[26:27], v[12:13], v[22:23] neg_lo:[0,1] neg_hi:[0,1]
	v_mov_b32_e32 v25, v12
	v_pk_add_f32 v[12:13], v[26:27], v[24:25] neg_lo:[0,1] neg_hi:[0,1]
	s_or_b64 vcc, s[2:3], vcc
	v_add_f32_e32 v13, v29, v13
	v_add_f32_e32 v12, v12, v13
	v_add_f32_e32 v13, v21, v18
	v_add_f32_e32 v12, v23, v12
	v_sub_f32_e32 v21, v13, v21
	v_mul_f32_e32 v12, v31, v12
	v_sub_f32_e32 v18, v18, v21
	v_add_f32_e32 v18, v18, v12
	v_add_f32_e32 v21, v13, v18
	v_mul_f32_e32 v22, v21, v21
	v_fmamk_f32 v12, v22, 0x3e9b6dac, v40
	v_fmaak_f32 v43, v22, v12, 0x3f2aaada
	v_cvt_f32_i32_e32 v12, v28
	v_sub_f32_e32 v13, v21, v13
	v_sub_f32_e32 v13, v18, v13
	v_ldexp_f32 v18, v13, 1
	v_mul_f32_e32 v13, v21, v22
	v_pk_mul_f32 v[24:25], v[12:13], v[42:43]
	v_ldexp_f32 v23, v21, 1
	v_fma_f32 v22, v12, s33, -v24
	v_fmac_f32_e32 v22, 0xb102e308, v12
	v_pk_add_f32 v[12:13], v[24:25], v[22:23]
	v_mov_b32_e32 v26, v24
	v_sub_f32_e32 v21, v13, v23
	v_sub_f32_e32 v21, v25, v21
	v_add_f32_e32 v27, v18, v21
	v_pk_add_f32 v[24:25], v[12:13], v[24:25] neg_lo:[0,1] neg_hi:[0,1]
	v_pk_add_f32 v[28:29], v[12:13], v[26:27]
	v_mov_b32_e32 v23, v12
	v_mov_b32_e32 v25, v29
	v_pk_add_f32 v[30:31], v[22:23], v[24:25] neg_lo:[0,1] neg_hi:[0,1]
	v_pk_add_f32 v[22:23], v[22:23], v[24:25]
	s_nop 0
	v_mov_b32_e32 v18, v23
	v_pk_add_f32 v[24:25], v[18:19], v[12:13] neg_lo:[0,1] neg_hi:[0,1]
	v_mov_b32_e32 v22, v29
	v_mov_b32_e32 v21, v24
	v_pk_add_f32 v[32:33], v[28:29], v[20:21] neg_lo:[0,1] neg_hi:[0,1]
	v_mov_b32_e32 v28, v13
	v_mov_b32_e32 v29, v24
	;; [unrolled: 1-line block ×3, first 2 shown]
	v_pk_add_f32 v[22:23], v[22:23], v[28:29] neg_lo:[0,1] neg_hi:[0,1]
	v_mov_b32_e32 v24, v27
	v_mov_b32_e32 v25, v12
	v_pk_add_f32 v[12:13], v[24:25], v[22:23] neg_lo:[0,1] neg_hi:[0,1]
	v_mov_b32_e32 v32, v30
	v_pk_add_f32 v[22:23], v[32:33], v[12:13]
	s_nop 0
	v_mov_b32_e32 v24, v23
	v_pk_add_f32 v[24:25], v[22:23], v[24:25]
	s_nop 0
	v_pk_add_f32 v[26:27], v[18:19], v[24:25]
	v_mov_b32_e32 v13, v24
	v_mov_b32_e32 v23, v26
	v_pk_add_f32 v[28:29], v[22:23], v[30:31] neg_lo:[0,1] neg_hi:[0,1]
	s_nop 0
	v_sub_f32_e32 v18, v22, v28
	v_pk_add_f32 v[12:13], v[12:13], v[28:29] neg_lo:[0,1] neg_hi:[0,1]
	v_sub_f32_e32 v18, v30, v18
	v_add_f32_e32 v12, v12, v18
	v_add_f32_e32 v12, v12, v13
	;; [unrolled: 1-line block ×3, first 2 shown]
	v_cndmask_b32_e32 v21, v12, v34, vcc
.LBB87_83:                              ;   in Loop: Header=BB87_13 Depth=1
	s_or_b64 exec, exec, s[52:53]
	v_cvt_f32_f16_e32 v12, v14
	v_readlane_b32 s0, v95, 2
	s_nop 1
	v_add_f32_e32 v18, s0, v12
	v_cmp_ge_f32_e32 vcc, s6, v18
	s_and_b64 s[2:3], s[4:5], vcc
	s_and_saveexec_b64 s[52:53], s[2:3]
	s_cbranch_execz .LBB87_85
; %bb.84:                               ;   in Loop: Header=BB87_13 Depth=1
	v_mul_f32_e32 v12, 0x3fb8aa3b, v18
	v_rndne_f32_e32 v13, v12
	v_sub_f32_e32 v22, v12, v13
	v_fma_f32 v12, v18, s7, -v12
	v_fmac_f32_e32 v12, 0x32a5705f, v18
	v_add_f32_e32 v12, v22, v12
	v_cvt_i32_f32_e32 v13, v13
	v_exp_f32_e32 v12, v12
	v_cmp_ngt_f32_e32 vcc, s8, v18
	v_ldexp_f32 v12, v12, v13
	s_nop 0
	v_cndmask_b32_e32 v12, 0, v12, vcc
	v_cmp_nlt_f32_e32 vcc, s9, v18
	s_nop 1
	v_cndmask_b32_e32 v34, v41, v12, vcc
	v_add_f32_e32 v18, 1.0, v34
	v_add_f32_e32 v12, -1.0, v18
	v_sub_f32_e32 v13, v12, v18
	v_add_f32_e32 v13, 1.0, v13
	v_sub_f32_e32 v12, v34, v12
	v_add_f32_e32 v22, v12, v13
	v_frexp_mant_f32_e32 v23, v18
	v_cvt_f64_f32_e32 v[12:13], v18
	v_frexp_exp_i32_f64_e32 v12, v[12:13]
	v_cmp_gt_f32_e32 vcc, s11, v23
	v_cmp_gt_f32_e64 s[2:3], s54, v34
	s_nop 0
	v_subbrev_co_u32_e32 v28, vcc, 0, v12, vcc
	v_sub_u32_e32 v12, 0, v28
	v_ldexp_f32 v13, v18, v12
	v_add_f32_e32 v18, -1.0, v13
	v_add_f32_e32 v23, 1.0, v13
	v_ldexp_f32 v12, v22, v12
	v_add_f32_e32 v22, 1.0, v18
	v_add_f32_e32 v24, -1.0, v23
	v_sub_f32_e32 v22, v13, v22
	v_sub_f32_e32 v13, v13, v24
	v_add_f32_e32 v22, v12, v22
	v_add_f32_e32 v12, v12, v13
	;; [unrolled: 1-line block ×3, first 2 shown]
	v_rcp_f32_e32 v31, v29
	v_sub_f32_e32 v13, v23, v29
	v_add_f32_e32 v30, v12, v13
	v_add_f32_e32 v13, v18, v22
	v_sub_f32_e32 v12, v18, v13
	v_mul_f32_e32 v32, v13, v31
	v_add_f32_e32 v18, v22, v12
	v_mul_f32_e32 v22, v29, v32
	v_fma_f32 v24, v32, v29, -v22
	v_fmac_f32_e32 v24, v32, v30
	v_add_f32_e32 v12, v22, v24
	v_sub_f32_e32 v23, v13, v12
	v_pk_add_f32 v[26:27], v[12:13], v[22:23] neg_lo:[0,1] neg_hi:[0,1]
	v_mov_b32_e32 v25, v12
	v_pk_add_f32 v[12:13], v[26:27], v[24:25] neg_lo:[0,1] neg_hi:[0,1]
	v_cmp_eq_f32_e32 vcc, s10, v34
	v_add_f32_e32 v13, v18, v13
	v_add_f32_e32 v12, v12, v13
	;; [unrolled: 1-line block ×3, first 2 shown]
	v_mul_f32_e32 v18, v31, v13
	v_mul_f32_e32 v22, v29, v18
	v_fma_f32 v24, v18, v29, -v22
	v_fmac_f32_e32 v24, v18, v30
	v_sub_f32_e32 v23, v23, v13
	v_add_f32_e32 v29, v12, v23
	v_add_f32_e32 v12, v22, v24
	v_sub_f32_e32 v23, v13, v12
	v_pk_add_f32 v[26:27], v[12:13], v[22:23] neg_lo:[0,1] neg_hi:[0,1]
	v_mov_b32_e32 v25, v12
	v_pk_add_f32 v[12:13], v[26:27], v[24:25] neg_lo:[0,1] neg_hi:[0,1]
	s_or_b64 vcc, s[2:3], vcc
	v_add_f32_e32 v13, v29, v13
	v_add_f32_e32 v12, v12, v13
	;; [unrolled: 1-line block ×4, first 2 shown]
	v_sub_f32_e32 v22, v13, v32
	v_mul_f32_e32 v12, v31, v12
	v_sub_f32_e32 v18, v18, v22
	v_add_f32_e32 v18, v18, v12
	v_add_f32_e32 v22, v13, v18
	v_mul_f32_e32 v24, v22, v22
	v_fmamk_f32 v12, v24, 0x3e9b6dac, v40
	v_fmaak_f32 v43, v24, v12, 0x3f2aaada
	v_cvt_f32_i32_e32 v12, v28
	v_sub_f32_e32 v13, v22, v13
	v_sub_f32_e32 v13, v18, v13
	v_ldexp_f32 v18, v13, 1
	v_mul_f32_e32 v13, v22, v24
	v_pk_mul_f32 v[24:25], v[12:13], v[42:43]
	v_ldexp_f32 v23, v22, 1
	v_fma_f32 v22, v12, s33, -v24
	v_fmac_f32_e32 v22, 0xb102e308, v12
	v_pk_add_f32 v[12:13], v[24:25], v[22:23]
	v_mov_b32_e32 v26, v24
	v_sub_f32_e32 v23, v13, v23
	v_sub_f32_e32 v23, v25, v23
	v_add_f32_e32 v27, v18, v23
	v_pk_add_f32 v[24:25], v[12:13], v[24:25] neg_lo:[0,1] neg_hi:[0,1]
	v_pk_add_f32 v[28:29], v[12:13], v[26:27]
	v_mov_b32_e32 v23, v12
	v_mov_b32_e32 v25, v29
	v_pk_add_f32 v[30:31], v[22:23], v[24:25] neg_lo:[0,1] neg_hi:[0,1]
	v_pk_add_f32 v[22:23], v[22:23], v[24:25]
	s_nop 0
	v_mov_b32_e32 v18, v23
	v_pk_add_f32 v[24:25], v[18:19], v[12:13] neg_lo:[0,1] neg_hi:[0,1]
	v_mov_b32_e32 v22, v29
	v_mov_b32_e32 v25, v24
	v_pk_add_f32 v[32:33], v[28:29], v[24:25] neg_lo:[0,1] neg_hi:[0,1]
	v_mov_b32_e32 v28, v13
	v_mov_b32_e32 v29, v24
	;; [unrolled: 1-line block ×3, first 2 shown]
	v_pk_add_f32 v[22:23], v[22:23], v[28:29] neg_lo:[0,1] neg_hi:[0,1]
	v_mov_b32_e32 v24, v27
	v_mov_b32_e32 v25, v12
	v_pk_add_f32 v[12:13], v[24:25], v[22:23] neg_lo:[0,1] neg_hi:[0,1]
	v_mov_b32_e32 v32, v30
	v_pk_add_f32 v[22:23], v[32:33], v[12:13]
	s_nop 0
	v_mov_b32_e32 v24, v23
	v_pk_add_f32 v[24:25], v[22:23], v[24:25]
	s_nop 0
	v_pk_add_f32 v[26:27], v[18:19], v[24:25]
	v_mov_b32_e32 v13, v24
	v_mov_b32_e32 v23, v26
	v_pk_add_f32 v[28:29], v[22:23], v[30:31] neg_lo:[0,1] neg_hi:[0,1]
	s_nop 0
	v_sub_f32_e32 v18, v22, v28
	v_pk_add_f32 v[12:13], v[12:13], v[28:29] neg_lo:[0,1] neg_hi:[0,1]
	v_sub_f32_e32 v18, v30, v18
	v_add_f32_e32 v12, v12, v18
	v_add_f32_e32 v12, v12, v13
	;; [unrolled: 1-line block ×3, first 2 shown]
	v_cndmask_b32_e32 v18, v12, v34, vcc
.LBB87_85:                              ;   in Loop: Header=BB87_13 Depth=1
	s_or_b64 exec, exec, s[52:53]
	v_cvt_f32_f16_sdwa v12, v14 dst_sel:DWORD dst_unused:UNUSED_PAD src0_sel:WORD_1
	v_readlane_b32 s0, v95, 2
	s_nop 1
	v_add_f32_e32 v66, s0, v12
	v_cmp_ge_f32_e32 vcc, s6, v66
	s_and_b64 s[2:3], s[4:5], vcc
	s_and_saveexec_b64 s[52:53], s[2:3]
	s_cbranch_execz .LBB87_87
; %bb.86:                               ;   in Loop: Header=BB87_13 Depth=1
	v_mul_f32_e32 v12, 0x3fb8aa3b, v66
	v_rndne_f32_e32 v13, v12
	v_sub_f32_e32 v14, v12, v13
	v_fma_f32 v12, v66, s7, -v12
	v_fmac_f32_e32 v12, 0x32a5705f, v66
	v_add_f32_e32 v12, v14, v12
	v_cvt_i32_f32_e32 v13, v13
	v_exp_f32_e32 v12, v12
	v_cmp_ngt_f32_e32 vcc, s8, v66
	v_ldexp_f32 v12, v12, v13
	s_nop 0
	v_cndmask_b32_e32 v12, 0, v12, vcc
	v_cmp_nlt_f32_e32 vcc, s9, v66
	s_nop 1
	v_cndmask_b32_e32 v34, v41, v12, vcc
	v_add_f32_e32 v14, 1.0, v34
	v_add_f32_e32 v12, -1.0, v14
	v_sub_f32_e32 v13, v12, v14
	v_add_f32_e32 v13, 1.0, v13
	v_sub_f32_e32 v12, v34, v12
	v_add_f32_e32 v22, v12, v13
	v_frexp_mant_f32_e32 v23, v14
	v_cvt_f64_f32_e32 v[12:13], v14
	v_frexp_exp_i32_f64_e32 v12, v[12:13]
	v_cmp_gt_f32_e32 vcc, s11, v23
	v_cmp_gt_f32_e64 s[2:3], s54, v34
	s_nop 0
	v_subbrev_co_u32_e32 v28, vcc, 0, v12, vcc
	v_sub_u32_e32 v12, 0, v28
	v_ldexp_f32 v13, v14, v12
	v_add_f32_e32 v14, -1.0, v13
	v_add_f32_e32 v23, 1.0, v13
	v_ldexp_f32 v12, v22, v12
	v_add_f32_e32 v22, 1.0, v14
	v_add_f32_e32 v24, -1.0, v23
	v_sub_f32_e32 v22, v13, v22
	v_sub_f32_e32 v13, v13, v24
	v_add_f32_e32 v22, v12, v22
	v_add_f32_e32 v12, v12, v13
	;; [unrolled: 1-line block ×3, first 2 shown]
	v_rcp_f32_e32 v31, v29
	v_sub_f32_e32 v13, v23, v29
	v_add_f32_e32 v30, v12, v13
	v_add_f32_e32 v13, v14, v22
	v_sub_f32_e32 v12, v14, v13
	v_mul_f32_e32 v32, v13, v31
	v_add_f32_e32 v14, v22, v12
	v_mul_f32_e32 v22, v29, v32
	v_fma_f32 v24, v32, v29, -v22
	v_fmac_f32_e32 v24, v32, v30
	v_add_f32_e32 v12, v22, v24
	v_sub_f32_e32 v23, v13, v12
	v_pk_add_f32 v[26:27], v[12:13], v[22:23] neg_lo:[0,1] neg_hi:[0,1]
	v_mov_b32_e32 v25, v12
	v_pk_add_f32 v[12:13], v[26:27], v[24:25] neg_lo:[0,1] neg_hi:[0,1]
	v_cmp_eq_f32_e32 vcc, s10, v34
	v_add_f32_e32 v13, v14, v13
	v_add_f32_e32 v12, v12, v13
	;; [unrolled: 1-line block ×3, first 2 shown]
	v_mul_f32_e32 v14, v31, v13
	v_mul_f32_e32 v22, v29, v14
	v_fma_f32 v24, v14, v29, -v22
	v_fmac_f32_e32 v24, v14, v30
	v_sub_f32_e32 v23, v23, v13
	v_add_f32_e32 v29, v12, v23
	v_add_f32_e32 v12, v22, v24
	v_sub_f32_e32 v23, v13, v12
	v_pk_add_f32 v[26:27], v[12:13], v[22:23] neg_lo:[0,1] neg_hi:[0,1]
	v_mov_b32_e32 v25, v12
	v_pk_add_f32 v[12:13], v[26:27], v[24:25] neg_lo:[0,1] neg_hi:[0,1]
	s_or_b64 vcc, s[2:3], vcc
	v_add_f32_e32 v13, v29, v13
	v_add_f32_e32 v12, v12, v13
	;; [unrolled: 1-line block ×4, first 2 shown]
	v_sub_f32_e32 v22, v13, v32
	v_mul_f32_e32 v12, v31, v12
	v_sub_f32_e32 v14, v14, v22
	v_add_f32_e32 v14, v14, v12
	v_add_f32_e32 v22, v13, v14
	v_mul_f32_e32 v24, v22, v22
	v_fmamk_f32 v12, v24, 0x3e9b6dac, v40
	v_fmaak_f32 v43, v24, v12, 0x3f2aaada
	v_cvt_f32_i32_e32 v12, v28
	v_sub_f32_e32 v13, v22, v13
	v_sub_f32_e32 v13, v14, v13
	v_ldexp_f32 v14, v13, 1
	v_mul_f32_e32 v13, v22, v24
	v_pk_mul_f32 v[24:25], v[12:13], v[42:43]
	v_ldexp_f32 v23, v22, 1
	v_fma_f32 v22, v12, s33, -v24
	v_fmac_f32_e32 v22, 0xb102e308, v12
	v_pk_add_f32 v[12:13], v[24:25], v[22:23]
	v_mov_b32_e32 v26, v24
	v_sub_f32_e32 v23, v13, v23
	v_sub_f32_e32 v23, v25, v23
	v_add_f32_e32 v27, v14, v23
	v_pk_add_f32 v[24:25], v[12:13], v[24:25] neg_lo:[0,1] neg_hi:[0,1]
	v_pk_add_f32 v[28:29], v[12:13], v[26:27]
	v_mov_b32_e32 v23, v12
	v_mov_b32_e32 v25, v29
	v_pk_add_f32 v[30:31], v[22:23], v[24:25] neg_lo:[0,1] neg_hi:[0,1]
	v_pk_add_f32 v[22:23], v[22:23], v[24:25]
	s_nop 0
	v_mov_b32_e32 v14, v23
	v_pk_add_f32 v[24:25], v[14:15], v[12:13] neg_lo:[0,1] neg_hi:[0,1]
	v_mov_b32_e32 v22, v29
	v_mov_b32_e32 v25, v24
	v_pk_add_f32 v[32:33], v[28:29], v[24:25] neg_lo:[0,1] neg_hi:[0,1]
	v_mov_b32_e32 v28, v13
	v_mov_b32_e32 v29, v24
	;; [unrolled: 1-line block ×3, first 2 shown]
	v_pk_add_f32 v[22:23], v[22:23], v[28:29] neg_lo:[0,1] neg_hi:[0,1]
	v_mov_b32_e32 v24, v27
	v_mov_b32_e32 v25, v12
	v_pk_add_f32 v[12:13], v[24:25], v[22:23] neg_lo:[0,1] neg_hi:[0,1]
	v_mov_b32_e32 v32, v30
	v_pk_add_f32 v[22:23], v[32:33], v[12:13]
	s_nop 0
	v_mov_b32_e32 v24, v23
	v_pk_add_f32 v[24:25], v[22:23], v[24:25]
	s_nop 0
	v_pk_add_f32 v[26:27], v[14:15], v[24:25]
	v_mov_b32_e32 v13, v24
	v_mov_b32_e32 v23, v26
	v_pk_add_f32 v[28:29], v[22:23], v[30:31] neg_lo:[0,1] neg_hi:[0,1]
	s_nop 0
	v_sub_f32_e32 v14, v22, v28
	v_pk_add_f32 v[12:13], v[12:13], v[28:29] neg_lo:[0,1] neg_hi:[0,1]
	v_sub_f32_e32 v14, v30, v14
	v_add_f32_e32 v12, v12, v14
	v_add_f32_e32 v12, v12, v13
	;; [unrolled: 1-line block ×3, first 2 shown]
	v_cndmask_b32_e32 v66, v12, v34, vcc
.LBB87_87:                              ;   in Loop: Header=BB87_13 Depth=1
	s_or_b64 exec, exec, s[52:53]
	v_cvt_f32_f16_e32 v12, v15
	v_readlane_b32 s0, v95, 2
	s_nop 1
	v_add_f32_e32 v67, s0, v12
	v_cmp_ge_f32_e32 vcc, s6, v67
	s_and_b64 s[2:3], s[4:5], vcc
	s_and_saveexec_b64 s[52:53], s[2:3]
	s_cbranch_execz .LBB87_89
; %bb.88:                               ;   in Loop: Header=BB87_13 Depth=1
	v_mul_f32_e32 v12, 0x3fb8aa3b, v67
	v_rndne_f32_e32 v13, v12
	v_sub_f32_e32 v14, v12, v13
	v_fma_f32 v12, v67, s7, -v12
	v_fmac_f32_e32 v12, 0x32a5705f, v67
	v_add_f32_e32 v12, v14, v12
	v_cvt_i32_f32_e32 v13, v13
	v_exp_f32_e32 v12, v12
	v_cmp_ngt_f32_e32 vcc, s8, v67
	v_ldexp_f32 v12, v12, v13
	s_nop 0
	v_cndmask_b32_e32 v12, 0, v12, vcc
	v_cmp_nlt_f32_e32 vcc, s9, v67
	s_nop 1
	v_cndmask_b32_e32 v34, v41, v12, vcc
	v_add_f32_e32 v14, 1.0, v34
	v_add_f32_e32 v12, -1.0, v14
	v_sub_f32_e32 v13, v12, v14
	v_add_f32_e32 v13, 1.0, v13
	v_sub_f32_e32 v12, v34, v12
	v_add_f32_e32 v22, v12, v13
	v_frexp_mant_f32_e32 v23, v14
	v_cvt_f64_f32_e32 v[12:13], v14
	v_frexp_exp_i32_f64_e32 v12, v[12:13]
	v_cmp_gt_f32_e32 vcc, s11, v23
	v_cmp_gt_f32_e64 s[2:3], s54, v34
	s_nop 0
	v_subbrev_co_u32_e32 v28, vcc, 0, v12, vcc
	v_sub_u32_e32 v12, 0, v28
	v_ldexp_f32 v13, v14, v12
	v_add_f32_e32 v14, -1.0, v13
	v_add_f32_e32 v23, 1.0, v13
	v_ldexp_f32 v12, v22, v12
	v_add_f32_e32 v22, 1.0, v14
	v_add_f32_e32 v24, -1.0, v23
	v_sub_f32_e32 v22, v13, v22
	v_sub_f32_e32 v13, v13, v24
	v_add_f32_e32 v22, v12, v22
	v_add_f32_e32 v12, v12, v13
	;; [unrolled: 1-line block ×3, first 2 shown]
	v_rcp_f32_e32 v31, v29
	v_sub_f32_e32 v13, v23, v29
	v_add_f32_e32 v30, v12, v13
	v_add_f32_e32 v13, v14, v22
	v_sub_f32_e32 v12, v14, v13
	v_mul_f32_e32 v32, v13, v31
	v_add_f32_e32 v14, v22, v12
	v_mul_f32_e32 v22, v29, v32
	v_fma_f32 v24, v32, v29, -v22
	v_fmac_f32_e32 v24, v32, v30
	v_add_f32_e32 v12, v22, v24
	v_sub_f32_e32 v23, v13, v12
	v_pk_add_f32 v[26:27], v[12:13], v[22:23] neg_lo:[0,1] neg_hi:[0,1]
	v_mov_b32_e32 v25, v12
	v_pk_add_f32 v[12:13], v[26:27], v[24:25] neg_lo:[0,1] neg_hi:[0,1]
	v_cmp_eq_f32_e32 vcc, s10, v34
	v_add_f32_e32 v13, v14, v13
	v_add_f32_e32 v12, v12, v13
	;; [unrolled: 1-line block ×3, first 2 shown]
	v_mul_f32_e32 v14, v31, v13
	v_mul_f32_e32 v22, v29, v14
	v_fma_f32 v24, v14, v29, -v22
	v_fmac_f32_e32 v24, v14, v30
	v_sub_f32_e32 v23, v23, v13
	v_add_f32_e32 v29, v12, v23
	v_add_f32_e32 v12, v22, v24
	v_sub_f32_e32 v23, v13, v12
	v_pk_add_f32 v[26:27], v[12:13], v[22:23] neg_lo:[0,1] neg_hi:[0,1]
	v_mov_b32_e32 v25, v12
	v_pk_add_f32 v[12:13], v[26:27], v[24:25] neg_lo:[0,1] neg_hi:[0,1]
	s_or_b64 vcc, s[2:3], vcc
	v_add_f32_e32 v13, v29, v13
	v_add_f32_e32 v12, v12, v13
	;; [unrolled: 1-line block ×4, first 2 shown]
	v_sub_f32_e32 v22, v13, v32
	v_mul_f32_e32 v12, v31, v12
	v_sub_f32_e32 v14, v14, v22
	v_add_f32_e32 v14, v14, v12
	v_add_f32_e32 v22, v13, v14
	v_mul_f32_e32 v24, v22, v22
	v_fmamk_f32 v12, v24, 0x3e9b6dac, v40
	v_fmaak_f32 v43, v24, v12, 0x3f2aaada
	v_cvt_f32_i32_e32 v12, v28
	v_sub_f32_e32 v13, v22, v13
	v_sub_f32_e32 v13, v14, v13
	v_ldexp_f32 v14, v13, 1
	v_mul_f32_e32 v13, v22, v24
	v_pk_mul_f32 v[24:25], v[12:13], v[42:43]
	v_ldexp_f32 v23, v22, 1
	v_fma_f32 v22, v12, s33, -v24
	v_fmac_f32_e32 v22, 0xb102e308, v12
	v_pk_add_f32 v[12:13], v[24:25], v[22:23]
	v_mov_b32_e32 v26, v24
	v_sub_f32_e32 v23, v13, v23
	v_sub_f32_e32 v23, v25, v23
	v_add_f32_e32 v27, v14, v23
	v_pk_add_f32 v[24:25], v[12:13], v[24:25] neg_lo:[0,1] neg_hi:[0,1]
	v_pk_add_f32 v[28:29], v[12:13], v[26:27]
	v_mov_b32_e32 v23, v12
	v_mov_b32_e32 v25, v29
	v_pk_add_f32 v[30:31], v[22:23], v[24:25] neg_lo:[0,1] neg_hi:[0,1]
	v_pk_add_f32 v[22:23], v[22:23], v[24:25]
	s_nop 0
	v_mov_b32_e32 v14, v23
	v_pk_add_f32 v[24:25], v[14:15], v[12:13] neg_lo:[0,1] neg_hi:[0,1]
	v_mov_b32_e32 v22, v29
	v_mov_b32_e32 v25, v24
	v_pk_add_f32 v[32:33], v[28:29], v[24:25] neg_lo:[0,1] neg_hi:[0,1]
	v_mov_b32_e32 v28, v13
	v_mov_b32_e32 v29, v24
	;; [unrolled: 1-line block ×3, first 2 shown]
	v_pk_add_f32 v[22:23], v[22:23], v[28:29] neg_lo:[0,1] neg_hi:[0,1]
	v_mov_b32_e32 v24, v27
	v_mov_b32_e32 v25, v12
	v_pk_add_f32 v[12:13], v[24:25], v[22:23] neg_lo:[0,1] neg_hi:[0,1]
	v_mov_b32_e32 v32, v30
	v_pk_add_f32 v[22:23], v[32:33], v[12:13]
	s_nop 0
	v_mov_b32_e32 v24, v23
	v_pk_add_f32 v[24:25], v[22:23], v[24:25]
	s_nop 0
	v_pk_add_f32 v[26:27], v[14:15], v[24:25]
	v_mov_b32_e32 v13, v24
	v_mov_b32_e32 v23, v26
	v_pk_add_f32 v[28:29], v[22:23], v[30:31] neg_lo:[0,1] neg_hi:[0,1]
	s_nop 0
	v_sub_f32_e32 v14, v22, v28
	v_pk_add_f32 v[12:13], v[12:13], v[28:29] neg_lo:[0,1] neg_hi:[0,1]
	v_sub_f32_e32 v14, v30, v14
	v_add_f32_e32 v12, v12, v14
	v_add_f32_e32 v12, v12, v13
	v_add_f32_e32 v12, v26, v12
	v_cndmask_b32_e32 v67, v12, v34, vcc
.LBB87_89:                              ;   in Loop: Header=BB87_13 Depth=1
	s_or_b64 exec, exec, s[52:53]
	v_cvt_f32_f16_sdwa v12, v15 dst_sel:DWORD dst_unused:UNUSED_PAD src0_sel:WORD_1
	v_readlane_b32 s0, v95, 2
	s_nop 1
	v_add_f32_e32 v88, s0, v12
	v_cmp_ge_f32_e32 vcc, s6, v88
	s_and_b64 s[2:3], s[4:5], vcc
	s_and_saveexec_b64 s[52:53], s[2:3]
	s_cbranch_execz .LBB87_91
; %bb.90:                               ;   in Loop: Header=BB87_13 Depth=1
	v_mul_f32_e32 v12, 0x3fb8aa3b, v88
	v_rndne_f32_e32 v13, v12
	v_sub_f32_e32 v14, v12, v13
	v_fma_f32 v12, v88, s7, -v12
	v_fmac_f32_e32 v12, 0x32a5705f, v88
	v_add_f32_e32 v12, v14, v12
	v_cvt_i32_f32_e32 v13, v13
	v_exp_f32_e32 v12, v12
	v_cmp_ngt_f32_e32 vcc, s8, v88
	v_ldexp_f32 v12, v12, v13
	s_nop 0
	v_cndmask_b32_e32 v12, 0, v12, vcc
	v_cmp_nlt_f32_e32 vcc, s9, v88
	s_nop 1
	v_cndmask_b32_e32 v34, v41, v12, vcc
	v_add_f32_e32 v14, 1.0, v34
	v_add_f32_e32 v12, -1.0, v14
	v_sub_f32_e32 v13, v12, v14
	v_add_f32_e32 v13, 1.0, v13
	v_sub_f32_e32 v12, v34, v12
	v_add_f32_e32 v15, v12, v13
	v_frexp_mant_f32_e32 v22, v14
	v_cvt_f64_f32_e32 v[12:13], v14
	v_frexp_exp_i32_f64_e32 v12, v[12:13]
	v_cmp_gt_f32_e32 vcc, s11, v22
	v_cmp_gt_f32_e64 s[2:3], s54, v34
	s_nop 0
	v_subbrev_co_u32_e32 v26, vcc, 0, v12, vcc
	v_sub_u32_e32 v12, 0, v26
	v_ldexp_f32 v13, v14, v12
	v_add_f32_e32 v14, -1.0, v13
	v_add_f32_e32 v22, 1.0, v13
	v_ldexp_f32 v12, v15, v12
	v_add_f32_e32 v15, 1.0, v14
	v_add_f32_e32 v23, -1.0, v22
	v_sub_f32_e32 v15, v13, v15
	v_sub_f32_e32 v13, v13, v23
	v_add_f32_e32 v15, v12, v15
	v_add_f32_e32 v12, v12, v13
	;; [unrolled: 1-line block ×3, first 2 shown]
	v_rcp_f32_e32 v29, v27
	v_sub_f32_e32 v13, v22, v27
	v_add_f32_e32 v28, v12, v13
	v_add_f32_e32 v13, v14, v15
	v_mul_f32_e32 v31, v13, v29
	v_sub_f32_e32 v12, v14, v13
	v_mul_f32_e32 v14, v27, v31
	v_fma_f32 v22, v31, v27, -v14
	v_fmac_f32_e32 v22, v31, v28
	v_add_f32_e32 v30, v15, v12
	v_add_f32_e32 v12, v14, v22
	v_sub_f32_e32 v15, v13, v12
	v_pk_add_f32 v[24:25], v[12:13], v[14:15] neg_lo:[0,1] neg_hi:[0,1]
	v_mov_b32_e32 v23, v12
	v_pk_add_f32 v[12:13], v[24:25], v[22:23] neg_lo:[0,1] neg_hi:[0,1]
	v_cmp_eq_f32_e32 vcc, s10, v34
	v_add_f32_e32 v13, v30, v13
	v_add_f32_e32 v12, v12, v13
	;; [unrolled: 1-line block ×3, first 2 shown]
	v_mul_f32_e32 v30, v29, v13
	v_mul_f32_e32 v14, v27, v30
	v_fma_f32 v22, v30, v27, -v14
	v_fmac_f32_e32 v22, v30, v28
	v_sub_f32_e32 v15, v15, v13
	v_add_f32_e32 v27, v12, v15
	v_add_f32_e32 v12, v14, v22
	v_sub_f32_e32 v15, v13, v12
	v_pk_add_f32 v[24:25], v[12:13], v[14:15] neg_lo:[0,1] neg_hi:[0,1]
	v_mov_b32_e32 v23, v12
	v_pk_add_f32 v[12:13], v[24:25], v[22:23] neg_lo:[0,1] neg_hi:[0,1]
	s_or_b64 vcc, s[2:3], vcc
	v_add_f32_e32 v13, v27, v13
	v_add_f32_e32 v12, v12, v13
	;; [unrolled: 1-line block ×4, first 2 shown]
	v_sub_f32_e32 v14, v13, v31
	v_mul_f32_e32 v12, v29, v12
	v_sub_f32_e32 v14, v30, v14
	v_add_f32_e32 v14, v14, v12
	v_add_f32_e32 v22, v13, v14
	v_mul_f32_e32 v23, v22, v22
	v_fmamk_f32 v12, v23, 0x3e9b6dac, v40
	v_fmaak_f32 v43, v23, v12, 0x3f2aaada
	v_cvt_f32_i32_e32 v12, v26
	v_sub_f32_e32 v13, v22, v13
	v_sub_f32_e32 v13, v14, v13
	v_ldexp_f32 v24, v13, 1
	v_mul_f32_e32 v13, v22, v23
	v_ldexp_f32 v15, v22, 1
	v_pk_mul_f32 v[22:23], v[12:13], v[42:43]
	s_nop 0
	v_fma_f32 v14, v12, s33, -v22
	v_fmac_f32_e32 v14, 0xb102e308, v12
	v_pk_add_f32 v[12:13], v[22:23], v[14:15]
	s_nop 0
	v_sub_f32_e32 v15, v13, v15
	v_sub_f32_e32 v15, v23, v15
	v_add_f32_e32 v25, v24, v15
	v_mov_b32_e32 v24, v22
	v_pk_add_f32 v[22:23], v[12:13], v[22:23] neg_lo:[0,1] neg_hi:[0,1]
	v_pk_add_f32 v[26:27], v[12:13], v[24:25]
	v_mov_b32_e32 v15, v12
	v_mov_b32_e32 v23, v27
	v_pk_add_f32 v[28:29], v[14:15], v[22:23] neg_lo:[0,1] neg_hi:[0,1]
	v_pk_add_f32 v[14:15], v[14:15], v[22:23]
	v_mov_b32_e32 v24, v25
	v_mov_b32_e32 v22, v15
	v_pk_add_f32 v[30:31], v[22:23], v[12:13] neg_lo:[0,1] neg_hi:[0,1]
	v_mov_b32_e32 v14, v27
	v_mov_b32_e32 v23, v30
	v_pk_add_f32 v[32:33], v[26:27], v[22:23] neg_lo:[0,1] neg_hi:[0,1]
	v_mov_b32_e32 v26, v13
	v_mov_b32_e32 v27, v30
	;; [unrolled: 1-line block ×3, first 2 shown]
	v_pk_add_f32 v[14:15], v[14:15], v[26:27] neg_lo:[0,1] neg_hi:[0,1]
	v_mov_b32_e32 v25, v12
	v_pk_add_f32 v[12:13], v[24:25], v[14:15] neg_lo:[0,1] neg_hi:[0,1]
	v_mov_b32_e32 v32, v28
	v_pk_add_f32 v[14:15], v[32:33], v[12:13]
	s_nop 0
	v_mov_b32_e32 v24, v15
	v_pk_add_f32 v[24:25], v[14:15], v[24:25]
	s_nop 0
	v_pk_add_f32 v[22:23], v[22:23], v[24:25]
	v_mov_b32_e32 v13, v24
	v_mov_b32_e32 v15, v22
	v_pk_add_f32 v[26:27], v[14:15], v[28:29] neg_lo:[0,1] neg_hi:[0,1]
	s_nop 0
	v_sub_f32_e32 v14, v14, v26
	v_pk_add_f32 v[12:13], v[12:13], v[26:27] neg_lo:[0,1] neg_hi:[0,1]
	v_sub_f32_e32 v14, v28, v14
	v_add_f32_e32 v12, v12, v14
	v_add_f32_e32 v12, v12, v13
	;; [unrolled: 1-line block ×3, first 2 shown]
	v_cndmask_b32_e32 v88, v12, v34, vcc
.LBB87_91:                              ;   in Loop: Header=BB87_13 Depth=1
	s_or_b64 exec, exec, s[52:53]
	s_waitcnt lgkmcnt(0)
	v_cvt_f32_f16_e32 v12, v8
	v_readlane_b32 s0, v95, 2
	s_nop 1
	v_add_f32_e32 v89, s0, v12
	v_cmp_ge_f32_e32 vcc, s6, v89
	s_and_b64 s[2:3], s[4:5], vcc
	s_and_saveexec_b64 s[52:53], s[2:3]
	s_cbranch_execz .LBB87_93
; %bb.92:                               ;   in Loop: Header=BB87_13 Depth=1
	v_mul_f32_e32 v12, 0x3fb8aa3b, v89
	v_rndne_f32_e32 v13, v12
	v_sub_f32_e32 v14, v12, v13
	v_fma_f32 v12, v89, s7, -v12
	v_fmac_f32_e32 v12, 0x32a5705f, v89
	v_add_f32_e32 v12, v14, v12
	v_cvt_i32_f32_e32 v13, v13
	v_exp_f32_e32 v12, v12
	v_cmp_ngt_f32_e32 vcc, s8, v89
	v_ldexp_f32 v12, v12, v13
	s_nop 0
	v_cndmask_b32_e32 v12, 0, v12, vcc
	v_cmp_nlt_f32_e32 vcc, s9, v89
	s_nop 1
	v_cndmask_b32_e32 v34, v41, v12, vcc
	v_add_f32_e32 v14, 1.0, v34
	v_add_f32_e32 v12, -1.0, v14
	v_sub_f32_e32 v13, v12, v14
	v_add_f32_e32 v13, 1.0, v13
	v_sub_f32_e32 v12, v34, v12
	v_add_f32_e32 v15, v12, v13
	v_frexp_mant_f32_e32 v22, v14
	v_cvt_f64_f32_e32 v[12:13], v14
	v_frexp_exp_i32_f64_e32 v12, v[12:13]
	v_cmp_gt_f32_e32 vcc, s11, v22
	v_cmp_gt_f32_e64 s[2:3], s54, v34
	s_nop 0
	v_subbrev_co_u32_e32 v26, vcc, 0, v12, vcc
	v_sub_u32_e32 v12, 0, v26
	v_ldexp_f32 v13, v14, v12
	v_add_f32_e32 v14, -1.0, v13
	v_add_f32_e32 v22, 1.0, v13
	v_ldexp_f32 v12, v15, v12
	v_add_f32_e32 v15, 1.0, v14
	v_add_f32_e32 v23, -1.0, v22
	v_sub_f32_e32 v15, v13, v15
	v_sub_f32_e32 v13, v13, v23
	v_add_f32_e32 v15, v12, v15
	v_add_f32_e32 v12, v12, v13
	v_add_f32_e32 v27, v22, v12
	v_rcp_f32_e32 v29, v27
	v_sub_f32_e32 v13, v22, v27
	v_add_f32_e32 v28, v12, v13
	v_add_f32_e32 v13, v14, v15
	v_mul_f32_e32 v31, v13, v29
	v_sub_f32_e32 v12, v14, v13
	v_mul_f32_e32 v14, v27, v31
	v_fma_f32 v22, v31, v27, -v14
	v_fmac_f32_e32 v22, v31, v28
	v_add_f32_e32 v30, v15, v12
	v_add_f32_e32 v12, v14, v22
	v_sub_f32_e32 v15, v13, v12
	v_pk_add_f32 v[24:25], v[12:13], v[14:15] neg_lo:[0,1] neg_hi:[0,1]
	v_mov_b32_e32 v23, v12
	v_pk_add_f32 v[12:13], v[24:25], v[22:23] neg_lo:[0,1] neg_hi:[0,1]
	v_cmp_eq_f32_e32 vcc, s10, v34
	v_add_f32_e32 v13, v30, v13
	v_add_f32_e32 v12, v12, v13
	;; [unrolled: 1-line block ×3, first 2 shown]
	v_mul_f32_e32 v30, v29, v13
	v_mul_f32_e32 v14, v27, v30
	v_fma_f32 v22, v30, v27, -v14
	v_fmac_f32_e32 v22, v30, v28
	v_sub_f32_e32 v15, v15, v13
	v_add_f32_e32 v27, v12, v15
	v_add_f32_e32 v12, v14, v22
	v_sub_f32_e32 v15, v13, v12
	v_pk_add_f32 v[24:25], v[12:13], v[14:15] neg_lo:[0,1] neg_hi:[0,1]
	v_mov_b32_e32 v23, v12
	v_pk_add_f32 v[12:13], v[24:25], v[22:23] neg_lo:[0,1] neg_hi:[0,1]
	s_or_b64 vcc, s[2:3], vcc
	v_add_f32_e32 v13, v27, v13
	v_add_f32_e32 v12, v12, v13
	;; [unrolled: 1-line block ×4, first 2 shown]
	v_sub_f32_e32 v14, v13, v31
	v_mul_f32_e32 v12, v29, v12
	v_sub_f32_e32 v14, v30, v14
	v_add_f32_e32 v14, v14, v12
	v_add_f32_e32 v22, v13, v14
	v_mul_f32_e32 v23, v22, v22
	v_fmamk_f32 v12, v23, 0x3e9b6dac, v40
	v_fmaak_f32 v43, v23, v12, 0x3f2aaada
	v_cvt_f32_i32_e32 v12, v26
	v_sub_f32_e32 v13, v22, v13
	v_sub_f32_e32 v13, v14, v13
	v_ldexp_f32 v24, v13, 1
	v_mul_f32_e32 v13, v22, v23
	v_ldexp_f32 v15, v22, 1
	v_pk_mul_f32 v[22:23], v[12:13], v[42:43]
	s_nop 0
	v_fma_f32 v14, v12, s33, -v22
	v_fmac_f32_e32 v14, 0xb102e308, v12
	v_pk_add_f32 v[12:13], v[22:23], v[14:15]
	s_nop 0
	v_sub_f32_e32 v15, v13, v15
	v_sub_f32_e32 v15, v23, v15
	v_add_f32_e32 v25, v24, v15
	v_mov_b32_e32 v24, v22
	v_pk_add_f32 v[22:23], v[12:13], v[22:23] neg_lo:[0,1] neg_hi:[0,1]
	v_pk_add_f32 v[26:27], v[12:13], v[24:25]
	v_mov_b32_e32 v15, v12
	v_mov_b32_e32 v23, v27
	v_pk_add_f32 v[28:29], v[14:15], v[22:23] neg_lo:[0,1] neg_hi:[0,1]
	v_pk_add_f32 v[14:15], v[14:15], v[22:23]
	v_mov_b32_e32 v24, v25
	v_mov_b32_e32 v22, v15
	v_pk_add_f32 v[30:31], v[22:23], v[12:13] neg_lo:[0,1] neg_hi:[0,1]
	v_mov_b32_e32 v14, v27
	v_mov_b32_e32 v23, v30
	v_pk_add_f32 v[32:33], v[26:27], v[22:23] neg_lo:[0,1] neg_hi:[0,1]
	v_mov_b32_e32 v26, v13
	v_mov_b32_e32 v27, v30
	;; [unrolled: 1-line block ×3, first 2 shown]
	v_pk_add_f32 v[14:15], v[14:15], v[26:27] neg_lo:[0,1] neg_hi:[0,1]
	v_mov_b32_e32 v25, v12
	v_pk_add_f32 v[12:13], v[24:25], v[14:15] neg_lo:[0,1] neg_hi:[0,1]
	v_mov_b32_e32 v32, v28
	v_pk_add_f32 v[14:15], v[32:33], v[12:13]
	s_nop 0
	v_mov_b32_e32 v24, v15
	v_pk_add_f32 v[24:25], v[14:15], v[24:25]
	s_nop 0
	v_pk_add_f32 v[22:23], v[22:23], v[24:25]
	v_mov_b32_e32 v13, v24
	v_mov_b32_e32 v15, v22
	v_pk_add_f32 v[26:27], v[14:15], v[28:29] neg_lo:[0,1] neg_hi:[0,1]
	s_nop 0
	v_sub_f32_e32 v14, v14, v26
	v_pk_add_f32 v[12:13], v[12:13], v[26:27] neg_lo:[0,1] neg_hi:[0,1]
	v_sub_f32_e32 v14, v28, v14
	v_add_f32_e32 v12, v12, v14
	v_add_f32_e32 v12, v12, v13
	;; [unrolled: 1-line block ×3, first 2 shown]
	v_cndmask_b32_e32 v89, v12, v34, vcc
.LBB87_93:                              ;   in Loop: Header=BB87_13 Depth=1
	s_or_b64 exec, exec, s[52:53]
	v_cvt_f32_f16_sdwa v8, v8 dst_sel:DWORD dst_unused:UNUSED_PAD src0_sel:WORD_1
	v_readlane_b32 s0, v95, 2
	s_nop 1
	v_add_f32_e32 v90, s0, v8
	v_cmp_ge_f32_e32 vcc, s6, v90
	s_and_b64 s[2:3], s[4:5], vcc
	s_and_saveexec_b64 s[52:53], s[2:3]
	s_cbranch_execz .LBB87_95
; %bb.94:                               ;   in Loop: Header=BB87_13 Depth=1
	v_mul_f32_e32 v8, 0x3fb8aa3b, v90
	v_rndne_f32_e32 v12, v8
	v_sub_f32_e32 v13, v8, v12
	v_fma_f32 v8, v90, s7, -v8
	v_fmac_f32_e32 v8, 0x32a5705f, v90
	v_add_f32_e32 v8, v13, v8
	v_cvt_i32_f32_e32 v12, v12
	v_exp_f32_e32 v8, v8
	v_cmp_ngt_f32_e32 vcc, s8, v90
	v_ldexp_f32 v8, v8, v12
	s_nop 0
	v_cndmask_b32_e32 v8, 0, v8, vcc
	v_cmp_nlt_f32_e32 vcc, s9, v90
	s_nop 1
	v_cndmask_b32_e32 v32, v41, v8, vcc
	v_add_f32_e32 v8, 1.0, v32
	v_add_f32_e32 v12, -1.0, v8
	v_sub_f32_e32 v13, v12, v8
	v_add_f32_e32 v13, 1.0, v13
	v_sub_f32_e32 v12, v32, v12
	v_add_f32_e32 v14, v12, v13
	v_frexp_mant_f32_e32 v15, v8
	v_cvt_f64_f32_e32 v[12:13], v8
	v_frexp_exp_i32_f64_e32 v12, v[12:13]
	v_cmp_gt_f32_e32 vcc, s11, v15
	v_cmp_gt_f32_e64 s[2:3], s54, v32
	s_nop 0
	v_subbrev_co_u32_e32 v26, vcc, 0, v12, vcc
	v_sub_u32_e32 v12, 0, v26
	v_ldexp_f32 v8, v8, v12
	v_ldexp_f32 v12, v14, v12
	v_add_f32_e32 v14, -1.0, v8
	v_add_f32_e32 v13, 1.0, v14
	v_sub_f32_e32 v13, v8, v13
	v_add_f32_e32 v15, v12, v13
	v_add_f32_e32 v13, 1.0, v8
	v_add_f32_e32 v22, -1.0, v13
	v_sub_f32_e32 v8, v8, v22
	v_add_f32_e32 v8, v12, v8
	v_add_f32_e32 v27, v13, v8
	v_rcp_f32_e32 v28, v27
	v_sub_f32_e32 v12, v13, v27
	v_add_f32_e32 v13, v14, v15
	v_add_f32_e32 v8, v8, v12
	v_mul_f32_e32 v30, v13, v28
	v_sub_f32_e32 v12, v14, v13
	v_mul_f32_e32 v14, v27, v30
	v_fma_f32 v22, v30, v27, -v14
	v_fmac_f32_e32 v22, v30, v8
	v_add_f32_e32 v29, v15, v12
	v_add_f32_e32 v12, v14, v22
	v_sub_f32_e32 v15, v13, v12
	v_pk_add_f32 v[24:25], v[12:13], v[14:15] neg_lo:[0,1] neg_hi:[0,1]
	v_mov_b32_e32 v23, v12
	v_pk_add_f32 v[12:13], v[24:25], v[22:23] neg_lo:[0,1] neg_hi:[0,1]
	v_cmp_eq_f32_e32 vcc, s10, v32
	v_add_f32_e32 v13, v29, v13
	v_add_f32_e32 v12, v12, v13
	;; [unrolled: 1-line block ×3, first 2 shown]
	v_mul_f32_e32 v29, v28, v13
	v_mul_f32_e32 v14, v27, v29
	v_fma_f32 v22, v29, v27, -v14
	v_fmac_f32_e32 v22, v29, v8
	v_sub_f32_e32 v8, v15, v13
	v_add_f32_e32 v8, v12, v8
	v_add_f32_e32 v12, v14, v22
	v_sub_f32_e32 v15, v13, v12
	v_pk_add_f32 v[24:25], v[12:13], v[14:15] neg_lo:[0,1] neg_hi:[0,1]
	v_mov_b32_e32 v23, v12
	v_pk_add_f32 v[12:13], v[24:25], v[22:23] neg_lo:[0,1] neg_hi:[0,1]
	s_or_b64 vcc, s[2:3], vcc
	v_add_f32_e32 v8, v8, v13
	v_add_f32_e32 v8, v12, v8
	v_add_f32_e32 v13, v30, v29
	v_add_f32_e32 v8, v15, v8
	v_sub_f32_e32 v12, v13, v30
	v_mul_f32_e32 v8, v28, v8
	v_sub_f32_e32 v12, v29, v12
	v_add_f32_e32 v8, v12, v8
	v_add_f32_e32 v14, v13, v8
	v_mul_f32_e32 v22, v14, v14
	v_fmamk_f32 v12, v22, 0x3e9b6dac, v40
	v_fmaak_f32 v43, v22, v12, 0x3f2aaada
	v_cvt_f32_i32_e32 v12, v26
	v_sub_f32_e32 v13, v14, v13
	v_sub_f32_e32 v8, v8, v13
	v_mul_f32_e32 v13, v14, v22
	v_pk_mul_f32 v[22:23], v[12:13], v[42:43]
	v_ldexp_f32 v15, v14, 1
	v_fma_f32 v14, v12, s33, -v22
	v_fmac_f32_e32 v14, 0xb102e308, v12
	v_pk_add_f32 v[12:13], v[22:23], v[14:15]
	v_ldexp_f32 v8, v8, 1
	v_sub_f32_e32 v15, v13, v15
	v_sub_f32_e32 v15, v23, v15
	v_add_f32_e32 v25, v8, v15
	v_mov_b32_e32 v24, v22
	v_pk_add_f32 v[22:23], v[12:13], v[22:23] neg_lo:[0,1] neg_hi:[0,1]
	v_pk_add_f32 v[26:27], v[12:13], v[24:25]
	v_mov_b32_e32 v15, v12
	v_mov_b32_e32 v23, v27
	v_pk_add_f32 v[28:29], v[14:15], v[22:23] neg_lo:[0,1] neg_hi:[0,1]
	v_pk_add_f32 v[14:15], v[14:15], v[22:23]
	s_nop 0
	v_mov_b32_e32 v8, v15
	v_pk_add_f32 v[22:23], v[8:9], v[12:13] neg_lo:[0,1] neg_hi:[0,1]
	v_mov_b32_e32 v14, v27
	v_mov_b32_e32 v23, v22
	v_pk_add_f32 v[30:31], v[26:27], v[22:23] neg_lo:[0,1] neg_hi:[0,1]
	v_mov_b32_e32 v26, v13
	v_mov_b32_e32 v27, v22
	;; [unrolled: 1-line block ×3, first 2 shown]
	v_pk_add_f32 v[14:15], v[14:15], v[26:27] neg_lo:[0,1] neg_hi:[0,1]
	v_mov_b32_e32 v22, v25
	v_mov_b32_e32 v23, v12
	v_pk_add_f32 v[12:13], v[22:23], v[14:15] neg_lo:[0,1] neg_hi:[0,1]
	v_mov_b32_e32 v30, v28
	v_pk_add_f32 v[14:15], v[30:31], v[12:13]
	s_nop 0
	v_mov_b32_e32 v22, v15
	v_pk_add_f32 v[22:23], v[14:15], v[22:23]
	s_nop 0
	v_pk_add_f32 v[24:25], v[8:9], v[22:23]
	v_mov_b32_e32 v13, v22
	v_mov_b32_e32 v15, v24
	v_pk_add_f32 v[26:27], v[14:15], v[28:29] neg_lo:[0,1] neg_hi:[0,1]
	s_nop 0
	v_sub_f32_e32 v8, v14, v26
	v_pk_add_f32 v[12:13], v[12:13], v[26:27] neg_lo:[0,1] neg_hi:[0,1]
	v_sub_f32_e32 v8, v28, v8
	v_add_f32_e32 v8, v12, v8
	v_add_f32_e32 v8, v8, v13
	;; [unrolled: 1-line block ×3, first 2 shown]
	v_cndmask_b32_e32 v90, v8, v32, vcc
.LBB87_95:                              ;   in Loop: Header=BB87_13 Depth=1
	s_or_b64 exec, exec, s[52:53]
	v_cvt_f32_f16_e32 v8, v9
	v_readlane_b32 s0, v95, 2
	s_nop 1
	v_add_f32_e32 v91, s0, v8
	v_cmp_ge_f32_e32 vcc, s6, v91
	s_and_b64 s[2:3], s[4:5], vcc
	s_and_saveexec_b64 s[52:53], s[2:3]
	s_cbranch_execz .LBB87_97
; %bb.96:                               ;   in Loop: Header=BB87_13 Depth=1
	v_mul_f32_e32 v8, 0x3fb8aa3b, v91
	v_rndne_f32_e32 v12, v8
	v_sub_f32_e32 v13, v8, v12
	v_fma_f32 v8, v91, s7, -v8
	v_fmac_f32_e32 v8, 0x32a5705f, v91
	v_add_f32_e32 v8, v13, v8
	v_cvt_i32_f32_e32 v12, v12
	v_exp_f32_e32 v8, v8
	v_cmp_ngt_f32_e32 vcc, s8, v91
	v_ldexp_f32 v8, v8, v12
	s_nop 0
	v_cndmask_b32_e32 v8, 0, v8, vcc
	v_cmp_nlt_f32_e32 vcc, s9, v91
	s_nop 1
	v_cndmask_b32_e32 v32, v41, v8, vcc
	v_add_f32_e32 v8, 1.0, v32
	v_add_f32_e32 v12, -1.0, v8
	v_sub_f32_e32 v13, v12, v8
	v_add_f32_e32 v13, 1.0, v13
	v_sub_f32_e32 v12, v32, v12
	v_add_f32_e32 v14, v12, v13
	v_frexp_mant_f32_e32 v15, v8
	v_cvt_f64_f32_e32 v[12:13], v8
	v_frexp_exp_i32_f64_e32 v12, v[12:13]
	v_cmp_gt_f32_e32 vcc, s11, v15
	v_cmp_gt_f32_e64 s[2:3], s54, v32
	s_nop 0
	v_subbrev_co_u32_e32 v26, vcc, 0, v12, vcc
	v_sub_u32_e32 v12, 0, v26
	v_ldexp_f32 v8, v8, v12
	v_ldexp_f32 v12, v14, v12
	v_add_f32_e32 v14, -1.0, v8
	v_add_f32_e32 v13, 1.0, v14
	v_sub_f32_e32 v13, v8, v13
	v_add_f32_e32 v15, v12, v13
	v_add_f32_e32 v13, 1.0, v8
	v_add_f32_e32 v22, -1.0, v13
	v_sub_f32_e32 v8, v8, v22
	v_add_f32_e32 v8, v12, v8
	v_add_f32_e32 v27, v13, v8
	v_rcp_f32_e32 v28, v27
	v_sub_f32_e32 v12, v13, v27
	v_add_f32_e32 v13, v14, v15
	v_add_f32_e32 v8, v8, v12
	v_mul_f32_e32 v30, v13, v28
	v_sub_f32_e32 v12, v14, v13
	v_mul_f32_e32 v14, v27, v30
	v_fma_f32 v22, v30, v27, -v14
	v_fmac_f32_e32 v22, v30, v8
	v_add_f32_e32 v29, v15, v12
	v_add_f32_e32 v12, v14, v22
	v_sub_f32_e32 v15, v13, v12
	v_pk_add_f32 v[24:25], v[12:13], v[14:15] neg_lo:[0,1] neg_hi:[0,1]
	v_mov_b32_e32 v23, v12
	v_pk_add_f32 v[12:13], v[24:25], v[22:23] neg_lo:[0,1] neg_hi:[0,1]
	v_cmp_eq_f32_e32 vcc, s10, v32
	v_add_f32_e32 v13, v29, v13
	v_add_f32_e32 v12, v12, v13
	v_add_f32_e32 v13, v15, v12
	v_mul_f32_e32 v29, v28, v13
	v_mul_f32_e32 v14, v27, v29
	v_fma_f32 v22, v29, v27, -v14
	v_fmac_f32_e32 v22, v29, v8
	v_sub_f32_e32 v8, v15, v13
	v_add_f32_e32 v8, v12, v8
	v_add_f32_e32 v12, v14, v22
	v_sub_f32_e32 v15, v13, v12
	v_pk_add_f32 v[24:25], v[12:13], v[14:15] neg_lo:[0,1] neg_hi:[0,1]
	v_mov_b32_e32 v23, v12
	v_pk_add_f32 v[12:13], v[24:25], v[22:23] neg_lo:[0,1] neg_hi:[0,1]
	s_or_b64 vcc, s[2:3], vcc
	v_add_f32_e32 v8, v8, v13
	v_add_f32_e32 v8, v12, v8
	;; [unrolled: 1-line block ×4, first 2 shown]
	v_sub_f32_e32 v12, v13, v30
	v_mul_f32_e32 v8, v28, v8
	v_sub_f32_e32 v12, v29, v12
	v_add_f32_e32 v8, v12, v8
	v_add_f32_e32 v14, v13, v8
	v_mul_f32_e32 v22, v14, v14
	v_fmamk_f32 v12, v22, 0x3e9b6dac, v40
	v_fmaak_f32 v43, v22, v12, 0x3f2aaada
	v_cvt_f32_i32_e32 v12, v26
	v_sub_f32_e32 v13, v14, v13
	v_sub_f32_e32 v8, v8, v13
	v_mul_f32_e32 v13, v14, v22
	v_pk_mul_f32 v[22:23], v[12:13], v[42:43]
	v_ldexp_f32 v15, v14, 1
	v_fma_f32 v14, v12, s33, -v22
	v_fmac_f32_e32 v14, 0xb102e308, v12
	v_pk_add_f32 v[12:13], v[22:23], v[14:15]
	v_ldexp_f32 v8, v8, 1
	v_sub_f32_e32 v15, v13, v15
	v_sub_f32_e32 v15, v23, v15
	v_add_f32_e32 v25, v8, v15
	v_mov_b32_e32 v24, v22
	v_pk_add_f32 v[22:23], v[12:13], v[22:23] neg_lo:[0,1] neg_hi:[0,1]
	v_pk_add_f32 v[26:27], v[12:13], v[24:25]
	v_mov_b32_e32 v15, v12
	v_mov_b32_e32 v23, v27
	v_pk_add_f32 v[28:29], v[14:15], v[22:23] neg_lo:[0,1] neg_hi:[0,1]
	v_pk_add_f32 v[14:15], v[14:15], v[22:23]
	s_nop 0
	v_mov_b32_e32 v8, v15
	v_pk_add_f32 v[22:23], v[8:9], v[12:13] neg_lo:[0,1] neg_hi:[0,1]
	v_mov_b32_e32 v14, v27
	v_mov_b32_e32 v23, v22
	v_pk_add_f32 v[30:31], v[26:27], v[22:23] neg_lo:[0,1] neg_hi:[0,1]
	v_mov_b32_e32 v26, v13
	v_mov_b32_e32 v27, v22
	;; [unrolled: 1-line block ×3, first 2 shown]
	v_pk_add_f32 v[14:15], v[14:15], v[26:27] neg_lo:[0,1] neg_hi:[0,1]
	v_mov_b32_e32 v22, v25
	v_mov_b32_e32 v23, v12
	v_pk_add_f32 v[12:13], v[22:23], v[14:15] neg_lo:[0,1] neg_hi:[0,1]
	v_mov_b32_e32 v30, v28
	v_pk_add_f32 v[14:15], v[30:31], v[12:13]
	s_nop 0
	v_mov_b32_e32 v22, v15
	v_pk_add_f32 v[22:23], v[14:15], v[22:23]
	s_nop 0
	v_pk_add_f32 v[24:25], v[8:9], v[22:23]
	v_mov_b32_e32 v13, v22
	v_mov_b32_e32 v15, v24
	v_pk_add_f32 v[26:27], v[14:15], v[28:29] neg_lo:[0,1] neg_hi:[0,1]
	s_nop 0
	v_sub_f32_e32 v8, v14, v26
	v_pk_add_f32 v[12:13], v[12:13], v[26:27] neg_lo:[0,1] neg_hi:[0,1]
	v_sub_f32_e32 v8, v28, v8
	v_add_f32_e32 v8, v12, v8
	v_add_f32_e32 v8, v8, v13
	;; [unrolled: 1-line block ×3, first 2 shown]
	v_cndmask_b32_e32 v91, v8, v32, vcc
.LBB87_97:                              ;   in Loop: Header=BB87_13 Depth=1
	s_or_b64 exec, exec, s[52:53]
	v_cvt_f32_f16_sdwa v8, v9 dst_sel:DWORD dst_unused:UNUSED_PAD src0_sel:WORD_1
	v_readlane_b32 s0, v95, 2
	s_nop 1
	v_add_f32_e32 v92, s0, v8
	v_cmp_ge_f32_e32 vcc, s6, v92
	s_and_b64 s[2:3], s[4:5], vcc
	s_and_saveexec_b64 s[52:53], s[2:3]
	s_cbranch_execz .LBB87_99
; %bb.98:                               ;   in Loop: Header=BB87_13 Depth=1
	v_mul_f32_e32 v8, 0x3fb8aa3b, v92
	v_rndne_f32_e32 v9, v8
	v_sub_f32_e32 v12, v8, v9
	v_fma_f32 v8, v92, s7, -v8
	v_fmac_f32_e32 v8, 0x32a5705f, v92
	v_add_f32_e32 v8, v12, v8
	v_cvt_i32_f32_e32 v9, v9
	v_exp_f32_e32 v8, v8
	v_cmp_ngt_f32_e32 vcc, s8, v92
	v_ldexp_f32 v8, v8, v9
	s_nop 0
	v_cndmask_b32_e32 v8, 0, v8, vcc
	v_cmp_nlt_f32_e32 vcc, s9, v92
	s_nop 1
	v_cndmask_b32_e32 v32, v41, v8, vcc
	v_add_f32_e32 v12, 1.0, v32
	v_add_f32_e32 v8, -1.0, v12
	v_sub_f32_e32 v9, v8, v12
	v_add_f32_e32 v9, 1.0, v9
	v_sub_f32_e32 v8, v32, v8
	v_add_f32_e32 v13, v8, v9
	v_frexp_mant_f32_e32 v14, v12
	v_cvt_f64_f32_e32 v[8:9], v12
	v_frexp_exp_i32_f64_e32 v8, v[8:9]
	v_cmp_gt_f32_e32 vcc, s11, v14
	v_cmp_gt_f32_e64 s[2:3], s54, v32
	s_nop 0
	v_subbrev_co_u32_e32 v24, vcc, 0, v8, vcc
	v_sub_u32_e32 v8, 0, v24
	v_ldexp_f32 v9, v12, v8
	v_add_f32_e32 v12, -1.0, v9
	v_add_f32_e32 v14, 1.0, v9
	v_ldexp_f32 v8, v13, v8
	v_add_f32_e32 v13, 1.0, v12
	v_add_f32_e32 v15, -1.0, v14
	v_sub_f32_e32 v13, v9, v13
	v_sub_f32_e32 v9, v9, v15
	v_add_f32_e32 v13, v8, v13
	v_add_f32_e32 v8, v8, v9
	;; [unrolled: 1-line block ×3, first 2 shown]
	v_rcp_f32_e32 v27, v25
	v_sub_f32_e32 v9, v14, v25
	v_add_f32_e32 v26, v8, v9
	v_add_f32_e32 v9, v12, v13
	v_mul_f32_e32 v29, v9, v27
	v_sub_f32_e32 v8, v12, v9
	v_mul_f32_e32 v12, v25, v29
	v_fma_f32 v14, v29, v25, -v12
	v_fmac_f32_e32 v14, v29, v26
	v_add_f32_e32 v28, v13, v8
	v_add_f32_e32 v8, v12, v14
	v_sub_f32_e32 v13, v9, v8
	v_pk_add_f32 v[22:23], v[8:9], v[12:13] neg_lo:[0,1] neg_hi:[0,1]
	v_mov_b32_e32 v15, v8
	v_pk_add_f32 v[8:9], v[22:23], v[14:15] neg_lo:[0,1] neg_hi:[0,1]
	v_cmp_eq_f32_e32 vcc, s10, v32
	v_add_f32_e32 v9, v28, v9
	v_add_f32_e32 v8, v8, v9
	;; [unrolled: 1-line block ×3, first 2 shown]
	v_mul_f32_e32 v28, v27, v9
	v_mul_f32_e32 v12, v25, v28
	v_fma_f32 v14, v28, v25, -v12
	v_fmac_f32_e32 v14, v28, v26
	v_sub_f32_e32 v13, v13, v9
	v_add_f32_e32 v25, v8, v13
	v_add_f32_e32 v8, v12, v14
	v_sub_f32_e32 v13, v9, v8
	v_pk_add_f32 v[22:23], v[8:9], v[12:13] neg_lo:[0,1] neg_hi:[0,1]
	v_mov_b32_e32 v15, v8
	v_pk_add_f32 v[8:9], v[22:23], v[14:15] neg_lo:[0,1] neg_hi:[0,1]
	s_or_b64 vcc, s[2:3], vcc
	v_add_f32_e32 v9, v25, v9
	v_add_f32_e32 v8, v8, v9
	;; [unrolled: 1-line block ×4, first 2 shown]
	v_sub_f32_e32 v12, v9, v29
	v_mul_f32_e32 v8, v27, v8
	v_sub_f32_e32 v12, v28, v12
	v_add_f32_e32 v12, v12, v8
	v_add_f32_e32 v14, v9, v12
	v_mul_f32_e32 v15, v14, v14
	v_fmamk_f32 v8, v15, 0x3e9b6dac, v40
	v_fmaak_f32 v43, v15, v8, 0x3f2aaada
	v_cvt_f32_i32_e32 v8, v24
	v_sub_f32_e32 v9, v14, v9
	v_sub_f32_e32 v9, v12, v9
	v_ldexp_f32 v22, v9, 1
	v_mul_f32_e32 v9, v14, v15
	v_ldexp_f32 v13, v14, 1
	v_pk_mul_f32 v[14:15], v[8:9], v[42:43]
	s_nop 0
	v_fma_f32 v12, v8, s33, -v14
	v_fmac_f32_e32 v12, 0xb102e308, v8
	v_pk_add_f32 v[8:9], v[14:15], v[12:13]
	s_nop 0
	v_sub_f32_e32 v13, v9, v13
	v_sub_f32_e32 v13, v15, v13
	v_add_f32_e32 v23, v22, v13
	v_mov_b32_e32 v22, v14
	v_pk_add_f32 v[14:15], v[8:9], v[14:15] neg_lo:[0,1] neg_hi:[0,1]
	v_pk_add_f32 v[24:25], v[8:9], v[22:23]
	v_mov_b32_e32 v13, v8
	v_mov_b32_e32 v15, v25
	v_pk_add_f32 v[26:27], v[12:13], v[14:15] neg_lo:[0,1] neg_hi:[0,1]
	v_pk_add_f32 v[12:13], v[12:13], v[14:15]
	v_mov_b32_e32 v22, v23
	v_mov_b32_e32 v14, v13
	v_pk_add_f32 v[28:29], v[14:15], v[8:9] neg_lo:[0,1] neg_hi:[0,1]
	v_mov_b32_e32 v12, v25
	v_mov_b32_e32 v15, v28
	v_pk_add_f32 v[30:31], v[24:25], v[14:15] neg_lo:[0,1] neg_hi:[0,1]
	v_mov_b32_e32 v24, v9
	v_mov_b32_e32 v25, v28
	;; [unrolled: 1-line block ×3, first 2 shown]
	v_pk_add_f32 v[12:13], v[12:13], v[24:25] neg_lo:[0,1] neg_hi:[0,1]
	v_mov_b32_e32 v23, v8
	v_pk_add_f32 v[8:9], v[22:23], v[12:13] neg_lo:[0,1] neg_hi:[0,1]
	v_mov_b32_e32 v30, v26
	v_pk_add_f32 v[12:13], v[30:31], v[8:9]
	s_nop 0
	v_mov_b32_e32 v22, v13
	v_pk_add_f32 v[22:23], v[12:13], v[22:23]
	s_nop 0
	v_pk_add_f32 v[14:15], v[14:15], v[22:23]
	v_mov_b32_e32 v9, v22
	v_mov_b32_e32 v13, v14
	v_pk_add_f32 v[24:25], v[12:13], v[26:27] neg_lo:[0,1] neg_hi:[0,1]
	s_nop 0
	v_sub_f32_e32 v12, v12, v24
	v_pk_add_f32 v[8:9], v[8:9], v[24:25] neg_lo:[0,1] neg_hi:[0,1]
	v_sub_f32_e32 v12, v26, v12
	v_add_f32_e32 v8, v8, v12
	v_add_f32_e32 v8, v8, v9
	;; [unrolled: 1-line block ×3, first 2 shown]
	v_cndmask_b32_e32 v92, v8, v32, vcc
.LBB87_99:                              ;   in Loop: Header=BB87_13 Depth=1
	s_or_b64 exec, exec, s[52:53]
	v_cvt_f32_f16_e32 v8, v10
	v_readlane_b32 s0, v95, 2
	s_nop 1
	v_add_f32_e32 v93, s0, v8
	v_cmp_ge_f32_e32 vcc, s6, v93
	s_and_b64 s[2:3], s[4:5], vcc
	s_and_saveexec_b64 s[52:53], s[2:3]
	s_cbranch_execz .LBB87_101
; %bb.100:                              ;   in Loop: Header=BB87_13 Depth=1
	v_mul_f32_e32 v8, 0x3fb8aa3b, v93
	v_rndne_f32_e32 v9, v8
	v_sub_f32_e32 v12, v8, v9
	v_fma_f32 v8, v93, s7, -v8
	v_fmac_f32_e32 v8, 0x32a5705f, v93
	v_add_f32_e32 v8, v12, v8
	v_cvt_i32_f32_e32 v9, v9
	v_exp_f32_e32 v8, v8
	v_cmp_ngt_f32_e32 vcc, s8, v93
	v_ldexp_f32 v8, v8, v9
	s_nop 0
	v_cndmask_b32_e32 v8, 0, v8, vcc
	v_cmp_nlt_f32_e32 vcc, s9, v93
	s_nop 1
	v_cndmask_b32_e32 v32, v41, v8, vcc
	v_add_f32_e32 v12, 1.0, v32
	v_add_f32_e32 v8, -1.0, v12
	v_sub_f32_e32 v9, v8, v12
	v_add_f32_e32 v9, 1.0, v9
	v_sub_f32_e32 v8, v32, v8
	v_add_f32_e32 v13, v8, v9
	v_frexp_mant_f32_e32 v14, v12
	v_cvt_f64_f32_e32 v[8:9], v12
	v_frexp_exp_i32_f64_e32 v8, v[8:9]
	v_cmp_gt_f32_e32 vcc, s11, v14
	v_cmp_gt_f32_e64 s[2:3], s54, v32
	s_nop 0
	v_subbrev_co_u32_e32 v24, vcc, 0, v8, vcc
	v_sub_u32_e32 v8, 0, v24
	v_ldexp_f32 v9, v12, v8
	v_add_f32_e32 v12, -1.0, v9
	v_add_f32_e32 v14, 1.0, v9
	v_ldexp_f32 v8, v13, v8
	v_add_f32_e32 v13, 1.0, v12
	v_add_f32_e32 v15, -1.0, v14
	v_sub_f32_e32 v13, v9, v13
	v_sub_f32_e32 v9, v9, v15
	v_add_f32_e32 v13, v8, v13
	v_add_f32_e32 v8, v8, v9
	;; [unrolled: 1-line block ×3, first 2 shown]
	v_rcp_f32_e32 v27, v25
	v_sub_f32_e32 v9, v14, v25
	v_add_f32_e32 v26, v8, v9
	v_add_f32_e32 v9, v12, v13
	v_mul_f32_e32 v29, v9, v27
	v_sub_f32_e32 v8, v12, v9
	v_mul_f32_e32 v12, v25, v29
	v_fma_f32 v14, v29, v25, -v12
	v_fmac_f32_e32 v14, v29, v26
	v_add_f32_e32 v28, v13, v8
	v_add_f32_e32 v8, v12, v14
	v_sub_f32_e32 v13, v9, v8
	v_pk_add_f32 v[22:23], v[8:9], v[12:13] neg_lo:[0,1] neg_hi:[0,1]
	v_mov_b32_e32 v15, v8
	v_pk_add_f32 v[8:9], v[22:23], v[14:15] neg_lo:[0,1] neg_hi:[0,1]
	v_cmp_eq_f32_e32 vcc, s10, v32
	v_add_f32_e32 v9, v28, v9
	v_add_f32_e32 v8, v8, v9
	;; [unrolled: 1-line block ×3, first 2 shown]
	v_mul_f32_e32 v28, v27, v9
	v_mul_f32_e32 v12, v25, v28
	v_fma_f32 v14, v28, v25, -v12
	v_fmac_f32_e32 v14, v28, v26
	v_sub_f32_e32 v13, v13, v9
	v_add_f32_e32 v25, v8, v13
	v_add_f32_e32 v8, v12, v14
	v_sub_f32_e32 v13, v9, v8
	v_pk_add_f32 v[22:23], v[8:9], v[12:13] neg_lo:[0,1] neg_hi:[0,1]
	v_mov_b32_e32 v15, v8
	v_pk_add_f32 v[8:9], v[22:23], v[14:15] neg_lo:[0,1] neg_hi:[0,1]
	s_or_b64 vcc, s[2:3], vcc
	v_add_f32_e32 v9, v25, v9
	v_add_f32_e32 v8, v8, v9
	;; [unrolled: 1-line block ×4, first 2 shown]
	v_sub_f32_e32 v12, v9, v29
	v_mul_f32_e32 v8, v27, v8
	v_sub_f32_e32 v12, v28, v12
	v_add_f32_e32 v12, v12, v8
	v_add_f32_e32 v14, v9, v12
	v_mul_f32_e32 v15, v14, v14
	v_fmamk_f32 v8, v15, 0x3e9b6dac, v40
	v_fmaak_f32 v43, v15, v8, 0x3f2aaada
	v_cvt_f32_i32_e32 v8, v24
	v_sub_f32_e32 v9, v14, v9
	v_sub_f32_e32 v9, v12, v9
	v_ldexp_f32 v22, v9, 1
	v_mul_f32_e32 v9, v14, v15
	v_ldexp_f32 v13, v14, 1
	v_pk_mul_f32 v[14:15], v[8:9], v[42:43]
	s_nop 0
	v_fma_f32 v12, v8, s33, -v14
	v_fmac_f32_e32 v12, 0xb102e308, v8
	v_pk_add_f32 v[8:9], v[14:15], v[12:13]
	s_nop 0
	v_sub_f32_e32 v13, v9, v13
	v_sub_f32_e32 v13, v15, v13
	v_add_f32_e32 v23, v22, v13
	v_mov_b32_e32 v22, v14
	v_pk_add_f32 v[14:15], v[8:9], v[14:15] neg_lo:[0,1] neg_hi:[0,1]
	v_pk_add_f32 v[24:25], v[8:9], v[22:23]
	v_mov_b32_e32 v13, v8
	v_mov_b32_e32 v15, v25
	v_pk_add_f32 v[26:27], v[12:13], v[14:15] neg_lo:[0,1] neg_hi:[0,1]
	v_pk_add_f32 v[12:13], v[12:13], v[14:15]
	v_mov_b32_e32 v22, v23
	v_mov_b32_e32 v14, v13
	v_pk_add_f32 v[28:29], v[14:15], v[8:9] neg_lo:[0,1] neg_hi:[0,1]
	v_mov_b32_e32 v12, v25
	v_mov_b32_e32 v15, v28
	v_pk_add_f32 v[30:31], v[24:25], v[14:15] neg_lo:[0,1] neg_hi:[0,1]
	v_mov_b32_e32 v24, v9
	v_mov_b32_e32 v25, v28
	v_mov_b32_e32 v27, v13
	v_pk_add_f32 v[12:13], v[12:13], v[24:25] neg_lo:[0,1] neg_hi:[0,1]
	v_mov_b32_e32 v23, v8
	v_pk_add_f32 v[8:9], v[22:23], v[12:13] neg_lo:[0,1] neg_hi:[0,1]
	v_mov_b32_e32 v30, v26
	v_pk_add_f32 v[12:13], v[30:31], v[8:9]
	s_nop 0
	v_mov_b32_e32 v22, v13
	v_pk_add_f32 v[22:23], v[12:13], v[22:23]
	s_nop 0
	v_pk_add_f32 v[14:15], v[14:15], v[22:23]
	v_mov_b32_e32 v9, v22
	v_mov_b32_e32 v13, v14
	v_pk_add_f32 v[24:25], v[12:13], v[26:27] neg_lo:[0,1] neg_hi:[0,1]
	s_nop 0
	v_sub_f32_e32 v12, v12, v24
	v_pk_add_f32 v[8:9], v[8:9], v[24:25] neg_lo:[0,1] neg_hi:[0,1]
	v_sub_f32_e32 v12, v26, v12
	v_add_f32_e32 v8, v8, v12
	v_add_f32_e32 v8, v8, v9
	;; [unrolled: 1-line block ×3, first 2 shown]
	v_cndmask_b32_e32 v93, v8, v32, vcc
.LBB87_101:                             ;   in Loop: Header=BB87_13 Depth=1
	s_or_b64 exec, exec, s[52:53]
	v_cvt_f32_f16_sdwa v8, v10 dst_sel:DWORD dst_unused:UNUSED_PAD src0_sel:WORD_1
	v_readlane_b32 s0, v95, 2
	s_nop 1
	v_add_f32_e32 v94, s0, v8
	v_cmp_ge_f32_e32 vcc, s6, v94
	s_and_b64 s[2:3], s[4:5], vcc
	s_and_saveexec_b64 s[52:53], s[2:3]
	s_cbranch_execz .LBB87_103
; %bb.102:                              ;   in Loop: Header=BB87_13 Depth=1
	v_mul_f32_e32 v8, 0x3fb8aa3b, v94
	v_rndne_f32_e32 v9, v8
	v_sub_f32_e32 v10, v8, v9
	v_fma_f32 v8, v94, s7, -v8
	v_fmac_f32_e32 v8, 0x32a5705f, v94
	v_add_f32_e32 v8, v10, v8
	v_cvt_i32_f32_e32 v9, v9
	v_exp_f32_e32 v8, v8
	v_cmp_ngt_f32_e32 vcc, s8, v94
	v_ldexp_f32 v8, v8, v9
	s_nop 0
	v_cndmask_b32_e32 v8, 0, v8, vcc
	v_cmp_nlt_f32_e32 vcc, s9, v94
	s_nop 1
	v_cndmask_b32_e32 v30, v41, v8, vcc
	v_add_f32_e32 v10, 1.0, v30
	v_add_f32_e32 v8, -1.0, v10
	v_sub_f32_e32 v9, v8, v10
	v_add_f32_e32 v9, 1.0, v9
	v_sub_f32_e32 v8, v30, v8
	v_add_f32_e32 v12, v8, v9
	v_frexp_mant_f32_e32 v13, v10
	v_cvt_f64_f32_e32 v[8:9], v10
	v_frexp_exp_i32_f64_e32 v8, v[8:9]
	v_cmp_gt_f32_e32 vcc, s11, v13
	v_cmp_gt_f32_e64 s[2:3], s54, v30
	s_nop 0
	v_subbrev_co_u32_e32 v24, vcc, 0, v8, vcc
	v_sub_u32_e32 v8, 0, v24
	v_ldexp_f32 v9, v10, v8
	v_add_f32_e32 v10, -1.0, v9
	v_add_f32_e32 v13, 1.0, v9
	v_ldexp_f32 v8, v12, v8
	v_add_f32_e32 v12, 1.0, v10
	v_add_f32_e32 v14, -1.0, v13
	v_sub_f32_e32 v12, v9, v12
	v_sub_f32_e32 v9, v9, v14
	v_add_f32_e32 v12, v8, v12
	v_add_f32_e32 v8, v8, v9
	;; [unrolled: 1-line block ×3, first 2 shown]
	v_rcp_f32_e32 v27, v25
	v_sub_f32_e32 v9, v13, v25
	v_add_f32_e32 v26, v8, v9
	v_add_f32_e32 v9, v10, v12
	v_sub_f32_e32 v8, v10, v9
	v_mul_f32_e32 v28, v9, v27
	v_add_f32_e32 v10, v12, v8
	v_mul_f32_e32 v12, v25, v28
	v_fma_f32 v14, v28, v25, -v12
	v_fmac_f32_e32 v14, v28, v26
	v_add_f32_e32 v8, v12, v14
	v_sub_f32_e32 v13, v9, v8
	v_pk_add_f32 v[22:23], v[8:9], v[12:13] neg_lo:[0,1] neg_hi:[0,1]
	v_mov_b32_e32 v15, v8
	v_pk_add_f32 v[8:9], v[22:23], v[14:15] neg_lo:[0,1] neg_hi:[0,1]
	v_cmp_eq_f32_e32 vcc, s10, v30
	v_add_f32_e32 v9, v10, v9
	v_add_f32_e32 v8, v8, v9
	;; [unrolled: 1-line block ×3, first 2 shown]
	v_mul_f32_e32 v10, v27, v9
	v_mul_f32_e32 v12, v25, v10
	v_fma_f32 v14, v10, v25, -v12
	v_fmac_f32_e32 v14, v10, v26
	v_sub_f32_e32 v13, v13, v9
	v_add_f32_e32 v25, v8, v13
	v_add_f32_e32 v8, v12, v14
	v_sub_f32_e32 v13, v9, v8
	v_pk_add_f32 v[22:23], v[8:9], v[12:13] neg_lo:[0,1] neg_hi:[0,1]
	v_mov_b32_e32 v15, v8
	v_pk_add_f32 v[8:9], v[22:23], v[14:15] neg_lo:[0,1] neg_hi:[0,1]
	s_or_b64 vcc, s[2:3], vcc
	v_add_f32_e32 v9, v25, v9
	v_add_f32_e32 v8, v8, v9
	;; [unrolled: 1-line block ×4, first 2 shown]
	v_sub_f32_e32 v12, v9, v28
	v_mul_f32_e32 v8, v27, v8
	v_sub_f32_e32 v10, v10, v12
	v_add_f32_e32 v10, v10, v8
	v_add_f32_e32 v12, v9, v10
	v_mul_f32_e32 v14, v12, v12
	v_fmamk_f32 v8, v14, 0x3e9b6dac, v40
	v_fmaak_f32 v43, v14, v8, 0x3f2aaada
	v_cvt_f32_i32_e32 v8, v24
	v_sub_f32_e32 v9, v12, v9
	v_sub_f32_e32 v9, v10, v9
	v_ldexp_f32 v10, v9, 1
	v_mul_f32_e32 v9, v12, v14
	v_pk_mul_f32 v[14:15], v[8:9], v[42:43]
	v_ldexp_f32 v13, v12, 1
	v_fma_f32 v12, v8, s33, -v14
	v_fmac_f32_e32 v12, 0xb102e308, v8
	v_pk_add_f32 v[8:9], v[14:15], v[12:13]
	v_mov_b32_e32 v22, v14
	v_sub_f32_e32 v13, v9, v13
	v_sub_f32_e32 v13, v15, v13
	v_add_f32_e32 v23, v10, v13
	v_pk_add_f32 v[14:15], v[8:9], v[14:15] neg_lo:[0,1] neg_hi:[0,1]
	v_pk_add_f32 v[24:25], v[8:9], v[22:23]
	v_mov_b32_e32 v13, v8
	v_mov_b32_e32 v15, v25
	v_pk_add_f32 v[26:27], v[12:13], v[14:15] neg_lo:[0,1] neg_hi:[0,1]
	v_pk_add_f32 v[12:13], v[12:13], v[14:15]
	s_nop 0
	v_mov_b32_e32 v10, v13
	v_pk_add_f32 v[14:15], v[10:11], v[8:9] neg_lo:[0,1] neg_hi:[0,1]
	v_mov_b32_e32 v12, v25
	v_mov_b32_e32 v15, v14
	v_pk_add_f32 v[28:29], v[24:25], v[14:15] neg_lo:[0,1] neg_hi:[0,1]
	v_mov_b32_e32 v24, v9
	v_mov_b32_e32 v25, v14
	;; [unrolled: 1-line block ×3, first 2 shown]
	v_pk_add_f32 v[12:13], v[12:13], v[24:25] neg_lo:[0,1] neg_hi:[0,1]
	v_mov_b32_e32 v14, v23
	v_mov_b32_e32 v15, v8
	v_pk_add_f32 v[8:9], v[14:15], v[12:13] neg_lo:[0,1] neg_hi:[0,1]
	v_mov_b32_e32 v28, v26
	v_pk_add_f32 v[12:13], v[28:29], v[8:9]
	s_nop 0
	v_mov_b32_e32 v14, v13
	v_pk_add_f32 v[14:15], v[12:13], v[14:15]
	s_nop 0
	v_pk_add_f32 v[22:23], v[10:11], v[14:15]
	v_mov_b32_e32 v9, v14
	v_mov_b32_e32 v13, v22
	v_pk_add_f32 v[24:25], v[12:13], v[26:27] neg_lo:[0,1] neg_hi:[0,1]
	s_nop 0
	v_sub_f32_e32 v10, v12, v24
	v_pk_add_f32 v[8:9], v[8:9], v[24:25] neg_lo:[0,1] neg_hi:[0,1]
	v_sub_f32_e32 v10, v26, v10
	v_add_f32_e32 v8, v8, v10
	v_add_f32_e32 v8, v8, v9
	;; [unrolled: 1-line block ×3, first 2 shown]
	v_cndmask_b32_e32 v94, v8, v30, vcc
.LBB87_103:                             ;   in Loop: Header=BB87_13 Depth=1
	s_or_b64 exec, exec, s[52:53]
	v_cvt_f32_f16_e32 v8, v11
	v_readlane_b32 s0, v95, 2
	s_nop 1
	v_add_f32_e32 v56, s0, v8
	v_cmp_ge_f32_e32 vcc, s6, v56
	s_and_b64 s[2:3], s[4:5], vcc
	s_and_saveexec_b64 s[52:53], s[2:3]
	s_cbranch_execz .LBB87_105
; %bb.104:                              ;   in Loop: Header=BB87_13 Depth=1
	v_mul_f32_e32 v8, 0x3fb8aa3b, v56
	v_rndne_f32_e32 v9, v8
	v_sub_f32_e32 v10, v8, v9
	v_fma_f32 v8, v56, s7, -v8
	v_fmac_f32_e32 v8, 0x32a5705f, v56
	v_add_f32_e32 v8, v10, v8
	v_cvt_i32_f32_e32 v9, v9
	v_exp_f32_e32 v8, v8
	v_cmp_ngt_f32_e32 vcc, s8, v56
	v_ldexp_f32 v8, v8, v9
	s_nop 0
	v_cndmask_b32_e32 v8, 0, v8, vcc
	v_cmp_nlt_f32_e32 vcc, s9, v56
	s_nop 1
	v_cndmask_b32_e32 v30, v41, v8, vcc
	v_add_f32_e32 v10, 1.0, v30
	v_add_f32_e32 v8, -1.0, v10
	v_sub_f32_e32 v9, v8, v10
	v_add_f32_e32 v9, 1.0, v9
	v_sub_f32_e32 v8, v30, v8
	v_add_f32_e32 v12, v8, v9
	v_frexp_mant_f32_e32 v13, v10
	v_cvt_f64_f32_e32 v[8:9], v10
	v_frexp_exp_i32_f64_e32 v8, v[8:9]
	v_cmp_gt_f32_e32 vcc, s11, v13
	v_cmp_gt_f32_e64 s[2:3], s54, v30
	s_nop 0
	v_subbrev_co_u32_e32 v24, vcc, 0, v8, vcc
	v_sub_u32_e32 v8, 0, v24
	v_ldexp_f32 v9, v10, v8
	v_add_f32_e32 v10, -1.0, v9
	v_add_f32_e32 v13, 1.0, v9
	v_ldexp_f32 v8, v12, v8
	v_add_f32_e32 v12, 1.0, v10
	v_add_f32_e32 v14, -1.0, v13
	v_sub_f32_e32 v12, v9, v12
	v_sub_f32_e32 v9, v9, v14
	v_add_f32_e32 v12, v8, v12
	v_add_f32_e32 v8, v8, v9
	;; [unrolled: 1-line block ×3, first 2 shown]
	v_rcp_f32_e32 v27, v25
	v_sub_f32_e32 v9, v13, v25
	v_add_f32_e32 v26, v8, v9
	v_add_f32_e32 v9, v10, v12
	v_sub_f32_e32 v8, v10, v9
	v_mul_f32_e32 v28, v9, v27
	v_add_f32_e32 v10, v12, v8
	v_mul_f32_e32 v12, v25, v28
	v_fma_f32 v14, v28, v25, -v12
	v_fmac_f32_e32 v14, v28, v26
	v_add_f32_e32 v8, v12, v14
	v_sub_f32_e32 v13, v9, v8
	v_pk_add_f32 v[22:23], v[8:9], v[12:13] neg_lo:[0,1] neg_hi:[0,1]
	v_mov_b32_e32 v15, v8
	v_pk_add_f32 v[8:9], v[22:23], v[14:15] neg_lo:[0,1] neg_hi:[0,1]
	v_cmp_eq_f32_e32 vcc, s10, v30
	v_add_f32_e32 v9, v10, v9
	v_add_f32_e32 v8, v8, v9
	;; [unrolled: 1-line block ×3, first 2 shown]
	v_mul_f32_e32 v10, v27, v9
	v_mul_f32_e32 v12, v25, v10
	v_fma_f32 v14, v10, v25, -v12
	v_fmac_f32_e32 v14, v10, v26
	v_sub_f32_e32 v13, v13, v9
	v_add_f32_e32 v25, v8, v13
	v_add_f32_e32 v8, v12, v14
	v_sub_f32_e32 v13, v9, v8
	v_pk_add_f32 v[22:23], v[8:9], v[12:13] neg_lo:[0,1] neg_hi:[0,1]
	v_mov_b32_e32 v15, v8
	v_pk_add_f32 v[8:9], v[22:23], v[14:15] neg_lo:[0,1] neg_hi:[0,1]
	s_or_b64 vcc, s[2:3], vcc
	v_add_f32_e32 v9, v25, v9
	v_add_f32_e32 v8, v8, v9
	v_add_f32_e32 v9, v28, v10
	v_add_f32_e32 v8, v13, v8
	v_sub_f32_e32 v12, v9, v28
	v_mul_f32_e32 v8, v27, v8
	v_sub_f32_e32 v10, v10, v12
	v_add_f32_e32 v10, v10, v8
	v_add_f32_e32 v12, v9, v10
	v_mul_f32_e32 v14, v12, v12
	v_fmamk_f32 v8, v14, 0x3e9b6dac, v40
	v_fmaak_f32 v43, v14, v8, 0x3f2aaada
	v_cvt_f32_i32_e32 v8, v24
	v_sub_f32_e32 v9, v12, v9
	v_sub_f32_e32 v9, v10, v9
	v_ldexp_f32 v10, v9, 1
	v_mul_f32_e32 v9, v12, v14
	v_pk_mul_f32 v[14:15], v[8:9], v[42:43]
	v_ldexp_f32 v13, v12, 1
	v_fma_f32 v12, v8, s33, -v14
	v_fmac_f32_e32 v12, 0xb102e308, v8
	v_pk_add_f32 v[8:9], v[14:15], v[12:13]
	v_mov_b32_e32 v22, v14
	v_sub_f32_e32 v13, v9, v13
	v_sub_f32_e32 v13, v15, v13
	v_add_f32_e32 v23, v10, v13
	v_pk_add_f32 v[14:15], v[8:9], v[14:15] neg_lo:[0,1] neg_hi:[0,1]
	v_pk_add_f32 v[24:25], v[8:9], v[22:23]
	v_mov_b32_e32 v13, v8
	v_mov_b32_e32 v15, v25
	v_pk_add_f32 v[26:27], v[12:13], v[14:15] neg_lo:[0,1] neg_hi:[0,1]
	v_pk_add_f32 v[12:13], v[12:13], v[14:15]
	s_nop 0
	v_mov_b32_e32 v10, v13
	v_pk_add_f32 v[14:15], v[10:11], v[8:9] neg_lo:[0,1] neg_hi:[0,1]
	v_mov_b32_e32 v12, v25
	v_mov_b32_e32 v15, v14
	v_pk_add_f32 v[28:29], v[24:25], v[14:15] neg_lo:[0,1] neg_hi:[0,1]
	v_mov_b32_e32 v24, v9
	v_mov_b32_e32 v25, v14
	v_mov_b32_e32 v27, v13
	v_pk_add_f32 v[12:13], v[12:13], v[24:25] neg_lo:[0,1] neg_hi:[0,1]
	v_mov_b32_e32 v14, v23
	v_mov_b32_e32 v15, v8
	v_pk_add_f32 v[8:9], v[14:15], v[12:13] neg_lo:[0,1] neg_hi:[0,1]
	v_mov_b32_e32 v28, v26
	v_pk_add_f32 v[12:13], v[28:29], v[8:9]
	s_nop 0
	v_mov_b32_e32 v14, v13
	v_pk_add_f32 v[14:15], v[12:13], v[14:15]
	s_nop 0
	v_pk_add_f32 v[22:23], v[10:11], v[14:15]
	v_mov_b32_e32 v9, v14
	v_mov_b32_e32 v13, v22
	v_pk_add_f32 v[24:25], v[12:13], v[26:27] neg_lo:[0,1] neg_hi:[0,1]
	s_nop 0
	v_sub_f32_e32 v10, v12, v24
	v_pk_add_f32 v[8:9], v[8:9], v[24:25] neg_lo:[0,1] neg_hi:[0,1]
	v_sub_f32_e32 v10, v26, v10
	v_add_f32_e32 v8, v8, v10
	v_add_f32_e32 v8, v8, v9
	;; [unrolled: 1-line block ×3, first 2 shown]
	v_cndmask_b32_e32 v56, v8, v30, vcc
.LBB87_105:                             ;   in Loop: Header=BB87_13 Depth=1
	s_or_b64 exec, exec, s[52:53]
	v_cvt_f32_f16_sdwa v8, v11 dst_sel:DWORD dst_unused:UNUSED_PAD src0_sel:WORD_1
	v_readlane_b32 s0, v95, 2
	s_nop 1
	v_add_f32_e32 v23, s0, v8
	v_cmp_ge_f32_e32 vcc, s6, v23
	s_and_b64 s[2:3], s[4:5], vcc
	s_and_saveexec_b64 s[52:53], s[2:3]
	s_cbranch_execz .LBB87_107
; %bb.106:                              ;   in Loop: Header=BB87_13 Depth=1
	v_mul_f32_e32 v8, 0x3fb8aa3b, v23
	v_rndne_f32_e32 v9, v8
	v_sub_f32_e32 v10, v8, v9
	v_fma_f32 v8, v23, s7, -v8
	v_fmac_f32_e32 v8, 0x32a5705f, v23
	v_add_f32_e32 v8, v10, v8
	v_cvt_i32_f32_e32 v9, v9
	v_exp_f32_e32 v8, v8
	v_cmp_ngt_f32_e32 vcc, s8, v23
	v_ldexp_f32 v8, v8, v9
	s_nop 0
	v_cndmask_b32_e32 v8, 0, v8, vcc
	v_cmp_nlt_f32_e32 vcc, s9, v23
	s_nop 1
	v_cndmask_b32_e32 v30, v41, v8, vcc
	v_add_f32_e32 v10, 1.0, v30
	v_add_f32_e32 v8, -1.0, v10
	v_sub_f32_e32 v9, v8, v10
	v_add_f32_e32 v9, 1.0, v9
	v_sub_f32_e32 v8, v30, v8
	v_add_f32_e32 v11, v8, v9
	v_frexp_mant_f32_e32 v12, v10
	v_cvt_f64_f32_e32 v[8:9], v10
	v_frexp_exp_i32_f64_e32 v8, v[8:9]
	v_cmp_gt_f32_e32 vcc, s11, v12
	v_cmp_gt_f32_e64 s[2:3], s54, v30
	s_nop 0
	v_subbrev_co_u32_e32 v22, vcc, 0, v8, vcc
	v_sub_u32_e32 v8, 0, v22
	v_ldexp_f32 v9, v10, v8
	v_add_f32_e32 v10, -1.0, v9
	v_add_f32_e32 v12, 1.0, v9
	v_ldexp_f32 v8, v11, v8
	v_add_f32_e32 v11, 1.0, v10
	v_add_f32_e32 v13, -1.0, v12
	v_sub_f32_e32 v11, v9, v11
	v_sub_f32_e32 v9, v9, v13
	v_add_f32_e32 v11, v8, v11
	v_add_f32_e32 v8, v8, v9
	v_add_f32_e32 v23, v12, v8
	v_rcp_f32_e32 v25, v23
	v_sub_f32_e32 v9, v12, v23
	v_add_f32_e32 v24, v8, v9
	v_add_f32_e32 v9, v10, v11
	v_mul_f32_e32 v27, v9, v25
	v_sub_f32_e32 v8, v10, v9
	v_mul_f32_e32 v10, v23, v27
	v_fma_f32 v12, v27, v23, -v10
	v_fmac_f32_e32 v12, v27, v24
	v_add_f32_e32 v26, v11, v8
	v_add_f32_e32 v8, v10, v12
	v_sub_f32_e32 v11, v9, v8
	v_pk_add_f32 v[14:15], v[8:9], v[10:11] neg_lo:[0,1] neg_hi:[0,1]
	v_mov_b32_e32 v13, v8
	v_pk_add_f32 v[8:9], v[14:15], v[12:13] neg_lo:[0,1] neg_hi:[0,1]
	v_cmp_eq_f32_e32 vcc, s10, v30
	v_add_f32_e32 v9, v26, v9
	v_add_f32_e32 v8, v8, v9
	;; [unrolled: 1-line block ×3, first 2 shown]
	v_mul_f32_e32 v26, v25, v9
	v_mul_f32_e32 v10, v23, v26
	v_fma_f32 v12, v26, v23, -v10
	v_fmac_f32_e32 v12, v26, v24
	v_sub_f32_e32 v11, v11, v9
	v_add_f32_e32 v23, v8, v11
	v_add_f32_e32 v8, v10, v12
	v_sub_f32_e32 v11, v9, v8
	v_pk_add_f32 v[14:15], v[8:9], v[10:11] neg_lo:[0,1] neg_hi:[0,1]
	v_mov_b32_e32 v13, v8
	v_pk_add_f32 v[8:9], v[14:15], v[12:13] neg_lo:[0,1] neg_hi:[0,1]
	s_or_b64 vcc, s[2:3], vcc
	v_add_f32_e32 v9, v23, v9
	v_add_f32_e32 v8, v8, v9
	;; [unrolled: 1-line block ×4, first 2 shown]
	v_sub_f32_e32 v10, v9, v27
	v_mul_f32_e32 v8, v25, v8
	v_sub_f32_e32 v10, v26, v10
	v_add_f32_e32 v10, v10, v8
	v_add_f32_e32 v12, v9, v10
	v_mul_f32_e32 v13, v12, v12
	v_fmamk_f32 v8, v13, 0x3e9b6dac, v40
	v_fmaak_f32 v43, v13, v8, 0x3f2aaada
	v_cvt_f32_i32_e32 v8, v22
	v_sub_f32_e32 v9, v12, v9
	v_sub_f32_e32 v9, v10, v9
	v_ldexp_f32 v14, v9, 1
	v_mul_f32_e32 v9, v12, v13
	v_ldexp_f32 v11, v12, 1
	v_pk_mul_f32 v[12:13], v[8:9], v[42:43]
	s_nop 0
	v_fma_f32 v10, v8, s33, -v12
	v_fmac_f32_e32 v10, 0xb102e308, v8
	v_pk_add_f32 v[8:9], v[12:13], v[10:11]
	s_nop 0
	v_sub_f32_e32 v11, v9, v11
	v_sub_f32_e32 v11, v13, v11
	v_add_f32_e32 v15, v14, v11
	v_mov_b32_e32 v14, v12
	v_pk_add_f32 v[12:13], v[8:9], v[12:13] neg_lo:[0,1] neg_hi:[0,1]
	v_pk_add_f32 v[22:23], v[8:9], v[14:15]
	v_mov_b32_e32 v11, v8
	v_mov_b32_e32 v13, v23
	v_pk_add_f32 v[24:25], v[10:11], v[12:13] neg_lo:[0,1] neg_hi:[0,1]
	v_pk_add_f32 v[10:11], v[10:11], v[12:13]
	v_mov_b32_e32 v14, v15
	v_mov_b32_e32 v12, v11
	v_pk_add_f32 v[26:27], v[12:13], v[8:9] neg_lo:[0,1] neg_hi:[0,1]
	v_mov_b32_e32 v10, v23
	v_mov_b32_e32 v13, v26
	v_pk_add_f32 v[28:29], v[22:23], v[12:13] neg_lo:[0,1] neg_hi:[0,1]
	v_mov_b32_e32 v22, v9
	v_mov_b32_e32 v23, v26
	;; [unrolled: 1-line block ×3, first 2 shown]
	v_pk_add_f32 v[10:11], v[10:11], v[22:23] neg_lo:[0,1] neg_hi:[0,1]
	v_mov_b32_e32 v15, v8
	v_pk_add_f32 v[8:9], v[14:15], v[10:11] neg_lo:[0,1] neg_hi:[0,1]
	v_mov_b32_e32 v28, v24
	v_pk_add_f32 v[10:11], v[28:29], v[8:9]
	s_nop 0
	v_mov_b32_e32 v14, v11
	v_pk_add_f32 v[14:15], v[10:11], v[14:15]
	s_nop 0
	v_pk_add_f32 v[12:13], v[12:13], v[14:15]
	v_mov_b32_e32 v9, v14
	v_mov_b32_e32 v11, v12
	v_pk_add_f32 v[22:23], v[10:11], v[24:25] neg_lo:[0,1] neg_hi:[0,1]
	s_nop 0
	v_sub_f32_e32 v10, v10, v22
	v_pk_add_f32 v[8:9], v[8:9], v[22:23] neg_lo:[0,1] neg_hi:[0,1]
	v_sub_f32_e32 v10, v24, v10
	v_add_f32_e32 v8, v8, v10
	v_add_f32_e32 v8, v8, v9
	;; [unrolled: 1-line block ×3, first 2 shown]
	v_cndmask_b32_e32 v23, v8, v30, vcc
.LBB87_107:                             ;   in Loop: Header=BB87_13 Depth=1
	s_or_b64 exec, exec, s[52:53]
	v_cvt_f32_f16_e32 v8, v7
	v_cvt_f32_f16_sdwa v9, v6 dst_sel:DWORD dst_unused:UNUSED_PAD src0_sel:WORD_1
	v_cvt_f32_f16_e32 v6, v6
	v_cvt_f32_f16_sdwa v11, v7 dst_sel:DWORD dst_unused:UNUSED_PAD src0_sel:WORD_1
	v_cvt_f32_f16_sdwa v7, v5 dst_sel:DWORD dst_unused:UNUSED_PAD src0_sel:WORD_1
	v_cvt_f32_f16_e32 v5, v5
	v_cvt_f32_f16_sdwa v10, v4 dst_sel:DWORD dst_unused:UNUSED_PAD src0_sel:WORD_1
	v_cvt_f32_f16_e32 v4, v4
	;; [unrolled: 2-line block ×6, first 2 shown]
	v_readlane_b32 s0, v95, 3
	s_waitcnt lgkmcnt(0)
	; wave barrier
	s_nop 0
	v_mul_f32_e32 v24, s0, v8
	v_mul_f32_e32 v27, s0, v9
	;; [unrolled: 1-line block ×16, first 2 shown]
	v_readlane_b32 s0, v95, 29
	v_readlane_b32 s1, v95, 30
	s_and_b64 vcc, exec, s[0:1]
	s_cbranch_vccz .LBB87_200
; %bb.108:                              ;   in Loop: Header=BB87_13 Depth=1
	v_mul_f32_e32 v78, v70, v0
	scratch_load_dword v0, off, off offset:248 ; 4-byte Folded Reload
	v_readlane_b32 s0, v95, 7
	v_readlane_b32 s1, v95, 8
	scratch_store_dwordx2 off, v[42:43], off offset:164 ; 8-byte Folded Spill
	v_mul_f32_e32 v8, v56, v8
	v_lshl_add_u64 v[40:41], s[0:1], 0, v[16:17]
	v_readlane_b32 s0, v95, 21
	v_readlane_b32 s1, v95, 22
	v_mul_f32_e32 v6, v93, v6
	v_mul_f32_e32 v5, v91, v5
	v_lshl_add_u64 v[42:43], s[0:1], 0, v[16:17]
	v_readlane_b32 s1, v95, 51
	s_cmp_lg_u32 s1, 0
	v_readlane_b32 s0, v95, 44
	s_cselect_b64 s[2:3], -1, 0
	s_cmp_eq_u32 s1, s0
	v_readlane_b32 s0, v95, 33
	v_readlane_b32 s1, v95, 34
	s_cselect_b64 s[94:95], -1, 0
	s_mov_b32 s88, 0
	v_mul_f32_e32 v11, v23, v11
	scratch_store_dword off, v8, off offset:72 ; 4-byte Folded Spill
	v_mul_f32_e32 v8, v94, v9
	scratch_store_dword off, v6, off offset:80 ; 4-byte Folded Spill
	;; [unrolled: 2-line block ×3, first 2 shown]
	v_mul_f32_e32 v5, v90, v10
	v_mul_f32_e32 v63, v89, v4
	;; [unrolled: 1-line block ×9, first 2 shown]
	s_mov_b32 s86, s88
	s_mov_b32 s98, s88
	;; [unrolled: 1-line block ×3, first 2 shown]
	v_readlane_b32 s90, v95, 47
	scratch_store_dword off, v11, off offset:68 ; 4-byte Folded Spill
	scratch_store_dword off, v8, off offset:76 ; 4-byte Folded Spill
	;; [unrolled: 1-line block ×4, first 2 shown]
	s_waitcnt vmcnt(8)
	v_cmp_gt_u32_e32 vcc, s82, v0
	scratch_load_dword v0, off, off offset:252 ; 4-byte Folded Reload
	s_or_b64 s[52:53], s[0:1], vcc
	s_waitcnt vmcnt(0)
	v_cmp_gt_u32_e32 vcc, s82, v0
	scratch_load_dword v0, off, off offset:256 ; 4-byte Folded Reload
	s_or_b64 s[54:55], s[0:1], vcc
	;; [unrolled: 4-line block ×15, first 2 shown]
	s_waitcnt vmcnt(0)
	v_cmp_gt_u32_e32 vcc, s82, v0
	s_or_b64 s[82:83], s[0:1], vcc
	v_readlane_b32 s0, v95, 31
	v_readlane_b32 s1, v95, 32
	s_mov_b32 s33, s1
	s_branch .LBB87_110
.LBB87_109:                             ;   in Loop: Header=BB87_110 Depth=2
	s_or_b64 exec, exec, s[92:93]
	v_mul_f32_e32 v44, v79, v60
	v_fma_f32 v45, v79, v61, v8
	v_cndmask_b32_e64 v8, v45, v8, s[16:17]
	v_cndmask_b32_e64 v44, v44, v79, s[16:17]
	s_waitcnt lgkmcnt(0)
	v_fmac_f32_e32 v8, v54, v44
	v_fmac_f32_e32 v9, v8, v80
	;; [unrolled: 1-line block ×13, first 2 shown]
	v_readlane_b32 s4, v95, 23
	v_fmac_f32_e32 v15, v14, v16
	v_readlane_b32 s5, v95, 24
	v_readlane_b32 s6, v95, 25
	;; [unrolled: 1-line block ×3, first 2 shown]
	v_fmac_f32_e32 v52, v15, v58
	s_add_i32 s96, s96, s6
	v_readlane_b32 s4, v95, 17
	v_fmac_f32_e32 v53, v52, v59
	v_cvt_f32_f16_sdwa v45, v4 dst_sel:DWORD dst_unused:UNUSED_PAD src0_sel:WORD_1
	v_cvt_f32_f16_sdwa v55, v5 dst_sel:DWORD dst_unused:UNUSED_PAD src0_sel:WORD_1
	v_cvt_f32_f16_e32 v44, v4
	v_cvt_f32_f16_e32 v54, v5
	v_cvt_f32_f16_sdwa v5, v6 dst_sel:DWORD dst_unused:UNUSED_PAD src0_sel:WORD_1
	v_cvt_f32_f16_sdwa v59, v7 dst_sel:DWORD dst_unused:UNUSED_PAD src0_sel:WORD_1
	v_cvt_f32_f16_e32 v4, v6
	v_cvt_f32_f16_e32 v58, v7
	;; [unrolled: 4-line block ×4, first 2 shown]
	v_readlane_b32 s5, v95, 18
	v_readlane_b32 s6, v95, 19
	;; [unrolled: 1-line block ×3, first 2 shown]
	s_add_i32 s98, s98, s4
	v_readlane_b32 s4, v95, 9
	v_readlane_b32 s5, v95, 10
	;; [unrolled: 1-line block ×3, first 2 shown]
	s_add_i32 s90, s90, 8
	s_add_i32 s33, s33, -1
	s_add_i32 s86, s86, s8
	s_add_i32 s88, s88, s5
	v_pk_fma_f32 v[36:37], v[10:11], v[54:55], v[36:37]
	v_pk_fma_f32 v[38:39], v[8:9], v[44:45], v[38:39]
	;; [unrolled: 1-line block ×7, first 2 shown]
	s_cmp_eq_u32 s33, 0
	v_pk_fma_f32 v[26:27], v[14:15], v[0:1], v[26:27]
	v_readlane_b32 s6, v95, 11
	v_readlane_b32 s7, v95, 12
	;; [unrolled: 1-line block ×5, first 2 shown]
	s_cbranch_scc1 .LBB87_199
.LBB87_110:                             ;   Parent Loop BB87_13 Depth=1
                                        ; =>  This Inner Loop Header: Depth=2
	s_lshl_b64 s[92:93], s[88:89], 2
	s_add_u32 s92, s97, s92
	v_readlane_b32 s0, v95, 6
	s_addc_u32 s93, s0, s93
	global_load_dword v46, v17, s[92:93]
	s_mov_b32 s87, s89
	v_lshl_add_u64 v[0:1], s[86:87], 1, v[40:41]
	v_mov_b32_e32 v2, 0
	v_mov_b32_e32 v3, 0
	s_and_saveexec_b64 s[92:93], s[18:19]
	s_cbranch_execnz .LBB87_146
; %bb.111:                              ;   in Loop: Header=BB87_110 Depth=2
	s_or_b64 exec, exec, s[92:93]
	s_and_saveexec_b64 s[92:93], s[20:21]
	s_cbranch_execnz .LBB87_147
.LBB87_112:                             ;   in Loop: Header=BB87_110 Depth=2
	s_or_b64 exec, exec, s[92:93]
	v_mov_b32_e32 v4, 0
	s_and_saveexec_b64 s[92:93], s[22:23]
	s_cbranch_execnz .LBB87_148
.LBB87_113:                             ;   in Loop: Header=BB87_110 Depth=2
	s_or_b64 exec, exec, s[92:93]
	s_and_saveexec_b64 s[92:93], s[24:25]
	s_cbranch_execnz .LBB87_149
.LBB87_114:                             ;   in Loop: Header=BB87_110 Depth=2
	s_or_b64 exec, exec, s[92:93]
	v_mov_b32_e32 v5, 0
	s_and_saveexec_b64 s[92:93], s[26:27]
	s_cbranch_execnz .LBB87_150
.LBB87_115:                             ;   in Loop: Header=BB87_110 Depth=2
	s_or_b64 exec, exec, s[92:93]
	s_and_saveexec_b64 s[92:93], s[28:29]
	s_cbranch_execnz .LBB87_151
.LBB87_116:                             ;   in Loop: Header=BB87_110 Depth=2
	s_or_b64 exec, exec, s[92:93]
	v_mov_b32_e32 v6, 0
	s_and_saveexec_b64 s[92:93], s[30:31]
	s_cbranch_execnz .LBB87_152
.LBB87_117:                             ;   in Loop: Header=BB87_110 Depth=2
	s_or_b64 exec, exec, s[92:93]
	s_and_saveexec_b64 s[92:93], s[34:35]
	s_cbranch_execnz .LBB87_153
.LBB87_118:                             ;   in Loop: Header=BB87_110 Depth=2
	s_or_b64 exec, exec, s[92:93]
	v_mov_b32_e32 v7, 0
	s_and_saveexec_b64 s[92:93], s[36:37]
	s_cbranch_execnz .LBB87_154
.LBB87_119:                             ;   in Loop: Header=BB87_110 Depth=2
	s_or_b64 exec, exec, s[92:93]
	s_and_saveexec_b64 s[92:93], s[38:39]
	s_cbranch_execnz .LBB87_155
.LBB87_120:                             ;   in Loop: Header=BB87_110 Depth=2
	s_or_b64 exec, exec, s[92:93]
	v_mov_b32_e32 v8, 0
	s_and_saveexec_b64 s[92:93], s[40:41]
	s_cbranch_execnz .LBB87_156
.LBB87_121:                             ;   in Loop: Header=BB87_110 Depth=2
	s_or_b64 exec, exec, s[92:93]
	s_and_saveexec_b64 s[92:93], s[42:43]
	s_cbranch_execnz .LBB87_157
.LBB87_122:                             ;   in Loop: Header=BB87_110 Depth=2
	s_or_b64 exec, exec, s[92:93]
	v_mov_b32_e32 v9, 0
	s_and_saveexec_b64 s[92:93], s[44:45]
	s_cbranch_execnz .LBB87_158
.LBB87_123:                             ;   in Loop: Header=BB87_110 Depth=2
	s_or_b64 exec, exec, s[92:93]
	s_and_saveexec_b64 s[92:93], s[46:47]
	s_cbranch_execnz .LBB87_159
.LBB87_124:                             ;   in Loop: Header=BB87_110 Depth=2
	s_or_b64 exec, exec, s[92:93]
	v_mov_b32_e32 v10, 0
	s_and_saveexec_b64 s[92:93], s[48:49]
	s_cbranch_execnz .LBB87_160
.LBB87_125:                             ;   in Loop: Header=BB87_110 Depth=2
	s_or_b64 exec, exec, s[92:93]
	s_and_saveexec_b64 s[92:93], s[50:51]
	s_cbranch_execz .LBB87_127
.LBB87_126:                             ;   in Loop: Header=BB87_110 Depth=2
	global_load_ushort v0, v[0:1], off offset:1920
	s_waitcnt vmcnt(0)
	v_lshl_or_b32 v10, v0, 16, v10
.LBB87_127:                             ;   in Loop: Header=BB87_110 Depth=2
	s_or_b64 exec, exec, s[92:93]
	scratch_load_dword v0, off, off offset:4 ; 4-byte Folded Reload
	s_mov_b32 s99, s89
	s_waitcnt vmcnt(0)
	ds_write_b16 v0, v3
	scratch_load_dword v0, off, off offset:8 ; 4-byte Folded Reload
	v_mov_b32_e32 v3, 0
	s_waitcnt vmcnt(0)
	ds_write_b16 v0, v2 offset:128
	scratch_load_dword v0, off, off offset:12 ; 4-byte Folded Reload
	v_mov_b32_e32 v2, 0
	s_waitcnt vmcnt(0)
	ds_write_b16 v0, v4 offset:256
	scratch_load_dword v0, off, off offset:16 ; 4-byte Folded Reload
	s_waitcnt vmcnt(0)
	ds_write_b16_d16_hi v0, v4 offset:384
	scratch_load_dword v0, off, off offset:20 ; 4-byte Folded Reload
	s_waitcnt vmcnt(0)
	ds_write_b16 v0, v5 offset:512
	scratch_load_dword v0, off, off offset:24 ; 4-byte Folded Reload
	s_waitcnt vmcnt(0)
	ds_write_b16_d16_hi v0, v5 offset:640
	scratch_load_dword v0, off, off offset:28 ; 4-byte Folded Reload
	;; [unrolled: 6-line block ×6, first 2 shown]
	s_waitcnt vmcnt(0)
	ds_write_b16 v0, v10 offset:1792
	scratch_load_dword v0, off, off offset:64 ; 4-byte Folded Reload
	s_waitcnt vmcnt(0)
	ds_write_b16_d16_hi v0, v10 offset:1920
	; wave barrier
	scratch_load_dword v0, off, off         ; 4-byte Folded Reload
	s_waitcnt vmcnt(0)
	ds_read_b128 v[12:15], v0
	ds_read_b128 v[8:11], v0 offset:16
	v_lshl_add_u64 v[0:1], s[98:99], 1, v[42:43]
	s_and_saveexec_b64 s[92:93], s[18:19]
	s_cbranch_execnz .LBB87_161
; %bb.128:                              ;   in Loop: Header=BB87_110 Depth=2
	s_or_b64 exec, exec, s[92:93]
	s_and_saveexec_b64 s[92:93], s[20:21]
	s_cbranch_execnz .LBB87_162
.LBB87_129:                             ;   in Loop: Header=BB87_110 Depth=2
	s_or_b64 exec, exec, s[92:93]
	v_mov_b32_e32 v4, 0
	s_and_saveexec_b64 s[92:93], s[22:23]
	s_cbranch_execnz .LBB87_163
.LBB87_130:                             ;   in Loop: Header=BB87_110 Depth=2
	s_or_b64 exec, exec, s[92:93]
	s_and_saveexec_b64 s[92:93], s[24:25]
	s_cbranch_execnz .LBB87_164
.LBB87_131:                             ;   in Loop: Header=BB87_110 Depth=2
	s_or_b64 exec, exec, s[92:93]
	v_mov_b32_e32 v5, 0
	s_and_saveexec_b64 s[92:93], s[26:27]
	s_cbranch_execnz .LBB87_165
.LBB87_132:                             ;   in Loop: Header=BB87_110 Depth=2
	s_or_b64 exec, exec, s[92:93]
	s_and_saveexec_b64 s[92:93], s[28:29]
	s_cbranch_execnz .LBB87_166
.LBB87_133:                             ;   in Loop: Header=BB87_110 Depth=2
	s_or_b64 exec, exec, s[92:93]
	v_mov_b32_e32 v6, 0
	s_and_saveexec_b64 s[92:93], s[30:31]
	s_cbranch_execnz .LBB87_167
.LBB87_134:                             ;   in Loop: Header=BB87_110 Depth=2
	s_or_b64 exec, exec, s[92:93]
	s_and_saveexec_b64 s[92:93], s[34:35]
	s_cbranch_execnz .LBB87_168
.LBB87_135:                             ;   in Loop: Header=BB87_110 Depth=2
	s_or_b64 exec, exec, s[92:93]
	v_mov_b32_e32 v7, 0
	s_and_saveexec_b64 s[92:93], s[36:37]
	s_cbranch_execnz .LBB87_169
.LBB87_136:                             ;   in Loop: Header=BB87_110 Depth=2
	s_or_b64 exec, exec, s[92:93]
	s_and_saveexec_b64 s[92:93], s[38:39]
	s_cbranch_execnz .LBB87_170
.LBB87_137:                             ;   in Loop: Header=BB87_110 Depth=2
	s_or_b64 exec, exec, s[92:93]
	v_mov_b32_e32 v16, 0
	s_and_saveexec_b64 s[92:93], s[40:41]
	s_cbranch_execnz .LBB87_171
.LBB87_138:                             ;   in Loop: Header=BB87_110 Depth=2
	s_or_b64 exec, exec, s[92:93]
	s_and_saveexec_b64 s[92:93], s[42:43]
	s_cbranch_execnz .LBB87_172
.LBB87_139:                             ;   in Loop: Header=BB87_110 Depth=2
	s_or_b64 exec, exec, s[92:93]
	v_mov_b32_e32 v22, 0
	s_and_saveexec_b64 s[92:93], s[44:45]
	s_cbranch_execnz .LBB87_173
.LBB87_140:                             ;   in Loop: Header=BB87_110 Depth=2
	s_or_b64 exec, exec, s[92:93]
	s_and_saveexec_b64 s[92:93], s[46:47]
	s_cbranch_execnz .LBB87_174
.LBB87_141:                             ;   in Loop: Header=BB87_110 Depth=2
	s_or_b64 exec, exec, s[92:93]
	v_mov_b32_e32 v44, 0
	s_and_saveexec_b64 s[92:93], s[48:49]
	s_cbranch_execnz .LBB87_175
.LBB87_142:                             ;   in Loop: Header=BB87_110 Depth=2
	s_or_b64 exec, exec, s[92:93]
	s_and_saveexec_b64 s[92:93], s[50:51]
	s_cbranch_execz .LBB87_144
.LBB87_143:                             ;   in Loop: Header=BB87_110 Depth=2
	global_load_ushort v0, v[0:1], off offset:1920
	s_waitcnt vmcnt(0)
	v_lshl_or_b32 v44, v0, 16, v44
.LBB87_144:                             ;   in Loop: Header=BB87_110 Depth=2
	s_or_b64 exec, exec, s[92:93]
	scratch_load_dword v0, off, off offset:4 ; 4-byte Folded Reload
	s_andn2_b64 vcc, exec, s[2:3]
	s_waitcnt vmcnt(0)
	ds_write_b16 v0, v3 offset:2112
	scratch_load_dword v0, off, off offset:96 ; 4-byte Folded Reload
	s_waitcnt vmcnt(0)
	ds_write_b16 v0, v2 offset:128
	scratch_load_dword v0, off, off offset:100 ; 4-byte Folded Reload
	;; [unrolled: 3-line block ×3, first 2 shown]
	s_waitcnt vmcnt(0)
	ds_write_b16_d16_hi v0, v4 offset:384
	scratch_load_dword v0, off, off offset:108 ; 4-byte Folded Reload
	s_waitcnt vmcnt(0)
	ds_write_b16 v0, v5 offset:512
	scratch_load_dword v0, off, off offset:112 ; 4-byte Folded Reload
	s_waitcnt vmcnt(0)
	ds_write_b16_d16_hi v0, v5 offset:640
	scratch_load_dword v0, off, off offset:116 ; 4-byte Folded Reload
	s_waitcnt vmcnt(0)
	ds_write_b16 v0, v6 offset:768
	scratch_load_dword v0, off, off offset:120 ; 4-byte Folded Reload
	;; [unrolled: 6-line block ×6, first 2 shown]
	s_waitcnt vmcnt(0)
	ds_write_b16_d16_hi v0, v44 offset:1920
	; wave barrier
	scratch_load_dword v0, off, off         ; 4-byte Folded Reload
	s_waitcnt vmcnt(0)
	ds_read_b128 v[4:7], v0 offset:2112
	scratch_load_dword v0, off, off offset:156 ; 4-byte Folded Reload
	s_waitcnt vmcnt(0)
	ds_read_b128 v[0:3], v0 offset:16
	s_cbranch_vccnz .LBB87_176
; %bb.145:                              ;   in Loop: Header=BB87_110 Depth=2
	v_mov_b32_e32 v16, s90
	ds_read_b64 v[44:45], v16
	s_cbranch_execz .LBB87_177
	s_branch .LBB87_180
.LBB87_146:                             ;   in Loop: Header=BB87_110 Depth=2
	global_load_ushort v3, v[0:1], off
	s_or_b64 exec, exec, s[92:93]
	s_and_saveexec_b64 s[92:93], s[20:21]
	s_cbranch_execz .LBB87_112
.LBB87_147:                             ;   in Loop: Header=BB87_110 Depth=2
	global_load_ushort v2, v[0:1], off offset:128
	s_or_b64 exec, exec, s[92:93]
	v_mov_b32_e32 v4, 0
	s_and_saveexec_b64 s[92:93], s[22:23]
	s_cbranch_execz .LBB87_113
.LBB87_148:                             ;   in Loop: Header=BB87_110 Depth=2
	global_load_ushort v4, v[0:1], off offset:256
	s_or_b64 exec, exec, s[92:93]
	s_and_saveexec_b64 s[92:93], s[24:25]
	s_cbranch_execz .LBB87_114
.LBB87_149:                             ;   in Loop: Header=BB87_110 Depth=2
	global_load_ushort v5, v[0:1], off offset:384
	s_waitcnt vmcnt(0)
	v_lshl_or_b32 v4, v5, 16, v4
	s_or_b64 exec, exec, s[92:93]
	v_mov_b32_e32 v5, 0
	s_and_saveexec_b64 s[92:93], s[26:27]
	s_cbranch_execz .LBB87_115
.LBB87_150:                             ;   in Loop: Header=BB87_110 Depth=2
	global_load_ushort v5, v[0:1], off offset:512
	s_or_b64 exec, exec, s[92:93]
	s_and_saveexec_b64 s[92:93], s[28:29]
	s_cbranch_execz .LBB87_116
.LBB87_151:                             ;   in Loop: Header=BB87_110 Depth=2
	global_load_ushort v6, v[0:1], off offset:640
	s_waitcnt vmcnt(0)
	v_lshl_or_b32 v5, v6, 16, v5
	s_or_b64 exec, exec, s[92:93]
	v_mov_b32_e32 v6, 0
	s_and_saveexec_b64 s[92:93], s[30:31]
	s_cbranch_execz .LBB87_117
.LBB87_152:                             ;   in Loop: Header=BB87_110 Depth=2
	global_load_ushort v6, v[0:1], off offset:768
	s_or_b64 exec, exec, s[92:93]
	s_and_saveexec_b64 s[92:93], s[34:35]
	s_cbranch_execz .LBB87_118
.LBB87_153:                             ;   in Loop: Header=BB87_110 Depth=2
	global_load_ushort v7, v[0:1], off offset:896
	s_waitcnt vmcnt(0)
	v_lshl_or_b32 v6, v7, 16, v6
	s_or_b64 exec, exec, s[92:93]
	v_mov_b32_e32 v7, 0
	s_and_saveexec_b64 s[92:93], s[36:37]
	s_cbranch_execz .LBB87_119
.LBB87_154:                             ;   in Loop: Header=BB87_110 Depth=2
	global_load_ushort v7, v[0:1], off offset:1024
	s_or_b64 exec, exec, s[92:93]
	s_and_saveexec_b64 s[92:93], s[38:39]
	s_cbranch_execz .LBB87_120
.LBB87_155:                             ;   in Loop: Header=BB87_110 Depth=2
	global_load_ushort v8, v[0:1], off offset:1152
	s_waitcnt vmcnt(0)
	v_lshl_or_b32 v7, v8, 16, v7
	s_or_b64 exec, exec, s[92:93]
	v_mov_b32_e32 v8, 0
	s_and_saveexec_b64 s[92:93], s[40:41]
	s_cbranch_execz .LBB87_121
.LBB87_156:                             ;   in Loop: Header=BB87_110 Depth=2
	global_load_ushort v8, v[0:1], off offset:1280
	s_or_b64 exec, exec, s[92:93]
	s_and_saveexec_b64 s[92:93], s[42:43]
	s_cbranch_execz .LBB87_122
.LBB87_157:                             ;   in Loop: Header=BB87_110 Depth=2
	global_load_ushort v9, v[0:1], off offset:1408
	s_waitcnt vmcnt(0)
	v_lshl_or_b32 v8, v9, 16, v8
	s_or_b64 exec, exec, s[92:93]
	v_mov_b32_e32 v9, 0
	s_and_saveexec_b64 s[92:93], s[44:45]
	s_cbranch_execz .LBB87_123
.LBB87_158:                             ;   in Loop: Header=BB87_110 Depth=2
	global_load_ushort v9, v[0:1], off offset:1536
	s_or_b64 exec, exec, s[92:93]
	s_and_saveexec_b64 s[92:93], s[46:47]
	s_cbranch_execz .LBB87_124
.LBB87_159:                             ;   in Loop: Header=BB87_110 Depth=2
	global_load_ushort v10, v[0:1], off offset:1664
	s_waitcnt vmcnt(0)
	v_lshl_or_b32 v9, v10, 16, v9
	s_or_b64 exec, exec, s[92:93]
	v_mov_b32_e32 v10, 0
	s_and_saveexec_b64 s[92:93], s[48:49]
	s_cbranch_execz .LBB87_125
.LBB87_160:                             ;   in Loop: Header=BB87_110 Depth=2
	global_load_ushort v10, v[0:1], off offset:1792
	s_or_b64 exec, exec, s[92:93]
	s_and_saveexec_b64 s[92:93], s[50:51]
	s_cbranch_execnz .LBB87_126
	s_branch .LBB87_127
.LBB87_161:                             ;   in Loop: Header=BB87_110 Depth=2
	global_load_ushort v3, v[0:1], off
	s_or_b64 exec, exec, s[92:93]
	s_and_saveexec_b64 s[92:93], s[20:21]
	s_cbranch_execz .LBB87_129
.LBB87_162:                             ;   in Loop: Header=BB87_110 Depth=2
	global_load_ushort v2, v[0:1], off offset:128
	s_or_b64 exec, exec, s[92:93]
	v_mov_b32_e32 v4, 0
	s_and_saveexec_b64 s[92:93], s[22:23]
	s_cbranch_execz .LBB87_130
.LBB87_163:                             ;   in Loop: Header=BB87_110 Depth=2
	global_load_ushort v4, v[0:1], off offset:256
	s_or_b64 exec, exec, s[92:93]
	s_and_saveexec_b64 s[92:93], s[24:25]
	s_cbranch_execz .LBB87_131
.LBB87_164:                             ;   in Loop: Header=BB87_110 Depth=2
	global_load_ushort v5, v[0:1], off offset:384
	s_waitcnt vmcnt(0)
	v_lshl_or_b32 v4, v5, 16, v4
	s_or_b64 exec, exec, s[92:93]
	v_mov_b32_e32 v5, 0
	s_and_saveexec_b64 s[92:93], s[26:27]
	s_cbranch_execz .LBB87_132
.LBB87_165:                             ;   in Loop: Header=BB87_110 Depth=2
	global_load_ushort v5, v[0:1], off offset:512
	s_or_b64 exec, exec, s[92:93]
	s_and_saveexec_b64 s[92:93], s[28:29]
	s_cbranch_execz .LBB87_133
.LBB87_166:                             ;   in Loop: Header=BB87_110 Depth=2
	global_load_ushort v6, v[0:1], off offset:640
	s_waitcnt vmcnt(0)
	v_lshl_or_b32 v5, v6, 16, v5
	s_or_b64 exec, exec, s[92:93]
	v_mov_b32_e32 v6, 0
	s_and_saveexec_b64 s[92:93], s[30:31]
	s_cbranch_execz .LBB87_134
.LBB87_167:                             ;   in Loop: Header=BB87_110 Depth=2
	global_load_ushort v6, v[0:1], off offset:768
	s_or_b64 exec, exec, s[92:93]
	s_and_saveexec_b64 s[92:93], s[34:35]
	s_cbranch_execz .LBB87_135
.LBB87_168:                             ;   in Loop: Header=BB87_110 Depth=2
	global_load_ushort v7, v[0:1], off offset:896
	s_waitcnt vmcnt(0)
	v_lshl_or_b32 v6, v7, 16, v6
	s_or_b64 exec, exec, s[92:93]
	v_mov_b32_e32 v7, 0
	s_and_saveexec_b64 s[92:93], s[36:37]
	s_cbranch_execz .LBB87_136
.LBB87_169:                             ;   in Loop: Header=BB87_110 Depth=2
	global_load_ushort v7, v[0:1], off offset:1024
	s_or_b64 exec, exec, s[92:93]
	s_and_saveexec_b64 s[92:93], s[38:39]
	s_cbranch_execz .LBB87_137
.LBB87_170:                             ;   in Loop: Header=BB87_110 Depth=2
	global_load_ushort v16, v[0:1], off offset:1152
	s_waitcnt vmcnt(0)
	v_lshl_or_b32 v7, v16, 16, v7
	s_or_b64 exec, exec, s[92:93]
	v_mov_b32_e32 v16, 0
	s_and_saveexec_b64 s[92:93], s[40:41]
	s_cbranch_execz .LBB87_138
.LBB87_171:                             ;   in Loop: Header=BB87_110 Depth=2
	global_load_ushort v16, v[0:1], off offset:1280
	s_or_b64 exec, exec, s[92:93]
	s_and_saveexec_b64 s[92:93], s[42:43]
	s_cbranch_execz .LBB87_139
.LBB87_172:                             ;   in Loop: Header=BB87_110 Depth=2
	global_load_ushort v22, v[0:1], off offset:1408
	s_waitcnt vmcnt(0)
	v_lshl_or_b32 v16, v22, 16, v16
	s_or_b64 exec, exec, s[92:93]
	v_mov_b32_e32 v22, 0
	s_and_saveexec_b64 s[92:93], s[44:45]
	s_cbranch_execz .LBB87_140
.LBB87_173:                             ;   in Loop: Header=BB87_110 Depth=2
	global_load_ushort v22, v[0:1], off offset:1536
	s_or_b64 exec, exec, s[92:93]
	s_and_saveexec_b64 s[92:93], s[46:47]
	s_cbranch_execz .LBB87_141
.LBB87_174:                             ;   in Loop: Header=BB87_110 Depth=2
	global_load_ushort v44, v[0:1], off offset:1664
	s_waitcnt vmcnt(0)
	v_lshl_or_b32 v22, v44, 16, v22
	s_or_b64 exec, exec, s[92:93]
	v_mov_b32_e32 v44, 0
	s_and_saveexec_b64 s[92:93], s[48:49]
	s_cbranch_execz .LBB87_142
.LBB87_175:                             ;   in Loop: Header=BB87_110 Depth=2
	global_load_ushort v44, v[0:1], off offset:1792
	s_or_b64 exec, exec, s[92:93]
	s_and_saveexec_b64 s[92:93], s[50:51]
	s_cbranch_execnz .LBB87_143
	s_branch .LBB87_144
.LBB87_176:                             ;   in Loop: Header=BB87_110 Depth=2
                                        ; implicit-def: $vgpr45
.LBB87_177:                             ;   in Loop: Header=BB87_110 Depth=2
	v_readlane_b32 s0, v95, 0
	v_readlane_b32 s1, v95, 1
	s_andn2_b64 vcc, exec, s[0:1]
	s_waitcnt lgkmcnt(0)
	v_mov_b32_e32 v45, 0
	s_cbranch_vccnz .LBB87_179
; %bb.178:                              ;   in Loop: Header=BB87_110 Depth=2
	s_mov_b32 s97, s89
	s_lshl_b64 s[92:93], s[96:97], 1
	v_readlane_b32 s0, v95, 27
	s_add_u32 s92, s0, s92
	v_readlane_b32 s0, v95, 28
	s_addc_u32 s93, s0, s93
	global_load_ushort v16, v17, s[92:93]
	v_readlane_b32 s97, v95, 48
	s_waitcnt vmcnt(0)
	v_cvt_f32_f16_e32 v45, v16
.LBB87_179:                             ;   in Loop: Header=BB87_110 Depth=2
	v_mov_b32_e32 v44, 1.0
.LBB87_180:                             ;   in Loop: Header=BB87_110 Depth=2
	v_mul_f32_e32 v52, 0x3fb8aa3b, v46
	s_waitcnt lgkmcnt(14)
	v_cvt_f32_f16_e32 v49, v8
	v_cvt_f32_f16_sdwa v50, v8 dst_sel:DWORD dst_unused:UNUSED_PAD src0_sel:WORD_1
	v_mul_f32_e32 v8, v52, v70
	v_cmp_gt_f32_e32 vcc, s91, v8
	v_cvt_f32_f16_e32 v55, v10
	v_cvt_f32_f16_sdwa v58, v10 dst_sel:DWORD dst_unused:UNUSED_PAD src0_sel:WORD_1
	v_cndmask_b32_e32 v8, 0, v68, vcc
	v_mul_f32_e32 v10, v52, v19
	v_cvt_f32_f16_e32 v51, v9
	v_cvt_f32_f16_sdwa v54, v9 dst_sel:DWORD dst_unused:UNUSED_PAD src0_sel:WORD_1
	v_fmac_f32_e32 v8, v52, v70
	v_cndmask_b32_e32 v9, 1.0, v69, vcc
	v_cmp_gt_f32_e32 vcc, s91, v10
	v_exp_f32_e32 v8, v8
	v_cvt_f32_f16_e32 v16, v12
	v_cndmask_b32_e32 v10, 0, v68, vcc
	v_fmac_f32_e32 v10, v52, v19
	v_cvt_f32_f16_sdwa v12, v12 dst_sel:DWORD dst_unused:UNUSED_PAD src0_sel:WORD_1
	v_exp_f32_e32 v10, v10
	v_cvt_f32_f16_e32 v59, v11
	v_cvt_f32_f16_sdwa v53, v11 dst_sel:DWORD dst_unused:UNUSED_PAD src0_sel:WORD_1
	v_mul_f32_e32 v9, v8, v9
	v_mul_f32_e32 v11, v52, v20
	v_cndmask_b32_e64 v79, 1.0, v9, s[52:53]
	v_cndmask_b32_e32 v9, 1.0, v69, vcc
	v_cmp_gt_f32_e32 vcc, s91, v11
	v_mul_f32_e32 v10, v10, v9
	v_mul_f32_e32 v9, v77, v12
	v_cndmask_b32_e32 v11, 0, v68, vcc
	v_mul_f32_e32 v12, v52, v21
	v_fmac_f32_e32 v11, v52, v20
	v_cndmask_b32_e64 v80, 1.0, v10, s[54:55]
	v_cndmask_b32_e32 v10, 1.0, v69, vcc
	v_cmp_gt_f32_e32 vcc, s91, v12
	v_exp_f32_e32 v11, v11
	v_cvt_f32_f16_e32 v22, v13
	v_cndmask_b32_e32 v12, 0, v68, vcc
	v_fmac_f32_e32 v12, v52, v21
	v_cvt_f32_f16_sdwa v13, v13 dst_sel:DWORD dst_unused:UNUSED_PAD src0_sel:WORD_1
	v_exp_f32_e32 v12, v12
	v_mul_f32_e32 v11, v11, v10
	v_cndmask_b32_e64 v81, 1.0, v11, s[56:57]
	v_cndmask_b32_e32 v11, 1.0, v69, vcc
	v_mul_f32_e32 v12, v12, v11
	v_mul_f32_e32 v11, v75, v13
	;; [unrolled: 1-line block ×3, first 2 shown]
	v_cmp_gt_f32_e32 vcc, s91, v13
	v_mul_f32_e32 v8, v78, v16
	v_mul_f32_e32 v16, v52, v66
	v_cndmask_b32_e32 v13, 0, v68, vcc
	v_fmac_f32_e32 v13, v52, v18
	v_cndmask_b32_e64 v82, 1.0, v12, s[58:59]
	v_cndmask_b32_e32 v12, 1.0, v69, vcc
	v_cmp_gt_f32_e32 vcc, s91, v16
	v_exp_f32_e32 v13, v13
	v_cvt_f32_f16_e32 v47, v14
	v_cndmask_b32_e32 v16, 0, v68, vcc
	v_fmac_f32_e32 v16, v52, v66
	v_cvt_f32_f16_sdwa v14, v14 dst_sel:DWORD dst_unused:UNUSED_PAD src0_sel:WORD_1
	v_exp_f32_e32 v16, v16
	v_mul_f32_e32 v13, v13, v12
	v_cndmask_b32_e64 v83, 1.0, v13, s[60:61]
	v_cndmask_b32_e32 v13, 1.0, v69, vcc
	v_mul_f32_e32 v16, v16, v13
	v_mul_f32_e32 v13, v73, v14
	;; [unrolled: 1-line block ×3, first 2 shown]
	v_cmp_gt_f32_e32 vcc, s91, v14
	v_cvt_f32_f16_e32 v48, v15
	v_cvt_f32_f16_sdwa v15, v15 dst_sel:DWORD dst_unused:UNUSED_PAD src0_sel:WORD_1
	v_cndmask_b32_e32 v14, 0, v68, vcc
	v_fmac_f32_e32 v14, v52, v67
	v_exp_f32_e32 v14, v14
	v_mul_f32_e32 v15, v64, v15
	v_mul_f32_e32 v12, v74, v47
	v_cndmask_b32_e64 v84, 1.0, v16, s[62:63]
	v_cndmask_b32_e32 v16, 1.0, v69, vcc
	v_cndmask_b32_e64 v47, 0, v15, s[66:67]
	v_mul_f32_e32 v15, v63, v49
	v_mul_f32_e32 v14, v14, v16
	v_mul_f32_e32 v16, v72, v48
	v_cndmask_b32_e64 v48, 0, v15, s[68:69]
	scratch_load_dword v15, off, off offset:92 ; 4-byte Folded Reload
	v_mul_f32_e32 v10, v76, v22
	v_mul_f32_e32 v22, v52, v88
	v_cmp_gt_f32_e32 vcc, s91, v22
	v_cndmask_b32_e64 v46, 0, v16, s[64:65]
	v_mul_f32_e32 v16, v52, v89
	v_cndmask_b32_e32 v22, 0, v68, vcc
	v_fmac_f32_e32 v22, v52, v88
	v_cndmask_b32_e64 v85, 1.0, v14, s[64:65]
	v_cndmask_b32_e32 v14, 1.0, v69, vcc
	v_cmp_gt_f32_e32 vcc, s91, v16
	v_exp_f32_e32 v22, v22
	v_cndmask_b32_e64 v8, 0, v8, s[52:53]
	v_cndmask_b32_e32 v16, 0, v68, vcc
	v_fmac_f32_e32 v16, v52, v89
	v_exp_f32_e32 v16, v16
	v_mul_f32_e32 v14, v22, v14
	v_cndmask_b32_e64 v86, 1.0, v14, s[66:67]
	v_cndmask_b32_e32 v14, 1.0, v69, vcc
	v_mul_f32_e32 v14, v16, v14
	v_mul_f32_e32 v16, v52, v90
	v_cmp_gt_f32_e32 vcc, s91, v16
	v_cndmask_b32_e64 v65, 1.0, v14, s[68:69]
	v_cndmask_b32_e64 v9, 0, v9, s[54:55]
	v_cndmask_b32_e32 v16, 0, v68, vcc
	v_fmac_f32_e32 v16, v52, v90
	v_exp_f32_e32 v16, v16
	v_cndmask_b32_e32 v14, 1.0, v69, vcc
	v_cndmask_b32_e64 v10, 0, v10, s[56:57]
	v_cndmask_b32_e64 v11, 0, v11, s[58:59]
	v_mul_f32_e32 v14, v16, v14
	v_mul_f32_e32 v16, v52, v91
	v_cmp_gt_f32_e32 vcc, s91, v16
	v_cndmask_b32_e64 v71, 1.0, v14, s[70:71]
	v_cndmask_b32_e64 v12, 0, v12, s[60:61]
	v_cndmask_b32_e32 v16, 0, v68, vcc
	v_fmac_f32_e32 v16, v52, v91
	v_exp_f32_e32 v16, v16
	v_cndmask_b32_e32 v14, 1.0, v69, vcc
	v_cndmask_b32_e64 v13, 0, v13, s[62:63]
	v_readlane_b32 s0, v95, 35
	v_mul_f32_e32 v14, v16, v14
	v_mul_f32_e32 v16, v52, v92
	v_cmp_gt_f32_e32 vcc, s91, v16
	v_cndmask_b32_e64 v22, 1.0, v14, s[72:73]
	v_readlane_b32 s1, v95, 36
	v_cndmask_b32_e32 v16, 0, v68, vcc
	v_fmac_f32_e32 v16, v52, v92
	v_exp_f32_e32 v16, v16
	v_cndmask_b32_e32 v14, 1.0, v69, vcc
	v_mul_f32_e32 v14, v16, v14
	v_mul_f32_e32 v16, v52, v93
	v_cmp_gt_f32_e32 vcc, s91, v16
	v_cndmask_b32_e64 v87, 1.0, v14, s[74:75]
	s_waitcnt vmcnt(0)
	v_mul_f32_e32 v15, v15, v50
	v_cndmask_b32_e64 v49, 0, v15, s[70:71]
	scratch_load_dword v15, off, off offset:88 ; 4-byte Folded Reload
	v_cndmask_b32_e32 v16, 0, v68, vcc
	v_fmac_f32_e32 v16, v52, v93
	v_exp_f32_e32 v16, v16
	v_cndmask_b32_e32 v14, 1.0, v69, vcc
	s_waitcnt vmcnt(0)
	v_mul_f32_e32 v15, v15, v51
	v_cndmask_b32_e64 v50, 0, v15, s[72:73]
	scratch_load_dword v15, off, off offset:84 ; 4-byte Folded Reload
	s_waitcnt vmcnt(0)
	v_mul_f32_e32 v15, v15, v54
	v_cndmask_b32_e64 v51, 0, v15, s[74:75]
	v_mul_f32_e32 v15, v16, v14
	scratch_load_dword v14, off, off offset:80 ; 4-byte Folded Reload
	v_mul_f32_e32 v16, v52, v94
	v_cmp_gt_f32_e32 vcc, s91, v16
	v_mul_f32_e32 v54, v52, v56
	v_cndmask_b32_e64 v57, 1.0, v15, s[76:77]
	v_cndmask_b32_e32 v16, 0, v68, vcc
	v_fmac_f32_e32 v16, v52, v94
	v_cndmask_b32_e32 v15, 1.0, v69, vcc
	v_cmp_gt_f32_e32 vcc, s91, v54
	v_exp_f32_e32 v16, v16
	s_nop 0
	v_cndmask_b32_e32 v54, 0, v68, vcc
	v_fmac_f32_e32 v54, v52, v56
	v_exp_f32_e32 v54, v54
	v_mul_f32_e32 v16, v16, v15
	scratch_load_dword v15, off, off offset:76 ; 4-byte Folded Reload
	v_cndmask_b32_e64 v16, 1.0, v16, s[78:79]
	s_waitcnt vmcnt(1)
	v_mul_f32_e32 v14, v14, v55
	v_cndmask_b32_e32 v55, 1.0, v69, vcc
	v_mul_f32_e32 v54, v54, v55
	scratch_load_dword v55, off, off offset:72 ; 4-byte Folded Reload
	v_cndmask_b32_e64 v14, 0, v14, s[76:77]
	s_waitcnt vmcnt(1)
	v_mul_f32_e32 v15, v15, v58
	v_mul_f32_e32 v58, v52, v23
	v_cmp_gt_f32_e32 vcc, s91, v58
	v_cndmask_b32_e64 v15, 0, v15, s[78:79]
	s_waitcnt vmcnt(0)
	v_mul_f32_e32 v55, v55, v59
	v_cndmask_b32_e32 v58, 0, v68, vcc
	v_fmac_f32_e32 v58, v52, v23
	v_cndmask_b32_e64 v52, 0, v55, s[80:81]
	scratch_load_dword v55, off, off offset:68 ; 4-byte Folded Reload
	v_exp_f32_e32 v59, v58
	v_cndmask_b32_e64 v58, 1.0, v54, s[80:81]
	v_cndmask_b32_e32 v54, 1.0, v69, vcc
	v_mul_f32_e32 v54, v59, v54
	v_cndmask_b32_e64 v59, 1.0, v54, s[82:83]
	v_mul_f32_e32 v54, v80, v79
	v_mul_f32_e32 v54, v54, v81
	;; [unrolled: 1-line block ×15, first 2 shown]
	s_waitcnt vmcnt(0)
	v_mul_f32_e32 v53, v55, v53
	v_fma_f32 v55, v80, v8, v9
	v_fma_f32 v55, v55, v81, v10
	;; [unrolled: 1-line block ×13, first 2 shown]
	v_cndmask_b32_e64 v53, 0, v53, s[82:83]
	v_fma_f32 v55, v55, v58, v52
	v_fma_f32 v62, v55, v59, v53
	v_mov_b32_dpp v61, v54 row_shr:1 row_mask:0xf bank_mask:0xf
	s_nop 0
	v_mov_b32_dpp v60, v62 row_shr:1 row_mask:0xf bank_mask:0xf
	s_and_saveexec_b64 s[92:93], s[0:1]
; %bb.181:                              ;   in Loop: Header=BB87_110 Depth=2
	v_mul_f32_e32 v61, v54, v61
	v_fmac_f32_e32 v62, v54, v60
	v_mov_b32_e32 v54, v61
; %bb.182:                              ;   in Loop: Header=BB87_110 Depth=2
	s_or_b64 exec, exec, s[92:93]
	v_readlane_b32 s0, v95, 37
	v_mov_b32_dpp v60, v54 row_shr:2 row_mask:0xf bank_mask:0xf
	v_mov_b32_dpp v61, v62 row_shr:2 row_mask:0xf bank_mask:0xf
	v_readlane_b32 s1, v95, 38
	s_and_saveexec_b64 s[92:93], s[0:1]
; %bb.183:                              ;   in Loop: Header=BB87_110 Depth=2
	v_fmac_f32_e32 v62, v54, v61
	v_mul_f32_e32 v54, v54, v60
; %bb.184:                              ;   in Loop: Header=BB87_110 Depth=2
	s_or_b64 exec, exec, s[92:93]
	s_nop 0
	v_mov_b32_dpp v60, v54 row_shr:4 row_mask:0xf bank_mask:0xf
	v_mov_b32_dpp v61, v62 row_shr:4 row_mask:0xf bank_mask:0xf
	s_and_saveexec_b64 s[92:93], s[84:85]
; %bb.185:                              ;   in Loop: Header=BB87_110 Depth=2
	v_fmac_f32_e32 v62, v54, v61
	v_mul_f32_e32 v54, v54, v60
; %bb.186:                              ;   in Loop: Header=BB87_110 Depth=2
	s_or_b64 exec, exec, s[92:93]
	v_readlane_b32 s0, v95, 39
	v_mov_b32_dpp v60, v54 row_shr:8 row_mask:0xf bank_mask:0xf
	v_mov_b32_dpp v61, v62 row_shr:8 row_mask:0xf bank_mask:0xf
	v_readlane_b32 s1, v95, 40
	s_and_saveexec_b64 s[92:93], s[0:1]
; %bb.187:                              ;   in Loop: Header=BB87_110 Depth=2
	v_fmac_f32_e32 v62, v54, v61
	v_mul_f32_e32 v54, v54, v60
; %bb.188:                              ;   in Loop: Header=BB87_110 Depth=2
	s_or_b64 exec, exec, s[92:93]
	v_readlane_b32 s0, v95, 41
	v_mov_b32_dpp v60, v54 row_bcast:15 row_mask:0xf bank_mask:0xf
	v_mov_b32_dpp v61, v62 row_bcast:15 row_mask:0xf bank_mask:0xf
	v_readlane_b32 s1, v95, 42
	s_and_saveexec_b64 s[92:93], s[0:1]
; %bb.189:                              ;   in Loop: Header=BB87_110 Depth=2
	v_fmac_f32_e32 v62, v54, v61
	v_mul_f32_e32 v54, v54, v60
; %bb.190:                              ;   in Loop: Header=BB87_110 Depth=2
	s_or_b64 exec, exec, s[92:93]
	s_nop 0
	v_mov_b32_dpp v60, v54 row_bcast:31 row_mask:0xf bank_mask:0xf
	v_mov_b32_dpp v61, v62 row_bcast:31 row_mask:0xf bank_mask:0xf
	v_mov_b32_e32 v55, v62
	v_mul_f32_e32 v60, v54, v60
	v_fmac_f32_e32 v55, v54, v61
	v_readlane_b32 s0, v95, 45
	v_cndmask_b32_e64 v54, v54, v60, s[12:13]
	v_cndmask_b32_e64 v55, v62, v55, s[12:13]
	v_readlane_b32 s1, v95, 46
	s_and_saveexec_b64 s[92:93], s[0:1]
	s_cbranch_execz .LBB87_192
; %bb.191:                              ;   in Loop: Header=BB87_110 Depth=2
	ds_write_b64 v17, v[54:55] offset:4224
.LBB87_192:                             ;   in Loop: Header=BB87_110 Depth=2
	s_or_b64 exec, exec, s[92:93]
	scratch_load_dword v61, off, off offset:160 ; 4-byte Folded Reload
	s_waitcnt lgkmcnt(0)
	; wave barrier
	s_waitcnt vmcnt(0) lgkmcnt(0)
	ds_bpermute_b32 v60, v61, v54
	ds_bpermute_b32 v61, v61, v55
	v_mov_b32_e32 v55, v45
	s_and_saveexec_b64 s[92:93], s[14:15]
	s_cbranch_execz .LBB87_196
; %bb.193:                              ;   in Loop: Header=BB87_110 Depth=2
	ds_read_b64 v[54:55], v17 offset:4224
	s_and_saveexec_b64 vcc, s[16:17]
	s_cbranch_execz .LBB87_195
; %bb.194:                              ;   in Loop: Header=BB87_110 Depth=2
	ds_write_b64 v17, v[44:45] offset:4224
.LBB87_195:                             ;   in Loop: Header=BB87_110 Depth=2
	s_or_b64 exec, exec, vcc
	s_waitcnt lgkmcnt(0)
	v_fmac_f32_e32 v55, v45, v54
	v_mul_f32_e32 v44, v44, v54
	v_mov_b32_e32 v45, v55
.LBB87_196:                             ;   in Loop: Header=BB87_110 Depth=2
	s_or_b64 exec, exec, s[92:93]
	s_waitcnt lgkmcnt(0)
	; wave barrier
	s_waitcnt lgkmcnt(0)
	ds_read_b32 v54, v17 offset:4228
	s_and_saveexec_b64 s[92:93], s[16:17]
	s_cbranch_execz .LBB87_109
; %bb.197:                              ;   in Loop: Header=BB87_110 Depth=2
	v_mov_b32_e32 v62, s90
	s_andn2_b64 vcc, exec, s[94:95]
	ds_write_b64 v62, v[44:45]
	s_cbranch_vccnz .LBB87_109
; %bb.198:                              ;   in Loop: Header=BB87_110 Depth=2
	s_mov_b32 s97, s89
	v_cvt_f16_f32_e32 v44, v55
	s_lshl_b64 s[0:1], s[96:97], 1
	v_readlane_b32 s4, v95, 27
	s_add_u32 s0, s4, s0
	v_readlane_b32 s4, v95, 28
	v_readlane_b32 s97, v95, 48
	s_addc_u32 s1, s4, s1
	global_store_short v17, v44, s[0:1]
	s_branch .LBB87_109
.LBB87_199:                             ;   in Loop: Header=BB87_13 Depth=1
	scratch_load_dwordx2 v[42:43], off, off offset:164 ; 8-byte Folded Reload
	v_readlane_b32 s4, v95, 49
	v_readlane_b32 s5, v95, 50
	s_mov_b32 s6, 0x41a00000
	s_mov_b32 s7, 0x3fb8aa3b
	;; [unrolled: 1-line block ×8, first 2 shown]
	v_mov_b32_e32 v40, 0x3ecc95a3
	v_mov_b32_e32 v41, 0x7f800000
.LBB87_200:                             ;   in Loop: Header=BB87_13 Depth=1
	v_cvt_f16_f32_e32 v0, v39
	v_cvt_f16_f32_e32 v4, v38
	s_waitcnt lgkmcnt(0)
	; wave barrier
	v_cvt_f16_f32_e32 v1, v37
	v_pack_b32_f16 v0, v4, v0
	scratch_load_dword v4, off, off         ; 4-byte Folded Reload
	v_cvt_f16_f32_e32 v5, v36
	v_cvt_f16_f32_e32 v2, v35
	;; [unrolled: 1-line block ×13, first 2 shown]
	v_pack_b32_f16 v3, v7, v3
	v_pack_b32_f16 v2, v6, v2
	;; [unrolled: 1-line block ×3, first 2 shown]
	v_readlane_b32 s0, v95, 52
	v_readlane_b32 s1, v95, 53
	s_mov_b32 s1, s89
	s_waitcnt vmcnt(0)
	ds_write_b128 v4, v[0:3]
	v_pack_b32_f16 v3, v15, v14
	v_pack_b32_f16 v2, v13, v12
	;; [unrolled: 1-line block ×4, first 2 shown]
	ds_write_b128 v4, v[0:3] offset:16
	; wave barrier
	scratch_load_dword v0, off, off offset:8 ; 4-byte Folded Reload
	s_waitcnt vmcnt(0)
	ds_read_u16 v16, v0 offset:128
	scratch_load_dword v0, off, off offset:12 ; 4-byte Folded Reload
	s_waitcnt vmcnt(0)
	ds_read_u16 v15, v0 offset:256
	;; [unrolled: 3-line block ×15, first 2 shown]
	scratch_load_dwordx2 v[0:1], off, off offset:240 ; 8-byte Folded Reload
	s_waitcnt vmcnt(0)
	v_lshl_add_u64 v[0:1], s[0:1], 1, v[0:1]
	s_and_saveexec_b64 s[2:3], s[18:19]
	s_cbranch_execnz .LBB87_218
; %bb.201:                              ;   in Loop: Header=BB87_13 Depth=1
	s_or_b64 exec, exec, s[2:3]
	s_and_saveexec_b64 s[2:3], s[20:21]
	s_cbranch_execnz .LBB87_219
.LBB87_202:                             ;   in Loop: Header=BB87_13 Depth=1
	s_or_b64 exec, exec, s[2:3]
	s_and_saveexec_b64 s[2:3], s[22:23]
	s_cbranch_execnz .LBB87_220
.LBB87_203:                             ;   in Loop: Header=BB87_13 Depth=1
	s_or_b64 exec, exec, s[2:3]
	s_and_saveexec_b64 s[2:3], s[24:25]
	s_cbranch_execnz .LBB87_221
.LBB87_204:                             ;   in Loop: Header=BB87_13 Depth=1
	s_or_b64 exec, exec, s[2:3]
	s_and_saveexec_b64 s[2:3], s[26:27]
	s_cbranch_execnz .LBB87_222
.LBB87_205:                             ;   in Loop: Header=BB87_13 Depth=1
	s_or_b64 exec, exec, s[2:3]
	s_and_saveexec_b64 s[2:3], s[28:29]
	s_cbranch_execnz .LBB87_223
.LBB87_206:                             ;   in Loop: Header=BB87_13 Depth=1
	s_or_b64 exec, exec, s[2:3]
	s_and_saveexec_b64 s[2:3], s[30:31]
	s_cbranch_execnz .LBB87_224
.LBB87_207:                             ;   in Loop: Header=BB87_13 Depth=1
	s_or_b64 exec, exec, s[2:3]
	s_and_saveexec_b64 s[2:3], s[34:35]
	s_cbranch_execnz .LBB87_225
.LBB87_208:                             ;   in Loop: Header=BB87_13 Depth=1
	s_or_b64 exec, exec, s[2:3]
	s_and_saveexec_b64 s[2:3], s[36:37]
	s_cbranch_execnz .LBB87_226
.LBB87_209:                             ;   in Loop: Header=BB87_13 Depth=1
	s_or_b64 exec, exec, s[2:3]
	s_and_saveexec_b64 s[2:3], s[38:39]
	s_cbranch_execnz .LBB87_227
.LBB87_210:                             ;   in Loop: Header=BB87_13 Depth=1
	s_or_b64 exec, exec, s[2:3]
	s_and_saveexec_b64 s[2:3], s[40:41]
	s_cbranch_execnz .LBB87_228
.LBB87_211:                             ;   in Loop: Header=BB87_13 Depth=1
	s_or_b64 exec, exec, s[2:3]
	s_and_saveexec_b64 s[2:3], s[42:43]
	s_cbranch_execnz .LBB87_229
.LBB87_212:                             ;   in Loop: Header=BB87_13 Depth=1
	s_or_b64 exec, exec, s[2:3]
	s_and_saveexec_b64 s[2:3], s[44:45]
	s_cbranch_execnz .LBB87_230
.LBB87_213:                             ;   in Loop: Header=BB87_13 Depth=1
	s_or_b64 exec, exec, s[2:3]
	s_and_saveexec_b64 s[2:3], s[46:47]
	s_cbranch_execnz .LBB87_231
.LBB87_214:                             ;   in Loop: Header=BB87_13 Depth=1
	s_or_b64 exec, exec, s[2:3]
	s_and_saveexec_b64 s[2:3], s[48:49]
	s_cbranch_execnz .LBB87_232
.LBB87_215:                             ;   in Loop: Header=BB87_13 Depth=1
	s_or_b64 exec, exec, s[2:3]
	s_and_saveexec_b64 s[2:3], s[50:51]
	s_cbranch_execz .LBB87_12
	s_branch .LBB87_233
.LBB87_216:                             ;   in Loop: Header=BB87_13 Depth=1
	global_load_ushort v26, v[8:9], off offset:1664
	s_or_b64 exec, exec, s[2:3]
	s_and_saveexec_b64 s[2:3], s[48:49]
	s_cbranch_execz .LBB87_73
.LBB87_217:                             ;   in Loop: Header=BB87_13 Depth=1
	global_load_ushort v25, v[8:9], off offset:1792
	s_or_b64 exec, exec, s[2:3]
	v_mov_b32_e32 v27, 0
	s_and_saveexec_b64 s[2:3], s[50:51]
	s_cbranch_execnz .LBB87_74
	s_branch .LBB87_75
.LBB87_218:                             ;   in Loop: Header=BB87_13 Depth=1
	scratch_load_dword v18, off, off offset:4 ; 4-byte Folded Reload
	s_waitcnt vmcnt(0)
	ds_read_u16 v18, v18
	s_waitcnt lgkmcnt(0)
	global_store_short v[0:1], v18, off
	s_or_b64 exec, exec, s[2:3]
	s_and_saveexec_b64 s[2:3], s[20:21]
	s_cbranch_execz .LBB87_202
.LBB87_219:                             ;   in Loop: Header=BB87_13 Depth=1
	s_waitcnt lgkmcnt(14)
	global_store_short v[0:1], v16, off offset:128
	s_or_b64 exec, exec, s[2:3]
	s_and_saveexec_b64 s[2:3], s[22:23]
	s_cbranch_execz .LBB87_203
.LBB87_220:                             ;   in Loop: Header=BB87_13 Depth=1
	s_waitcnt lgkmcnt(13)
	global_store_short v[0:1], v15, off offset:256
	s_or_b64 exec, exec, s[2:3]
	s_and_saveexec_b64 s[2:3], s[24:25]
	s_cbranch_execz .LBB87_204
.LBB87_221:                             ;   in Loop: Header=BB87_13 Depth=1
	s_waitcnt lgkmcnt(12)
	global_store_short v[0:1], v14, off offset:384
	s_or_b64 exec, exec, s[2:3]
	s_and_saveexec_b64 s[2:3], s[26:27]
	s_cbranch_execz .LBB87_205
.LBB87_222:                             ;   in Loop: Header=BB87_13 Depth=1
	s_waitcnt lgkmcnt(11)
	global_store_short v[0:1], v13, off offset:512
	s_or_b64 exec, exec, s[2:3]
	s_and_saveexec_b64 s[2:3], s[28:29]
	s_cbranch_execz .LBB87_206
.LBB87_223:                             ;   in Loop: Header=BB87_13 Depth=1
	s_waitcnt lgkmcnt(10)
	global_store_short v[0:1], v12, off offset:640
	s_or_b64 exec, exec, s[2:3]
	s_and_saveexec_b64 s[2:3], s[30:31]
	s_cbranch_execz .LBB87_207
.LBB87_224:                             ;   in Loop: Header=BB87_13 Depth=1
	s_waitcnt lgkmcnt(9)
	global_store_short v[0:1], v11, off offset:768
	s_or_b64 exec, exec, s[2:3]
	s_and_saveexec_b64 s[2:3], s[34:35]
	s_cbranch_execz .LBB87_208
.LBB87_225:                             ;   in Loop: Header=BB87_13 Depth=1
	s_waitcnt lgkmcnt(8)
	global_store_short v[0:1], v10, off offset:896
	s_or_b64 exec, exec, s[2:3]
	s_and_saveexec_b64 s[2:3], s[36:37]
	s_cbranch_execz .LBB87_209
.LBB87_226:                             ;   in Loop: Header=BB87_13 Depth=1
	s_waitcnt lgkmcnt(7)
	global_store_short v[0:1], v9, off offset:1024
	s_or_b64 exec, exec, s[2:3]
	s_and_saveexec_b64 s[2:3], s[38:39]
	s_cbranch_execz .LBB87_210
.LBB87_227:                             ;   in Loop: Header=BB87_13 Depth=1
	s_waitcnt lgkmcnt(6)
	global_store_short v[0:1], v8, off offset:1152
	s_or_b64 exec, exec, s[2:3]
	s_and_saveexec_b64 s[2:3], s[40:41]
	s_cbranch_execz .LBB87_211
.LBB87_228:                             ;   in Loop: Header=BB87_13 Depth=1
	s_waitcnt lgkmcnt(5)
	global_store_short v[0:1], v7, off offset:1280
	s_or_b64 exec, exec, s[2:3]
	s_and_saveexec_b64 s[2:3], s[42:43]
	s_cbranch_execz .LBB87_212
.LBB87_229:                             ;   in Loop: Header=BB87_13 Depth=1
	s_waitcnt lgkmcnt(4)
	global_store_short v[0:1], v6, off offset:1408
	s_or_b64 exec, exec, s[2:3]
	s_and_saveexec_b64 s[2:3], s[44:45]
	s_cbranch_execz .LBB87_213
.LBB87_230:                             ;   in Loop: Header=BB87_13 Depth=1
	s_waitcnt lgkmcnt(3)
	global_store_short v[0:1], v5, off offset:1536
	s_or_b64 exec, exec, s[2:3]
	s_and_saveexec_b64 s[2:3], s[46:47]
	s_cbranch_execz .LBB87_214
.LBB87_231:                             ;   in Loop: Header=BB87_13 Depth=1
	s_waitcnt lgkmcnt(2)
	global_store_short v[0:1], v4, off offset:1664
	s_or_b64 exec, exec, s[2:3]
	s_and_saveexec_b64 s[2:3], s[48:49]
	s_cbranch_execz .LBB87_215
.LBB87_232:                             ;   in Loop: Header=BB87_13 Depth=1
	s_waitcnt lgkmcnt(1)
	global_store_short v[0:1], v3, off offset:1792
	s_or_b64 exec, exec, s[2:3]
	s_and_saveexec_b64 s[2:3], s[50:51]
	s_cbranch_execz .LBB87_12
.LBB87_233:                             ;   in Loop: Header=BB87_13 Depth=1
	s_waitcnt lgkmcnt(0)
	global_store_short v[0:1], v2, off offset:1920
	s_branch .LBB87_12
.LBB87_234:
	s_endpgm
	.section	.rodata,"a",@progbits
	.p2align	6, 0x0
	.amdhsa_kernel _Z25selective_scan_fwd_kernelI32Selective_Scan_fwd_kernel_traitsILi64ELi16ELi1ELb0ELb1ELb1ELb0ELb0EN3c104HalfEfS2_EEv13SSMParamsBase
		.amdhsa_group_segment_fixed_size 0
		.amdhsa_private_segment_fixed_size 316
		.amdhsa_kernarg_size 248
		.amdhsa_user_sgpr_count 2
		.amdhsa_user_sgpr_dispatch_ptr 0
		.amdhsa_user_sgpr_queue_ptr 0
		.amdhsa_user_sgpr_kernarg_segment_ptr 1
		.amdhsa_user_sgpr_dispatch_id 0
		.amdhsa_user_sgpr_kernarg_preload_length 0
		.amdhsa_user_sgpr_kernarg_preload_offset 0
		.amdhsa_user_sgpr_private_segment_size 0
		.amdhsa_uses_dynamic_stack 0
		.amdhsa_enable_private_segment 1
		.amdhsa_system_sgpr_workgroup_id_x 1
		.amdhsa_system_sgpr_workgroup_id_y 1
		.amdhsa_system_sgpr_workgroup_id_z 0
		.amdhsa_system_sgpr_workgroup_info 0
		.amdhsa_system_vgpr_workitem_id 0
		.amdhsa_next_free_vgpr 96
		.amdhsa_next_free_sgpr 100
		.amdhsa_accum_offset 96
		.amdhsa_reserve_vcc 1
		.amdhsa_float_round_mode_32 0
		.amdhsa_float_round_mode_16_64 0
		.amdhsa_float_denorm_mode_32 3
		.amdhsa_float_denorm_mode_16_64 3
		.amdhsa_dx10_clamp 1
		.amdhsa_ieee_mode 1
		.amdhsa_fp16_overflow 0
		.amdhsa_tg_split 0
		.amdhsa_exception_fp_ieee_invalid_op 0
		.amdhsa_exception_fp_denorm_src 0
		.amdhsa_exception_fp_ieee_div_zero 0
		.amdhsa_exception_fp_ieee_overflow 0
		.amdhsa_exception_fp_ieee_underflow 0
		.amdhsa_exception_fp_ieee_inexact 0
		.amdhsa_exception_int_div_zero 0
	.end_amdhsa_kernel
	.section	.text._Z25selective_scan_fwd_kernelI32Selective_Scan_fwd_kernel_traitsILi64ELi16ELi1ELb0ELb1ELb1ELb0ELb0EN3c104HalfEfS2_EEv13SSMParamsBase,"axG",@progbits,_Z25selective_scan_fwd_kernelI32Selective_Scan_fwd_kernel_traitsILi64ELi16ELi1ELb0ELb1ELb1ELb0ELb0EN3c104HalfEfS2_EEv13SSMParamsBase,comdat
.Lfunc_end87:
	.size	_Z25selective_scan_fwd_kernelI32Selective_Scan_fwd_kernel_traitsILi64ELi16ELi1ELb0ELb1ELb1ELb0ELb0EN3c104HalfEfS2_EEv13SSMParamsBase, .Lfunc_end87-_Z25selective_scan_fwd_kernelI32Selective_Scan_fwd_kernel_traitsILi64ELi16ELi1ELb0ELb1ELb1ELb0ELb0EN3c104HalfEfS2_EEv13SSMParamsBase
                                        ; -- End function
	.section	.AMDGPU.csdata,"",@progbits
; Kernel info:
; codeLenInByte = 22384
; NumSgprs: 106
; NumVgprs: 96
; NumAgprs: 0
; TotalNumVgprs: 96
; ScratchSize: 316
; MemoryBound: 0
; FloatMode: 240
; IeeeMode: 1
; LDSByteSize: 0 bytes/workgroup (compile time only)
; SGPRBlocks: 13
; VGPRBlocks: 11
; NumSGPRsForWavesPerEU: 106
; NumVGPRsForWavesPerEU: 96
; AccumOffset: 96
; Occupancy: 5
; WaveLimiterHint : 0
; COMPUTE_PGM_RSRC2:SCRATCH_EN: 1
; COMPUTE_PGM_RSRC2:USER_SGPR: 2
; COMPUTE_PGM_RSRC2:TRAP_HANDLER: 0
; COMPUTE_PGM_RSRC2:TGID_X_EN: 1
; COMPUTE_PGM_RSRC2:TGID_Y_EN: 1
; COMPUTE_PGM_RSRC2:TGID_Z_EN: 0
; COMPUTE_PGM_RSRC2:TIDIG_COMP_CNT: 0
; COMPUTE_PGM_RSRC3_GFX90A:ACCUM_OFFSET: 23
; COMPUTE_PGM_RSRC3_GFX90A:TG_SPLIT: 0
	.section	.text._Z25selective_scan_fwd_kernelI32Selective_Scan_fwd_kernel_traitsILi128ELi16ELi1ELb1ELb1ELb1ELb1ELb1EN3c104HalfEfS2_EEv13SSMParamsBase,"axG",@progbits,_Z25selective_scan_fwd_kernelI32Selective_Scan_fwd_kernel_traitsILi128ELi16ELi1ELb1ELb1ELb1ELb1ELb1EN3c104HalfEfS2_EEv13SSMParamsBase,comdat
	.protected	_Z25selective_scan_fwd_kernelI32Selective_Scan_fwd_kernel_traitsILi128ELi16ELi1ELb1ELb1ELb1ELb1ELb1EN3c104HalfEfS2_EEv13SSMParamsBase ; -- Begin function _Z25selective_scan_fwd_kernelI32Selective_Scan_fwd_kernel_traitsILi128ELi16ELi1ELb1ELb1ELb1ELb1ELb1EN3c104HalfEfS2_EEv13SSMParamsBase
	.globl	_Z25selective_scan_fwd_kernelI32Selective_Scan_fwd_kernel_traitsILi128ELi16ELi1ELb1ELb1ELb1ELb1ELb1EN3c104HalfEfS2_EEv13SSMParamsBase
	.p2align	8
	.type	_Z25selective_scan_fwd_kernelI32Selective_Scan_fwd_kernel_traitsILi128ELi16ELi1ELb1ELb1ELb1ELb1ELb1EN3c104HalfEfS2_EEv13SSMParamsBase,@function
_Z25selective_scan_fwd_kernelI32Selective_Scan_fwd_kernel_traitsILi128ELi16ELi1ELb1ELb1ELb1ELb1ELb1EN3c104HalfEfS2_EEv13SSMParamsBase: ; @_Z25selective_scan_fwd_kernelI32Selective_Scan_fwd_kernel_traitsILi128ELi16ELi1ELb1ELb1ELb1ELb1ELb1EN3c104HalfEfS2_EEv13SSMParamsBase
; %bb.0:
	s_load_dword s15, s[0:1], 0x18
	s_load_dwordx4 s[4:7], s[0:1], 0xe8
	s_load_dwordx8 s[20:27], s[0:1], 0xc8
	s_mov_b32 s8, s3
	s_ashr_i32 s3, s2, 31
	s_lshl_b64 s[12:13], s[2:3], 2
	s_waitcnt lgkmcnt(0)
	s_abs_i32 s14, s15
	v_cvt_f32_u32_e32 v1, s14
	s_add_u32 s10, s26, s12
	s_addc_u32 s11, s27, s13
	s_cmp_eq_u64 s[6:7], 0
	v_rcp_iflag_f32_e32 v1, v1
                                        ; implicit-def: $vgpr166 : SGPR spill to VGPR lane
	s_nop 0
	v_mul_f32_e32 v1, 0x4f7ffffe, v1
	v_cvt_u32_f32_e32 v1, v1
	s_nop 0
	v_readfirstlane_b32 s16, v1
	s_cbranch_scc1 .LBB88_2
; %bb.1:
	s_add_u32 s6, s6, s2
	s_addc_u32 s7, s7, s3
	v_mov_b32_e32 v1, 0
	global_load_ubyte v1, v1, s[6:7]
	s_waitcnt vmcnt(0)
	v_and_b32_e32 v1, 1, v1
	v_cmp_eq_u32_e64 s[6:7], 1, v1
	s_branch .LBB88_3
.LBB88_2:
	s_mov_b64 s[6:7], 0
.LBB88_3:
	s_nop 0
	v_writelane_b32 v166, s6, 0
	s_cmp_eq_u64 s[4:5], 0
	s_nop 0
	v_writelane_b32 v166, s7, 1
	s_load_dwordx2 s[6:7], s[0:1], 0x20
	s_cbranch_scc1 .LBB88_5
; %bb.4:
	s_add_u32 s2, s4, s12
	s_addc_u32 s3, s5, s13
	s_load_dword s2, s[2:3], 0x0
	s_waitcnt lgkmcnt(0)
	s_ashr_i32 s3, s2, 31
.LBB88_5:
	s_waitcnt lgkmcnt(0)
	s_cmp_eq_u64 s[6:7], s[2:3]
	s_cbranch_scc1 .LBB88_302
; %bb.6:
	s_load_dwordx16 s[36:51], s[0:1], 0x88
	s_load_dwordx2 s[4:5], s[10:11], 0x0
	s_mov_b32 s3, 0
	v_writelane_b32 v166, s3, 2
	v_writelane_b32 v166, s3, 3
	s_waitcnt lgkmcnt(0)
	s_cmp_eq_u64 s[42:43], 0
	s_cbranch_scc1 .LBB88_8
; %bb.7:
	s_ashr_i32 s9, s8, 31
	s_lshl_b64 s[6:7], s[8:9], 2
	s_add_u32 s6, s42, s6
	s_addc_u32 s7, s43, s7
	s_load_dword s3, s[6:7], 0x0
	s_waitcnt lgkmcnt(0)
	v_writelane_b32 v166, s3, 3
.LBB88_8:
	s_cmp_eq_u64 s[48:49], 0
	s_cbranch_scc1 .LBB88_10
; %bb.9:
	s_ashr_i32 s9, s8, 31
	s_lshl_b64 s[6:7], s[8:9], 2
	s_add_u32 s6, s48, s6
	s_addc_u32 s7, s49, s7
	s_load_dword s3, s[6:7], 0x0
	s_waitcnt lgkmcnt(0)
	v_writelane_b32 v166, s3, 2
.LBB88_10:
	s_sub_i32 s17, s5, s4
	s_cmp_lt_i32 s17, 1
	s_cbranch_scc1 .LBB88_302
; %bb.11:
	s_sub_i32 s3, 0, s14
	s_mul_i32 s3, s3, s16
	s_mul_hi_u32 s3, s16, s3
	s_add_i32 s16, s16, s3
	s_load_dword s3, s[0:1], 0x84
	s_abs_i32 s5, s8
	s_load_dwordx8 s[52:59], s[0:1], 0x2c
	s_load_dwordx2 s[10:11], s[0:1], 0x7c
	s_load_dwordx4 s[28:31], s[0:1], 0x6c
	s_load_dwordx8 s[60:67], s[0:1], 0x4c
	s_load_dword s13, s[0:1], 0xc
	s_load_dword s9, s[0:1], 0x28
	s_ashr_i32 s0, s8, 31
	s_waitcnt lgkmcnt(0)
	v_writelane_b32 v166, s3, 4
	s_mul_hi_u32 s3, s5, s16
	s_ashr_i32 s1, s15, 31
	s_xor_b32 s0, s0, s1
	s_mul_i32 s1, s3, s14
	s_sub_i32 s1, s5, s1
	s_add_i32 s5, s3, 1
	s_sub_i32 s6, s1, s14
	s_cmp_ge_u32 s1, s14
	s_cselect_b32 s3, s5, s3
	s_cselect_b32 s1, s6, s1
	s_add_i32 s5, s3, 1
	s_cmp_ge_u32 s1, s14
	s_cselect_b32 s1, s5, s3
	s_xor_b32 s1, s1, s0
	s_mul_i32 s6, s4, s62
	s_mov_b32 s7, 0
	s_sub_i32 s3, s1, s0
	s_lshl_b64 s[0:1], s[6:7], 1
	s_add_u32 s5, s44, s0
	s_mul_i32 s6, s63, s8
	s_addc_u32 s12, s45, s1
	s_lshl_b64 s[0:1], s[6:7], 1
	s_add_u32 s14, s5, s0
	s_mul_i32 s6, s4, s64
	s_addc_u32 s15, s12, s1
	;; [unrolled: 4-line block ×3, first 2 shown]
	s_lshl_b64 s[0:1], s[6:7], 1
	s_add_u32 s0, s5, s0
	s_addc_u32 s1, s12, s1
	v_writelane_b32 v166, s0, 5
	s_mul_i32 s6, s52, s8
	v_mbcnt_lo_u32_b32 v1, -1, 0
	v_writelane_b32 v166, s1, 6
	s_lshl_b64 s[0:1], s[6:7], 2
	s_add_u32 s0, s36, s0
	v_writelane_b32 v166, s0, 7
	s_addc_u32 s0, s37, s1
	s_mul_i32 s6, s4, s54
	v_writelane_b32 v166, s0, 8
	s_lshl_b64 s[0:1], s[6:7], 1
	s_add_u32 s5, s38, s0
	s_mul_i32 s6, s3, s57
	s_addc_u32 s12, s39, s1
	s_lshl_b64 s[0:1], s[6:7], 1
	s_add_u32 s0, s5, s0
	s_addc_u32 s1, s12, s1
	v_writelane_b32 v166, s0, 9
	v_lshlrev_b32_e32 v19, 4, v0
	v_mbcnt_hi_u32_b32 v18, -1, v1
	v_writelane_b32 v166, s1, 10
	v_writelane_b32 v166, s52, 11
	v_and_b32_e32 v2, 0x400, v19
	v_or_b32_e32 v72, v18, v2
	v_writelane_b32 v166, s53, 12
	v_writelane_b32 v166, s54, 13
	s_mul_i32 s6, s4, s58
	v_lshrrev_b32_e32 v1, 5, v72
	v_writelane_b32 v166, s55, 14
	s_lshl_b64 s[0:1], s[6:7], 1
	v_and_b32_e32 v1, 34, v1
	v_writelane_b32 v166, s56, 15
	s_add_u32 s5, s40, s0
	s_mul_i32 s6, s3, s61
	v_add_u32_e32 v3, 64, v72
	v_or_b32_e32 v4, 0x80, v72
	v_add_u32_e32 v5, 0xc0, v72
	v_add_u32_e32 v1, v1, v72
	v_writelane_b32 v166, s57, 16
	s_addc_u32 s12, s41, s1
	s_lshl_b64 s[0:1], s[6:7], 1
	v_lshl_add_u32 v88, v1, 1, 0
	v_lshrrev_b32_e32 v1, 5, v3
	v_lshrrev_b32_e32 v3, 5, v4
	v_lshrrev_b32_e32 v4, 5, v5
	v_writelane_b32 v166, s58, 17
	s_add_u32 s0, s5, s0
	v_or_b32_e32 v75, 0x100, v72
	v_and_b32_e32 v4, 46, v4
	v_writelane_b32 v166, s59, 18
	s_addc_u32 s1, s12, s1
	v_add_lshl_u32 v8, v4, v72, 1
	v_lshrrev_b32_e32 v4, 5, v75
	v_writelane_b32 v166, s0, 19
	s_mul_i32 s6, s2, s10
	v_add_u32_e32 v6, 0x140, v72
	v_and_b32_e32 v4, 42, v4
	v_writelane_b32 v166, s1, 20
	s_lshl_b64 s[0:1], s[6:7], 1
	v_add_lshl_u32 v9, v4, v72, 1
	v_lshrrev_b32_e32 v4, 5, v6
	s_add_u32 s2, s20, s0
	s_mul_i32 s6, s11, s8
	v_or_b32_e32 v78, 0x180, v72
	v_and_b32_e32 v4, 46, v4
	s_addc_u32 s3, s21, s1
	s_lshl_b64 s[0:1], s[6:7], 1
	v_add_lshl_u32 v10, v4, v72, 1
	v_lshrrev_b32_e32 v4, 5, v78
	s_add_u32 s0, s2, s0
	v_add_u32_e32 v79, 0x1c0, v72
	v_and_b32_e32 v4, 46, v4
	v_writelane_b32 v166, s0, 21
	s_addc_u32 s0, s3, s1
	v_add_lshl_u32 v11, v4, v72, 1
	v_lshrrev_b32_e32 v4, 5, v79
	v_writelane_b32 v166, s0, 22
	s_add_i32 s0, s17, 0x7ff
	v_or_b32_e32 v80, 0x200, v72
	v_and_b32_e32 v4, 62, v4
	s_lshr_b32 s0, s0, 11
	v_add_lshl_u32 v12, v4, v72, 1
	v_lshrrev_b32_e32 v4, 5, v80
	v_add_u32_e32 v81, 0x240, v72
	v_and_b32_e32 v4, 50, v4
	s_bitcmp1_b32 s9, 0
	v_add_lshl_u32 v13, v4, v72, 1
	v_lshrrev_b32_e32 v4, 5, v81
	s_cselect_b64 s[2:3], -1, 0
	v_or_b32_e32 v82, 0x280, v72
	v_and_b32_e32 v4, 54, v4
	v_writelane_b32 v166, s2, 23
	v_add_lshl_u32 v14, v4, v72, 1
	v_lshrrev_b32_e32 v4, 5, v82
	v_writelane_b32 v166, s3, 24
	s_cmp_gt_i32 s13, 0
	v_add_u32_e32 v83, 0x2c0, v72
	v_and_b32_e32 v4, 54, v4
	v_writelane_b32 v166, s13, 25
	s_cselect_b64 s[2:3], -1, 0
	v_add_lshl_u32 v15, v4, v72, 1
	v_lshrrev_b32_e32 v4, 5, v83
	v_writelane_b32 v166, s2, 26
	v_or_b32_e32 v84, 0x300, v72
	v_and_b32_e32 v4, 62, v4
	v_writelane_b32 v166, s3, 27
	v_add_lshl_u32 v26, v4, v72, 1
	v_lshrrev_b32_e32 v4, 5, v84
	v_writelane_b32 v166, s17, 28
	v_add_u32_e32 v85, 0x340, v72
	v_and_b32_e32 v4, 58, v4
	v_writelane_b32 v166, s0, 29
	s_add_i32 s0, s0, -1
	s_mul_i32 s6, s4, s28
	v_add_lshl_u32 v27, v4, v72, 1
	v_lshrrev_b32_e32 v4, 5, v85
	s_add_i32 s9, 0, 0x1080
	s_and_b32 s10, s17, 0x7ff
	v_writelane_b32 v166, s0, 30
	s_lshl_b64 s[0:1], s[6:7], 1
	v_or_b32_e32 v86, 0x380, v72
	v_and_b32_e32 v4, 62, v4
	s_add_u32 s2, s50, s0
	s_mul_i32 s6, s29, s8
	v_add_lshl_u32 v28, v4, v72, 1
	v_lshrrev_b32_e32 v4, 5, v86
	s_addc_u32 s3, s51, s1
	s_lshl_b64 s[0:1], s[6:7], 1
	s_mul_i32 s6, s4, s66
	v_writelane_b32 v166, s60, 31
	v_and_b32_e32 v4, 62, v4
	v_add_lshl_u32 v29, v4, v72, 1
	v_writelane_b32 v166, s61, 32
	v_and_b32_e32 v4, 64, v0
	v_writelane_b32 v166, s62, 33
	v_add_u16_e32 v6, v18, v4
	s_add_u32 s2, s2, s0
	v_writelane_b32 v166, s63, 34
	v_lshrrev_b16_e32 v6, 1, v6
	s_addc_u32 s3, s3, s1
	s_lshl_b64 s[0:1], s[6:7], 1
	v_writelane_b32 v166, s64, 35
	v_add_lshl_u32 v5, v18, v4, 4
	v_and_b32_e32 v6, 0x7e, v6
	s_add_u32 s5, s22, s0
	v_writelane_b32 v166, s65, 36
	s_mul_i32 s6, s67, s8
	v_add_lshl_u32 v30, v6, v5, 1
	s_addc_u32 s11, s23, s1
	v_writelane_b32 v166, s66, 37
	s_lshl_b64 s[0:1], s[6:7], 1
	v_and_b32_e32 v5, 15, v18
	v_writelane_b32 v166, s67, 38
	s_add_u32 s12, s5, s0
	s_mul_i32 s6, s4, s30
	v_cmp_lt_u32_e64 s[16:17], 1, v5
	s_addc_u32 s13, s11, s1
	s_lshl_b64 s[0:1], s[6:7], 1
	v_writelane_b32 v166, s16, 39
	s_add_u32 s4, s24, s0
	s_mul_i32 s6, s31, s8
	v_writelane_b32 v166, s17, 40
	v_cmp_lt_u32_e64 s[16:17], 3, v5
	s_addc_u32 s5, s25, s1
	s_lshl_b64 s[0:1], s[6:7], 1
	v_writelane_b32 v166, s16, 41
	s_add_u32 s4, s4, s0
	s_addc_u32 s5, s5, s1
	v_writelane_b32 v166, s17, 42
	v_cmp_lt_u32_e64 s[16:17], 7, v5
	v_cmp_eq_u32_e64 s[0:1], 0, v5
	v_and_b32_e32 v5, 16, v18
	v_writelane_b32 v166, s16, 43
	v_or_b32_e32 v4, 63, v4
	v_mov_b32_e32 v17, 0
	v_writelane_b32 v166, s17, 44
	v_cmp_ne_u32_e64 s[16:17], 0, v5
	v_lshlrev_b32_e32 v16, 1, v18
	s_cmp_eq_u32 s10, 0
	v_writelane_b32 v166, s16, 45
	v_lshlrev_b32_e32 v6, 1, v2
	v_mov_b32_e32 v7, v17
	v_writelane_b32 v166, s17, 46
	v_cmp_eq_u32_e64 s[16:17], v4, v0
	v_and_b32_e32 v4, 1, v18
	v_add_u32_e32 v87, 0x3c0, v72
	v_writelane_b32 v166, s16, 47
	v_and_b32_e32 v1, 38, v1
	v_add_lshl_u32 v1, v1, v72, 1
	v_writelane_b32 v166, s17, 48
	v_cmp_eq_u32_e64 s[16:17], 0, v4
	v_lshl_add_u64 v[4:5], s[2:3], 0, v[16:17]
	s_cselect_b64 s[2:3], -1, 0
	v_writelane_b32 v166, s16, 49
	v_lshl_add_u64 v[20:21], v[4:5], 0, v[6:7]
	v_lshl_add_u64 v[4:5], s[12:13], 0, v[16:17]
	v_writelane_b32 v166, s17, 50
	v_writelane_b32 v166, s2, 51
	v_lshl_add_u64 v[22:23], v[4:5], 0, v[6:7]
	v_lshl_add_u64 v[4:5], s[4:5], 0, v[16:17]
	v_writelane_b32 v166, s3, 52
	v_cmp_lt_u32_e64 s[2:3], 31, v18
	v_lshl_add_u64 v[24:25], v[4:5], 0, v[6:7]
	v_add_u32_e32 v4, -1, v18
	v_writelane_b32 v166, s2, 53
	v_and_b32_e32 v5, 64, v18
	v_lshrrev_b32_e32 v6, 5, v87
	v_writelane_b32 v166, s3, 54
	v_cmp_gt_u32_e64 s[2:3], 2, v0
	v_add_u32_e32 v89, 0, v1
	v_and_b32_e32 v3, 38, v3
	v_writelane_b32 v166, s2, 55
	v_and_b32_e32 v6, 0x7e, v6
	v_add_u32_e32 v101, s9, v1
	v_writelane_b32 v166, s3, 56
	v_cmp_gt_u32_e64 s[2:3], 64, v0
	v_lshrrev_b32_e32 v1, 3, v0
	v_cmp_lt_i32_e32 vcc, v4, v5
	v_writelane_b32 v166, s2, 57
	v_add_lshl_u32 v3, v3, v72, 1
	v_add_lshl_u32 v6, v6, v72, 1
	v_and_b32_e32 v1, 8, v1
	v_writelane_b32 v166, s3, 58
	v_cmp_lt_u32_e64 s[20:21], 63, v0
	v_cmp_eq_u32_e64 s[22:23], 0, v0
	v_lshl_add_u32 v122, v0, 3, 0
	v_cndmask_b32_e32 v0, v4, v18, vcc
	s_add_i32 s2, 0, 0x2110
	v_add_u32_e32 v90, 0, v3
	v_add_u32_e32 v91, 0, v8
	;; [unrolled: 1-line block ×31, first 2 shown]
	v_lshlrev_b32_e32 v123, 2, v0
	v_cmp_eq_u32_e64 s[24:25], 0, v18
	v_lshlrev_b32_e32 v26, 1, v2
	s_mov_b32 s6, 0x41a00000
	s_mov_b32 s8, 0x3fb8aa3b
	;; [unrolled: 1-line block ×8, first 2 shown]
	v_writelane_b32 v166, s2, 59
	s_mov_b32 s33, 0xc2fc0000
	s_mov_b32 s3, 0
	v_mov_b32_e32 v139, 0x3ecc95a3
	v_mov_b32_e32 v140, 0x7f800000
	;; [unrolled: 1-line block ×5, first 2 shown]
                                        ; implicit-def: $vgpr0
	s_branch .LBB88_13
.LBB88_12:                              ;   in Loop: Header=BB88_13 Depth=1
	s_or_b64 exec, exec, s[2:3]
	v_readlane_b32 s2, v166, 5
	v_readlane_b32 s3, v166, 6
	s_add_u32 s2, s2, 0x1000
	s_addc_u32 s3, s3, 0
	v_writelane_b32 v166, s2, 5
	s_nop 1
	v_writelane_b32 v166, s3, 6
	s_nop 0
	v_readlane_b32 s14, v166, 63
	v_readlane_b32 s15, v167, 0
	s_add_u32 s14, s14, 0x1000
	s_addc_u32 s15, s15, 0
	v_readlane_b32 s2, v166, 9
	v_readlane_b32 s3, v166, 10
	s_add_u32 s2, s2, 0x1000
	s_addc_u32 s3, s3, 0
	v_writelane_b32 v166, s2, 9
	s_nop 1
	v_writelane_b32 v166, s3, 10
	s_nop 0
	v_readlane_b32 s2, v166, 19
	v_readlane_b32 s3, v166, 20
	s_add_u32 s2, s2, 0x1000
	s_addc_u32 s3, s3, 0
	v_writelane_b32 v166, s2, 19
	s_nop 1
	v_writelane_b32 v166, s3, 20
	s_nop 0
	v_readlane_b32 s3, v166, 60
	s_add_i32 s3, s3, 1
	v_readlane_b32 s2, v166, 29
	s_cmp_lg_u32 s3, s2
	s_cbranch_scc0 .LBB88_302
.LBB88_13:                              ; =>This Loop Header: Depth=1
                                        ;     Child Loop BB88_110 Depth 2
	s_lshl_b32 s18, s3, 11
	v_writelane_b32 v166, s3, 60
	s_mov_b32 s4, s18
	v_readlane_b32 s2, v166, 28
	v_writelane_b32 v166, s4, 61
	s_waitcnt lgkmcnt(14)
	v_lshlrev_b32_e32 v16, 1, v18
	s_sub_i32 s88, s2, s18
	v_writelane_b32 v166, s5, 62
                                        ; implicit-def: $vgpr167 : SGPR spill to VGPR lane
	v_writelane_b32 v166, s14, 63
	v_mov_b32_e32 v27, v17
	v_cmp_gt_u32_e64 s[26:27], s88, v72
	v_lshl_add_u64 v[0:1], s[14:15], 0, v[16:17]
	v_writelane_b32 v167, s15, 0
	v_lshl_add_u64 v[0:1], v[0:1], 0, v[26:27]
	s_waitcnt lgkmcnt(0)
	v_mov_b32_e32 v2, 0
	s_barrier
	s_and_saveexec_b64 s[2:3], s[26:27]
	s_cbranch_execz .LBB88_15
; %bb.14:                               ;   in Loop: Header=BB88_13 Depth=1
	global_load_ushort v2, v[0:1], off
.LBB88_15:                              ;   in Loop: Header=BB88_13 Depth=1
	s_or_b64 exec, exec, s[2:3]
	v_add_u32_e32 v3, 64, v72
	v_cmp_gt_u32_e64 s[28:29], s88, v3
	v_mov_b32_e32 v3, 0
	v_mov_b32_e32 v4, 0
	s_and_saveexec_b64 s[2:3], s[28:29]
	s_cbranch_execz .LBB88_17
; %bb.16:                               ;   in Loop: Header=BB88_13 Depth=1
	global_load_ushort v4, v[0:1], off offset:128
.LBB88_17:                              ;   in Loop: Header=BB88_13 Depth=1
	s_or_b64 exec, exec, s[2:3]
	v_or_b32_e32 v5, 0x80, v72
	v_cmp_gt_u32_e64 s[30:31], s88, v5
	s_and_saveexec_b64 s[2:3], s[30:31]
	s_cbranch_execz .LBB88_19
; %bb.18:                               ;   in Loop: Header=BB88_13 Depth=1
	global_load_ushort v3, v[0:1], off offset:256
.LBB88_19:                              ;   in Loop: Header=BB88_13 Depth=1
	s_or_b64 exec, exec, s[2:3]
	v_add_u32_e32 v5, 0xc0, v72
	v_cmp_gt_u32_e64 s[34:35], s88, v5
	v_mov_b32_e32 v5, 0
	v_mov_b32_e32 v6, 0
	s_and_saveexec_b64 s[2:3], s[34:35]
	s_cbranch_execz .LBB88_21
; %bb.20:                               ;   in Loop: Header=BB88_13 Depth=1
	global_load_ushort v6, v[0:1], off offset:384
.LBB88_21:                              ;   in Loop: Header=BB88_13 Depth=1
	s_or_b64 exec, exec, s[2:3]
	v_cmp_gt_u32_e64 s[36:37], s88, v75
	s_and_saveexec_b64 s[2:3], s[36:37]
	s_cbranch_execz .LBB88_23
; %bb.22:                               ;   in Loop: Header=BB88_13 Depth=1
	global_load_ushort v5, v[0:1], off offset:512
.LBB88_23:                              ;   in Loop: Header=BB88_13 Depth=1
	s_or_b64 exec, exec, s[2:3]
	v_add_u32_e32 v7, 0x140, v72
	v_cmp_gt_u32_e64 s[38:39], s88, v7
	v_mov_b32_e32 v7, 0
	v_mov_b32_e32 v8, 0
	s_and_saveexec_b64 s[2:3], s[38:39]
	s_cbranch_execz .LBB88_25
; %bb.24:                               ;   in Loop: Header=BB88_13 Depth=1
	global_load_ushort v8, v[0:1], off offset:640
.LBB88_25:                              ;   in Loop: Header=BB88_13 Depth=1
	s_or_b64 exec, exec, s[2:3]
	v_cmp_gt_u32_e64 s[40:41], s88, v78
	s_and_saveexec_b64 s[2:3], s[40:41]
	s_cbranch_execz .LBB88_27
; %bb.26:                               ;   in Loop: Header=BB88_13 Depth=1
	global_load_ushort v7, v[0:1], off offset:768
.LBB88_27:                              ;   in Loop: Header=BB88_13 Depth=1
	s_or_b64 exec, exec, s[2:3]
	v_cmp_gt_u32_e64 s[42:43], s88, v79
	v_mov_b32_e32 v9, 0
	v_mov_b32_e32 v11, 0
	s_and_saveexec_b64 s[2:3], s[42:43]
	s_cbranch_execz .LBB88_29
; %bb.28:                               ;   in Loop: Header=BB88_13 Depth=1
	global_load_ushort v11, v[0:1], off offset:896
.LBB88_29:                              ;   in Loop: Header=BB88_13 Depth=1
	s_or_b64 exec, exec, s[2:3]
	v_cmp_gt_u32_e64 s[44:45], s88, v80
	s_and_saveexec_b64 s[2:3], s[44:45]
	s_cbranch_execz .LBB88_31
; %bb.30:                               ;   in Loop: Header=BB88_13 Depth=1
	global_load_ushort v9, v[0:1], off offset:1024
.LBB88_31:                              ;   in Loop: Header=BB88_13 Depth=1
	s_or_b64 exec, exec, s[2:3]
	;; [unrolled: 16-line block ×5, first 2 shown]
	v_cmp_gt_u32_e64 s[58:59], s88, v87
	v_mov_b32_e32 v10, 0
	v_mov_b32_e32 v30, 0
	s_and_saveexec_b64 s[2:3], s[58:59]
	s_cbranch_execz .LBB88_45
; %bb.44:                               ;   in Loop: Header=BB88_13 Depth=1
	global_load_ushort v30, v[0:1], off offset:1920
.LBB88_45:                              ;   in Loop: Header=BB88_13 Depth=1
	s_or_b64 exec, exec, s[2:3]
	s_waitcnt vmcnt(0)
	ds_write_b16 v88, v2
	ds_write_b16 v89, v4 offset:128
	ds_write_b16 v90, v3 offset:256
	;; [unrolled: 1-line block ×15, first 2 shown]
	; wave barrier
	ds_read_b128 v[0:3], v119
	ds_read_b128 v[4:7], v119 offset:16
	v_readlane_b32 s2, v166, 5
	v_readlane_b32 s3, v166, 6
	v_mov_b32_e32 v27, v17
	s_waitcnt lgkmcnt(0)
	v_lshl_add_u64 v[8:9], s[2:3], 0, v[16:17]
	v_lshl_add_u64 v[8:9], v[8:9], 0, v[26:27]
	s_barrier
	s_and_saveexec_b64 s[2:3], s[26:27]
	s_cbranch_execz .LBB88_47
; %bb.46:                               ;   in Loop: Header=BB88_13 Depth=1
	global_load_ushort v10, v[8:9], off
.LBB88_47:                              ;   in Loop: Header=BB88_13 Depth=1
	s_or_b64 exec, exec, s[2:3]
	v_mov_b32_e32 v11, 0
	v_mov_b32_e32 v12, 0
	s_and_saveexec_b64 s[2:3], s[28:29]
	s_cbranch_execz .LBB88_49
; %bb.48:                               ;   in Loop: Header=BB88_13 Depth=1
	global_load_ushort v12, v[8:9], off offset:128
.LBB88_49:                              ;   in Loop: Header=BB88_13 Depth=1
	s_or_b64 exec, exec, s[2:3]
	s_and_saveexec_b64 s[2:3], s[30:31]
	s_cbranch_execz .LBB88_51
; %bb.50:                               ;   in Loop: Header=BB88_13 Depth=1
	global_load_ushort v11, v[8:9], off offset:256
.LBB88_51:                              ;   in Loop: Header=BB88_13 Depth=1
	s_or_b64 exec, exec, s[2:3]
	v_mov_b32_e32 v13, 0
	v_mov_b32_e32 v14, 0
	s_and_saveexec_b64 s[2:3], s[34:35]
	s_cbranch_execz .LBB88_53
; %bb.52:                               ;   in Loop: Header=BB88_13 Depth=1
	global_load_ushort v14, v[8:9], off offset:384
.LBB88_53:                              ;   in Loop: Header=BB88_13 Depth=1
	s_or_b64 exec, exec, s[2:3]
	s_and_saveexec_b64 s[2:3], s[36:37]
	s_cbranch_execz .LBB88_55
; %bb.54:                               ;   in Loop: Header=BB88_13 Depth=1
	global_load_ushort v13, v[8:9], off offset:512
.LBB88_55:                              ;   in Loop: Header=BB88_13 Depth=1
	;; [unrolled: 14-line block ×6, first 2 shown]
	s_or_b64 exec, exec, s[2:3]
	v_mov_b32_e32 v35, 0
	v_mov_b32_e32 v36, 0
	s_and_saveexec_b64 s[2:3], s[54:55]
	s_cbranch_execnz .LBB88_269
; %bb.72:                               ;   in Loop: Header=BB88_13 Depth=1
	s_or_b64 exec, exec, s[2:3]
	s_and_saveexec_b64 s[2:3], s[56:57]
	s_cbranch_execnz .LBB88_270
.LBB88_73:                              ;   in Loop: Header=BB88_13 Depth=1
	s_or_b64 exec, exec, s[2:3]
	v_mov_b32_e32 v37, 0
	s_and_saveexec_b64 s[2:3], s[58:59]
	s_cbranch_execz .LBB88_75
.LBB88_74:                              ;   in Loop: Header=BB88_13 Depth=1
	global_load_ushort v37, v[8:9], off offset:1920
.LBB88_75:                              ;   in Loop: Header=BB88_13 Depth=1
	s_or_b64 exec, exec, s[2:3]
	s_waitcnt vmcnt(0)
	ds_write_b16 v88, v10
	ds_write_b16 v89, v12 offset:128
	ds_write_b16 v90, v11 offset:256
	ds_write_b16 v91, v14 offset:384
	ds_write_b16 v92, v13 offset:512
	ds_write_b16 v93, v27 offset:640
	ds_write_b16 v94, v15 offset:768
	ds_write_b16 v95, v30 offset:896
	ds_write_b16 v96, v29 offset:1024
	ds_write_b16 v97, v32 offset:1152
	ds_write_b16 v98, v31 offset:1280
	ds_write_b16 v99, v34 offset:1408
	ds_write_b16 v100, v33 offset:1536
	ds_write_b16 v113, v36 offset:1664
	ds_write_b16 v115, v35 offset:1792
	ds_write_b16 v117, v37 offset:1920
	; wave barrier
	ds_read_b128 v[12:15], v119
	ds_read_b128 v[8:11], v119 offset:16
	v_readlane_b32 s2, v166, 2
	s_waitcnt lgkmcnt(1)
	v_cvt_f32_f16_e32 v27, v12
	v_add_f32_e32 v143, s2, v27
	v_readlane_b32 s2, v166, 23
	v_cmp_ge_f32_e32 vcc, s6, v143
	v_readlane_b32 s3, v166, 24
	s_and_b64 s[2:3], s[2:3], vcc
	s_and_saveexec_b64 s[4:5], s[2:3]
	s_cbranch_execz .LBB88_77
; %bb.76:                               ;   in Loop: Header=BB88_13 Depth=1
	v_mul_f32_e32 v27, 0x3fb8aa3b, v143
	v_rndne_f32_e32 v29, v27
	v_sub_f32_e32 v30, v27, v29
	v_fma_f32 v27, v143, s8, -v27
	v_fmac_f32_e32 v27, 0x32a5705f, v143
	v_add_f32_e32 v27, v30, v27
	v_cvt_i32_f32_e32 v29, v29
	v_exp_f32_e32 v27, v27
	v_cmp_ngt_f32_e32 vcc, s9, v143
	v_ldexp_f32 v27, v27, v29
	s_nop 0
	v_cndmask_b32_e32 v27, 0, v27, vcc
	v_cmp_nlt_f32_e32 vcc, s10, v143
	s_nop 1
	v_cndmask_b32_e32 v46, v140, v27, vcc
	v_add_f32_e32 v27, 1.0, v46
	v_add_f32_e32 v29, -1.0, v27
	v_sub_f32_e32 v30, v29, v27
	v_add_f32_e32 v30, 1.0, v30
	v_sub_f32_e32 v29, v46, v29
	v_add_f32_e32 v29, v29, v30
	v_frexp_mant_f32_e32 v32, v27
	v_cvt_f64_f32_e32 v[30:31], v27
	v_frexp_exp_i32_f64_e32 v30, v[30:31]
	v_cmp_gt_f32_e32 vcc, s12, v32
	v_cmp_gt_f32_e64 s[60:61], s16, v46
	s_nop 0
	v_subbrev_co_u32_e32 v38, vcc, 0, v30, vcc
	v_sub_u32_e32 v30, 0, v38
	v_ldexp_f32 v27, v27, v30
	v_ldexp_f32 v29, v29, v30
	v_add_f32_e32 v30, -1.0, v27
	v_add_f32_e32 v31, 1.0, v30
	v_sub_f32_e32 v31, v27, v31
	v_add_f32_e32 v32, v29, v31
	v_add_f32_e32 v31, 1.0, v27
	v_add_f32_e32 v33, -1.0, v31
	v_sub_f32_e32 v27, v27, v33
	v_add_f32_e32 v27, v29, v27
	v_add_f32_e32 v29, v31, v27
	v_rcp_f32_e32 v39, v29
	v_sub_f32_e32 v31, v31, v29
	v_add_f32_e32 v27, v27, v31
	v_add_f32_e32 v31, v30, v32
	v_sub_f32_e32 v30, v30, v31
	v_mul_f32_e32 v41, v31, v39
	v_add_f32_e32 v40, v32, v30
	v_mul_f32_e32 v32, v29, v41
	v_fma_f32 v34, v41, v29, -v32
	v_fmac_f32_e32 v34, v41, v27
	v_add_f32_e32 v30, v32, v34
	v_sub_f32_e32 v33, v31, v30
	v_pk_add_f32 v[36:37], v[30:31], v[32:33] neg_lo:[0,1] neg_hi:[0,1]
	v_mov_b32_e32 v35, v30
	v_pk_add_f32 v[30:31], v[36:37], v[34:35] neg_lo:[0,1] neg_hi:[0,1]
	v_cmp_eq_f32_e32 vcc, s11, v46
	v_add_f32_e32 v31, v40, v31
	v_add_f32_e32 v30, v30, v31
	;; [unrolled: 1-line block ×3, first 2 shown]
	v_mul_f32_e32 v40, v39, v31
	v_mul_f32_e32 v32, v29, v40
	v_fma_f32 v34, v40, v29, -v32
	v_fmac_f32_e32 v34, v40, v27
	v_sub_f32_e32 v27, v33, v31
	v_add_f32_e32 v27, v30, v27
	v_add_f32_e32 v30, v32, v34
	v_sub_f32_e32 v33, v31, v30
	v_pk_add_f32 v[36:37], v[30:31], v[32:33] neg_lo:[0,1] neg_hi:[0,1]
	v_mov_b32_e32 v35, v30
	v_pk_add_f32 v[30:31], v[36:37], v[34:35] neg_lo:[0,1] neg_hi:[0,1]
	s_or_b64 vcc, s[60:61], vcc
	v_add_f32_e32 v27, v27, v31
	v_add_f32_e32 v27, v30, v27
	;; [unrolled: 1-line block ×4, first 2 shown]
	v_sub_f32_e32 v29, v31, v41
	v_mul_f32_e32 v27, v39, v27
	v_sub_f32_e32 v29, v40, v29
	v_add_f32_e32 v27, v29, v27
	v_add_f32_e32 v32, v31, v27
	v_cvt_f32_i32_e32 v30, v38
	v_mul_f32_e32 v34, v32, v32
	v_fmamk_f32 v29, v34, 0x3e9b6dac, v139
	v_sub_f32_e32 v31, v32, v31
	v_fmaak_f32 v29, v34, v29, 0x3f2aaada
	v_sub_f32_e32 v27, v27, v31
	v_mul_f32_e32 v31, v32, v34
	v_pk_mul_f32 v[34:35], v[30:31], v[28:29]
	v_ldexp_f32 v33, v32, 1
	v_fma_f32 v32, v30, s13, -v34
	v_fmac_f32_e32 v32, 0xb102e308, v30
	v_pk_add_f32 v[30:31], v[34:35], v[32:33]
	v_ldexp_f32 v27, v27, 1
	v_sub_f32_e32 v29, v31, v33
	v_sub_f32_e32 v29, v35, v29
	v_add_f32_e32 v37, v27, v29
	v_mov_b32_e32 v36, v34
	v_pk_add_f32 v[34:35], v[30:31], v[34:35] neg_lo:[0,1] neg_hi:[0,1]
	v_pk_add_f32 v[38:39], v[30:31], v[36:37]
	v_mov_b32_e32 v33, v30
	v_mov_b32_e32 v35, v39
	v_pk_add_f32 v[40:41], v[32:33], v[34:35] neg_lo:[0,1] neg_hi:[0,1]
	v_pk_add_f32 v[32:33], v[32:33], v[34:35]
	v_mov_b32_e32 v36, v37
	v_mov_b32_e32 v34, v33
	v_pk_add_f32 v[42:43], v[34:35], v[30:31] neg_lo:[0,1] neg_hi:[0,1]
	v_mov_b32_e32 v32, v39
	v_mov_b32_e32 v27, v42
	v_pk_add_f32 v[44:45], v[38:39], v[26:27] neg_lo:[0,1] neg_hi:[0,1]
	v_mov_b32_e32 v38, v31
	v_mov_b32_e32 v39, v42
	;; [unrolled: 1-line block ×3, first 2 shown]
	v_pk_add_f32 v[32:33], v[32:33], v[38:39] neg_lo:[0,1] neg_hi:[0,1]
	v_mov_b32_e32 v37, v30
	v_pk_add_f32 v[30:31], v[36:37], v[32:33] neg_lo:[0,1] neg_hi:[0,1]
	v_mov_b32_e32 v44, v40
	v_pk_add_f32 v[32:33], v[44:45], v[30:31]
	s_nop 0
	v_mov_b32_e32 v36, v33
	v_pk_add_f32 v[36:37], v[32:33], v[36:37]
	s_nop 0
	v_pk_add_f32 v[34:35], v[34:35], v[36:37]
	v_mov_b32_e32 v31, v36
	v_mov_b32_e32 v33, v34
	v_pk_add_f32 v[38:39], v[32:33], v[40:41] neg_lo:[0,1] neg_hi:[0,1]
	s_nop 0
	v_sub_f32_e32 v27, v32, v38
	v_pk_add_f32 v[30:31], v[30:31], v[38:39] neg_lo:[0,1] neg_hi:[0,1]
	v_sub_f32_e32 v27, v40, v27
	v_add_f32_e32 v27, v30, v27
	v_add_f32_e32 v27, v27, v31
	;; [unrolled: 1-line block ×3, first 2 shown]
	v_cndmask_b32_e32 v143, v27, v46, vcc
.LBB88_77:                              ;   in Loop: Header=BB88_13 Depth=1
	s_or_b64 exec, exec, s[4:5]
	v_cvt_f32_f16_sdwa v12, v12 dst_sel:DWORD dst_unused:UNUSED_PAD src0_sel:WORD_1
	v_readlane_b32 s2, v166, 2
	s_nop 1
	v_add_f32_e32 v144, s2, v12
	v_readlane_b32 s2, v166, 23
	v_cmp_ge_f32_e32 vcc, s6, v144
	v_readlane_b32 s3, v166, 24
	s_and_b64 s[2:3], s[2:3], vcc
	s_and_saveexec_b64 s[4:5], s[2:3]
	s_cbranch_execz .LBB88_79
; %bb.78:                               ;   in Loop: Header=BB88_13 Depth=1
	v_mul_f32_e32 v12, 0x3fb8aa3b, v144
	v_rndne_f32_e32 v27, v12
	v_sub_f32_e32 v29, v12, v27
	v_fma_f32 v12, v144, s8, -v12
	v_fmac_f32_e32 v12, 0x32a5705f, v144
	v_add_f32_e32 v12, v29, v12
	v_cvt_i32_f32_e32 v27, v27
	v_exp_f32_e32 v12, v12
	v_cmp_ngt_f32_e32 vcc, s9, v144
	v_ldexp_f32 v12, v12, v27
	s_nop 0
	v_cndmask_b32_e32 v12, 0, v12, vcc
	v_cmp_nlt_f32_e32 vcc, s10, v144
	s_nop 1
	v_cndmask_b32_e32 v44, v140, v12, vcc
	v_add_f32_e32 v12, 1.0, v44
	v_add_f32_e32 v27, -1.0, v12
	v_sub_f32_e32 v29, v27, v12
	v_add_f32_e32 v29, 1.0, v29
	v_sub_f32_e32 v27, v44, v27
	v_add_f32_e32 v27, v27, v29
	v_frexp_mant_f32_e32 v29, v12
	v_cvt_f64_f32_e32 v[30:31], v12
	v_frexp_exp_i32_f64_e32 v30, v[30:31]
	v_cmp_gt_f32_e32 vcc, s12, v29
	v_cmp_gt_f32_e64 s[60:61], s16, v44
	s_nop 0
	v_subbrev_co_u32_e32 v38, vcc, 0, v30, vcc
	v_sub_u32_e32 v29, 0, v38
	v_ldexp_f32 v12, v12, v29
	v_ldexp_f32 v27, v27, v29
	v_add_f32_e32 v29, -1.0, v12
	v_add_f32_e32 v31, 1.0, v12
	v_add_f32_e32 v30, 1.0, v29
	v_add_f32_e32 v32, -1.0, v31
	v_sub_f32_e32 v30, v12, v30
	v_sub_f32_e32 v12, v12, v32
	v_add_f32_e32 v12, v27, v12
	v_add_f32_e32 v30, v27, v30
	;; [unrolled: 1-line block ×3, first 2 shown]
	v_rcp_f32_e32 v39, v27
	v_sub_f32_e32 v31, v31, v27
	v_add_f32_e32 v12, v12, v31
	v_add_f32_e32 v31, v29, v30
	v_mul_f32_e32 v40, v31, v39
	v_mul_f32_e32 v32, v27, v40
	v_fma_f32 v34, v40, v27, -v32
	v_sub_f32_e32 v29, v29, v31
	v_fmac_f32_e32 v34, v40, v12
	v_add_f32_e32 v29, v30, v29
	v_add_f32_e32 v30, v32, v34
	v_sub_f32_e32 v33, v31, v30
	v_pk_add_f32 v[36:37], v[30:31], v[32:33] neg_lo:[0,1] neg_hi:[0,1]
	v_mov_b32_e32 v35, v30
	v_pk_add_f32 v[30:31], v[36:37], v[34:35] neg_lo:[0,1] neg_hi:[0,1]
	v_cmp_eq_f32_e32 vcc, s11, v44
	v_add_f32_e32 v29, v29, v31
	v_add_f32_e32 v29, v30, v29
	v_add_f32_e32 v31, v33, v29
	v_mul_f32_e32 v41, v39, v31
	v_mul_f32_e32 v32, v27, v41
	v_fma_f32 v34, v41, v27, -v32
	v_fmac_f32_e32 v34, v41, v12
	v_add_f32_e32 v30, v32, v34
	v_sub_f32_e32 v12, v33, v31
	v_sub_f32_e32 v33, v31, v30
	v_pk_add_f32 v[36:37], v[30:31], v[32:33] neg_lo:[0,1] neg_hi:[0,1]
	v_mov_b32_e32 v35, v30
	v_add_f32_e32 v12, v29, v12
	v_pk_add_f32 v[30:31], v[36:37], v[34:35] neg_lo:[0,1] neg_hi:[0,1]
	v_add_f32_e32 v27, v40, v41
	v_add_f32_e32 v12, v12, v31
	;; [unrolled: 1-line block ×4, first 2 shown]
	v_sub_f32_e32 v29, v27, v40
	v_mul_f32_e32 v12, v39, v12
	v_sub_f32_e32 v29, v41, v29
	v_add_f32_e32 v12, v29, v12
	v_add_f32_e32 v31, v27, v12
	v_cvt_f32_i32_e32 v30, v38
	v_mul_f32_e32 v32, v31, v31
	v_fmamk_f32 v29, v32, 0x3e9b6dac, v139
	v_fmaak_f32 v29, v32, v29, 0x3f2aaada
	v_sub_f32_e32 v27, v31, v27
	v_ldexp_f32 v33, v31, 1
	v_mul_f32_e32 v31, v31, v32
	v_pk_mul_f32 v[34:35], v[30:31], v[28:29]
	v_sub_f32_e32 v12, v12, v27
	v_fma_f32 v32, v30, s13, -v34
	v_fmac_f32_e32 v32, 0xb102e308, v30
	v_pk_add_f32 v[30:31], v[34:35], v[32:33]
	v_ldexp_f32 v12, v12, 1
	v_sub_f32_e32 v27, v31, v33
	v_sub_f32_e32 v27, v35, v27
	v_add_f32_e32 v37, v12, v27
	v_mov_b32_e32 v36, v34
	v_pk_add_f32 v[34:35], v[30:31], v[34:35] neg_lo:[0,1] neg_hi:[0,1]
	v_pk_add_f32 v[38:39], v[30:31], v[36:37]
	v_mov_b32_e32 v33, v30
	v_mov_b32_e32 v35, v39
	v_pk_add_f32 v[40:41], v[32:33], v[34:35] neg_lo:[0,1] neg_hi:[0,1]
	v_pk_add_f32 v[32:33], v[32:33], v[34:35]
	s_or_b64 vcc, s[60:61], vcc
	v_mov_b32_e32 v12, v33
	v_pk_add_f32 v[34:35], v[12:13], v[30:31] neg_lo:[0,1] neg_hi:[0,1]
	v_mov_b32_e32 v32, v39
	v_mov_b32_e32 v27, v34
	v_pk_add_f32 v[42:43], v[38:39], v[26:27] neg_lo:[0,1] neg_hi:[0,1]
	v_mov_b32_e32 v38, v31
	v_mov_b32_e32 v39, v34
	v_mov_b32_e32 v41, v33
	v_pk_add_f32 v[32:33], v[32:33], v[38:39] neg_lo:[0,1] neg_hi:[0,1]
	v_mov_b32_e32 v34, v37
	v_mov_b32_e32 v35, v30
	v_pk_add_f32 v[30:31], v[34:35], v[32:33] neg_lo:[0,1] neg_hi:[0,1]
	v_mov_b32_e32 v42, v40
	v_pk_add_f32 v[32:33], v[42:43], v[30:31]
	s_nop 0
	v_mov_b32_e32 v34, v33
	v_pk_add_f32 v[34:35], v[32:33], v[34:35]
	s_nop 0
	v_pk_add_f32 v[36:37], v[12:13], v[34:35]
	v_mov_b32_e32 v31, v34
	v_mov_b32_e32 v33, v36
	v_pk_add_f32 v[38:39], v[32:33], v[40:41] neg_lo:[0,1] neg_hi:[0,1]
	s_nop 0
	v_sub_f32_e32 v12, v32, v38
	v_pk_add_f32 v[30:31], v[30:31], v[38:39] neg_lo:[0,1] neg_hi:[0,1]
	v_sub_f32_e32 v12, v40, v12
	v_add_f32_e32 v12, v30, v12
	v_add_f32_e32 v12, v12, v31
	;; [unrolled: 1-line block ×3, first 2 shown]
	v_cndmask_b32_e32 v144, v12, v44, vcc
.LBB88_79:                              ;   in Loop: Header=BB88_13 Depth=1
	s_or_b64 exec, exec, s[4:5]
	v_cvt_f32_f16_e32 v12, v13
	v_readlane_b32 s2, v166, 2
	s_nop 1
	v_add_f32_e32 v145, s2, v12
	v_readlane_b32 s2, v166, 23
	v_cmp_ge_f32_e32 vcc, s6, v145
	v_readlane_b32 s3, v166, 24
	s_and_b64 s[2:3], s[2:3], vcc
	s_and_saveexec_b64 s[4:5], s[2:3]
	s_cbranch_execz .LBB88_81
; %bb.80:                               ;   in Loop: Header=BB88_13 Depth=1
	v_mul_f32_e32 v12, 0x3fb8aa3b, v145
	v_rndne_f32_e32 v27, v12
	v_sub_f32_e32 v29, v12, v27
	v_fma_f32 v12, v145, s8, -v12
	v_fmac_f32_e32 v12, 0x32a5705f, v145
	v_add_f32_e32 v12, v29, v12
	v_cvt_i32_f32_e32 v27, v27
	v_exp_f32_e32 v12, v12
	v_cmp_ngt_f32_e32 vcc, s9, v145
	v_ldexp_f32 v12, v12, v27
	s_nop 0
	v_cndmask_b32_e32 v12, 0, v12, vcc
	v_cmp_nlt_f32_e32 vcc, s10, v145
	s_nop 1
	v_cndmask_b32_e32 v44, v140, v12, vcc
	v_add_f32_e32 v12, 1.0, v44
	v_add_f32_e32 v27, -1.0, v12
	v_sub_f32_e32 v29, v27, v12
	v_add_f32_e32 v29, 1.0, v29
	v_sub_f32_e32 v27, v44, v27
	v_add_f32_e32 v27, v27, v29
	v_frexp_mant_f32_e32 v29, v12
	v_cvt_f64_f32_e32 v[30:31], v12
	v_frexp_exp_i32_f64_e32 v30, v[30:31]
	v_cmp_gt_f32_e32 vcc, s12, v29
	v_cmp_gt_f32_e64 s[60:61], s16, v44
	s_nop 0
	v_subbrev_co_u32_e32 v38, vcc, 0, v30, vcc
	v_sub_u32_e32 v29, 0, v38
	v_ldexp_f32 v12, v12, v29
	v_ldexp_f32 v27, v27, v29
	v_add_f32_e32 v29, -1.0, v12
	v_add_f32_e32 v31, 1.0, v12
	v_add_f32_e32 v30, 1.0, v29
	v_add_f32_e32 v32, -1.0, v31
	v_sub_f32_e32 v30, v12, v30
	v_sub_f32_e32 v12, v12, v32
	v_add_f32_e32 v12, v27, v12
	v_add_f32_e32 v30, v27, v30
	;; [unrolled: 1-line block ×3, first 2 shown]
	v_rcp_f32_e32 v39, v27
	v_sub_f32_e32 v31, v31, v27
	v_add_f32_e32 v12, v12, v31
	v_add_f32_e32 v31, v29, v30
	v_mul_f32_e32 v40, v31, v39
	v_mul_f32_e32 v32, v27, v40
	v_fma_f32 v34, v40, v27, -v32
	v_sub_f32_e32 v29, v29, v31
	v_fmac_f32_e32 v34, v40, v12
	v_add_f32_e32 v29, v30, v29
	v_add_f32_e32 v30, v32, v34
	v_sub_f32_e32 v33, v31, v30
	v_pk_add_f32 v[36:37], v[30:31], v[32:33] neg_lo:[0,1] neg_hi:[0,1]
	v_mov_b32_e32 v35, v30
	v_pk_add_f32 v[30:31], v[36:37], v[34:35] neg_lo:[0,1] neg_hi:[0,1]
	v_cmp_eq_f32_e32 vcc, s11, v44
	v_add_f32_e32 v29, v29, v31
	v_add_f32_e32 v29, v30, v29
	;; [unrolled: 1-line block ×3, first 2 shown]
	v_mul_f32_e32 v41, v39, v31
	v_mul_f32_e32 v32, v27, v41
	v_fma_f32 v34, v41, v27, -v32
	v_fmac_f32_e32 v34, v41, v12
	v_add_f32_e32 v30, v32, v34
	v_sub_f32_e32 v12, v33, v31
	v_sub_f32_e32 v33, v31, v30
	v_pk_add_f32 v[36:37], v[30:31], v[32:33] neg_lo:[0,1] neg_hi:[0,1]
	v_mov_b32_e32 v35, v30
	v_add_f32_e32 v12, v29, v12
	v_pk_add_f32 v[30:31], v[36:37], v[34:35] neg_lo:[0,1] neg_hi:[0,1]
	v_add_f32_e32 v27, v40, v41
	v_add_f32_e32 v12, v12, v31
	;; [unrolled: 1-line block ×4, first 2 shown]
	v_sub_f32_e32 v29, v27, v40
	v_mul_f32_e32 v12, v39, v12
	v_sub_f32_e32 v29, v41, v29
	v_add_f32_e32 v12, v29, v12
	v_add_f32_e32 v31, v27, v12
	v_cvt_f32_i32_e32 v30, v38
	v_mul_f32_e32 v32, v31, v31
	v_fmamk_f32 v29, v32, 0x3e9b6dac, v139
	v_fmaak_f32 v29, v32, v29, 0x3f2aaada
	v_sub_f32_e32 v27, v31, v27
	v_ldexp_f32 v33, v31, 1
	v_mul_f32_e32 v31, v31, v32
	v_pk_mul_f32 v[34:35], v[30:31], v[28:29]
	v_sub_f32_e32 v12, v12, v27
	v_fma_f32 v32, v30, s13, -v34
	v_fmac_f32_e32 v32, 0xb102e308, v30
	v_pk_add_f32 v[30:31], v[34:35], v[32:33]
	v_ldexp_f32 v12, v12, 1
	v_sub_f32_e32 v27, v31, v33
	v_sub_f32_e32 v27, v35, v27
	v_add_f32_e32 v37, v12, v27
	v_mov_b32_e32 v36, v34
	v_pk_add_f32 v[34:35], v[30:31], v[34:35] neg_lo:[0,1] neg_hi:[0,1]
	v_pk_add_f32 v[38:39], v[30:31], v[36:37]
	v_mov_b32_e32 v33, v30
	v_mov_b32_e32 v35, v39
	v_pk_add_f32 v[40:41], v[32:33], v[34:35] neg_lo:[0,1] neg_hi:[0,1]
	v_pk_add_f32 v[32:33], v[32:33], v[34:35]
	s_or_b64 vcc, s[60:61], vcc
	v_mov_b32_e32 v12, v33
	v_pk_add_f32 v[34:35], v[12:13], v[30:31] neg_lo:[0,1] neg_hi:[0,1]
	v_mov_b32_e32 v32, v39
	v_mov_b32_e32 v27, v34
	v_pk_add_f32 v[42:43], v[38:39], v[26:27] neg_lo:[0,1] neg_hi:[0,1]
	v_mov_b32_e32 v38, v31
	v_mov_b32_e32 v39, v34
	;; [unrolled: 1-line block ×3, first 2 shown]
	v_pk_add_f32 v[32:33], v[32:33], v[38:39] neg_lo:[0,1] neg_hi:[0,1]
	v_mov_b32_e32 v34, v37
	v_mov_b32_e32 v35, v30
	v_pk_add_f32 v[30:31], v[34:35], v[32:33] neg_lo:[0,1] neg_hi:[0,1]
	v_mov_b32_e32 v42, v40
	v_pk_add_f32 v[32:33], v[42:43], v[30:31]
	s_nop 0
	v_mov_b32_e32 v34, v33
	v_pk_add_f32 v[34:35], v[32:33], v[34:35]
	s_nop 0
	v_pk_add_f32 v[36:37], v[12:13], v[34:35]
	v_mov_b32_e32 v31, v34
	v_mov_b32_e32 v33, v36
	v_pk_add_f32 v[38:39], v[32:33], v[40:41] neg_lo:[0,1] neg_hi:[0,1]
	s_nop 0
	v_sub_f32_e32 v12, v32, v38
	v_pk_add_f32 v[30:31], v[30:31], v[38:39] neg_lo:[0,1] neg_hi:[0,1]
	v_sub_f32_e32 v12, v40, v12
	v_add_f32_e32 v12, v30, v12
	v_add_f32_e32 v12, v12, v31
	;; [unrolled: 1-line block ×3, first 2 shown]
	v_cndmask_b32_e32 v145, v12, v44, vcc
.LBB88_81:                              ;   in Loop: Header=BB88_13 Depth=1
	s_or_b64 exec, exec, s[4:5]
	v_cvt_f32_f16_sdwa v12, v13 dst_sel:DWORD dst_unused:UNUSED_PAD src0_sel:WORD_1
	v_readlane_b32 s2, v166, 2
	s_nop 1
	v_add_f32_e32 v146, s2, v12
	v_readlane_b32 s2, v166, 23
	v_cmp_ge_f32_e32 vcc, s6, v146
	v_readlane_b32 s3, v166, 24
	s_and_b64 s[2:3], s[2:3], vcc
	s_and_saveexec_b64 s[4:5], s[2:3]
	s_cbranch_execz .LBB88_83
; %bb.82:                               ;   in Loop: Header=BB88_13 Depth=1
	v_mul_f32_e32 v12, 0x3fb8aa3b, v146
	v_rndne_f32_e32 v13, v12
	v_sub_f32_e32 v27, v12, v13
	v_fma_f32 v12, v146, s8, -v12
	v_fmac_f32_e32 v12, 0x32a5705f, v146
	v_add_f32_e32 v12, v27, v12
	v_cvt_i32_f32_e32 v13, v13
	v_exp_f32_e32 v12, v12
	v_cmp_ngt_f32_e32 vcc, s9, v146
	v_ldexp_f32 v12, v12, v13
	s_nop 0
	v_cndmask_b32_e32 v12, 0, v12, vcc
	v_cmp_nlt_f32_e32 vcc, s10, v146
	s_nop 1
	v_cndmask_b32_e32 v44, v140, v12, vcc
	v_add_f32_e32 v27, 1.0, v44
	v_add_f32_e32 v12, -1.0, v27
	v_sub_f32_e32 v13, v12, v27
	v_add_f32_e32 v13, 1.0, v13
	v_sub_f32_e32 v12, v44, v12
	v_add_f32_e32 v29, v12, v13
	v_frexp_mant_f32_e32 v30, v27
	v_cvt_f64_f32_e32 v[12:13], v27
	v_frexp_exp_i32_f64_e32 v12, v[12:13]
	v_cmp_gt_f32_e32 vcc, s12, v30
	v_cmp_gt_f32_e64 s[60:61], s16, v44
	s_nop 0
	v_subbrev_co_u32_e32 v36, vcc, 0, v12, vcc
	v_sub_u32_e32 v12, 0, v36
	v_ldexp_f32 v13, v27, v12
	v_add_f32_e32 v27, -1.0, v13
	v_add_f32_e32 v30, 1.0, v13
	v_ldexp_f32 v12, v29, v12
	v_add_f32_e32 v29, 1.0, v27
	v_add_f32_e32 v31, -1.0, v30
	v_sub_f32_e32 v29, v13, v29
	v_sub_f32_e32 v13, v13, v31
	v_add_f32_e32 v29, v12, v29
	v_add_f32_e32 v12, v12, v13
	;; [unrolled: 1-line block ×3, first 2 shown]
	v_rcp_f32_e32 v39, v37
	v_sub_f32_e32 v13, v30, v37
	v_add_f32_e32 v38, v12, v13
	v_add_f32_e32 v13, v27, v29
	v_sub_f32_e32 v12, v27, v13
	v_add_f32_e32 v27, v29, v12
	v_mul_f32_e32 v29, v13, v39
	v_mul_f32_e32 v30, v37, v29
	v_fma_f32 v32, v29, v37, -v30
	v_fmac_f32_e32 v32, v29, v38
	v_add_f32_e32 v12, v30, v32
	v_sub_f32_e32 v31, v13, v12
	v_pk_add_f32 v[34:35], v[12:13], v[30:31] neg_lo:[0,1] neg_hi:[0,1]
	v_mov_b32_e32 v33, v12
	v_pk_add_f32 v[12:13], v[34:35], v[32:33] neg_lo:[0,1] neg_hi:[0,1]
	v_cmp_eq_f32_e32 vcc, s11, v44
	v_add_f32_e32 v13, v27, v13
	v_add_f32_e32 v12, v12, v13
	;; [unrolled: 1-line block ×3, first 2 shown]
	v_mul_f32_e32 v27, v39, v13
	v_mul_f32_e32 v30, v37, v27
	v_fma_f32 v32, v27, v37, -v30
	v_fmac_f32_e32 v32, v27, v38
	v_sub_f32_e32 v31, v31, v13
	v_add_f32_e32 v37, v12, v31
	v_add_f32_e32 v12, v30, v32
	v_sub_f32_e32 v31, v13, v12
	v_pk_add_f32 v[34:35], v[12:13], v[30:31] neg_lo:[0,1] neg_hi:[0,1]
	v_mov_b32_e32 v33, v12
	v_pk_add_f32 v[12:13], v[34:35], v[32:33] neg_lo:[0,1] neg_hi:[0,1]
	s_or_b64 vcc, s[60:61], vcc
	v_add_f32_e32 v13, v37, v13
	v_add_f32_e32 v12, v12, v13
	;; [unrolled: 1-line block ×4, first 2 shown]
	v_sub_f32_e32 v29, v13, v29
	v_mul_f32_e32 v12, v39, v12
	v_sub_f32_e32 v27, v27, v29
	v_add_f32_e32 v27, v27, v12
	v_add_f32_e32 v30, v13, v27
	v_mul_f32_e32 v32, v30, v30
	v_fmamk_f32 v12, v32, 0x3e9b6dac, v139
	v_fmaak_f32 v29, v32, v12, 0x3f2aaada
	v_cvt_f32_i32_e32 v12, v36
	v_sub_f32_e32 v13, v30, v13
	v_sub_f32_e32 v13, v27, v13
	v_ldexp_f32 v27, v13, 1
	v_mul_f32_e32 v13, v30, v32
	v_pk_mul_f32 v[32:33], v[12:13], v[28:29]
	v_ldexp_f32 v31, v30, 1
	v_fma_f32 v30, v12, s13, -v32
	v_fmac_f32_e32 v30, 0xb102e308, v12
	v_pk_add_f32 v[12:13], v[32:33], v[30:31]
	v_mov_b32_e32 v34, v32
	v_sub_f32_e32 v29, v13, v31
	v_sub_f32_e32 v29, v33, v29
	v_add_f32_e32 v35, v27, v29
	v_pk_add_f32 v[32:33], v[12:13], v[32:33] neg_lo:[0,1] neg_hi:[0,1]
	v_pk_add_f32 v[36:37], v[12:13], v[34:35]
	v_mov_b32_e32 v31, v12
	v_mov_b32_e32 v33, v37
	v_pk_add_f32 v[38:39], v[30:31], v[32:33] neg_lo:[0,1] neg_hi:[0,1]
	v_pk_add_f32 v[30:31], v[30:31], v[32:33]
	v_mov_b32_e32 v34, v35
	v_mov_b32_e32 v32, v31
	v_pk_add_f32 v[40:41], v[32:33], v[12:13] neg_lo:[0,1] neg_hi:[0,1]
	v_mov_b32_e32 v30, v37
	v_mov_b32_e32 v27, v40
	v_pk_add_f32 v[42:43], v[36:37], v[26:27] neg_lo:[0,1] neg_hi:[0,1]
	v_mov_b32_e32 v36, v13
	v_mov_b32_e32 v37, v40
	;; [unrolled: 1-line block ×3, first 2 shown]
	v_pk_add_f32 v[30:31], v[30:31], v[36:37] neg_lo:[0,1] neg_hi:[0,1]
	v_mov_b32_e32 v35, v12
	v_pk_add_f32 v[12:13], v[34:35], v[30:31] neg_lo:[0,1] neg_hi:[0,1]
	v_mov_b32_e32 v42, v38
	v_pk_add_f32 v[30:31], v[42:43], v[12:13]
	s_nop 0
	v_mov_b32_e32 v34, v31
	v_pk_add_f32 v[34:35], v[30:31], v[34:35]
	s_nop 0
	v_pk_add_f32 v[32:33], v[32:33], v[34:35]
	v_mov_b32_e32 v13, v34
	v_mov_b32_e32 v31, v32
	v_pk_add_f32 v[36:37], v[30:31], v[38:39] neg_lo:[0,1] neg_hi:[0,1]
	s_nop 0
	v_sub_f32_e32 v27, v30, v36
	v_pk_add_f32 v[12:13], v[12:13], v[36:37] neg_lo:[0,1] neg_hi:[0,1]
	v_sub_f32_e32 v27, v38, v27
	v_add_f32_e32 v12, v12, v27
	v_add_f32_e32 v12, v12, v13
	;; [unrolled: 1-line block ×3, first 2 shown]
	v_cndmask_b32_e32 v146, v12, v44, vcc
.LBB88_83:                              ;   in Loop: Header=BB88_13 Depth=1
	s_or_b64 exec, exec, s[4:5]
	v_cvt_f32_f16_e32 v12, v14
	v_readlane_b32 s2, v166, 2
	s_nop 1
	v_add_f32_e32 v147, s2, v12
	v_readlane_b32 s2, v166, 23
	v_cmp_ge_f32_e32 vcc, s6, v147
	v_readlane_b32 s3, v166, 24
	s_and_b64 s[2:3], s[2:3], vcc
	s_and_saveexec_b64 s[4:5], s[2:3]
	s_cbranch_execz .LBB88_85
; %bb.84:                               ;   in Loop: Header=BB88_13 Depth=1
	v_mul_f32_e32 v12, 0x3fb8aa3b, v147
	v_rndne_f32_e32 v13, v12
	v_sub_f32_e32 v27, v12, v13
	v_fma_f32 v12, v147, s8, -v12
	v_fmac_f32_e32 v12, 0x32a5705f, v147
	v_add_f32_e32 v12, v27, v12
	v_cvt_i32_f32_e32 v13, v13
	v_exp_f32_e32 v12, v12
	v_cmp_ngt_f32_e32 vcc, s9, v147
	v_ldexp_f32 v12, v12, v13
	s_nop 0
	v_cndmask_b32_e32 v12, 0, v12, vcc
	v_cmp_nlt_f32_e32 vcc, s10, v147
	s_nop 1
	v_cndmask_b32_e32 v44, v140, v12, vcc
	v_add_f32_e32 v27, 1.0, v44
	v_add_f32_e32 v12, -1.0, v27
	v_sub_f32_e32 v13, v12, v27
	v_add_f32_e32 v13, 1.0, v13
	v_sub_f32_e32 v12, v44, v12
	v_add_f32_e32 v29, v12, v13
	v_frexp_mant_f32_e32 v30, v27
	v_cvt_f64_f32_e32 v[12:13], v27
	v_frexp_exp_i32_f64_e32 v12, v[12:13]
	v_cmp_gt_f32_e32 vcc, s12, v30
	v_cmp_gt_f32_e64 s[60:61], s16, v44
	s_nop 0
	v_subbrev_co_u32_e32 v36, vcc, 0, v12, vcc
	v_sub_u32_e32 v12, 0, v36
	v_ldexp_f32 v13, v27, v12
	v_add_f32_e32 v27, -1.0, v13
	v_add_f32_e32 v30, 1.0, v13
	v_ldexp_f32 v12, v29, v12
	v_add_f32_e32 v29, 1.0, v27
	v_add_f32_e32 v31, -1.0, v30
	v_sub_f32_e32 v29, v13, v29
	v_sub_f32_e32 v13, v13, v31
	v_add_f32_e32 v29, v12, v29
	v_add_f32_e32 v12, v12, v13
	;; [unrolled: 1-line block ×3, first 2 shown]
	v_rcp_f32_e32 v39, v37
	v_sub_f32_e32 v13, v30, v37
	v_add_f32_e32 v38, v12, v13
	v_add_f32_e32 v13, v27, v29
	v_sub_f32_e32 v12, v27, v13
	v_add_f32_e32 v27, v29, v12
	v_mul_f32_e32 v29, v13, v39
	v_mul_f32_e32 v30, v37, v29
	v_fma_f32 v32, v29, v37, -v30
	v_fmac_f32_e32 v32, v29, v38
	v_add_f32_e32 v12, v30, v32
	v_sub_f32_e32 v31, v13, v12
	v_pk_add_f32 v[34:35], v[12:13], v[30:31] neg_lo:[0,1] neg_hi:[0,1]
	v_mov_b32_e32 v33, v12
	v_pk_add_f32 v[12:13], v[34:35], v[32:33] neg_lo:[0,1] neg_hi:[0,1]
	v_cmp_eq_f32_e32 vcc, s11, v44
	v_add_f32_e32 v13, v27, v13
	v_add_f32_e32 v12, v12, v13
	;; [unrolled: 1-line block ×3, first 2 shown]
	v_mul_f32_e32 v27, v39, v13
	v_mul_f32_e32 v30, v37, v27
	v_fma_f32 v32, v27, v37, -v30
	v_fmac_f32_e32 v32, v27, v38
	v_sub_f32_e32 v31, v31, v13
	v_add_f32_e32 v37, v12, v31
	v_add_f32_e32 v12, v30, v32
	v_sub_f32_e32 v31, v13, v12
	v_pk_add_f32 v[34:35], v[12:13], v[30:31] neg_lo:[0,1] neg_hi:[0,1]
	v_mov_b32_e32 v33, v12
	v_pk_add_f32 v[12:13], v[34:35], v[32:33] neg_lo:[0,1] neg_hi:[0,1]
	s_or_b64 vcc, s[60:61], vcc
	v_add_f32_e32 v13, v37, v13
	v_add_f32_e32 v12, v12, v13
	;; [unrolled: 1-line block ×4, first 2 shown]
	v_sub_f32_e32 v29, v13, v29
	v_mul_f32_e32 v12, v39, v12
	v_sub_f32_e32 v27, v27, v29
	v_add_f32_e32 v27, v27, v12
	v_add_f32_e32 v30, v13, v27
	v_mul_f32_e32 v32, v30, v30
	v_fmamk_f32 v12, v32, 0x3e9b6dac, v139
	v_fmaak_f32 v29, v32, v12, 0x3f2aaada
	v_cvt_f32_i32_e32 v12, v36
	v_sub_f32_e32 v13, v30, v13
	v_sub_f32_e32 v13, v27, v13
	v_ldexp_f32 v27, v13, 1
	v_mul_f32_e32 v13, v30, v32
	v_pk_mul_f32 v[32:33], v[12:13], v[28:29]
	v_ldexp_f32 v31, v30, 1
	v_fma_f32 v30, v12, s13, -v32
	v_fmac_f32_e32 v30, 0xb102e308, v12
	v_pk_add_f32 v[12:13], v[32:33], v[30:31]
	v_mov_b32_e32 v34, v32
	v_sub_f32_e32 v29, v13, v31
	v_sub_f32_e32 v29, v33, v29
	v_add_f32_e32 v35, v27, v29
	v_pk_add_f32 v[32:33], v[12:13], v[32:33] neg_lo:[0,1] neg_hi:[0,1]
	v_pk_add_f32 v[36:37], v[12:13], v[34:35]
	v_mov_b32_e32 v31, v12
	v_mov_b32_e32 v33, v37
	v_pk_add_f32 v[38:39], v[30:31], v[32:33] neg_lo:[0,1] neg_hi:[0,1]
	v_pk_add_f32 v[30:31], v[30:31], v[32:33]
	v_mov_b32_e32 v34, v35
	v_mov_b32_e32 v32, v31
	v_pk_add_f32 v[40:41], v[32:33], v[12:13] neg_lo:[0,1] neg_hi:[0,1]
	v_mov_b32_e32 v30, v37
	v_mov_b32_e32 v27, v40
	v_pk_add_f32 v[42:43], v[36:37], v[26:27] neg_lo:[0,1] neg_hi:[0,1]
	v_mov_b32_e32 v36, v13
	v_mov_b32_e32 v37, v40
	;; [unrolled: 1-line block ×3, first 2 shown]
	v_pk_add_f32 v[30:31], v[30:31], v[36:37] neg_lo:[0,1] neg_hi:[0,1]
	v_mov_b32_e32 v35, v12
	v_pk_add_f32 v[12:13], v[34:35], v[30:31] neg_lo:[0,1] neg_hi:[0,1]
	v_mov_b32_e32 v42, v38
	v_pk_add_f32 v[30:31], v[42:43], v[12:13]
	s_nop 0
	v_mov_b32_e32 v34, v31
	v_pk_add_f32 v[34:35], v[30:31], v[34:35]
	s_nop 0
	v_pk_add_f32 v[32:33], v[32:33], v[34:35]
	v_mov_b32_e32 v13, v34
	v_mov_b32_e32 v31, v32
	v_pk_add_f32 v[36:37], v[30:31], v[38:39] neg_lo:[0,1] neg_hi:[0,1]
	s_nop 0
	v_sub_f32_e32 v27, v30, v36
	v_pk_add_f32 v[12:13], v[12:13], v[36:37] neg_lo:[0,1] neg_hi:[0,1]
	v_sub_f32_e32 v27, v38, v27
	v_add_f32_e32 v12, v12, v27
	v_add_f32_e32 v12, v12, v13
	v_add_f32_e32 v12, v32, v12
	v_cndmask_b32_e32 v147, v12, v44, vcc
.LBB88_85:                              ;   in Loop: Header=BB88_13 Depth=1
	s_or_b64 exec, exec, s[4:5]
	v_cvt_f32_f16_sdwa v12, v14 dst_sel:DWORD dst_unused:UNUSED_PAD src0_sel:WORD_1
	v_readlane_b32 s2, v166, 2
	s_nop 1
	v_add_f32_e32 v148, s2, v12
	v_readlane_b32 s2, v166, 23
	v_cmp_ge_f32_e32 vcc, s6, v148
	v_readlane_b32 s3, v166, 24
	s_and_b64 s[2:3], s[2:3], vcc
	s_and_saveexec_b64 s[4:5], s[2:3]
	s_cbranch_execz .LBB88_87
; %bb.86:                               ;   in Loop: Header=BB88_13 Depth=1
	v_mul_f32_e32 v12, 0x3fb8aa3b, v148
	v_rndne_f32_e32 v13, v12
	v_sub_f32_e32 v14, v12, v13
	v_fma_f32 v12, v148, s8, -v12
	v_fmac_f32_e32 v12, 0x32a5705f, v148
	v_add_f32_e32 v12, v14, v12
	v_cvt_i32_f32_e32 v13, v13
	v_exp_f32_e32 v12, v12
	v_cmp_ngt_f32_e32 vcc, s9, v148
	v_ldexp_f32 v12, v12, v13
	s_nop 0
	v_cndmask_b32_e32 v12, 0, v12, vcc
	v_cmp_nlt_f32_e32 vcc, s10, v148
	s_nop 1
	v_cndmask_b32_e32 v42, v140, v12, vcc
	v_add_f32_e32 v14, 1.0, v42
	v_add_f32_e32 v12, -1.0, v14
	v_sub_f32_e32 v13, v12, v14
	v_add_f32_e32 v13, 1.0, v13
	v_sub_f32_e32 v12, v42, v12
	v_add_f32_e32 v27, v12, v13
	v_frexp_mant_f32_e32 v29, v14
	v_cvt_f64_f32_e32 v[12:13], v14
	v_frexp_exp_i32_f64_e32 v12, v[12:13]
	v_cmp_gt_f32_e32 vcc, s12, v29
	v_cmp_gt_f32_e64 s[60:61], s16, v42
	s_nop 0
	v_subbrev_co_u32_e32 v36, vcc, 0, v12, vcc
	v_sub_u32_e32 v12, 0, v36
	v_ldexp_f32 v13, v14, v12
	v_add_f32_e32 v14, -1.0, v13
	v_add_f32_e32 v29, 1.0, v13
	v_ldexp_f32 v12, v27, v12
	v_add_f32_e32 v27, 1.0, v14
	v_add_f32_e32 v30, -1.0, v29
	v_sub_f32_e32 v27, v13, v27
	v_sub_f32_e32 v13, v13, v30
	v_add_f32_e32 v27, v12, v27
	v_add_f32_e32 v12, v12, v13
	;; [unrolled: 1-line block ×3, first 2 shown]
	v_rcp_f32_e32 v38, v37
	v_sub_f32_e32 v13, v29, v37
	v_add_f32_e32 v29, v12, v13
	v_add_f32_e32 v13, v14, v27
	v_sub_f32_e32 v12, v14, v13
	v_add_f32_e32 v14, v27, v12
	v_mul_f32_e32 v27, v13, v38
	v_mul_f32_e32 v30, v37, v27
	v_fma_f32 v32, v27, v37, -v30
	v_fmac_f32_e32 v32, v27, v29
	v_add_f32_e32 v12, v30, v32
	v_sub_f32_e32 v31, v13, v12
	v_pk_add_f32 v[34:35], v[12:13], v[30:31] neg_lo:[0,1] neg_hi:[0,1]
	v_mov_b32_e32 v33, v12
	v_pk_add_f32 v[12:13], v[34:35], v[32:33] neg_lo:[0,1] neg_hi:[0,1]
	v_cmp_eq_f32_e32 vcc, s11, v42
	v_add_f32_e32 v13, v14, v13
	v_add_f32_e32 v12, v12, v13
	;; [unrolled: 1-line block ×3, first 2 shown]
	v_mul_f32_e32 v14, v38, v13
	v_mul_f32_e32 v30, v37, v14
	v_fma_f32 v32, v14, v37, -v30
	v_fmac_f32_e32 v32, v14, v29
	v_sub_f32_e32 v29, v31, v13
	v_add_f32_e32 v29, v12, v29
	v_add_f32_e32 v12, v30, v32
	v_sub_f32_e32 v31, v13, v12
	v_pk_add_f32 v[34:35], v[12:13], v[30:31] neg_lo:[0,1] neg_hi:[0,1]
	v_mov_b32_e32 v33, v12
	v_pk_add_f32 v[12:13], v[34:35], v[32:33] neg_lo:[0,1] neg_hi:[0,1]
	s_or_b64 vcc, s[60:61], vcc
	v_add_f32_e32 v13, v29, v13
	v_add_f32_e32 v12, v12, v13
	;; [unrolled: 1-line block ×4, first 2 shown]
	v_sub_f32_e32 v27, v13, v27
	v_mul_f32_e32 v12, v38, v12
	v_sub_f32_e32 v14, v14, v27
	v_add_f32_e32 v14, v14, v12
	v_add_f32_e32 v27, v13, v14
	v_mul_f32_e32 v30, v27, v27
	v_fmamk_f32 v12, v30, 0x3e9b6dac, v139
	v_fmaak_f32 v29, v30, v12, 0x3f2aaada
	v_cvt_f32_i32_e32 v12, v36
	v_sub_f32_e32 v13, v27, v13
	v_sub_f32_e32 v13, v14, v13
	v_ldexp_f32 v14, v13, 1
	v_mul_f32_e32 v13, v27, v30
	v_pk_mul_f32 v[32:33], v[12:13], v[28:29]
	v_ldexp_f32 v31, v27, 1
	v_fma_f32 v30, v12, s13, -v32
	v_fmac_f32_e32 v30, 0xb102e308, v12
	v_pk_add_f32 v[12:13], v[32:33], v[30:31]
	v_mov_b32_e32 v34, v32
	v_sub_f32_e32 v27, v13, v31
	v_sub_f32_e32 v27, v33, v27
	v_add_f32_e32 v35, v14, v27
	v_pk_add_f32 v[32:33], v[12:13], v[32:33] neg_lo:[0,1] neg_hi:[0,1]
	v_pk_add_f32 v[36:37], v[12:13], v[34:35]
	v_mov_b32_e32 v31, v12
	v_mov_b32_e32 v33, v37
	v_pk_add_f32 v[38:39], v[30:31], v[32:33] neg_lo:[0,1] neg_hi:[0,1]
	v_pk_add_f32 v[30:31], v[30:31], v[32:33]
	s_nop 0
	v_mov_b32_e32 v14, v31
	v_pk_add_f32 v[32:33], v[14:15], v[12:13] neg_lo:[0,1] neg_hi:[0,1]
	v_mov_b32_e32 v30, v37
	v_mov_b32_e32 v27, v32
	v_pk_add_f32 v[40:41], v[36:37], v[26:27] neg_lo:[0,1] neg_hi:[0,1]
	v_mov_b32_e32 v36, v13
	v_mov_b32_e32 v37, v32
	;; [unrolled: 1-line block ×3, first 2 shown]
	v_pk_add_f32 v[30:31], v[30:31], v[36:37] neg_lo:[0,1] neg_hi:[0,1]
	v_mov_b32_e32 v32, v35
	v_mov_b32_e32 v33, v12
	v_pk_add_f32 v[12:13], v[32:33], v[30:31] neg_lo:[0,1] neg_hi:[0,1]
	v_mov_b32_e32 v40, v38
	v_pk_add_f32 v[30:31], v[40:41], v[12:13]
	s_nop 0
	v_mov_b32_e32 v32, v31
	v_pk_add_f32 v[32:33], v[30:31], v[32:33]
	s_nop 0
	v_pk_add_f32 v[34:35], v[14:15], v[32:33]
	v_mov_b32_e32 v13, v32
	v_mov_b32_e32 v31, v34
	v_pk_add_f32 v[36:37], v[30:31], v[38:39] neg_lo:[0,1] neg_hi:[0,1]
	s_nop 0
	v_sub_f32_e32 v14, v30, v36
	v_pk_add_f32 v[12:13], v[12:13], v[36:37] neg_lo:[0,1] neg_hi:[0,1]
	v_sub_f32_e32 v14, v38, v14
	v_add_f32_e32 v12, v12, v14
	v_add_f32_e32 v12, v12, v13
	;; [unrolled: 1-line block ×3, first 2 shown]
	v_cndmask_b32_e32 v148, v12, v42, vcc
.LBB88_87:                              ;   in Loop: Header=BB88_13 Depth=1
	s_or_b64 exec, exec, s[4:5]
	v_cvt_f32_f16_e32 v12, v15
	v_readlane_b32 s2, v166, 2
	s_nop 1
	v_add_f32_e32 v149, s2, v12
	v_readlane_b32 s2, v166, 23
	v_cmp_ge_f32_e32 vcc, s6, v149
	v_readlane_b32 s3, v166, 24
	s_and_b64 s[2:3], s[2:3], vcc
	s_and_saveexec_b64 s[4:5], s[2:3]
	s_cbranch_execz .LBB88_89
; %bb.88:                               ;   in Loop: Header=BB88_13 Depth=1
	v_mul_f32_e32 v12, 0x3fb8aa3b, v149
	v_rndne_f32_e32 v13, v12
	v_sub_f32_e32 v14, v12, v13
	v_fma_f32 v12, v149, s8, -v12
	v_fmac_f32_e32 v12, 0x32a5705f, v149
	v_add_f32_e32 v12, v14, v12
	v_cvt_i32_f32_e32 v13, v13
	v_exp_f32_e32 v12, v12
	v_cmp_ngt_f32_e32 vcc, s9, v149
	v_ldexp_f32 v12, v12, v13
	s_nop 0
	v_cndmask_b32_e32 v12, 0, v12, vcc
	v_cmp_nlt_f32_e32 vcc, s10, v149
	s_nop 1
	v_cndmask_b32_e32 v42, v140, v12, vcc
	v_add_f32_e32 v14, 1.0, v42
	v_add_f32_e32 v12, -1.0, v14
	v_sub_f32_e32 v13, v12, v14
	v_add_f32_e32 v13, 1.0, v13
	v_sub_f32_e32 v12, v42, v12
	v_add_f32_e32 v27, v12, v13
	v_frexp_mant_f32_e32 v29, v14
	v_cvt_f64_f32_e32 v[12:13], v14
	v_frexp_exp_i32_f64_e32 v12, v[12:13]
	v_cmp_gt_f32_e32 vcc, s12, v29
	v_cmp_gt_f32_e64 s[60:61], s16, v42
	s_nop 0
	v_subbrev_co_u32_e32 v36, vcc, 0, v12, vcc
	v_sub_u32_e32 v12, 0, v36
	v_ldexp_f32 v13, v14, v12
	v_add_f32_e32 v14, -1.0, v13
	v_add_f32_e32 v29, 1.0, v13
	v_ldexp_f32 v12, v27, v12
	v_add_f32_e32 v27, 1.0, v14
	v_add_f32_e32 v30, -1.0, v29
	v_sub_f32_e32 v27, v13, v27
	v_sub_f32_e32 v13, v13, v30
	v_add_f32_e32 v27, v12, v27
	v_add_f32_e32 v12, v12, v13
	;; [unrolled: 1-line block ×3, first 2 shown]
	v_rcp_f32_e32 v38, v37
	v_sub_f32_e32 v13, v29, v37
	v_add_f32_e32 v29, v12, v13
	v_add_f32_e32 v13, v14, v27
	v_sub_f32_e32 v12, v14, v13
	v_add_f32_e32 v14, v27, v12
	v_mul_f32_e32 v27, v13, v38
	v_mul_f32_e32 v30, v37, v27
	v_fma_f32 v32, v27, v37, -v30
	v_fmac_f32_e32 v32, v27, v29
	v_add_f32_e32 v12, v30, v32
	v_sub_f32_e32 v31, v13, v12
	v_pk_add_f32 v[34:35], v[12:13], v[30:31] neg_lo:[0,1] neg_hi:[0,1]
	v_mov_b32_e32 v33, v12
	v_pk_add_f32 v[12:13], v[34:35], v[32:33] neg_lo:[0,1] neg_hi:[0,1]
	v_cmp_eq_f32_e32 vcc, s11, v42
	v_add_f32_e32 v13, v14, v13
	v_add_f32_e32 v12, v12, v13
	;; [unrolled: 1-line block ×3, first 2 shown]
	v_mul_f32_e32 v14, v38, v13
	v_mul_f32_e32 v30, v37, v14
	v_fma_f32 v32, v14, v37, -v30
	v_fmac_f32_e32 v32, v14, v29
	v_sub_f32_e32 v29, v31, v13
	v_add_f32_e32 v29, v12, v29
	v_add_f32_e32 v12, v30, v32
	v_sub_f32_e32 v31, v13, v12
	v_pk_add_f32 v[34:35], v[12:13], v[30:31] neg_lo:[0,1] neg_hi:[0,1]
	v_mov_b32_e32 v33, v12
	v_pk_add_f32 v[12:13], v[34:35], v[32:33] neg_lo:[0,1] neg_hi:[0,1]
	s_or_b64 vcc, s[60:61], vcc
	v_add_f32_e32 v13, v29, v13
	v_add_f32_e32 v12, v12, v13
	;; [unrolled: 1-line block ×4, first 2 shown]
	v_sub_f32_e32 v27, v13, v27
	v_mul_f32_e32 v12, v38, v12
	v_sub_f32_e32 v14, v14, v27
	v_add_f32_e32 v14, v14, v12
	v_add_f32_e32 v27, v13, v14
	v_mul_f32_e32 v30, v27, v27
	v_fmamk_f32 v12, v30, 0x3e9b6dac, v139
	v_fmaak_f32 v29, v30, v12, 0x3f2aaada
	v_cvt_f32_i32_e32 v12, v36
	v_sub_f32_e32 v13, v27, v13
	v_sub_f32_e32 v13, v14, v13
	v_ldexp_f32 v14, v13, 1
	v_mul_f32_e32 v13, v27, v30
	v_pk_mul_f32 v[32:33], v[12:13], v[28:29]
	v_ldexp_f32 v31, v27, 1
	v_fma_f32 v30, v12, s13, -v32
	v_fmac_f32_e32 v30, 0xb102e308, v12
	v_pk_add_f32 v[12:13], v[32:33], v[30:31]
	v_mov_b32_e32 v34, v32
	v_sub_f32_e32 v27, v13, v31
	v_sub_f32_e32 v27, v33, v27
	v_add_f32_e32 v35, v14, v27
	v_pk_add_f32 v[32:33], v[12:13], v[32:33] neg_lo:[0,1] neg_hi:[0,1]
	v_pk_add_f32 v[36:37], v[12:13], v[34:35]
	v_mov_b32_e32 v31, v12
	v_mov_b32_e32 v33, v37
	v_pk_add_f32 v[38:39], v[30:31], v[32:33] neg_lo:[0,1] neg_hi:[0,1]
	v_pk_add_f32 v[30:31], v[30:31], v[32:33]
	s_nop 0
	v_mov_b32_e32 v14, v31
	v_pk_add_f32 v[32:33], v[14:15], v[12:13] neg_lo:[0,1] neg_hi:[0,1]
	v_mov_b32_e32 v30, v37
	v_mov_b32_e32 v27, v32
	v_pk_add_f32 v[40:41], v[36:37], v[26:27] neg_lo:[0,1] neg_hi:[0,1]
	v_mov_b32_e32 v36, v13
	v_mov_b32_e32 v37, v32
	;; [unrolled: 1-line block ×3, first 2 shown]
	v_pk_add_f32 v[30:31], v[30:31], v[36:37] neg_lo:[0,1] neg_hi:[0,1]
	v_mov_b32_e32 v32, v35
	v_mov_b32_e32 v33, v12
	v_pk_add_f32 v[12:13], v[32:33], v[30:31] neg_lo:[0,1] neg_hi:[0,1]
	v_mov_b32_e32 v40, v38
	v_pk_add_f32 v[30:31], v[40:41], v[12:13]
	s_nop 0
	v_mov_b32_e32 v32, v31
	v_pk_add_f32 v[32:33], v[30:31], v[32:33]
	s_nop 0
	v_pk_add_f32 v[34:35], v[14:15], v[32:33]
	v_mov_b32_e32 v13, v32
	v_mov_b32_e32 v31, v34
	v_pk_add_f32 v[36:37], v[30:31], v[38:39] neg_lo:[0,1] neg_hi:[0,1]
	s_nop 0
	v_sub_f32_e32 v14, v30, v36
	v_pk_add_f32 v[12:13], v[12:13], v[36:37] neg_lo:[0,1] neg_hi:[0,1]
	v_sub_f32_e32 v14, v38, v14
	v_add_f32_e32 v12, v12, v14
	v_add_f32_e32 v12, v12, v13
	v_add_f32_e32 v12, v34, v12
	v_cndmask_b32_e32 v149, v12, v42, vcc
.LBB88_89:                              ;   in Loop: Header=BB88_13 Depth=1
	s_or_b64 exec, exec, s[4:5]
	v_cvt_f32_f16_sdwa v12, v15 dst_sel:DWORD dst_unused:UNUSED_PAD src0_sel:WORD_1
	v_readlane_b32 s2, v166, 2
	s_nop 1
	v_add_f32_e32 v150, s2, v12
	v_readlane_b32 s2, v166, 23
	v_cmp_ge_f32_e32 vcc, s6, v150
	v_readlane_b32 s3, v166, 24
	s_and_b64 s[2:3], s[2:3], vcc
	s_and_saveexec_b64 s[4:5], s[2:3]
	s_cbranch_execz .LBB88_91
; %bb.90:                               ;   in Loop: Header=BB88_13 Depth=1
	v_mul_f32_e32 v12, 0x3fb8aa3b, v150
	v_rndne_f32_e32 v13, v12
	v_sub_f32_e32 v14, v12, v13
	v_fma_f32 v12, v150, s8, -v12
	v_fmac_f32_e32 v12, 0x32a5705f, v150
	v_add_f32_e32 v12, v14, v12
	v_cvt_i32_f32_e32 v13, v13
	v_exp_f32_e32 v12, v12
	v_cmp_ngt_f32_e32 vcc, s9, v150
	v_ldexp_f32 v12, v12, v13
	s_nop 0
	v_cndmask_b32_e32 v12, 0, v12, vcc
	v_cmp_nlt_f32_e32 vcc, s10, v150
	s_nop 1
	v_cndmask_b32_e32 v42, v140, v12, vcc
	v_add_f32_e32 v14, 1.0, v42
	v_add_f32_e32 v12, -1.0, v14
	v_sub_f32_e32 v13, v12, v14
	v_add_f32_e32 v13, 1.0, v13
	v_sub_f32_e32 v12, v42, v12
	v_add_f32_e32 v15, v12, v13
	v_frexp_mant_f32_e32 v27, v14
	v_cvt_f64_f32_e32 v[12:13], v14
	v_frexp_exp_i32_f64_e32 v12, v[12:13]
	v_cmp_gt_f32_e32 vcc, s12, v27
	v_cmp_gt_f32_e64 s[60:61], s16, v42
	s_nop 0
	v_subbrev_co_u32_e32 v27, vcc, 0, v12, vcc
	v_sub_u32_e32 v12, 0, v27
	v_ldexp_f32 v13, v14, v12
	v_add_f32_e32 v14, -1.0, v13
	v_add_f32_e32 v29, 1.0, v13
	v_ldexp_f32 v12, v15, v12
	v_add_f32_e32 v15, 1.0, v14
	v_add_f32_e32 v30, -1.0, v29
	v_sub_f32_e32 v15, v13, v15
	v_sub_f32_e32 v13, v13, v30
	v_add_f32_e32 v15, v12, v15
	v_add_f32_e32 v12, v12, v13
	v_add_f32_e32 v34, v29, v12
	v_rcp_f32_e32 v35, v34
	v_sub_f32_e32 v13, v29, v34
	v_add_f32_e32 v29, v12, v13
	v_add_f32_e32 v13, v14, v15
	v_mul_f32_e32 v37, v13, v35
	v_sub_f32_e32 v12, v14, v13
	v_mul_f32_e32 v14, v34, v37
	v_fma_f32 v30, v37, v34, -v14
	v_fmac_f32_e32 v30, v37, v29
	v_add_f32_e32 v36, v15, v12
	v_add_f32_e32 v12, v14, v30
	v_sub_f32_e32 v15, v13, v12
	v_pk_add_f32 v[32:33], v[12:13], v[14:15] neg_lo:[0,1] neg_hi:[0,1]
	v_mov_b32_e32 v31, v12
	v_pk_add_f32 v[12:13], v[32:33], v[30:31] neg_lo:[0,1] neg_hi:[0,1]
	v_cmp_eq_f32_e32 vcc, s11, v42
	v_add_f32_e32 v13, v36, v13
	v_add_f32_e32 v12, v12, v13
	;; [unrolled: 1-line block ×3, first 2 shown]
	v_mul_f32_e32 v36, v35, v13
	v_mul_f32_e32 v14, v34, v36
	v_fma_f32 v30, v36, v34, -v14
	v_fmac_f32_e32 v30, v36, v29
	v_sub_f32_e32 v15, v15, v13
	v_add_f32_e32 v29, v12, v15
	v_add_f32_e32 v12, v14, v30
	v_sub_f32_e32 v15, v13, v12
	v_pk_add_f32 v[32:33], v[12:13], v[14:15] neg_lo:[0,1] neg_hi:[0,1]
	v_mov_b32_e32 v31, v12
	v_pk_add_f32 v[12:13], v[32:33], v[30:31] neg_lo:[0,1] neg_hi:[0,1]
	s_or_b64 vcc, s[60:61], vcc
	v_add_f32_e32 v13, v29, v13
	v_add_f32_e32 v12, v12, v13
	;; [unrolled: 1-line block ×4, first 2 shown]
	v_sub_f32_e32 v14, v13, v37
	v_mul_f32_e32 v12, v35, v12
	v_sub_f32_e32 v14, v36, v14
	v_add_f32_e32 v14, v14, v12
	v_add_f32_e32 v30, v13, v14
	v_mul_f32_e32 v31, v30, v30
	v_fmamk_f32 v12, v31, 0x3e9b6dac, v139
	v_fmaak_f32 v29, v31, v12, 0x3f2aaada
	v_cvt_f32_i32_e32 v12, v27
	v_sub_f32_e32 v13, v30, v13
	v_sub_f32_e32 v13, v14, v13
	v_ldexp_f32 v27, v13, 1
	v_mul_f32_e32 v13, v30, v31
	v_ldexp_f32 v15, v30, 1
	v_pk_mul_f32 v[30:31], v[12:13], v[28:29]
	s_nop 0
	v_fma_f32 v14, v12, s13, -v30
	v_fmac_f32_e32 v14, 0xb102e308, v12
	v_pk_add_f32 v[12:13], v[30:31], v[14:15]
	v_mov_b32_e32 v32, v30
	v_sub_f32_e32 v15, v13, v15
	v_sub_f32_e32 v15, v31, v15
	v_add_f32_e32 v33, v27, v15
	v_pk_add_f32 v[30:31], v[12:13], v[30:31] neg_lo:[0,1] neg_hi:[0,1]
	v_pk_add_f32 v[34:35], v[12:13], v[32:33]
	v_mov_b32_e32 v15, v12
	v_mov_b32_e32 v31, v35
	v_pk_add_f32 v[36:37], v[14:15], v[30:31] neg_lo:[0,1] neg_hi:[0,1]
	v_pk_add_f32 v[14:15], v[14:15], v[30:31]
	v_mov_b32_e32 v32, v33
	v_mov_b32_e32 v30, v15
	v_pk_add_f32 v[38:39], v[30:31], v[12:13] neg_lo:[0,1] neg_hi:[0,1]
	v_mov_b32_e32 v14, v35
	v_mov_b32_e32 v27, v38
	v_pk_add_f32 v[40:41], v[34:35], v[26:27] neg_lo:[0,1] neg_hi:[0,1]
	v_mov_b32_e32 v34, v13
	v_mov_b32_e32 v35, v38
	v_mov_b32_e32 v37, v15
	v_pk_add_f32 v[14:15], v[14:15], v[34:35] neg_lo:[0,1] neg_hi:[0,1]
	v_mov_b32_e32 v33, v12
	v_pk_add_f32 v[12:13], v[32:33], v[14:15] neg_lo:[0,1] neg_hi:[0,1]
	v_mov_b32_e32 v40, v36
	v_pk_add_f32 v[14:15], v[40:41], v[12:13]
	s_nop 0
	v_mov_b32_e32 v32, v15
	v_pk_add_f32 v[32:33], v[14:15], v[32:33]
	s_nop 0
	v_pk_add_f32 v[30:31], v[30:31], v[32:33]
	v_mov_b32_e32 v13, v32
	v_mov_b32_e32 v15, v30
	v_pk_add_f32 v[34:35], v[14:15], v[36:37] neg_lo:[0,1] neg_hi:[0,1]
	s_nop 0
	v_sub_f32_e32 v14, v14, v34
	v_pk_add_f32 v[12:13], v[12:13], v[34:35] neg_lo:[0,1] neg_hi:[0,1]
	v_sub_f32_e32 v14, v36, v14
	v_add_f32_e32 v12, v12, v14
	v_add_f32_e32 v12, v12, v13
	;; [unrolled: 1-line block ×3, first 2 shown]
	v_cndmask_b32_e32 v150, v12, v42, vcc
.LBB88_91:                              ;   in Loop: Header=BB88_13 Depth=1
	s_or_b64 exec, exec, s[4:5]
	s_waitcnt lgkmcnt(0)
	v_cvt_f32_f16_e32 v12, v8
	v_readlane_b32 s2, v166, 2
	s_nop 1
	v_add_f32_e32 v151, s2, v12
	v_readlane_b32 s2, v166, 23
	v_cmp_ge_f32_e32 vcc, s6, v151
	v_readlane_b32 s3, v166, 24
	s_and_b64 s[2:3], s[2:3], vcc
	s_and_saveexec_b64 s[4:5], s[2:3]
	s_cbranch_execz .LBB88_93
; %bb.92:                               ;   in Loop: Header=BB88_13 Depth=1
	v_mul_f32_e32 v12, 0x3fb8aa3b, v151
	v_rndne_f32_e32 v13, v12
	v_sub_f32_e32 v14, v12, v13
	v_fma_f32 v12, v151, s8, -v12
	v_fmac_f32_e32 v12, 0x32a5705f, v151
	v_add_f32_e32 v12, v14, v12
	v_cvt_i32_f32_e32 v13, v13
	v_exp_f32_e32 v12, v12
	v_cmp_ngt_f32_e32 vcc, s9, v151
	v_ldexp_f32 v12, v12, v13
	s_nop 0
	v_cndmask_b32_e32 v12, 0, v12, vcc
	v_cmp_nlt_f32_e32 vcc, s10, v151
	s_nop 1
	v_cndmask_b32_e32 v42, v140, v12, vcc
	v_add_f32_e32 v14, 1.0, v42
	v_add_f32_e32 v12, -1.0, v14
	v_sub_f32_e32 v13, v12, v14
	v_add_f32_e32 v13, 1.0, v13
	v_sub_f32_e32 v12, v42, v12
	v_add_f32_e32 v15, v12, v13
	v_frexp_mant_f32_e32 v27, v14
	v_cvt_f64_f32_e32 v[12:13], v14
	v_frexp_exp_i32_f64_e32 v12, v[12:13]
	v_cmp_gt_f32_e32 vcc, s12, v27
	v_cmp_gt_f32_e64 s[60:61], s16, v42
	s_nop 0
	v_subbrev_co_u32_e32 v27, vcc, 0, v12, vcc
	v_sub_u32_e32 v12, 0, v27
	v_ldexp_f32 v13, v14, v12
	v_add_f32_e32 v14, -1.0, v13
	v_add_f32_e32 v29, 1.0, v13
	v_ldexp_f32 v12, v15, v12
	v_add_f32_e32 v15, 1.0, v14
	v_add_f32_e32 v30, -1.0, v29
	v_sub_f32_e32 v15, v13, v15
	v_sub_f32_e32 v13, v13, v30
	v_add_f32_e32 v15, v12, v15
	v_add_f32_e32 v12, v12, v13
	;; [unrolled: 1-line block ×3, first 2 shown]
	v_rcp_f32_e32 v35, v34
	v_sub_f32_e32 v13, v29, v34
	v_add_f32_e32 v29, v12, v13
	v_add_f32_e32 v13, v14, v15
	v_mul_f32_e32 v37, v13, v35
	v_sub_f32_e32 v12, v14, v13
	v_mul_f32_e32 v14, v34, v37
	v_fma_f32 v30, v37, v34, -v14
	v_fmac_f32_e32 v30, v37, v29
	v_add_f32_e32 v36, v15, v12
	v_add_f32_e32 v12, v14, v30
	v_sub_f32_e32 v15, v13, v12
	v_pk_add_f32 v[32:33], v[12:13], v[14:15] neg_lo:[0,1] neg_hi:[0,1]
	v_mov_b32_e32 v31, v12
	v_pk_add_f32 v[12:13], v[32:33], v[30:31] neg_lo:[0,1] neg_hi:[0,1]
	v_cmp_eq_f32_e32 vcc, s11, v42
	v_add_f32_e32 v13, v36, v13
	v_add_f32_e32 v12, v12, v13
	;; [unrolled: 1-line block ×3, first 2 shown]
	v_mul_f32_e32 v36, v35, v13
	v_mul_f32_e32 v14, v34, v36
	v_fma_f32 v30, v36, v34, -v14
	v_fmac_f32_e32 v30, v36, v29
	v_sub_f32_e32 v15, v15, v13
	v_add_f32_e32 v29, v12, v15
	v_add_f32_e32 v12, v14, v30
	v_sub_f32_e32 v15, v13, v12
	v_pk_add_f32 v[32:33], v[12:13], v[14:15] neg_lo:[0,1] neg_hi:[0,1]
	v_mov_b32_e32 v31, v12
	v_pk_add_f32 v[12:13], v[32:33], v[30:31] neg_lo:[0,1] neg_hi:[0,1]
	s_or_b64 vcc, s[60:61], vcc
	v_add_f32_e32 v13, v29, v13
	v_add_f32_e32 v12, v12, v13
	;; [unrolled: 1-line block ×4, first 2 shown]
	v_sub_f32_e32 v14, v13, v37
	v_mul_f32_e32 v12, v35, v12
	v_sub_f32_e32 v14, v36, v14
	v_add_f32_e32 v14, v14, v12
	v_add_f32_e32 v30, v13, v14
	v_mul_f32_e32 v31, v30, v30
	v_fmamk_f32 v12, v31, 0x3e9b6dac, v139
	v_fmaak_f32 v29, v31, v12, 0x3f2aaada
	v_cvt_f32_i32_e32 v12, v27
	v_sub_f32_e32 v13, v30, v13
	v_sub_f32_e32 v13, v14, v13
	v_ldexp_f32 v27, v13, 1
	v_mul_f32_e32 v13, v30, v31
	v_ldexp_f32 v15, v30, 1
	v_pk_mul_f32 v[30:31], v[12:13], v[28:29]
	s_nop 0
	v_fma_f32 v14, v12, s13, -v30
	v_fmac_f32_e32 v14, 0xb102e308, v12
	v_pk_add_f32 v[12:13], v[30:31], v[14:15]
	v_mov_b32_e32 v32, v30
	v_sub_f32_e32 v15, v13, v15
	v_sub_f32_e32 v15, v31, v15
	v_add_f32_e32 v33, v27, v15
	v_pk_add_f32 v[30:31], v[12:13], v[30:31] neg_lo:[0,1] neg_hi:[0,1]
	v_pk_add_f32 v[34:35], v[12:13], v[32:33]
	v_mov_b32_e32 v15, v12
	v_mov_b32_e32 v31, v35
	v_pk_add_f32 v[36:37], v[14:15], v[30:31] neg_lo:[0,1] neg_hi:[0,1]
	v_pk_add_f32 v[14:15], v[14:15], v[30:31]
	v_mov_b32_e32 v32, v33
	v_mov_b32_e32 v30, v15
	v_pk_add_f32 v[38:39], v[30:31], v[12:13] neg_lo:[0,1] neg_hi:[0,1]
	v_mov_b32_e32 v14, v35
	v_mov_b32_e32 v27, v38
	v_pk_add_f32 v[40:41], v[34:35], v[26:27] neg_lo:[0,1] neg_hi:[0,1]
	v_mov_b32_e32 v34, v13
	v_mov_b32_e32 v35, v38
	;; [unrolled: 1-line block ×3, first 2 shown]
	v_pk_add_f32 v[14:15], v[14:15], v[34:35] neg_lo:[0,1] neg_hi:[0,1]
	v_mov_b32_e32 v33, v12
	v_pk_add_f32 v[12:13], v[32:33], v[14:15] neg_lo:[0,1] neg_hi:[0,1]
	v_mov_b32_e32 v40, v36
	v_pk_add_f32 v[14:15], v[40:41], v[12:13]
	s_nop 0
	v_mov_b32_e32 v32, v15
	v_pk_add_f32 v[32:33], v[14:15], v[32:33]
	s_nop 0
	v_pk_add_f32 v[30:31], v[30:31], v[32:33]
	v_mov_b32_e32 v13, v32
	v_mov_b32_e32 v15, v30
	v_pk_add_f32 v[34:35], v[14:15], v[36:37] neg_lo:[0,1] neg_hi:[0,1]
	s_nop 0
	v_sub_f32_e32 v14, v14, v34
	v_pk_add_f32 v[12:13], v[12:13], v[34:35] neg_lo:[0,1] neg_hi:[0,1]
	v_sub_f32_e32 v14, v36, v14
	v_add_f32_e32 v12, v12, v14
	v_add_f32_e32 v12, v12, v13
	;; [unrolled: 1-line block ×3, first 2 shown]
	v_cndmask_b32_e32 v151, v12, v42, vcc
.LBB88_93:                              ;   in Loop: Header=BB88_13 Depth=1
	s_or_b64 exec, exec, s[4:5]
	v_cvt_f32_f16_sdwa v8, v8 dst_sel:DWORD dst_unused:UNUSED_PAD src0_sel:WORD_1
	v_readlane_b32 s2, v166, 2
	s_nop 1
	v_add_f32_e32 v152, s2, v8
	v_readlane_b32 s2, v166, 23
	v_cmp_ge_f32_e32 vcc, s6, v152
	v_readlane_b32 s3, v166, 24
	s_and_b64 s[2:3], s[2:3], vcc
	s_and_saveexec_b64 s[4:5], s[2:3]
	s_cbranch_execz .LBB88_95
; %bb.94:                               ;   in Loop: Header=BB88_13 Depth=1
	v_mul_f32_e32 v8, 0x3fb8aa3b, v152
	v_rndne_f32_e32 v12, v8
	v_sub_f32_e32 v13, v8, v12
	v_fma_f32 v8, v152, s8, -v8
	v_fmac_f32_e32 v8, 0x32a5705f, v152
	v_add_f32_e32 v8, v13, v8
	v_cvt_i32_f32_e32 v12, v12
	v_exp_f32_e32 v8, v8
	v_cmp_ngt_f32_e32 vcc, s9, v152
	v_ldexp_f32 v8, v8, v12
	s_nop 0
	v_cndmask_b32_e32 v8, 0, v8, vcc
	v_cmp_nlt_f32_e32 vcc, s10, v152
	s_nop 1
	v_cndmask_b32_e32 v40, v140, v8, vcc
	v_add_f32_e32 v8, 1.0, v40
	v_add_f32_e32 v12, -1.0, v8
	v_sub_f32_e32 v13, v12, v8
	v_add_f32_e32 v13, 1.0, v13
	v_sub_f32_e32 v12, v40, v12
	v_add_f32_e32 v14, v12, v13
	v_frexp_mant_f32_e32 v15, v8
	v_cvt_f64_f32_e32 v[12:13], v8
	v_frexp_exp_i32_f64_e32 v12, v[12:13]
	v_cmp_gt_f32_e32 vcc, s12, v15
	v_cmp_gt_f32_e64 s[60:61], s16, v40
	s_nop 0
	v_subbrev_co_u32_e32 v27, vcc, 0, v12, vcc
	v_sub_u32_e32 v12, 0, v27
	v_ldexp_f32 v8, v8, v12
	v_ldexp_f32 v12, v14, v12
	v_add_f32_e32 v14, -1.0, v8
	v_add_f32_e32 v13, 1.0, v14
	v_sub_f32_e32 v13, v8, v13
	v_add_f32_e32 v15, v12, v13
	v_add_f32_e32 v13, 1.0, v8
	v_add_f32_e32 v29, -1.0, v13
	v_sub_f32_e32 v8, v8, v29
	v_add_f32_e32 v8, v12, v8
	v_add_f32_e32 v29, v13, v8
	v_rcp_f32_e32 v34, v29
	v_sub_f32_e32 v12, v13, v29
	v_add_f32_e32 v13, v14, v15
	v_add_f32_e32 v8, v8, v12
	v_mul_f32_e32 v36, v13, v34
	v_sub_f32_e32 v12, v14, v13
	v_mul_f32_e32 v14, v29, v36
	v_fma_f32 v30, v36, v29, -v14
	v_fmac_f32_e32 v30, v36, v8
	v_add_f32_e32 v35, v15, v12
	v_add_f32_e32 v12, v14, v30
	v_sub_f32_e32 v15, v13, v12
	v_pk_add_f32 v[32:33], v[12:13], v[14:15] neg_lo:[0,1] neg_hi:[0,1]
	v_mov_b32_e32 v31, v12
	v_pk_add_f32 v[12:13], v[32:33], v[30:31] neg_lo:[0,1] neg_hi:[0,1]
	v_cmp_eq_f32_e32 vcc, s11, v40
	v_add_f32_e32 v13, v35, v13
	v_add_f32_e32 v12, v12, v13
	;; [unrolled: 1-line block ×3, first 2 shown]
	v_mul_f32_e32 v35, v34, v13
	v_mul_f32_e32 v14, v29, v35
	v_fma_f32 v30, v35, v29, -v14
	v_fmac_f32_e32 v30, v35, v8
	v_sub_f32_e32 v8, v15, v13
	v_add_f32_e32 v8, v12, v8
	v_add_f32_e32 v12, v14, v30
	v_sub_f32_e32 v15, v13, v12
	v_pk_add_f32 v[32:33], v[12:13], v[14:15] neg_lo:[0,1] neg_hi:[0,1]
	v_mov_b32_e32 v31, v12
	v_pk_add_f32 v[12:13], v[32:33], v[30:31] neg_lo:[0,1] neg_hi:[0,1]
	s_or_b64 vcc, s[60:61], vcc
	v_add_f32_e32 v8, v8, v13
	v_add_f32_e32 v8, v12, v8
	;; [unrolled: 1-line block ×4, first 2 shown]
	v_sub_f32_e32 v12, v13, v36
	v_mul_f32_e32 v8, v34, v8
	v_sub_f32_e32 v12, v35, v12
	v_add_f32_e32 v8, v12, v8
	v_add_f32_e32 v14, v13, v8
	v_mul_f32_e32 v30, v14, v14
	v_fmamk_f32 v12, v30, 0x3e9b6dac, v139
	v_fmaak_f32 v29, v30, v12, 0x3f2aaada
	v_cvt_f32_i32_e32 v12, v27
	v_sub_f32_e32 v13, v14, v13
	v_sub_f32_e32 v8, v8, v13
	v_mul_f32_e32 v13, v14, v30
	v_pk_mul_f32 v[30:31], v[12:13], v[28:29]
	v_ldexp_f32 v15, v14, 1
	v_fma_f32 v14, v12, s13, -v30
	v_fmac_f32_e32 v14, 0xb102e308, v12
	v_pk_add_f32 v[12:13], v[30:31], v[14:15]
	v_ldexp_f32 v8, v8, 1
	v_sub_f32_e32 v15, v13, v15
	v_sub_f32_e32 v15, v31, v15
	v_add_f32_e32 v33, v8, v15
	v_mov_b32_e32 v32, v30
	v_pk_add_f32 v[30:31], v[12:13], v[30:31] neg_lo:[0,1] neg_hi:[0,1]
	v_pk_add_f32 v[34:35], v[12:13], v[32:33]
	v_mov_b32_e32 v15, v12
	v_mov_b32_e32 v31, v35
	v_pk_add_f32 v[36:37], v[14:15], v[30:31] neg_lo:[0,1] neg_hi:[0,1]
	v_pk_add_f32 v[14:15], v[14:15], v[30:31]
	s_nop 0
	v_mov_b32_e32 v8, v15
	v_pk_add_f32 v[30:31], v[8:9], v[12:13] neg_lo:[0,1] neg_hi:[0,1]
	v_mov_b32_e32 v14, v35
	v_mov_b32_e32 v27, v30
	v_pk_add_f32 v[38:39], v[34:35], v[26:27] neg_lo:[0,1] neg_hi:[0,1]
	v_mov_b32_e32 v34, v13
	v_mov_b32_e32 v35, v30
	;; [unrolled: 1-line block ×3, first 2 shown]
	v_pk_add_f32 v[14:15], v[14:15], v[34:35] neg_lo:[0,1] neg_hi:[0,1]
	v_mov_b32_e32 v30, v33
	v_mov_b32_e32 v31, v12
	v_pk_add_f32 v[12:13], v[30:31], v[14:15] neg_lo:[0,1] neg_hi:[0,1]
	v_mov_b32_e32 v38, v36
	v_pk_add_f32 v[14:15], v[38:39], v[12:13]
	s_nop 0
	v_mov_b32_e32 v30, v15
	v_pk_add_f32 v[30:31], v[14:15], v[30:31]
	s_nop 0
	v_pk_add_f32 v[32:33], v[8:9], v[30:31]
	v_mov_b32_e32 v13, v30
	v_mov_b32_e32 v15, v32
	v_pk_add_f32 v[34:35], v[14:15], v[36:37] neg_lo:[0,1] neg_hi:[0,1]
	s_nop 0
	v_sub_f32_e32 v8, v14, v34
	v_pk_add_f32 v[12:13], v[12:13], v[34:35] neg_lo:[0,1] neg_hi:[0,1]
	v_sub_f32_e32 v8, v36, v8
	v_add_f32_e32 v8, v12, v8
	v_add_f32_e32 v8, v8, v13
	;; [unrolled: 1-line block ×3, first 2 shown]
	v_cndmask_b32_e32 v152, v8, v40, vcc
.LBB88_95:                              ;   in Loop: Header=BB88_13 Depth=1
	s_or_b64 exec, exec, s[4:5]
	v_cvt_f32_f16_e32 v8, v9
	v_readlane_b32 s2, v166, 2
	s_nop 1
	v_add_f32_e32 v153, s2, v8
	v_readlane_b32 s2, v166, 23
	v_cmp_ge_f32_e32 vcc, s6, v153
	v_readlane_b32 s3, v166, 24
	s_and_b64 s[2:3], s[2:3], vcc
	s_and_saveexec_b64 s[4:5], s[2:3]
	s_cbranch_execz .LBB88_97
; %bb.96:                               ;   in Loop: Header=BB88_13 Depth=1
	v_mul_f32_e32 v8, 0x3fb8aa3b, v153
	v_rndne_f32_e32 v12, v8
	v_sub_f32_e32 v13, v8, v12
	v_fma_f32 v8, v153, s8, -v8
	v_fmac_f32_e32 v8, 0x32a5705f, v153
	v_add_f32_e32 v8, v13, v8
	v_cvt_i32_f32_e32 v12, v12
	v_exp_f32_e32 v8, v8
	v_cmp_ngt_f32_e32 vcc, s9, v153
	v_ldexp_f32 v8, v8, v12
	s_nop 0
	v_cndmask_b32_e32 v8, 0, v8, vcc
	v_cmp_nlt_f32_e32 vcc, s10, v153
	s_nop 1
	v_cndmask_b32_e32 v40, v140, v8, vcc
	v_add_f32_e32 v8, 1.0, v40
	v_add_f32_e32 v12, -1.0, v8
	v_sub_f32_e32 v13, v12, v8
	v_add_f32_e32 v13, 1.0, v13
	v_sub_f32_e32 v12, v40, v12
	v_add_f32_e32 v14, v12, v13
	v_frexp_mant_f32_e32 v15, v8
	v_cvt_f64_f32_e32 v[12:13], v8
	v_frexp_exp_i32_f64_e32 v12, v[12:13]
	v_cmp_gt_f32_e32 vcc, s12, v15
	v_cmp_gt_f32_e64 s[60:61], s16, v40
	s_nop 0
	v_subbrev_co_u32_e32 v27, vcc, 0, v12, vcc
	v_sub_u32_e32 v12, 0, v27
	v_ldexp_f32 v8, v8, v12
	v_ldexp_f32 v12, v14, v12
	v_add_f32_e32 v14, -1.0, v8
	v_add_f32_e32 v13, 1.0, v14
	v_sub_f32_e32 v13, v8, v13
	v_add_f32_e32 v15, v12, v13
	v_add_f32_e32 v13, 1.0, v8
	v_add_f32_e32 v29, -1.0, v13
	v_sub_f32_e32 v8, v8, v29
	v_add_f32_e32 v8, v12, v8
	v_add_f32_e32 v29, v13, v8
	v_rcp_f32_e32 v34, v29
	v_sub_f32_e32 v12, v13, v29
	v_add_f32_e32 v13, v14, v15
	v_add_f32_e32 v8, v8, v12
	v_mul_f32_e32 v36, v13, v34
	v_sub_f32_e32 v12, v14, v13
	v_mul_f32_e32 v14, v29, v36
	v_fma_f32 v30, v36, v29, -v14
	v_fmac_f32_e32 v30, v36, v8
	v_add_f32_e32 v35, v15, v12
	v_add_f32_e32 v12, v14, v30
	v_sub_f32_e32 v15, v13, v12
	v_pk_add_f32 v[32:33], v[12:13], v[14:15] neg_lo:[0,1] neg_hi:[0,1]
	v_mov_b32_e32 v31, v12
	v_pk_add_f32 v[12:13], v[32:33], v[30:31] neg_lo:[0,1] neg_hi:[0,1]
	v_cmp_eq_f32_e32 vcc, s11, v40
	v_add_f32_e32 v13, v35, v13
	v_add_f32_e32 v12, v12, v13
	;; [unrolled: 1-line block ×3, first 2 shown]
	v_mul_f32_e32 v35, v34, v13
	v_mul_f32_e32 v14, v29, v35
	v_fma_f32 v30, v35, v29, -v14
	v_fmac_f32_e32 v30, v35, v8
	v_sub_f32_e32 v8, v15, v13
	v_add_f32_e32 v8, v12, v8
	v_add_f32_e32 v12, v14, v30
	v_sub_f32_e32 v15, v13, v12
	v_pk_add_f32 v[32:33], v[12:13], v[14:15] neg_lo:[0,1] neg_hi:[0,1]
	v_mov_b32_e32 v31, v12
	v_pk_add_f32 v[12:13], v[32:33], v[30:31] neg_lo:[0,1] neg_hi:[0,1]
	s_or_b64 vcc, s[60:61], vcc
	v_add_f32_e32 v8, v8, v13
	v_add_f32_e32 v8, v12, v8
	;; [unrolled: 1-line block ×4, first 2 shown]
	v_sub_f32_e32 v12, v13, v36
	v_mul_f32_e32 v8, v34, v8
	v_sub_f32_e32 v12, v35, v12
	v_add_f32_e32 v8, v12, v8
	v_add_f32_e32 v14, v13, v8
	v_mul_f32_e32 v30, v14, v14
	v_fmamk_f32 v12, v30, 0x3e9b6dac, v139
	v_fmaak_f32 v29, v30, v12, 0x3f2aaada
	v_cvt_f32_i32_e32 v12, v27
	v_sub_f32_e32 v13, v14, v13
	v_sub_f32_e32 v8, v8, v13
	v_mul_f32_e32 v13, v14, v30
	v_pk_mul_f32 v[30:31], v[12:13], v[28:29]
	v_ldexp_f32 v15, v14, 1
	v_fma_f32 v14, v12, s13, -v30
	v_fmac_f32_e32 v14, 0xb102e308, v12
	v_pk_add_f32 v[12:13], v[30:31], v[14:15]
	v_ldexp_f32 v8, v8, 1
	v_sub_f32_e32 v15, v13, v15
	v_sub_f32_e32 v15, v31, v15
	v_add_f32_e32 v33, v8, v15
	v_mov_b32_e32 v32, v30
	v_pk_add_f32 v[30:31], v[12:13], v[30:31] neg_lo:[0,1] neg_hi:[0,1]
	v_pk_add_f32 v[34:35], v[12:13], v[32:33]
	v_mov_b32_e32 v15, v12
	v_mov_b32_e32 v31, v35
	v_pk_add_f32 v[36:37], v[14:15], v[30:31] neg_lo:[0,1] neg_hi:[0,1]
	v_pk_add_f32 v[14:15], v[14:15], v[30:31]
	s_nop 0
	v_mov_b32_e32 v8, v15
	v_pk_add_f32 v[30:31], v[8:9], v[12:13] neg_lo:[0,1] neg_hi:[0,1]
	v_mov_b32_e32 v14, v35
	v_mov_b32_e32 v27, v30
	v_pk_add_f32 v[38:39], v[34:35], v[26:27] neg_lo:[0,1] neg_hi:[0,1]
	v_mov_b32_e32 v34, v13
	v_mov_b32_e32 v35, v30
	;; [unrolled: 1-line block ×3, first 2 shown]
	v_pk_add_f32 v[14:15], v[14:15], v[34:35] neg_lo:[0,1] neg_hi:[0,1]
	v_mov_b32_e32 v30, v33
	v_mov_b32_e32 v31, v12
	v_pk_add_f32 v[12:13], v[30:31], v[14:15] neg_lo:[0,1] neg_hi:[0,1]
	v_mov_b32_e32 v38, v36
	v_pk_add_f32 v[14:15], v[38:39], v[12:13]
	s_nop 0
	v_mov_b32_e32 v30, v15
	v_pk_add_f32 v[30:31], v[14:15], v[30:31]
	s_nop 0
	v_pk_add_f32 v[32:33], v[8:9], v[30:31]
	v_mov_b32_e32 v13, v30
	v_mov_b32_e32 v15, v32
	v_pk_add_f32 v[34:35], v[14:15], v[36:37] neg_lo:[0,1] neg_hi:[0,1]
	s_nop 0
	v_sub_f32_e32 v8, v14, v34
	v_pk_add_f32 v[12:13], v[12:13], v[34:35] neg_lo:[0,1] neg_hi:[0,1]
	v_sub_f32_e32 v8, v36, v8
	v_add_f32_e32 v8, v12, v8
	v_add_f32_e32 v8, v8, v13
	;; [unrolled: 1-line block ×3, first 2 shown]
	v_cndmask_b32_e32 v153, v8, v40, vcc
.LBB88_97:                              ;   in Loop: Header=BB88_13 Depth=1
	s_or_b64 exec, exec, s[4:5]
	v_cvt_f32_f16_sdwa v8, v9 dst_sel:DWORD dst_unused:UNUSED_PAD src0_sel:WORD_1
	v_readlane_b32 s2, v166, 2
	s_nop 1
	v_add_f32_e32 v154, s2, v8
	v_readlane_b32 s2, v166, 23
	v_cmp_ge_f32_e32 vcc, s6, v154
	v_readlane_b32 s3, v166, 24
	s_and_b64 s[2:3], s[2:3], vcc
	s_and_saveexec_b64 s[4:5], s[2:3]
	s_cbranch_execz .LBB88_99
; %bb.98:                               ;   in Loop: Header=BB88_13 Depth=1
	v_mul_f32_e32 v8, 0x3fb8aa3b, v154
	v_rndne_f32_e32 v9, v8
	v_sub_f32_e32 v12, v8, v9
	v_fma_f32 v8, v154, s8, -v8
	v_fmac_f32_e32 v8, 0x32a5705f, v154
	v_add_f32_e32 v8, v12, v8
	v_cvt_i32_f32_e32 v9, v9
	v_exp_f32_e32 v8, v8
	v_cmp_ngt_f32_e32 vcc, s9, v154
	v_ldexp_f32 v8, v8, v9
	s_nop 0
	v_cndmask_b32_e32 v8, 0, v8, vcc
	v_cmp_nlt_f32_e32 vcc, s10, v154
	s_nop 1
	v_cndmask_b32_e32 v27, v140, v8, vcc
	v_add_f32_e32 v12, 1.0, v27
	v_add_f32_e32 v8, -1.0, v12
	v_sub_f32_e32 v9, v8, v12
	v_add_f32_e32 v9, 1.0, v9
	v_sub_f32_e32 v8, v27, v8
	v_add_f32_e32 v13, v8, v9
	v_frexp_mant_f32_e32 v14, v12
	v_cvt_f64_f32_e32 v[8:9], v12
	v_frexp_exp_i32_f64_e32 v8, v[8:9]
	v_cmp_gt_f32_e32 vcc, s12, v14
	v_cmp_gt_f32_e64 s[60:61], s16, v27
	s_nop 0
	v_subbrev_co_u32_e32 v32, vcc, 0, v8, vcc
	v_sub_u32_e32 v8, 0, v32
	v_ldexp_f32 v9, v12, v8
	v_add_f32_e32 v12, -1.0, v9
	v_add_f32_e32 v14, 1.0, v9
	v_ldexp_f32 v8, v13, v8
	v_add_f32_e32 v13, 1.0, v12
	v_add_f32_e32 v15, -1.0, v14
	v_sub_f32_e32 v13, v9, v13
	v_sub_f32_e32 v9, v9, v15
	v_add_f32_e32 v13, v8, v13
	v_add_f32_e32 v8, v8, v9
	v_add_f32_e32 v29, v14, v8
	v_rcp_f32_e32 v34, v29
	v_sub_f32_e32 v9, v14, v29
	v_add_f32_e32 v33, v8, v9
	v_add_f32_e32 v9, v12, v13
	v_mul_f32_e32 v36, v9, v34
	v_sub_f32_e32 v8, v12, v9
	v_mul_f32_e32 v12, v29, v36
	v_fma_f32 v14, v36, v29, -v12
	v_fmac_f32_e32 v14, v36, v33
	v_add_f32_e32 v35, v13, v8
	v_add_f32_e32 v8, v12, v14
	v_sub_f32_e32 v13, v9, v8
	v_pk_add_f32 v[30:31], v[8:9], v[12:13] neg_lo:[0,1] neg_hi:[0,1]
	v_mov_b32_e32 v15, v8
	v_pk_add_f32 v[8:9], v[30:31], v[14:15] neg_lo:[0,1] neg_hi:[0,1]
	v_cmp_eq_f32_e32 vcc, s11, v27
	v_add_f32_e32 v9, v35, v9
	v_add_f32_e32 v8, v8, v9
	;; [unrolled: 1-line block ×3, first 2 shown]
	v_mul_f32_e32 v35, v34, v9
	v_mul_f32_e32 v12, v29, v35
	v_fma_f32 v14, v35, v29, -v12
	v_fmac_f32_e32 v14, v35, v33
	v_sub_f32_e32 v13, v13, v9
	v_add_f32_e32 v29, v8, v13
	v_add_f32_e32 v8, v12, v14
	v_sub_f32_e32 v13, v9, v8
	v_pk_add_f32 v[30:31], v[8:9], v[12:13] neg_lo:[0,1] neg_hi:[0,1]
	v_mov_b32_e32 v15, v8
	v_pk_add_f32 v[8:9], v[30:31], v[14:15] neg_lo:[0,1] neg_hi:[0,1]
	s_or_b64 vcc, s[60:61], vcc
	v_add_f32_e32 v9, v29, v9
	v_add_f32_e32 v8, v8, v9
	;; [unrolled: 1-line block ×4, first 2 shown]
	v_sub_f32_e32 v12, v9, v36
	v_mul_f32_e32 v8, v34, v8
	v_sub_f32_e32 v12, v35, v12
	v_add_f32_e32 v12, v12, v8
	v_add_f32_e32 v14, v9, v12
	v_mul_f32_e32 v15, v14, v14
	v_fmamk_f32 v8, v15, 0x3e9b6dac, v139
	v_fmaak_f32 v29, v15, v8, 0x3f2aaada
	v_cvt_f32_i32_e32 v8, v32
	v_sub_f32_e32 v9, v14, v9
	v_sub_f32_e32 v9, v12, v9
	v_ldexp_f32 v30, v9, 1
	v_mul_f32_e32 v9, v14, v15
	v_ldexp_f32 v13, v14, 1
	v_pk_mul_f32 v[14:15], v[8:9], v[28:29]
	s_nop 0
	v_fma_f32 v12, v8, s13, -v14
	v_fmac_f32_e32 v12, 0xb102e308, v8
	v_pk_add_f32 v[8:9], v[14:15], v[12:13]
	s_nop 0
	v_sub_f32_e32 v13, v9, v13
	v_sub_f32_e32 v13, v15, v13
	v_add_f32_e32 v31, v30, v13
	v_mov_b32_e32 v30, v14
	v_pk_add_f32 v[14:15], v[8:9], v[14:15] neg_lo:[0,1] neg_hi:[0,1]
	v_pk_add_f32 v[32:33], v[8:9], v[30:31]
	v_mov_b32_e32 v13, v8
	v_mov_b32_e32 v15, v33
	v_pk_add_f32 v[34:35], v[12:13], v[14:15] neg_lo:[0,1] neg_hi:[0,1]
	v_pk_add_f32 v[12:13], v[12:13], v[14:15]
	v_mov_b32_e32 v30, v31
	v_mov_b32_e32 v14, v13
	v_pk_add_f32 v[36:37], v[14:15], v[8:9] neg_lo:[0,1] neg_hi:[0,1]
	v_mov_b32_e32 v12, v33
	v_mov_b32_e32 v15, v36
	v_pk_add_f32 v[38:39], v[32:33], v[14:15] neg_lo:[0,1] neg_hi:[0,1]
	v_mov_b32_e32 v32, v9
	v_mov_b32_e32 v33, v36
	;; [unrolled: 1-line block ×3, first 2 shown]
	v_pk_add_f32 v[12:13], v[12:13], v[32:33] neg_lo:[0,1] neg_hi:[0,1]
	v_mov_b32_e32 v31, v8
	v_pk_add_f32 v[8:9], v[30:31], v[12:13] neg_lo:[0,1] neg_hi:[0,1]
	v_mov_b32_e32 v38, v34
	v_pk_add_f32 v[12:13], v[38:39], v[8:9]
	s_nop 0
	v_mov_b32_e32 v30, v13
	v_pk_add_f32 v[30:31], v[12:13], v[30:31]
	s_nop 0
	v_pk_add_f32 v[14:15], v[14:15], v[30:31]
	v_mov_b32_e32 v9, v30
	v_mov_b32_e32 v13, v14
	v_pk_add_f32 v[32:33], v[12:13], v[34:35] neg_lo:[0,1] neg_hi:[0,1]
	s_nop 0
	v_sub_f32_e32 v12, v12, v32
	v_pk_add_f32 v[8:9], v[8:9], v[32:33] neg_lo:[0,1] neg_hi:[0,1]
	v_sub_f32_e32 v12, v34, v12
	v_add_f32_e32 v8, v8, v12
	v_add_f32_e32 v8, v8, v9
	;; [unrolled: 1-line block ×3, first 2 shown]
	v_cndmask_b32_e32 v154, v8, v27, vcc
.LBB88_99:                              ;   in Loop: Header=BB88_13 Depth=1
	s_or_b64 exec, exec, s[4:5]
	v_cvt_f32_f16_e32 v8, v10
	v_readlane_b32 s2, v166, 2
	s_nop 1
	v_add_f32_e32 v155, s2, v8
	v_readlane_b32 s2, v166, 23
	v_cmp_ge_f32_e32 vcc, s6, v155
	v_readlane_b32 s3, v166, 24
	s_and_b64 s[2:3], s[2:3], vcc
	s_and_saveexec_b64 s[4:5], s[2:3]
	s_cbranch_execz .LBB88_101
; %bb.100:                              ;   in Loop: Header=BB88_13 Depth=1
	v_mul_f32_e32 v8, 0x3fb8aa3b, v155
	v_rndne_f32_e32 v9, v8
	v_sub_f32_e32 v12, v8, v9
	v_fma_f32 v8, v155, s8, -v8
	v_fmac_f32_e32 v8, 0x32a5705f, v155
	v_add_f32_e32 v8, v12, v8
	v_cvt_i32_f32_e32 v9, v9
	v_exp_f32_e32 v8, v8
	v_cmp_ngt_f32_e32 vcc, s9, v155
	v_ldexp_f32 v8, v8, v9
	s_nop 0
	v_cndmask_b32_e32 v8, 0, v8, vcc
	v_cmp_nlt_f32_e32 vcc, s10, v155
	s_nop 1
	v_cndmask_b32_e32 v27, v140, v8, vcc
	v_add_f32_e32 v12, 1.0, v27
	v_add_f32_e32 v8, -1.0, v12
	v_sub_f32_e32 v9, v8, v12
	v_add_f32_e32 v9, 1.0, v9
	v_sub_f32_e32 v8, v27, v8
	v_add_f32_e32 v13, v8, v9
	v_frexp_mant_f32_e32 v14, v12
	v_cvt_f64_f32_e32 v[8:9], v12
	v_frexp_exp_i32_f64_e32 v8, v[8:9]
	v_cmp_gt_f32_e32 vcc, s12, v14
	v_cmp_gt_f32_e64 s[60:61], s16, v27
	s_nop 0
	v_subbrev_co_u32_e32 v32, vcc, 0, v8, vcc
	v_sub_u32_e32 v8, 0, v32
	v_ldexp_f32 v9, v12, v8
	v_add_f32_e32 v12, -1.0, v9
	v_add_f32_e32 v14, 1.0, v9
	v_ldexp_f32 v8, v13, v8
	v_add_f32_e32 v13, 1.0, v12
	v_add_f32_e32 v15, -1.0, v14
	v_sub_f32_e32 v13, v9, v13
	v_sub_f32_e32 v9, v9, v15
	v_add_f32_e32 v13, v8, v13
	v_add_f32_e32 v8, v8, v9
	;; [unrolled: 1-line block ×3, first 2 shown]
	v_rcp_f32_e32 v34, v29
	v_sub_f32_e32 v9, v14, v29
	v_add_f32_e32 v33, v8, v9
	v_add_f32_e32 v9, v12, v13
	v_mul_f32_e32 v36, v9, v34
	v_sub_f32_e32 v8, v12, v9
	v_mul_f32_e32 v12, v29, v36
	v_fma_f32 v14, v36, v29, -v12
	v_fmac_f32_e32 v14, v36, v33
	v_add_f32_e32 v35, v13, v8
	v_add_f32_e32 v8, v12, v14
	v_sub_f32_e32 v13, v9, v8
	v_pk_add_f32 v[30:31], v[8:9], v[12:13] neg_lo:[0,1] neg_hi:[0,1]
	v_mov_b32_e32 v15, v8
	v_pk_add_f32 v[8:9], v[30:31], v[14:15] neg_lo:[0,1] neg_hi:[0,1]
	v_cmp_eq_f32_e32 vcc, s11, v27
	v_add_f32_e32 v9, v35, v9
	v_add_f32_e32 v8, v8, v9
	;; [unrolled: 1-line block ×3, first 2 shown]
	v_mul_f32_e32 v35, v34, v9
	v_mul_f32_e32 v12, v29, v35
	v_fma_f32 v14, v35, v29, -v12
	v_fmac_f32_e32 v14, v35, v33
	v_sub_f32_e32 v13, v13, v9
	v_add_f32_e32 v29, v8, v13
	v_add_f32_e32 v8, v12, v14
	v_sub_f32_e32 v13, v9, v8
	v_pk_add_f32 v[30:31], v[8:9], v[12:13] neg_lo:[0,1] neg_hi:[0,1]
	v_mov_b32_e32 v15, v8
	v_pk_add_f32 v[8:9], v[30:31], v[14:15] neg_lo:[0,1] neg_hi:[0,1]
	s_or_b64 vcc, s[60:61], vcc
	v_add_f32_e32 v9, v29, v9
	v_add_f32_e32 v8, v8, v9
	;; [unrolled: 1-line block ×4, first 2 shown]
	v_sub_f32_e32 v12, v9, v36
	v_mul_f32_e32 v8, v34, v8
	v_sub_f32_e32 v12, v35, v12
	v_add_f32_e32 v12, v12, v8
	v_add_f32_e32 v14, v9, v12
	v_mul_f32_e32 v15, v14, v14
	v_fmamk_f32 v8, v15, 0x3e9b6dac, v139
	v_fmaak_f32 v29, v15, v8, 0x3f2aaada
	v_cvt_f32_i32_e32 v8, v32
	v_sub_f32_e32 v9, v14, v9
	v_sub_f32_e32 v9, v12, v9
	v_ldexp_f32 v30, v9, 1
	v_mul_f32_e32 v9, v14, v15
	v_ldexp_f32 v13, v14, 1
	v_pk_mul_f32 v[14:15], v[8:9], v[28:29]
	s_nop 0
	v_fma_f32 v12, v8, s13, -v14
	v_fmac_f32_e32 v12, 0xb102e308, v8
	v_pk_add_f32 v[8:9], v[14:15], v[12:13]
	s_nop 0
	v_sub_f32_e32 v13, v9, v13
	v_sub_f32_e32 v13, v15, v13
	v_add_f32_e32 v31, v30, v13
	v_mov_b32_e32 v30, v14
	v_pk_add_f32 v[14:15], v[8:9], v[14:15] neg_lo:[0,1] neg_hi:[0,1]
	v_pk_add_f32 v[32:33], v[8:9], v[30:31]
	v_mov_b32_e32 v13, v8
	v_mov_b32_e32 v15, v33
	v_pk_add_f32 v[34:35], v[12:13], v[14:15] neg_lo:[0,1] neg_hi:[0,1]
	v_pk_add_f32 v[12:13], v[12:13], v[14:15]
	v_mov_b32_e32 v30, v31
	v_mov_b32_e32 v14, v13
	v_pk_add_f32 v[36:37], v[14:15], v[8:9] neg_lo:[0,1] neg_hi:[0,1]
	v_mov_b32_e32 v12, v33
	v_mov_b32_e32 v15, v36
	v_pk_add_f32 v[38:39], v[32:33], v[14:15] neg_lo:[0,1] neg_hi:[0,1]
	v_mov_b32_e32 v32, v9
	v_mov_b32_e32 v33, v36
	;; [unrolled: 1-line block ×3, first 2 shown]
	v_pk_add_f32 v[12:13], v[12:13], v[32:33] neg_lo:[0,1] neg_hi:[0,1]
	v_mov_b32_e32 v31, v8
	v_pk_add_f32 v[8:9], v[30:31], v[12:13] neg_lo:[0,1] neg_hi:[0,1]
	v_mov_b32_e32 v38, v34
	v_pk_add_f32 v[12:13], v[38:39], v[8:9]
	s_nop 0
	v_mov_b32_e32 v30, v13
	v_pk_add_f32 v[30:31], v[12:13], v[30:31]
	s_nop 0
	v_pk_add_f32 v[14:15], v[14:15], v[30:31]
	v_mov_b32_e32 v9, v30
	v_mov_b32_e32 v13, v14
	v_pk_add_f32 v[32:33], v[12:13], v[34:35] neg_lo:[0,1] neg_hi:[0,1]
	s_nop 0
	v_sub_f32_e32 v12, v12, v32
	v_pk_add_f32 v[8:9], v[8:9], v[32:33] neg_lo:[0,1] neg_hi:[0,1]
	v_sub_f32_e32 v12, v34, v12
	v_add_f32_e32 v8, v8, v12
	v_add_f32_e32 v8, v8, v9
	v_add_f32_e32 v8, v14, v8
	v_cndmask_b32_e32 v155, v8, v27, vcc
.LBB88_101:                             ;   in Loop: Header=BB88_13 Depth=1
	s_or_b64 exec, exec, s[4:5]
	v_cvt_f32_f16_sdwa v8, v10 dst_sel:DWORD dst_unused:UNUSED_PAD src0_sel:WORD_1
	v_readlane_b32 s2, v166, 2
	s_nop 1
	v_add_f32_e32 v156, s2, v8
	v_readlane_b32 s2, v166, 23
	v_cmp_ge_f32_e32 vcc, s6, v156
	v_readlane_b32 s3, v166, 24
	s_and_b64 s[2:3], s[2:3], vcc
	s_and_saveexec_b64 s[4:5], s[2:3]
	s_cbranch_execz .LBB88_103
; %bb.102:                              ;   in Loop: Header=BB88_13 Depth=1
	v_mul_f32_e32 v8, 0x3fb8aa3b, v156
	v_rndne_f32_e32 v9, v8
	v_sub_f32_e32 v10, v8, v9
	v_fma_f32 v8, v156, s8, -v8
	v_fmac_f32_e32 v8, 0x32a5705f, v156
	v_add_f32_e32 v8, v10, v8
	v_cvt_i32_f32_e32 v9, v9
	v_exp_f32_e32 v8, v8
	v_cmp_ngt_f32_e32 vcc, s9, v156
	v_ldexp_f32 v8, v8, v9
	s_nop 0
	v_cndmask_b32_e32 v8, 0, v8, vcc
	v_cmp_nlt_f32_e32 vcc, s10, v156
	s_nop 1
	v_cndmask_b32_e32 v27, v140, v8, vcc
	v_add_f32_e32 v10, 1.0, v27
	v_add_f32_e32 v8, -1.0, v10
	v_sub_f32_e32 v9, v8, v10
	v_add_f32_e32 v9, 1.0, v9
	v_sub_f32_e32 v8, v27, v8
	v_add_f32_e32 v12, v8, v9
	v_frexp_mant_f32_e32 v13, v10
	v_cvt_f64_f32_e32 v[8:9], v10
	v_frexp_exp_i32_f64_e32 v8, v[8:9]
	v_cmp_gt_f32_e32 vcc, s12, v13
	v_cmp_gt_f32_e64 s[60:61], s16, v27
	s_nop 0
	v_subbrev_co_u32_e32 v32, vcc, 0, v8, vcc
	v_sub_u32_e32 v8, 0, v32
	v_ldexp_f32 v9, v10, v8
	v_add_f32_e32 v10, -1.0, v9
	v_add_f32_e32 v13, 1.0, v9
	v_ldexp_f32 v8, v12, v8
	v_add_f32_e32 v12, 1.0, v10
	v_add_f32_e32 v14, -1.0, v13
	v_sub_f32_e32 v12, v9, v12
	v_sub_f32_e32 v9, v9, v14
	v_add_f32_e32 v12, v8, v12
	v_add_f32_e32 v8, v8, v9
	;; [unrolled: 1-line block ×3, first 2 shown]
	v_rcp_f32_e32 v34, v29
	v_sub_f32_e32 v9, v13, v29
	v_add_f32_e32 v33, v8, v9
	v_add_f32_e32 v9, v10, v12
	v_sub_f32_e32 v8, v10, v9
	v_mul_f32_e32 v35, v9, v34
	v_add_f32_e32 v10, v12, v8
	v_mul_f32_e32 v12, v29, v35
	v_fma_f32 v14, v35, v29, -v12
	v_fmac_f32_e32 v14, v35, v33
	v_add_f32_e32 v8, v12, v14
	v_sub_f32_e32 v13, v9, v8
	v_pk_add_f32 v[30:31], v[8:9], v[12:13] neg_lo:[0,1] neg_hi:[0,1]
	v_mov_b32_e32 v15, v8
	v_pk_add_f32 v[8:9], v[30:31], v[14:15] neg_lo:[0,1] neg_hi:[0,1]
	v_cmp_eq_f32_e32 vcc, s11, v27
	v_add_f32_e32 v9, v10, v9
	v_add_f32_e32 v8, v8, v9
	;; [unrolled: 1-line block ×3, first 2 shown]
	v_mul_f32_e32 v10, v34, v9
	v_mul_f32_e32 v12, v29, v10
	v_fma_f32 v14, v10, v29, -v12
	v_fmac_f32_e32 v14, v10, v33
	v_sub_f32_e32 v13, v13, v9
	v_add_f32_e32 v29, v8, v13
	v_add_f32_e32 v8, v12, v14
	v_sub_f32_e32 v13, v9, v8
	v_pk_add_f32 v[30:31], v[8:9], v[12:13] neg_lo:[0,1] neg_hi:[0,1]
	v_mov_b32_e32 v15, v8
	v_pk_add_f32 v[8:9], v[30:31], v[14:15] neg_lo:[0,1] neg_hi:[0,1]
	s_or_b64 vcc, s[60:61], vcc
	v_add_f32_e32 v9, v29, v9
	v_add_f32_e32 v8, v8, v9
	;; [unrolled: 1-line block ×4, first 2 shown]
	v_sub_f32_e32 v12, v9, v35
	v_mul_f32_e32 v8, v34, v8
	v_sub_f32_e32 v10, v10, v12
	v_add_f32_e32 v10, v10, v8
	v_add_f32_e32 v12, v9, v10
	v_mul_f32_e32 v14, v12, v12
	v_fmamk_f32 v8, v14, 0x3e9b6dac, v139
	v_fmaak_f32 v29, v14, v8, 0x3f2aaada
	v_cvt_f32_i32_e32 v8, v32
	v_sub_f32_e32 v9, v12, v9
	v_sub_f32_e32 v9, v10, v9
	v_ldexp_f32 v10, v9, 1
	v_mul_f32_e32 v9, v12, v14
	v_pk_mul_f32 v[14:15], v[8:9], v[28:29]
	v_ldexp_f32 v13, v12, 1
	v_fma_f32 v12, v8, s13, -v14
	v_fmac_f32_e32 v12, 0xb102e308, v8
	v_pk_add_f32 v[8:9], v[14:15], v[12:13]
	v_mov_b32_e32 v30, v14
	v_sub_f32_e32 v13, v9, v13
	v_sub_f32_e32 v13, v15, v13
	v_add_f32_e32 v31, v10, v13
	v_pk_add_f32 v[14:15], v[8:9], v[14:15] neg_lo:[0,1] neg_hi:[0,1]
	v_pk_add_f32 v[32:33], v[8:9], v[30:31]
	v_mov_b32_e32 v13, v8
	v_mov_b32_e32 v15, v33
	v_pk_add_f32 v[34:35], v[12:13], v[14:15] neg_lo:[0,1] neg_hi:[0,1]
	v_pk_add_f32 v[12:13], v[12:13], v[14:15]
	s_nop 0
	v_mov_b32_e32 v10, v13
	v_pk_add_f32 v[14:15], v[10:11], v[8:9] neg_lo:[0,1] neg_hi:[0,1]
	v_mov_b32_e32 v12, v33
	v_mov_b32_e32 v15, v14
	v_pk_add_f32 v[36:37], v[32:33], v[14:15] neg_lo:[0,1] neg_hi:[0,1]
	v_mov_b32_e32 v32, v9
	v_mov_b32_e32 v33, v14
	;; [unrolled: 1-line block ×3, first 2 shown]
	v_pk_add_f32 v[12:13], v[12:13], v[32:33] neg_lo:[0,1] neg_hi:[0,1]
	v_mov_b32_e32 v14, v31
	v_mov_b32_e32 v15, v8
	v_pk_add_f32 v[8:9], v[14:15], v[12:13] neg_lo:[0,1] neg_hi:[0,1]
	v_mov_b32_e32 v36, v34
	v_pk_add_f32 v[12:13], v[36:37], v[8:9]
	s_nop 0
	v_mov_b32_e32 v14, v13
	v_pk_add_f32 v[14:15], v[12:13], v[14:15]
	s_nop 0
	v_pk_add_f32 v[30:31], v[10:11], v[14:15]
	v_mov_b32_e32 v9, v14
	v_mov_b32_e32 v13, v30
	v_pk_add_f32 v[32:33], v[12:13], v[34:35] neg_lo:[0,1] neg_hi:[0,1]
	s_nop 0
	v_sub_f32_e32 v10, v12, v32
	v_pk_add_f32 v[8:9], v[8:9], v[32:33] neg_lo:[0,1] neg_hi:[0,1]
	v_sub_f32_e32 v10, v34, v10
	v_add_f32_e32 v8, v8, v10
	v_add_f32_e32 v8, v8, v9
	;; [unrolled: 1-line block ×3, first 2 shown]
	v_cndmask_b32_e32 v156, v8, v27, vcc
.LBB88_103:                             ;   in Loop: Header=BB88_13 Depth=1
	s_or_b64 exec, exec, s[4:5]
	v_cvt_f32_f16_e32 v8, v11
	v_readlane_b32 s2, v166, 2
	s_nop 1
	v_add_f32_e32 v46, s2, v8
	v_readlane_b32 s2, v166, 23
	v_cmp_ge_f32_e32 vcc, s6, v46
	v_readlane_b32 s3, v166, 24
	s_and_b64 s[2:3], s[2:3], vcc
	s_and_saveexec_b64 s[4:5], s[2:3]
	s_cbranch_execz .LBB88_105
; %bb.104:                              ;   in Loop: Header=BB88_13 Depth=1
	v_mul_f32_e32 v8, 0x3fb8aa3b, v46
	v_rndne_f32_e32 v9, v8
	v_sub_f32_e32 v10, v8, v9
	v_fma_f32 v8, v46, s8, -v8
	v_fmac_f32_e32 v8, 0x32a5705f, v46
	v_add_f32_e32 v8, v10, v8
	v_cvt_i32_f32_e32 v9, v9
	v_exp_f32_e32 v8, v8
	v_cmp_ngt_f32_e32 vcc, s9, v46
	v_ldexp_f32 v8, v8, v9
	s_nop 0
	v_cndmask_b32_e32 v8, 0, v8, vcc
	v_cmp_nlt_f32_e32 vcc, s10, v46
	s_nop 1
	v_cndmask_b32_e32 v27, v140, v8, vcc
	v_add_f32_e32 v10, 1.0, v27
	v_add_f32_e32 v8, -1.0, v10
	v_sub_f32_e32 v9, v8, v10
	v_add_f32_e32 v9, 1.0, v9
	v_sub_f32_e32 v8, v27, v8
	v_add_f32_e32 v12, v8, v9
	v_frexp_mant_f32_e32 v13, v10
	v_cvt_f64_f32_e32 v[8:9], v10
	v_frexp_exp_i32_f64_e32 v8, v[8:9]
	v_cmp_gt_f32_e32 vcc, s12, v13
	v_cmp_gt_f32_e64 s[60:61], s16, v27
	s_nop 0
	v_subbrev_co_u32_e32 v32, vcc, 0, v8, vcc
	v_sub_u32_e32 v8, 0, v32
	v_ldexp_f32 v9, v10, v8
	v_add_f32_e32 v10, -1.0, v9
	v_add_f32_e32 v13, 1.0, v9
	v_ldexp_f32 v8, v12, v8
	v_add_f32_e32 v12, 1.0, v10
	v_add_f32_e32 v14, -1.0, v13
	v_sub_f32_e32 v12, v9, v12
	v_sub_f32_e32 v9, v9, v14
	v_add_f32_e32 v12, v8, v12
	v_add_f32_e32 v8, v8, v9
	;; [unrolled: 1-line block ×3, first 2 shown]
	v_rcp_f32_e32 v34, v29
	v_sub_f32_e32 v9, v13, v29
	v_add_f32_e32 v33, v8, v9
	v_add_f32_e32 v9, v10, v12
	v_sub_f32_e32 v8, v10, v9
	v_mul_f32_e32 v35, v9, v34
	v_add_f32_e32 v10, v12, v8
	v_mul_f32_e32 v12, v29, v35
	v_fma_f32 v14, v35, v29, -v12
	v_fmac_f32_e32 v14, v35, v33
	v_add_f32_e32 v8, v12, v14
	v_sub_f32_e32 v13, v9, v8
	v_pk_add_f32 v[30:31], v[8:9], v[12:13] neg_lo:[0,1] neg_hi:[0,1]
	v_mov_b32_e32 v15, v8
	v_pk_add_f32 v[8:9], v[30:31], v[14:15] neg_lo:[0,1] neg_hi:[0,1]
	v_cmp_eq_f32_e32 vcc, s11, v27
	v_add_f32_e32 v9, v10, v9
	v_add_f32_e32 v8, v8, v9
	;; [unrolled: 1-line block ×3, first 2 shown]
	v_mul_f32_e32 v10, v34, v9
	v_mul_f32_e32 v12, v29, v10
	v_fma_f32 v14, v10, v29, -v12
	v_fmac_f32_e32 v14, v10, v33
	v_sub_f32_e32 v13, v13, v9
	v_add_f32_e32 v29, v8, v13
	v_add_f32_e32 v8, v12, v14
	v_sub_f32_e32 v13, v9, v8
	v_pk_add_f32 v[30:31], v[8:9], v[12:13] neg_lo:[0,1] neg_hi:[0,1]
	v_mov_b32_e32 v15, v8
	v_pk_add_f32 v[8:9], v[30:31], v[14:15] neg_lo:[0,1] neg_hi:[0,1]
	s_or_b64 vcc, s[60:61], vcc
	v_add_f32_e32 v9, v29, v9
	v_add_f32_e32 v8, v8, v9
	;; [unrolled: 1-line block ×4, first 2 shown]
	v_sub_f32_e32 v12, v9, v35
	v_mul_f32_e32 v8, v34, v8
	v_sub_f32_e32 v10, v10, v12
	v_add_f32_e32 v10, v10, v8
	v_add_f32_e32 v12, v9, v10
	v_mul_f32_e32 v14, v12, v12
	v_fmamk_f32 v8, v14, 0x3e9b6dac, v139
	v_fmaak_f32 v29, v14, v8, 0x3f2aaada
	v_cvt_f32_i32_e32 v8, v32
	v_sub_f32_e32 v9, v12, v9
	v_sub_f32_e32 v9, v10, v9
	v_ldexp_f32 v10, v9, 1
	v_mul_f32_e32 v9, v12, v14
	v_pk_mul_f32 v[14:15], v[8:9], v[28:29]
	v_ldexp_f32 v13, v12, 1
	v_fma_f32 v12, v8, s13, -v14
	v_fmac_f32_e32 v12, 0xb102e308, v8
	v_pk_add_f32 v[8:9], v[14:15], v[12:13]
	v_mov_b32_e32 v30, v14
	v_sub_f32_e32 v13, v9, v13
	v_sub_f32_e32 v13, v15, v13
	v_add_f32_e32 v31, v10, v13
	v_pk_add_f32 v[14:15], v[8:9], v[14:15] neg_lo:[0,1] neg_hi:[0,1]
	v_pk_add_f32 v[32:33], v[8:9], v[30:31]
	v_mov_b32_e32 v13, v8
	v_mov_b32_e32 v15, v33
	v_pk_add_f32 v[34:35], v[12:13], v[14:15] neg_lo:[0,1] neg_hi:[0,1]
	v_pk_add_f32 v[12:13], v[12:13], v[14:15]
	s_nop 0
	v_mov_b32_e32 v10, v13
	v_pk_add_f32 v[14:15], v[10:11], v[8:9] neg_lo:[0,1] neg_hi:[0,1]
	v_mov_b32_e32 v12, v33
	v_mov_b32_e32 v15, v14
	v_pk_add_f32 v[36:37], v[32:33], v[14:15] neg_lo:[0,1] neg_hi:[0,1]
	v_mov_b32_e32 v32, v9
	v_mov_b32_e32 v33, v14
	;; [unrolled: 1-line block ×3, first 2 shown]
	v_pk_add_f32 v[12:13], v[12:13], v[32:33] neg_lo:[0,1] neg_hi:[0,1]
	v_mov_b32_e32 v14, v31
	v_mov_b32_e32 v15, v8
	v_pk_add_f32 v[8:9], v[14:15], v[12:13] neg_lo:[0,1] neg_hi:[0,1]
	v_mov_b32_e32 v36, v34
	v_pk_add_f32 v[12:13], v[36:37], v[8:9]
	s_nop 0
	v_mov_b32_e32 v14, v13
	v_pk_add_f32 v[14:15], v[12:13], v[14:15]
	s_nop 0
	v_pk_add_f32 v[30:31], v[10:11], v[14:15]
	v_mov_b32_e32 v9, v14
	v_mov_b32_e32 v13, v30
	v_pk_add_f32 v[32:33], v[12:13], v[34:35] neg_lo:[0,1] neg_hi:[0,1]
	s_nop 0
	v_sub_f32_e32 v10, v12, v32
	v_pk_add_f32 v[8:9], v[8:9], v[32:33] neg_lo:[0,1] neg_hi:[0,1]
	v_sub_f32_e32 v10, v34, v10
	v_add_f32_e32 v8, v8, v10
	v_add_f32_e32 v8, v8, v9
	v_add_f32_e32 v8, v30, v8
	v_cndmask_b32_e32 v46, v8, v27, vcc
.LBB88_105:                             ;   in Loop: Header=BB88_13 Depth=1
	s_or_b64 exec, exec, s[4:5]
	v_cvt_f32_f16_sdwa v8, v11 dst_sel:DWORD dst_unused:UNUSED_PAD src0_sel:WORD_1
	v_readlane_b32 s2, v166, 2
	s_nop 1
	v_add_f32_e32 v47, s2, v8
	v_readlane_b32 s2, v166, 23
	v_cmp_ge_f32_e32 vcc, s6, v47
	v_readlane_b32 s3, v166, 24
	s_and_b64 s[2:3], s[2:3], vcc
	s_and_saveexec_b64 s[4:5], s[2:3]
	s_cbranch_execz .LBB88_107
; %bb.106:                              ;   in Loop: Header=BB88_13 Depth=1
	v_mul_f32_e32 v8, 0x3fb8aa3b, v47
	v_rndne_f32_e32 v9, v8
	v_sub_f32_e32 v10, v8, v9
	v_fma_f32 v8, v47, s8, -v8
	v_fmac_f32_e32 v8, 0x32a5705f, v47
	v_add_f32_e32 v8, v10, v8
	v_cvt_i32_f32_e32 v9, v9
	v_exp_f32_e32 v8, v8
	v_cmp_ngt_f32_e32 vcc, s9, v47
	v_ldexp_f32 v8, v8, v9
	s_nop 0
	v_cndmask_b32_e32 v8, 0, v8, vcc
	v_cmp_nlt_f32_e32 vcc, s10, v47
	s_nop 1
	v_cndmask_b32_e32 v27, v140, v8, vcc
	v_add_f32_e32 v10, 1.0, v27
	v_add_f32_e32 v8, -1.0, v10
	v_sub_f32_e32 v9, v8, v10
	v_add_f32_e32 v9, 1.0, v9
	v_sub_f32_e32 v8, v27, v8
	v_add_f32_e32 v11, v8, v9
	v_frexp_mant_f32_e32 v12, v10
	v_cvt_f64_f32_e32 v[8:9], v10
	v_frexp_exp_i32_f64_e32 v8, v[8:9]
	v_cmp_gt_f32_e32 vcc, s12, v12
	v_cmp_gt_f32_e64 s[60:61], s16, v27
	s_nop 0
	v_subbrev_co_u32_e32 v30, vcc, 0, v8, vcc
	v_sub_u32_e32 v8, 0, v30
	v_ldexp_f32 v9, v10, v8
	v_add_f32_e32 v10, -1.0, v9
	v_add_f32_e32 v12, 1.0, v9
	v_ldexp_f32 v8, v11, v8
	v_add_f32_e32 v11, 1.0, v10
	v_add_f32_e32 v13, -1.0, v12
	v_sub_f32_e32 v11, v9, v11
	v_sub_f32_e32 v9, v9, v13
	v_add_f32_e32 v11, v8, v11
	v_add_f32_e32 v8, v8, v9
	;; [unrolled: 1-line block ×3, first 2 shown]
	v_rcp_f32_e32 v32, v29
	v_sub_f32_e32 v9, v12, v29
	v_add_f32_e32 v31, v8, v9
	v_add_f32_e32 v9, v10, v11
	v_mul_f32_e32 v34, v9, v32
	v_sub_f32_e32 v8, v10, v9
	v_mul_f32_e32 v10, v29, v34
	v_fma_f32 v12, v34, v29, -v10
	v_fmac_f32_e32 v12, v34, v31
	v_add_f32_e32 v33, v11, v8
	v_add_f32_e32 v8, v10, v12
	v_sub_f32_e32 v11, v9, v8
	v_pk_add_f32 v[14:15], v[8:9], v[10:11] neg_lo:[0,1] neg_hi:[0,1]
	v_mov_b32_e32 v13, v8
	v_pk_add_f32 v[8:9], v[14:15], v[12:13] neg_lo:[0,1] neg_hi:[0,1]
	v_cmp_eq_f32_e32 vcc, s11, v27
	v_add_f32_e32 v9, v33, v9
	v_add_f32_e32 v8, v8, v9
	;; [unrolled: 1-line block ×3, first 2 shown]
	v_mul_f32_e32 v33, v32, v9
	v_mul_f32_e32 v10, v29, v33
	v_fma_f32 v12, v33, v29, -v10
	v_fmac_f32_e32 v12, v33, v31
	v_sub_f32_e32 v11, v11, v9
	v_add_f32_e32 v29, v8, v11
	v_add_f32_e32 v8, v10, v12
	v_sub_f32_e32 v11, v9, v8
	v_pk_add_f32 v[14:15], v[8:9], v[10:11] neg_lo:[0,1] neg_hi:[0,1]
	v_mov_b32_e32 v13, v8
	v_pk_add_f32 v[8:9], v[14:15], v[12:13] neg_lo:[0,1] neg_hi:[0,1]
	s_or_b64 vcc, s[60:61], vcc
	v_add_f32_e32 v9, v29, v9
	v_add_f32_e32 v8, v8, v9
	;; [unrolled: 1-line block ×4, first 2 shown]
	v_sub_f32_e32 v10, v9, v34
	v_mul_f32_e32 v8, v32, v8
	v_sub_f32_e32 v10, v33, v10
	v_add_f32_e32 v10, v10, v8
	v_add_f32_e32 v12, v9, v10
	v_mul_f32_e32 v13, v12, v12
	v_fmamk_f32 v8, v13, 0x3e9b6dac, v139
	v_fmaak_f32 v29, v13, v8, 0x3f2aaada
	v_cvt_f32_i32_e32 v8, v30
	v_sub_f32_e32 v9, v12, v9
	v_sub_f32_e32 v9, v10, v9
	v_ldexp_f32 v14, v9, 1
	v_mul_f32_e32 v9, v12, v13
	v_ldexp_f32 v11, v12, 1
	v_pk_mul_f32 v[12:13], v[8:9], v[28:29]
	s_nop 0
	v_fma_f32 v10, v8, s13, -v12
	v_fmac_f32_e32 v10, 0xb102e308, v8
	v_pk_add_f32 v[8:9], v[12:13], v[10:11]
	s_nop 0
	v_sub_f32_e32 v11, v9, v11
	v_sub_f32_e32 v11, v13, v11
	v_add_f32_e32 v15, v14, v11
	v_mov_b32_e32 v14, v12
	v_pk_add_f32 v[12:13], v[8:9], v[12:13] neg_lo:[0,1] neg_hi:[0,1]
	v_pk_add_f32 v[30:31], v[8:9], v[14:15]
	v_mov_b32_e32 v11, v8
	v_mov_b32_e32 v13, v31
	v_pk_add_f32 v[32:33], v[10:11], v[12:13] neg_lo:[0,1] neg_hi:[0,1]
	v_pk_add_f32 v[10:11], v[10:11], v[12:13]
	v_mov_b32_e32 v14, v15
	v_mov_b32_e32 v12, v11
	v_pk_add_f32 v[34:35], v[12:13], v[8:9] neg_lo:[0,1] neg_hi:[0,1]
	v_mov_b32_e32 v10, v31
	v_mov_b32_e32 v13, v34
	v_pk_add_f32 v[36:37], v[30:31], v[12:13] neg_lo:[0,1] neg_hi:[0,1]
	v_mov_b32_e32 v30, v9
	v_mov_b32_e32 v31, v34
	;; [unrolled: 1-line block ×3, first 2 shown]
	v_pk_add_f32 v[10:11], v[10:11], v[30:31] neg_lo:[0,1] neg_hi:[0,1]
	v_mov_b32_e32 v15, v8
	v_pk_add_f32 v[8:9], v[14:15], v[10:11] neg_lo:[0,1] neg_hi:[0,1]
	v_mov_b32_e32 v36, v32
	v_pk_add_f32 v[10:11], v[36:37], v[8:9]
	s_nop 0
	v_mov_b32_e32 v14, v11
	v_pk_add_f32 v[14:15], v[10:11], v[14:15]
	s_nop 0
	v_pk_add_f32 v[12:13], v[12:13], v[14:15]
	v_mov_b32_e32 v9, v14
	v_mov_b32_e32 v11, v12
	v_pk_add_f32 v[30:31], v[10:11], v[32:33] neg_lo:[0,1] neg_hi:[0,1]
	s_nop 0
	v_sub_f32_e32 v10, v10, v30
	v_pk_add_f32 v[8:9], v[8:9], v[30:31] neg_lo:[0,1] neg_hi:[0,1]
	v_sub_f32_e32 v10, v32, v10
	v_add_f32_e32 v8, v8, v10
	v_add_f32_e32 v8, v8, v9
	v_add_f32_e32 v8, v12, v8
	v_cndmask_b32_e32 v47, v8, v27, vcc
.LBB88_107:                             ;   in Loop: Header=BB88_13 Depth=1
	s_or_b64 exec, exec, s[4:5]
	v_cvt_f32_f16_e32 v8, v7
	v_cvt_f32_f16_sdwa v9, v6 dst_sel:DWORD dst_unused:UNUSED_PAD src0_sel:WORD_1
	v_cvt_f32_f16_e32 v6, v6
	v_cvt_f32_f16_sdwa v13, v7 dst_sel:DWORD dst_unused:UNUSED_PAD src0_sel:WORD_1
	v_cvt_f32_f16_sdwa v7, v5 dst_sel:DWORD dst_unused:UNUSED_PAD src0_sel:WORD_1
	v_cvt_f32_f16_e32 v5, v5
	v_cvt_f32_f16_sdwa v10, v4 dst_sel:DWORD dst_unused:UNUSED_PAD src0_sel:WORD_1
	v_cvt_f32_f16_e32 v4, v4
	;; [unrolled: 2-line block ×6, first 2 shown]
	v_readlane_b32 s2, v166, 3
	s_barrier
	s_nop 0
	v_mul_f32_e32 v32, s2, v8
	v_mul_f32_e32 v31, s2, v9
	;; [unrolled: 1-line block ×16, first 2 shown]
	v_readlane_b32 s2, v166, 26
	v_readlane_b32 s3, v166, 27
	s_and_b64 vcc, exec, s[2:3]
	s_cbranch_vccz .LBB88_204
; %bb.108:                              ;   in Loop: Header=BB88_13 Depth=1
	v_readlane_b32 s2, v166, 9
	v_readlane_b32 s3, v166, 10
	v_mul_f32_e32 v127, v143, v0
	v_cmp_gt_u32_e32 vcc, s88, v19
	v_lshl_add_u64 v[48:49], s[2:3], 0, v[16:17]
	v_readlane_b32 s2, v166, 19
	v_readlane_b32 s3, v166, 20
	v_or_b32_e32 v0, 1, v19
	v_mov_b32_e32 v27, v17
	v_lshl_add_u64 v[50:51], s[2:3], 0, v[16:17]
	v_readlane_b32 s3, v166, 60
	s_cmp_lg_u32 s3, 0
	v_readlane_b32 s2, v166, 30
	s_cselect_b64 s[94:95], -1, 0
	s_cmp_eq_u32 s3, s2
	v_readlane_b32 s2, v166, 51
	v_readlane_b32 s3, v166, 52
	s_cselect_b64 s[96:97], -1, 0
	s_or_b64 s[60:61], s[2:3], vcc
	v_cmp_gt_u32_e32 vcc, s88, v0
	v_or_b32_e32 v0, 2, v19
	s_or_b64 s[62:63], s[2:3], vcc
	v_cmp_gt_u32_e32 vcc, s88, v0
	v_or_b32_e32 v0, 3, v19
	;; [unrolled: 3-line block ×14, first 2 shown]
	s_mov_b32 s6, 0
	v_cmp_gt_u32_e64 s[88:89], s88, v0
	v_mul_f32_e32 v29, v47, v13
	v_lshl_add_u64 v[48:49], v[48:49], 0, v[26:27]
	v_lshl_add_u64 v[50:51], v[50:51], 0, v[26:27]
	v_mul_f32_e32 v16, v46, v8
	v_mul_f32_e32 v27, v156, v9
	v_mul_f32_e32 v157, v155, v6
	v_mul_f32_e32 v158, v154, v7
	v_mul_f32_e32 v159, v153, v5
	v_mul_f32_e32 v160, v152, v10
	v_mul_f32_e32 v161, v151, v4
	v_mul_f32_e32 v162, v150, v11
	v_mul_f32_e32 v163, v149, v3
	v_mul_f32_e32 v164, v148, v12
	v_mul_f32_e32 v165, v147, v2
	v_mul_f32_e32 v124, v146, v14
	v_mul_f32_e32 v125, v145, v1
	v_mul_f32_e32 v126, v144, v15
	s_or_b64 s[88:89], s[2:3], s[88:89]
	s_or_b64 s[90:91], s[2:3], vcc
	s_mov_b32 s92, s6
	s_mov_b32 s98, s6
	;; [unrolled: 1-line block ×3, first 2 shown]
	v_readlane_b32 s8, v166, 25
	v_readlane_b32 s9, v166, 59
	s_branch .LBB88_110
.LBB88_109:                             ;   in Loop: Header=BB88_110 Depth=2
	s_or_b64 exec, exec, s[2:3]
	v_cndmask_b32_e64 v8, v8, v71, s[24:25]
	v_cndmask_b32_e64 v52, v62, v70, s[24:25]
	v_mul_f32_e32 v52, v52, v129
	v_fma_f32 v8, v8, v129, v128
	v_cndmask_b32_e64 v8, v8, v128, s[22:23]
	v_cndmask_b32_e64 v52, v52, v129, s[22:23]
	s_waitcnt lgkmcnt(0)
	v_fmac_f32_e32 v8, v65, v52
	v_fmac_f32_e32 v9, v8, v130
	v_fmac_f32_e32 v10, v9, v131
	v_fmac_f32_e32 v11, v10, v132
	v_fmac_f32_e32 v12, v11, v133
	v_fmac_f32_e32 v13, v12, v134
	v_fmac_f32_e32 v14, v13, v135
	v_fmac_f32_e32 v15, v14, v136
	v_fmac_f32_e32 v54, v15, v137
	v_fmac_f32_e32 v55, v54, v138
	v_fmac_f32_e32 v58, v55, v73
	v_fmac_f32_e32 v59, v58, v74
	v_fmac_f32_e32 v56, v59, v64
	v_fmac_f32_e32 v57, v56, v60
	v_fmac_f32_e32 v61, v57, v66
	v_readlane_b32 s12, v166, 31
	v_fmac_f32_e32 v63, v61, v67
	v_cvt_f32_f16_sdwa v53, v4 dst_sel:DWORD dst_unused:UNUSED_PAD src0_sel:WORD_1
	v_cvt_f32_f16_sdwa v65, v5 dst_sel:DWORD dst_unused:UNUSED_PAD src0_sel:WORD_1
	v_cvt_f32_f16_e32 v52, v4
	v_cvt_f32_f16_e32 v64, v5
	v_cvt_f32_f16_sdwa v5, v6 dst_sel:DWORD dst_unused:UNUSED_PAD src0_sel:WORD_1
	v_cvt_f32_f16_sdwa v67, v7 dst_sel:DWORD dst_unused:UNUSED_PAD src0_sel:WORD_1
	v_cvt_f32_f16_e32 v4, v6
	v_cvt_f32_f16_e32 v66, v7
	;; [unrolled: 4-line block ×4, first 2 shown]
	v_readlane_b32 s13, v166, 32
	v_readlane_b32 s14, v166, 33
	;; [unrolled: 1-line block ×7, first 2 shown]
	s_add_i32 s98, s98, s12
	v_readlane_b32 s12, v166, 11
	v_readlane_b32 s2, v166, 4
	;; [unrolled: 1-line block ×4, first 2 shown]
	v_mov_b32_e32 v62, v61
	s_add_i32 s9, s9, 8
	s_add_i32 s8, s8, -1
	s_add_i32 s4, s4, s2
	s_add_i32 s92, s92, s16
	s_add_i32 s6, s6, s13
	v_pk_fma_f32 v[44:45], v[10:11], v[64:65], v[44:45]
	v_pk_fma_f32 v[42:43], v[8:9], v[52:53], v[42:43]
	;; [unrolled: 1-line block ×7, first 2 shown]
	s_cmp_eq_u32 s8, 0
	v_pk_fma_f32 v[30:31], v[56:57], v[0:1], v[30:31]
	v_readlane_b32 s14, v166, 13
	v_readlane_b32 s15, v166, 14
	;; [unrolled: 1-line block ×5, first 2 shown]
	s_cbranch_scc1 .LBB88_203
.LBB88_110:                             ;   Parent Loop BB88_13 Depth=1
                                        ; =>  This Inner Loop Header: Depth=2
	s_lshl_b64 s[2:3], s[6:7], 2
	v_readlane_b32 s5, v166, 7
	s_add_u32 s2, s5, s2
	v_readlane_b32 s5, v166, 8
	s_addc_u32 s3, s5, s3
	global_load_dword v54, v17, s[2:3]
	s_mov_b32 s93, s7
	v_lshl_add_u64 v[0:1], s[92:93], 1, v[48:49]
	v_mov_b32_e32 v2, 0
	v_mov_b32_e32 v3, 0
	s_and_saveexec_b64 s[2:3], s[26:27]
	s_cbranch_execnz .LBB88_146
; %bb.111:                              ;   in Loop: Header=BB88_110 Depth=2
	s_or_b64 exec, exec, s[2:3]
	s_and_saveexec_b64 s[2:3], s[28:29]
	s_cbranch_execnz .LBB88_147
.LBB88_112:                             ;   in Loop: Header=BB88_110 Depth=2
	s_or_b64 exec, exec, s[2:3]
	v_mov_b32_e32 v4, 0
	s_and_saveexec_b64 s[2:3], s[30:31]
	s_cbranch_execnz .LBB88_148
.LBB88_113:                             ;   in Loop: Header=BB88_110 Depth=2
	s_or_b64 exec, exec, s[2:3]
	s_and_saveexec_b64 s[2:3], s[34:35]
	s_cbranch_execnz .LBB88_149
.LBB88_114:                             ;   in Loop: Header=BB88_110 Depth=2
	s_or_b64 exec, exec, s[2:3]
	v_mov_b32_e32 v5, 0
	s_and_saveexec_b64 s[2:3], s[36:37]
	s_cbranch_execnz .LBB88_150
.LBB88_115:                             ;   in Loop: Header=BB88_110 Depth=2
	s_or_b64 exec, exec, s[2:3]
	s_and_saveexec_b64 s[2:3], s[38:39]
	s_cbranch_execnz .LBB88_151
.LBB88_116:                             ;   in Loop: Header=BB88_110 Depth=2
	s_or_b64 exec, exec, s[2:3]
	v_mov_b32_e32 v6, 0
	s_and_saveexec_b64 s[2:3], s[40:41]
	s_cbranch_execnz .LBB88_152
.LBB88_117:                             ;   in Loop: Header=BB88_110 Depth=2
	s_or_b64 exec, exec, s[2:3]
	s_and_saveexec_b64 s[2:3], s[42:43]
	s_cbranch_execnz .LBB88_153
.LBB88_118:                             ;   in Loop: Header=BB88_110 Depth=2
	s_or_b64 exec, exec, s[2:3]
	v_mov_b32_e32 v7, 0
	s_and_saveexec_b64 s[2:3], s[44:45]
	s_cbranch_execnz .LBB88_154
.LBB88_119:                             ;   in Loop: Header=BB88_110 Depth=2
	s_or_b64 exec, exec, s[2:3]
	s_and_saveexec_b64 s[2:3], s[46:47]
	s_cbranch_execnz .LBB88_155
.LBB88_120:                             ;   in Loop: Header=BB88_110 Depth=2
	s_or_b64 exec, exec, s[2:3]
	v_mov_b32_e32 v8, 0
	s_and_saveexec_b64 s[2:3], s[48:49]
	s_cbranch_execnz .LBB88_156
.LBB88_121:                             ;   in Loop: Header=BB88_110 Depth=2
	s_or_b64 exec, exec, s[2:3]
	s_and_saveexec_b64 s[2:3], s[50:51]
	s_cbranch_execnz .LBB88_157
.LBB88_122:                             ;   in Loop: Header=BB88_110 Depth=2
	s_or_b64 exec, exec, s[2:3]
	v_mov_b32_e32 v9, 0
	s_and_saveexec_b64 s[2:3], s[52:53]
	s_cbranch_execnz .LBB88_158
.LBB88_123:                             ;   in Loop: Header=BB88_110 Depth=2
	s_or_b64 exec, exec, s[2:3]
	s_and_saveexec_b64 s[2:3], s[54:55]
	s_cbranch_execnz .LBB88_159
.LBB88_124:                             ;   in Loop: Header=BB88_110 Depth=2
	s_or_b64 exec, exec, s[2:3]
	v_mov_b32_e32 v10, 0
	s_and_saveexec_b64 s[2:3], s[56:57]
	s_cbranch_execnz .LBB88_160
.LBB88_125:                             ;   in Loop: Header=BB88_110 Depth=2
	s_or_b64 exec, exec, s[2:3]
	s_and_saveexec_b64 s[2:3], s[58:59]
	s_cbranch_execz .LBB88_127
.LBB88_126:                             ;   in Loop: Header=BB88_110 Depth=2
	global_load_ushort v0, v[0:1], off offset:1920
	s_waitcnt vmcnt(0)
	v_lshl_or_b32 v10, v0, 16, v10
.LBB88_127:                             ;   in Loop: Header=BB88_110 Depth=2
	s_or_b64 exec, exec, s[2:3]
	s_waitcnt vmcnt(0)
	ds_write_b16 v88, v3
	ds_write_b16 v89, v2 offset:128
	ds_write_b16 v90, v4 offset:256
	ds_write_b16_d16_hi v91, v4 offset:384
	ds_write_b16 v92, v5 offset:512
	ds_write_b16_d16_hi v93, v5 offset:640
	;; [unrolled: 2-line block ×7, first 2 shown]
	; wave barrier
	ds_read_b128 v[12:15], v119
	ds_read_b128 v[8:11], v119 offset:16
	s_mov_b32 s99, s7
	v_lshl_add_u64 v[0:1], s[98:99], 1, v[50:51]
	v_mov_b32_e32 v2, 0
	v_mov_b32_e32 v3, 0
	s_and_saveexec_b64 s[2:3], s[26:27]
	s_cbranch_execnz .LBB88_161
; %bb.128:                              ;   in Loop: Header=BB88_110 Depth=2
	s_or_b64 exec, exec, s[2:3]
	s_and_saveexec_b64 s[2:3], s[28:29]
	s_cbranch_execnz .LBB88_162
.LBB88_129:                             ;   in Loop: Header=BB88_110 Depth=2
	s_or_b64 exec, exec, s[2:3]
	v_mov_b32_e32 v4, 0
	s_and_saveexec_b64 s[2:3], s[30:31]
	s_cbranch_execnz .LBB88_163
.LBB88_130:                             ;   in Loop: Header=BB88_110 Depth=2
	s_or_b64 exec, exec, s[2:3]
	s_and_saveexec_b64 s[2:3], s[34:35]
	s_cbranch_execnz .LBB88_164
.LBB88_131:                             ;   in Loop: Header=BB88_110 Depth=2
	s_or_b64 exec, exec, s[2:3]
	v_mov_b32_e32 v5, 0
	s_and_saveexec_b64 s[2:3], s[36:37]
	s_cbranch_execnz .LBB88_165
.LBB88_132:                             ;   in Loop: Header=BB88_110 Depth=2
	s_or_b64 exec, exec, s[2:3]
	s_and_saveexec_b64 s[2:3], s[38:39]
	s_cbranch_execnz .LBB88_166
.LBB88_133:                             ;   in Loop: Header=BB88_110 Depth=2
	s_or_b64 exec, exec, s[2:3]
	v_mov_b32_e32 v6, 0
	s_and_saveexec_b64 s[2:3], s[40:41]
	s_cbranch_execnz .LBB88_167
.LBB88_134:                             ;   in Loop: Header=BB88_110 Depth=2
	s_or_b64 exec, exec, s[2:3]
	s_and_saveexec_b64 s[2:3], s[42:43]
	s_cbranch_execnz .LBB88_168
.LBB88_135:                             ;   in Loop: Header=BB88_110 Depth=2
	s_or_b64 exec, exec, s[2:3]
	v_mov_b32_e32 v7, 0
	s_and_saveexec_b64 s[2:3], s[44:45]
	s_cbranch_execnz .LBB88_169
.LBB88_136:                             ;   in Loop: Header=BB88_110 Depth=2
	s_or_b64 exec, exec, s[2:3]
	s_and_saveexec_b64 s[2:3], s[46:47]
	s_cbranch_execnz .LBB88_170
.LBB88_137:                             ;   in Loop: Header=BB88_110 Depth=2
	s_or_b64 exec, exec, s[2:3]
	v_mov_b32_e32 v52, 0
	s_and_saveexec_b64 s[2:3], s[48:49]
	s_cbranch_execnz .LBB88_171
.LBB88_138:                             ;   in Loop: Header=BB88_110 Depth=2
	s_or_b64 exec, exec, s[2:3]
	s_and_saveexec_b64 s[2:3], s[50:51]
	s_cbranch_execnz .LBB88_172
.LBB88_139:                             ;   in Loop: Header=BB88_110 Depth=2
	s_or_b64 exec, exec, s[2:3]
	v_mov_b32_e32 v53, 0
	s_and_saveexec_b64 s[2:3], s[52:53]
	s_cbranch_execnz .LBB88_173
.LBB88_140:                             ;   in Loop: Header=BB88_110 Depth=2
	s_or_b64 exec, exec, s[2:3]
	s_and_saveexec_b64 s[2:3], s[54:55]
	s_cbranch_execnz .LBB88_174
.LBB88_141:                             ;   in Loop: Header=BB88_110 Depth=2
	s_or_b64 exec, exec, s[2:3]
	v_mov_b32_e32 v55, 0
	s_and_saveexec_b64 s[2:3], s[56:57]
	s_cbranch_execnz .LBB88_175
.LBB88_142:                             ;   in Loop: Header=BB88_110 Depth=2
	s_or_b64 exec, exec, s[2:3]
	s_and_saveexec_b64 s[2:3], s[58:59]
	s_cbranch_execz .LBB88_144
.LBB88_143:                             ;   in Loop: Header=BB88_110 Depth=2
	global_load_ushort v0, v[0:1], off offset:1920
	s_waitcnt vmcnt(0)
	v_lshl_or_b32 v55, v0, 16, v55
.LBB88_144:                             ;   in Loop: Header=BB88_110 Depth=2
	s_or_b64 exec, exec, s[2:3]
	s_waitcnt vmcnt(0)
	ds_write_b16 v88, v3 offset:4224
	ds_write_b16 v101, v2 offset:128
	;; [unrolled: 1-line block ×3, first 2 shown]
	ds_write_b16_d16_hi v103, v4 offset:384
	ds_write_b16 v104, v5 offset:512
	ds_write_b16_d16_hi v105, v5 offset:640
	ds_write_b16 v106, v6 offset:768
	;; [unrolled: 2-line block ×6, first 2 shown]
	ds_write_b16_d16_hi v118, v55 offset:1920
	; wave barrier
	ds_read_b128 v[4:7], v119 offset:4224
	ds_read_b128 v[0:3], v120 offset:16
	s_andn2_b64 vcc, exec, s[94:95]
	s_cbranch_vccnz .LBB88_176
; %bb.145:                              ;   in Loop: Header=BB88_110 Depth=2
	v_mov_b32_e32 v52, s9
	ds_read_b64 v[52:53], v52
	s_cbranch_execz .LBB88_177
	s_branch .LBB88_180
.LBB88_146:                             ;   in Loop: Header=BB88_110 Depth=2
	global_load_ushort v3, v[0:1], off
	s_or_b64 exec, exec, s[2:3]
	s_and_saveexec_b64 s[2:3], s[28:29]
	s_cbranch_execz .LBB88_112
.LBB88_147:                             ;   in Loop: Header=BB88_110 Depth=2
	global_load_ushort v2, v[0:1], off offset:128
	s_or_b64 exec, exec, s[2:3]
	v_mov_b32_e32 v4, 0
	s_and_saveexec_b64 s[2:3], s[30:31]
	s_cbranch_execz .LBB88_113
.LBB88_148:                             ;   in Loop: Header=BB88_110 Depth=2
	global_load_ushort v4, v[0:1], off offset:256
	s_or_b64 exec, exec, s[2:3]
	s_and_saveexec_b64 s[2:3], s[34:35]
	s_cbranch_execz .LBB88_114
.LBB88_149:                             ;   in Loop: Header=BB88_110 Depth=2
	global_load_ushort v5, v[0:1], off offset:384
	s_waitcnt vmcnt(0)
	v_lshl_or_b32 v4, v5, 16, v4
	s_or_b64 exec, exec, s[2:3]
	v_mov_b32_e32 v5, 0
	s_and_saveexec_b64 s[2:3], s[36:37]
	s_cbranch_execz .LBB88_115
.LBB88_150:                             ;   in Loop: Header=BB88_110 Depth=2
	global_load_ushort v5, v[0:1], off offset:512
	s_or_b64 exec, exec, s[2:3]
	s_and_saveexec_b64 s[2:3], s[38:39]
	s_cbranch_execz .LBB88_116
.LBB88_151:                             ;   in Loop: Header=BB88_110 Depth=2
	global_load_ushort v6, v[0:1], off offset:640
	s_waitcnt vmcnt(0)
	v_lshl_or_b32 v5, v6, 16, v5
	s_or_b64 exec, exec, s[2:3]
	v_mov_b32_e32 v6, 0
	s_and_saveexec_b64 s[2:3], s[40:41]
	s_cbranch_execz .LBB88_117
.LBB88_152:                             ;   in Loop: Header=BB88_110 Depth=2
	global_load_ushort v6, v[0:1], off offset:768
	s_or_b64 exec, exec, s[2:3]
	s_and_saveexec_b64 s[2:3], s[42:43]
	s_cbranch_execz .LBB88_118
.LBB88_153:                             ;   in Loop: Header=BB88_110 Depth=2
	global_load_ushort v7, v[0:1], off offset:896
	s_waitcnt vmcnt(0)
	v_lshl_or_b32 v6, v7, 16, v6
	s_or_b64 exec, exec, s[2:3]
	v_mov_b32_e32 v7, 0
	s_and_saveexec_b64 s[2:3], s[44:45]
	s_cbranch_execz .LBB88_119
.LBB88_154:                             ;   in Loop: Header=BB88_110 Depth=2
	global_load_ushort v7, v[0:1], off offset:1024
	s_or_b64 exec, exec, s[2:3]
	s_and_saveexec_b64 s[2:3], s[46:47]
	s_cbranch_execz .LBB88_120
.LBB88_155:                             ;   in Loop: Header=BB88_110 Depth=2
	global_load_ushort v8, v[0:1], off offset:1152
	s_waitcnt vmcnt(0)
	v_lshl_or_b32 v7, v8, 16, v7
	s_or_b64 exec, exec, s[2:3]
	v_mov_b32_e32 v8, 0
	s_and_saveexec_b64 s[2:3], s[48:49]
	s_cbranch_execz .LBB88_121
.LBB88_156:                             ;   in Loop: Header=BB88_110 Depth=2
	global_load_ushort v8, v[0:1], off offset:1280
	s_or_b64 exec, exec, s[2:3]
	s_and_saveexec_b64 s[2:3], s[50:51]
	s_cbranch_execz .LBB88_122
.LBB88_157:                             ;   in Loop: Header=BB88_110 Depth=2
	global_load_ushort v9, v[0:1], off offset:1408
	s_waitcnt vmcnt(0)
	v_lshl_or_b32 v8, v9, 16, v8
	s_or_b64 exec, exec, s[2:3]
	v_mov_b32_e32 v9, 0
	s_and_saveexec_b64 s[2:3], s[52:53]
	s_cbranch_execz .LBB88_123
.LBB88_158:                             ;   in Loop: Header=BB88_110 Depth=2
	global_load_ushort v9, v[0:1], off offset:1536
	s_or_b64 exec, exec, s[2:3]
	s_and_saveexec_b64 s[2:3], s[54:55]
	s_cbranch_execz .LBB88_124
.LBB88_159:                             ;   in Loop: Header=BB88_110 Depth=2
	global_load_ushort v10, v[0:1], off offset:1664
	s_waitcnt vmcnt(0)
	v_lshl_or_b32 v9, v10, 16, v9
	s_or_b64 exec, exec, s[2:3]
	v_mov_b32_e32 v10, 0
	s_and_saveexec_b64 s[2:3], s[56:57]
	s_cbranch_execz .LBB88_125
.LBB88_160:                             ;   in Loop: Header=BB88_110 Depth=2
	global_load_ushort v10, v[0:1], off offset:1792
	s_or_b64 exec, exec, s[2:3]
	s_and_saveexec_b64 s[2:3], s[58:59]
	s_cbranch_execnz .LBB88_126
	s_branch .LBB88_127
.LBB88_161:                             ;   in Loop: Header=BB88_110 Depth=2
	global_load_ushort v3, v[0:1], off
	s_or_b64 exec, exec, s[2:3]
	s_and_saveexec_b64 s[2:3], s[28:29]
	s_cbranch_execz .LBB88_129
.LBB88_162:                             ;   in Loop: Header=BB88_110 Depth=2
	global_load_ushort v2, v[0:1], off offset:128
	s_or_b64 exec, exec, s[2:3]
	v_mov_b32_e32 v4, 0
	s_and_saveexec_b64 s[2:3], s[30:31]
	s_cbranch_execz .LBB88_130
.LBB88_163:                             ;   in Loop: Header=BB88_110 Depth=2
	global_load_ushort v4, v[0:1], off offset:256
	s_or_b64 exec, exec, s[2:3]
	s_and_saveexec_b64 s[2:3], s[34:35]
	s_cbranch_execz .LBB88_131
.LBB88_164:                             ;   in Loop: Header=BB88_110 Depth=2
	global_load_ushort v5, v[0:1], off offset:384
	s_waitcnt vmcnt(0)
	v_lshl_or_b32 v4, v5, 16, v4
	s_or_b64 exec, exec, s[2:3]
	v_mov_b32_e32 v5, 0
	s_and_saveexec_b64 s[2:3], s[36:37]
	s_cbranch_execz .LBB88_132
.LBB88_165:                             ;   in Loop: Header=BB88_110 Depth=2
	global_load_ushort v5, v[0:1], off offset:512
	s_or_b64 exec, exec, s[2:3]
	s_and_saveexec_b64 s[2:3], s[38:39]
	s_cbranch_execz .LBB88_133
.LBB88_166:                             ;   in Loop: Header=BB88_110 Depth=2
	global_load_ushort v6, v[0:1], off offset:640
	s_waitcnt vmcnt(0)
	v_lshl_or_b32 v5, v6, 16, v5
	s_or_b64 exec, exec, s[2:3]
	v_mov_b32_e32 v6, 0
	s_and_saveexec_b64 s[2:3], s[40:41]
	s_cbranch_execz .LBB88_134
.LBB88_167:                             ;   in Loop: Header=BB88_110 Depth=2
	global_load_ushort v6, v[0:1], off offset:768
	s_or_b64 exec, exec, s[2:3]
	s_and_saveexec_b64 s[2:3], s[42:43]
	s_cbranch_execz .LBB88_135
.LBB88_168:                             ;   in Loop: Header=BB88_110 Depth=2
	global_load_ushort v7, v[0:1], off offset:896
	s_waitcnt vmcnt(0)
	v_lshl_or_b32 v6, v7, 16, v6
	s_or_b64 exec, exec, s[2:3]
	v_mov_b32_e32 v7, 0
	s_and_saveexec_b64 s[2:3], s[44:45]
	s_cbranch_execz .LBB88_136
.LBB88_169:                             ;   in Loop: Header=BB88_110 Depth=2
	global_load_ushort v7, v[0:1], off offset:1024
	s_or_b64 exec, exec, s[2:3]
	s_and_saveexec_b64 s[2:3], s[46:47]
	s_cbranch_execz .LBB88_137
.LBB88_170:                             ;   in Loop: Header=BB88_110 Depth=2
	global_load_ushort v52, v[0:1], off offset:1152
	s_waitcnt vmcnt(0)
	v_lshl_or_b32 v7, v52, 16, v7
	s_or_b64 exec, exec, s[2:3]
	v_mov_b32_e32 v52, 0
	s_and_saveexec_b64 s[2:3], s[48:49]
	s_cbranch_execz .LBB88_138
.LBB88_171:                             ;   in Loop: Header=BB88_110 Depth=2
	global_load_ushort v52, v[0:1], off offset:1280
	s_or_b64 exec, exec, s[2:3]
	s_and_saveexec_b64 s[2:3], s[50:51]
	s_cbranch_execz .LBB88_139
.LBB88_172:                             ;   in Loop: Header=BB88_110 Depth=2
	global_load_ushort v53, v[0:1], off offset:1408
	s_waitcnt vmcnt(0)
	v_lshl_or_b32 v52, v53, 16, v52
	s_or_b64 exec, exec, s[2:3]
	v_mov_b32_e32 v53, 0
	s_and_saveexec_b64 s[2:3], s[52:53]
	s_cbranch_execz .LBB88_140
.LBB88_173:                             ;   in Loop: Header=BB88_110 Depth=2
	global_load_ushort v53, v[0:1], off offset:1536
	s_or_b64 exec, exec, s[2:3]
	s_and_saveexec_b64 s[2:3], s[54:55]
	s_cbranch_execz .LBB88_141
.LBB88_174:                             ;   in Loop: Header=BB88_110 Depth=2
	global_load_ushort v55, v[0:1], off offset:1664
	s_waitcnt vmcnt(0)
	v_lshl_or_b32 v53, v55, 16, v53
	s_or_b64 exec, exec, s[2:3]
	v_mov_b32_e32 v55, 0
	s_and_saveexec_b64 s[2:3], s[56:57]
	s_cbranch_execz .LBB88_142
.LBB88_175:                             ;   in Loop: Header=BB88_110 Depth=2
	global_load_ushort v55, v[0:1], off offset:1792
	s_or_b64 exec, exec, s[2:3]
	s_and_saveexec_b64 s[2:3], s[58:59]
	s_cbranch_execnz .LBB88_143
	s_branch .LBB88_144
.LBB88_176:                             ;   in Loop: Header=BB88_110 Depth=2
                                        ; implicit-def: $vgpr53
.LBB88_177:                             ;   in Loop: Header=BB88_110 Depth=2
	v_readlane_b32 s2, v166, 0
	v_readlane_b32 s3, v166, 1
	s_andn2_b64 vcc, exec, s[2:3]
	s_waitcnt lgkmcnt(0)
	v_mov_b32_e32 v53, 0
	s_cbranch_vccnz .LBB88_179
; %bb.178:                              ;   in Loop: Header=BB88_110 Depth=2
	s_mov_b32 s5, s7
	s_lshl_b64 s[2:3], s[4:5], 1
	v_readlane_b32 s5, v166, 21
	s_add_u32 s2, s5, s2
	v_readlane_b32 s5, v166, 22
	s_addc_u32 s3, s5, s3
	global_load_ushort v52, v17, s[2:3]
	s_waitcnt vmcnt(0)
	v_cvt_f32_f16_e32 v53, v52
.LBB88_179:                             ;   in Loop: Header=BB88_110 Depth=2
	v_mov_b32_e32 v52, 1.0
.LBB88_180:                             ;   in Loop: Header=BB88_110 Depth=2
	s_waitcnt lgkmcnt(14)
	v_cvt_f32_f16_e32 v59, v8
	v_cvt_f32_f16_sdwa v60, v8 dst_sel:DWORD dst_unused:UNUSED_PAD src0_sel:WORD_1
	v_mul_f32_e32 v8, 0x3fb8aa3b, v54
	v_cvt_f32_f16_e32 v61, v9
	v_cvt_f32_f16_sdwa v63, v9 dst_sel:DWORD dst_unused:UNUSED_PAD src0_sel:WORD_1
	v_mul_f32_e32 v9, v8, v143
	v_cmp_gt_f32_e32 vcc, s33, v9
	v_cvt_f32_f16_e32 v64, v10
	v_cvt_f32_f16_sdwa v65, v10 dst_sel:DWORD dst_unused:UNUSED_PAD src0_sel:WORD_1
	v_cndmask_b32_e32 v9, 0, v141, vcc
	v_fmac_f32_e32 v9, v8, v143
	v_exp_f32_e32 v9, v9
	v_cndmask_b32_e32 v10, 1.0, v142, vcc
	v_cvt_f32_f16_e32 v55, v12
	v_cvt_f32_f16_e32 v68, v11
	v_mul_f32_e32 v9, v9, v10
	v_cndmask_b32_e64 v129, 1.0, v9, s[60:61]
	v_mul_f32_e32 v9, v8, v144
	v_cmp_gt_f32_e32 vcc, s33, v9
	v_mul_f32_e32 v10, v127, v55
	v_cndmask_b32_e64 v128, 0, v10, s[60:61]
	v_cndmask_b32_e32 v9, 0, v141, vcc
	v_fmac_f32_e32 v9, v8, v144
	v_exp_f32_e32 v9, v9
	v_cndmask_b32_e32 v10, 1.0, v142, vcc
	v_cvt_f32_f16_sdwa v62, v11 dst_sel:DWORD dst_unused:UNUSED_PAD src0_sel:WORD_1
	v_cvt_f32_f16_sdwa v12, v12 dst_sel:DWORD dst_unused:UNUSED_PAD src0_sel:WORD_1
	v_mul_f32_e32 v10, v9, v10
	v_cndmask_b32_e64 v130, 1.0, v10, s[62:63]
	v_mul_f32_e32 v10, v8, v145
	v_cmp_gt_f32_e32 vcc, s33, v10
	v_mul_f32_e32 v9, v126, v12
	v_cvt_f32_f16_e32 v56, v13
	v_cndmask_b32_e32 v10, 0, v141, vcc
	v_fmac_f32_e32 v10, v8, v145
	v_exp_f32_e32 v10, v10
	v_cndmask_b32_e32 v11, 1.0, v142, vcc
	v_cvt_f32_f16_sdwa v13, v13 dst_sel:DWORD dst_unused:UNUSED_PAD src0_sel:WORD_1
	v_cvt_f32_f16_e32 v57, v14
	v_mul_f32_e32 v11, v10, v11
	v_cndmask_b32_e64 v131, 1.0, v11, s[64:65]
	v_mul_f32_e32 v11, v8, v146
	v_cmp_gt_f32_e32 vcc, s33, v11
	v_cvt_f32_f16_sdwa v14, v14 dst_sel:DWORD dst_unused:UNUSED_PAD src0_sel:WORD_1
	v_mul_f32_e32 v10, v125, v56
	v_cndmask_b32_e32 v11, 0, v141, vcc
	v_fmac_f32_e32 v11, v8, v146
	v_exp_f32_e32 v11, v11
	v_cndmask_b32_e32 v12, 1.0, v142, vcc
	v_cvt_f32_f16_e32 v58, v15
	v_cndmask_b32_e64 v9, 0, v9, s[62:63]
	v_mul_f32_e32 v12, v11, v12
	v_cndmask_b32_e64 v132, 1.0, v12, s[66:67]
	v_mul_f32_e32 v12, v8, v147
	v_cmp_gt_f32_e32 vcc, s33, v12
	v_mul_f32_e32 v11, v124, v13
	v_pk_mul_f32 v[66:67], v[8:9], v[46:47] op_sel_hi:[0,1]
	v_cndmask_b32_e32 v12, 0, v141, vcc
	v_fmac_f32_e32 v12, v8, v147
	v_exp_f32_e32 v12, v12
	v_cndmask_b32_e32 v13, 1.0, v142, vcc
	v_mul_f32_e32 v62, v29, v62
	v_cvt_f32_f16_sdwa v15, v15 dst_sel:DWORD dst_unused:UNUSED_PAD src0_sel:WORD_1
	v_mul_f32_e32 v13, v12, v13
	v_cndmask_b32_e64 v133, 1.0, v13, s[68:69]
	v_mul_f32_e32 v13, v8, v148
	v_cmp_gt_f32_e32 vcc, s33, v13
	v_mul_f32_e32 v12, v165, v57
	v_cndmask_b32_e64 v10, 0, v10, s[64:65]
	v_cndmask_b32_e32 v13, 0, v141, vcc
	v_fmac_f32_e32 v13, v8, v148
	v_exp_f32_e32 v13, v13
	v_cndmask_b32_e32 v54, 1.0, v142, vcc
	v_cndmask_b32_e64 v11, 0, v11, s[66:67]
	v_cndmask_b32_e64 v12, 0, v12, s[68:69]
	v_mul_f32_e32 v54, v13, v54
	v_mul_f32_e32 v13, v164, v14
	;; [unrolled: 1-line block ×3, first 2 shown]
	v_cmp_gt_f32_e32 vcc, s33, v14
	v_cndmask_b32_e64 v134, 1.0, v54, s[70:71]
	v_cndmask_b32_e64 v13, 0, v13, s[70:71]
	v_cndmask_b32_e32 v14, 0, v141, vcc
	v_fmac_f32_e32 v14, v8, v149
	v_exp_f32_e32 v14, v14
	v_cndmask_b32_e32 v54, 1.0, v142, vcc
	v_mul_f32_e32 v15, v162, v15
	v_cndmask_b32_e64 v15, 0, v15, s[74:75]
	v_mul_f32_e32 v54, v14, v54
	v_cndmask_b32_e64 v135, 1.0, v54, s[72:73]
	v_mul_f32_e32 v54, v8, v150
	v_cmp_gt_f32_e32 vcc, s33, v54
	v_mul_f32_e32 v14, v163, v58
	v_cndmask_b32_e64 v14, 0, v14, s[72:73]
	v_cndmask_b32_e32 v54, 0, v141, vcc
	v_fmac_f32_e32 v54, v8, v150
	v_exp_f32_e32 v54, v54
	v_cndmask_b32_e32 v55, 1.0, v142, vcc
	v_readlane_b32 s10, v166, 39
	v_readlane_b32 s11, v166, 40
	v_mul_f32_e32 v54, v54, v55
	v_cndmask_b32_e64 v136, 1.0, v54, s[74:75]
	v_mul_f32_e32 v54, v8, v151
	v_cmp_gt_f32_e32 vcc, s33, v54
	s_nop 1
	v_cndmask_b32_e32 v54, 0, v141, vcc
	v_fmac_f32_e32 v54, v8, v151
	v_exp_f32_e32 v54, v54
	v_cndmask_b32_e32 v55, 1.0, v142, vcc
	v_mul_f32_e32 v55, v54, v55
	v_cndmask_b32_e64 v137, 1.0, v55, s[76:77]
	v_mul_f32_e32 v55, v8, v152
	v_cmp_gt_f32_e32 vcc, s33, v55
	v_mul_f32_e32 v54, v161, v59
	v_cndmask_b32_e64 v54, 0, v54, s[76:77]
	v_cndmask_b32_e32 v55, 0, v141, vcc
	v_fmac_f32_e32 v55, v8, v152
	v_exp_f32_e32 v55, v55
	v_cndmask_b32_e32 v56, 1.0, v142, vcc
	v_mul_f32_e32 v56, v55, v56
	v_cndmask_b32_e64 v138, 1.0, v56, s[78:79]
	v_mul_f32_e32 v56, v8, v153
	v_cmp_gt_f32_e32 vcc, s33, v56
	v_mul_f32_e32 v55, v160, v60
	v_cndmask_b32_e64 v55, 0, v55, s[78:79]
	;; [unrolled: 10-line block ×4, first 2 shown]
	v_cndmask_b32_e32 v56, 0, v141, vcc
	v_fmac_f32_e32 v56, v8, v155
	v_exp_f32_e32 v56, v56
	v_cndmask_b32_e32 v57, 1.0, v142, vcc
	v_mul_f32_e32 v57, v56, v57
	v_mul_f32_e32 v56, v157, v64
	v_cndmask_b32_e64 v64, 1.0, v57, s[84:85]
	v_mul_f32_e32 v57, v8, v156
	v_cmp_gt_f32_e32 vcc, s33, v57
	v_cndmask_b32_e64 v56, 0, v56, s[84:85]
	s_nop 0
	v_cndmask_b32_e32 v57, 0, v141, vcc
	v_fmac_f32_e32 v57, v8, v156
	v_cndmask_b32_e32 v60, 1.0, v142, vcc
	v_mul_f32_e32 v8, v16, v68
	v_cmp_gt_f32_e32 vcc, s33, v66
	v_cndmask_b32_e64 v61, 0, v8, s[90:91]
	v_exp_f32_e32 v57, v57
	v_cndmask_b32_e32 v8, 0, v141, vcc
	v_add_f32_e32 v8, v66, v8
	v_exp_f32_e32 v8, v8
	v_cndmask_b32_e32 v63, 1.0, v142, vcc
	v_cmp_gt_f32_e32 vcc, s33, v67
	v_mul_f32_e32 v60, v57, v60
	v_mul_f32_e32 v8, v8, v63
	v_cndmask_b32_e32 v63, 0, v141, vcc
	v_add_f32_e32 v63, v67, v63
	v_exp_f32_e32 v63, v63
	v_mul_f32_e32 v57, v27, v65
	v_cndmask_b32_e32 v65, 1.0, v142, vcc
	v_cndmask_b32_e64 v66, 1.0, v8, s[90:91]
	v_mul_f32_e32 v65, v63, v65
	v_cndmask_b32_e64 v63, 0, v62, s[88:89]
	v_mul_f32_e32 v8, v130, v129
	v_fma_f32 v62, v130, v128, v9
	v_mul_f32_e32 v8, v8, v131
	v_fma_f32 v62, v62, v131, v10
	;; [unrolled: 2-line block ×11, first 2 shown]
	v_cndmask_b32_e64 v57, 0, v57, s[86:87]
	v_cndmask_b32_e64 v60, 1.0, v60, s[86:87]
	v_fma_f32 v8, v8, v64, v56
	v_cndmask_b32_e64 v67, 1.0, v65, s[88:89]
	v_fma_f32 v69, v8, v60, v57
	v_mov_b32_e32 v65, v66
	v_pk_mul_f32 v[76:77], v[68:69], v[64:65]
	v_pk_fma_f32 v[68:69], v[68:69], v[64:65], v[60:61]
	v_pk_mul_f32 v[76:77], v[76:77], v[60:61]
	v_mov_b32_e32 v70, v67
	v_mov_b32_e32 v77, v69
	;; [unrolled: 1-line block ×3, first 2 shown]
	v_pk_mul_f32 v[68:69], v[76:77], v[66:67]
	v_mov_b32_e32 v62, v67
	v_pk_mul_f32 v[70:71], v[68:69], v[70:71]
	v_pk_fma_f32 v[68:69], v[76:77], v[66:67], v[62:63]
	s_nop 0
	v_mov_b32_dpp v8, v70 row_shr:1 row_mask:0xf bank_mask:0xf
	v_mov_b32_dpp v62, v69 row_shr:1 row_mask:0xf bank_mask:0xf
	v_mul_f32_e32 v65, v70, v8
	v_fma_f32 v62, v70, v62, v69
	v_cndmask_b32_e64 v68, v65, v70, s[0:1]
	v_cndmask_b32_e64 v71, v62, v69, s[0:1]
	;; [unrolled: 1-line block ×4, first 2 shown]
	v_mov_b32_dpp v65, v71 row_shr:2 row_mask:0xf bank_mask:0xf
	v_mov_b32_dpp v62, v70 row_shr:2 row_mask:0xf bank_mask:0xf
	s_and_saveexec_b64 s[2:3], s[10:11]
; %bb.181:                              ;   in Loop: Header=BB88_110 Depth=2
	v_fmac_f32_e32 v71, v70, v65
	v_mul_f32_e32 v70, v70, v62
	v_mov_b32_e32 v68, v70
	v_mov_b32_e32 v8, v71
; %bb.182:                              ;   in Loop: Header=BB88_110 Depth=2
	s_or_b64 exec, exec, s[2:3]
	v_readlane_b32 s10, v166, 41
	v_mov_b32_dpp v62, v70 row_shr:4 row_mask:0xf bank_mask:0xf
	v_mov_b32_dpp v65, v71 row_shr:4 row_mask:0xf bank_mask:0xf
	v_readlane_b32 s11, v166, 42
	s_and_saveexec_b64 s[2:3], s[10:11]
; %bb.183:                              ;   in Loop: Header=BB88_110 Depth=2
	v_fmac_f32_e32 v71, v70, v65
	v_mul_f32_e32 v70, v70, v62
	v_mov_b32_e32 v68, v70
	v_mov_b32_e32 v8, v71
; %bb.184:                              ;   in Loop: Header=BB88_110 Depth=2
	s_or_b64 exec, exec, s[2:3]
	v_readlane_b32 s10, v166, 43
	v_mov_b32_dpp v62, v70 row_shr:8 row_mask:0xf bank_mask:0xf
	v_mov_b32_dpp v65, v71 row_shr:8 row_mask:0xf bank_mask:0xf
	v_readlane_b32 s11, v166, 44
	s_and_saveexec_b64 s[2:3], s[10:11]
; %bb.185:                              ;   in Loop: Header=BB88_110 Depth=2
	v_fmac_f32_e32 v71, v70, v65
	v_mul_f32_e32 v70, v70, v62
	v_mov_b32_e32 v68, v70
	v_mov_b32_e32 v8, v71
; %bb.186:                              ;   in Loop: Header=BB88_110 Depth=2
	s_or_b64 exec, exec, s[2:3]
	v_readlane_b32 s10, v166, 45
	v_mov_b32_dpp v62, v70 row_bcast:15 row_mask:0xf bank_mask:0xf
	v_mov_b32_dpp v65, v71 row_bcast:15 row_mask:0xf bank_mask:0xf
	v_readlane_b32 s11, v166, 46
	s_and_saveexec_b64 s[2:3], s[10:11]
; %bb.187:                              ;   in Loop: Header=BB88_110 Depth=2
	v_fmac_f32_e32 v71, v70, v65
	v_mul_f32_e32 v70, v70, v62
	v_mov_b32_e32 v68, v70
	v_mov_b32_e32 v8, v71
; %bb.188:                              ;   in Loop: Header=BB88_110 Depth=2
	s_or_b64 exec, exec, s[2:3]
	v_readlane_b32 s10, v166, 53
	v_mov_b32_dpp v65, v70 row_bcast:31 row_mask:0xf bank_mask:0xf
	v_mov_b32_dpp v62, v71 row_bcast:31 row_mask:0xf bank_mask:0xf
	v_readlane_b32 s11, v166, 54
	s_and_saveexec_b64 s[2:3], s[10:11]
; %bb.189:                              ;   in Loop: Header=BB88_110 Depth=2
	v_fmac_f32_e32 v71, v70, v62
	v_mul_f32_e32 v68, v70, v65
	v_mov_b32_e32 v69, v71
	v_mov_b32_e32 v8, v71
	v_mov_b64_e32 v[70:71], v[68:69]
; %bb.190:                              ;   in Loop: Header=BB88_110 Depth=2
	s_or_b64 exec, exec, s[2:3]
	v_readlane_b32 s10, v166, 47
	v_readlane_b32 s11, v166, 48
	s_and_saveexec_b64 s[2:3], s[10:11]
	s_cbranch_execz .LBB88_192
; %bb.191:                              ;   in Loop: Header=BB88_110 Depth=2
	ds_write_b64 v121, v[70:71] offset:8448
.LBB88_192:                             ;   in Loop: Header=BB88_110 Depth=2
	s_or_b64 exec, exec, s[2:3]
	v_readlane_b32 s10, v166, 55
	v_readlane_b32 s11, v166, 56
	s_waitcnt lgkmcnt(0)
	s_barrier
	s_and_saveexec_b64 s[2:3], s[10:11]
	s_cbranch_execz .LBB88_194
; %bb.193:                              ;   in Loop: Header=BB88_110 Depth=2
	ds_read_b64 v[70:71], v122 offset:8448
	v_readlane_b32 s10, v166, 49
	v_readlane_b32 s11, v166, 50
	s_waitcnt lgkmcnt(0)
	v_mov_b32_dpp v62, v70 row_shr:1 row_mask:0xf bank_mask:0xf
	v_mov_b32_dpp v65, v71 row_shr:1 row_mask:0xf bank_mask:0xf
	v_fma_f32 v65, v70, v65, v71
	v_mul_f32_e32 v62, v70, v62
	v_cndmask_b32_e64 v70, v62, v70, s[10:11]
	v_cndmask_b32_e64 v71, v65, v71, s[10:11]
	ds_write_b64 v122, v[70:71] offset:8448
.LBB88_194:                             ;   in Loop: Header=BB88_110 Depth=2
	s_or_b64 exec, exec, s[2:3]
	s_waitcnt lgkmcnt(0)
	s_barrier
	s_waitcnt lgkmcnt(0)
                                        ; implicit-def: $vgpr70
	s_and_saveexec_b64 s[2:3], s[20:21]
	s_cbranch_execz .LBB88_196
; %bb.195:                              ;   in Loop: Header=BB88_110 Depth=2
	ds_read_b64 v[70:71], v121 offset:8440
	s_waitcnt lgkmcnt(0)
	v_mul_f32_e32 v62, v68, v70
	v_fmac_f32_e32 v8, v68, v71
	v_mov_b32_e32 v68, v62
.LBB88_196:                             ;   in Loop: Header=BB88_110 Depth=2
	s_or_b64 exec, exec, s[2:3]
	ds_bpermute_b32 v62, v123, v68
	ds_bpermute_b32 v8, v123, v8
	v_readlane_b32 s10, v166, 57
	v_mov_b32_e32 v69, v53
	v_readlane_b32 s11, v166, 58
	s_and_saveexec_b64 s[2:3], s[10:11]
	s_cbranch_execz .LBB88_200
; %bb.197:                              ;   in Loop: Header=BB88_110 Depth=2
	ds_read_b64 v[68:69], v17 offset:8456
	s_and_saveexec_b64 vcc, s[22:23]
	s_cbranch_execz .LBB88_199
; %bb.198:                              ;   in Loop: Header=BB88_110 Depth=2
	ds_write_b64 v17, v[52:53] offset:8456
.LBB88_199:                             ;   in Loop: Header=BB88_110 Depth=2
	s_or_b64 exec, exec, vcc
	s_waitcnt lgkmcnt(0)
	v_fmac_f32_e32 v69, v53, v68
	v_mul_f32_e32 v52, v52, v68
	v_mov_b32_e32 v53, v69
.LBB88_200:                             ;   in Loop: Header=BB88_110 Depth=2
	s_or_b64 exec, exec, s[2:3]
	s_waitcnt lgkmcnt(0)
	s_barrier
	ds_read_b32 v65, v17 offset:8460
	s_and_saveexec_b64 s[2:3], s[22:23]
	s_cbranch_execz .LBB88_109
; %bb.201:                              ;   in Loop: Header=BB88_110 Depth=2
	v_mov_b32_e32 v68, s9
	s_andn2_b64 vcc, exec, s[96:97]
	ds_write_b64 v68, v[52:53]
	s_cbranch_vccnz .LBB88_109
; %bb.202:                              ;   in Loop: Header=BB88_110 Depth=2
	s_mov_b32 s5, s7
	v_cvt_f16_f32_e32 v52, v69
	s_lshl_b64 s[10:11], s[4:5], 1
	v_readlane_b32 s5, v166, 21
	s_add_u32 s10, s5, s10
	v_readlane_b32 s5, v166, 22
	s_addc_u32 s11, s5, s11
	global_store_short v17, v52, s[10:11]
	s_branch .LBB88_109
.LBB88_203:                             ;   in Loop: Header=BB88_13 Depth=1
	s_mov_b32 s6, 0x41a00000
	s_mov_b32 s8, 0x3fb8aa3b
	;; [unrolled: 1-line block ×8, first 2 shown]
.LBB88_204:                             ;   in Loop: Header=BB88_13 Depth=1
	v_cvt_f16_f32_e32 v0, v42
	v_cvt_f16_f32_e32 v4, v43
	;; [unrolled: 1-line block ×16, first 2 shown]
	v_pack_b32_f16 v3, v3, v7
	v_pack_b32_f16 v2, v2, v6
	;; [unrolled: 1-line block ×4, first 2 shown]
	s_barrier
	ds_write_b128 v119, v[0:3]
	v_pack_b32_f16 v3, v14, v15
	v_pack_b32_f16 v2, v12, v13
	v_pack_b32_f16 v1, v10, v11
	v_pack_b32_f16 v0, v8, v9
	ds_write_b128 v119, v[0:3] offset:16
	; wave barrier
	ds_read_u16 v16, v89 offset:128
	ds_read_u16 v15, v90 offset:256
	;; [unrolled: 1-line block ×15, first 2 shown]
	v_readlane_b32 s2, v166, 61
	v_readlane_b32 s3, v166, 62
	s_mov_b32 s3, s7
	s_mov_b64 s[18:19], s[2:3]
	v_lshl_add_u64 v[0:1], s[2:3], 1, v[20:21]
	s_and_saveexec_b64 s[2:3], s[26:27]
	s_cbranch_execnz .LBB88_271
; %bb.205:                              ;   in Loop: Header=BB88_13 Depth=1
	s_or_b64 exec, exec, s[2:3]
	s_and_saveexec_b64 s[2:3], s[28:29]
	s_cbranch_execnz .LBB88_272
.LBB88_206:                             ;   in Loop: Header=BB88_13 Depth=1
	s_or_b64 exec, exec, s[2:3]
	s_and_saveexec_b64 s[2:3], s[30:31]
	s_cbranch_execnz .LBB88_273
.LBB88_207:                             ;   in Loop: Header=BB88_13 Depth=1
	s_or_b64 exec, exec, s[2:3]
	s_and_saveexec_b64 s[2:3], s[34:35]
	s_cbranch_execnz .LBB88_274
.LBB88_208:                             ;   in Loop: Header=BB88_13 Depth=1
	s_or_b64 exec, exec, s[2:3]
	s_and_saveexec_b64 s[2:3], s[36:37]
	s_cbranch_execnz .LBB88_275
.LBB88_209:                             ;   in Loop: Header=BB88_13 Depth=1
	s_or_b64 exec, exec, s[2:3]
	s_and_saveexec_b64 s[2:3], s[38:39]
	s_cbranch_execnz .LBB88_276
.LBB88_210:                             ;   in Loop: Header=BB88_13 Depth=1
	s_or_b64 exec, exec, s[2:3]
	s_and_saveexec_b64 s[2:3], s[40:41]
	s_cbranch_execnz .LBB88_277
.LBB88_211:                             ;   in Loop: Header=BB88_13 Depth=1
	s_or_b64 exec, exec, s[2:3]
	s_and_saveexec_b64 s[2:3], s[42:43]
	s_cbranch_execnz .LBB88_278
.LBB88_212:                             ;   in Loop: Header=BB88_13 Depth=1
	s_or_b64 exec, exec, s[2:3]
	s_and_saveexec_b64 s[2:3], s[44:45]
	s_cbranch_execnz .LBB88_279
.LBB88_213:                             ;   in Loop: Header=BB88_13 Depth=1
	s_or_b64 exec, exec, s[2:3]
	s_and_saveexec_b64 s[2:3], s[46:47]
	s_cbranch_execnz .LBB88_280
.LBB88_214:                             ;   in Loop: Header=BB88_13 Depth=1
	s_or_b64 exec, exec, s[2:3]
	s_and_saveexec_b64 s[2:3], s[48:49]
	s_cbranch_execnz .LBB88_281
.LBB88_215:                             ;   in Loop: Header=BB88_13 Depth=1
	s_or_b64 exec, exec, s[2:3]
	s_and_saveexec_b64 s[2:3], s[50:51]
	s_cbranch_execnz .LBB88_282
.LBB88_216:                             ;   in Loop: Header=BB88_13 Depth=1
	s_or_b64 exec, exec, s[2:3]
	s_and_saveexec_b64 s[2:3], s[52:53]
	s_cbranch_execnz .LBB88_283
.LBB88_217:                             ;   in Loop: Header=BB88_13 Depth=1
	s_or_b64 exec, exec, s[2:3]
	s_and_saveexec_b64 s[2:3], s[54:55]
	s_cbranch_execnz .LBB88_284
.LBB88_218:                             ;   in Loop: Header=BB88_13 Depth=1
	s_or_b64 exec, exec, s[2:3]
	s_and_saveexec_b64 s[2:3], s[56:57]
	s_cbranch_execnz .LBB88_285
.LBB88_219:                             ;   in Loop: Header=BB88_13 Depth=1
	s_or_b64 exec, exec, s[2:3]
	s_and_saveexec_b64 s[2:3], s[58:59]
	s_cbranch_execz .LBB88_221
.LBB88_220:                             ;   in Loop: Header=BB88_13 Depth=1
	s_waitcnt lgkmcnt(0)
	global_store_short v[0:1], v2, off offset:1920
.LBB88_221:                             ;   in Loop: Header=BB88_13 Depth=1
	s_or_b64 exec, exec, s[2:3]
	v_lshl_add_u64 v[0:1], s[18:19], 1, v[22:23]
	s_waitcnt lgkmcnt(0)
	v_mov_b32_e32 v2, 0
	v_mov_b32_e32 v3, 0
	s_barrier
	s_and_saveexec_b64 s[2:3], s[26:27]
	s_cbranch_execz .LBB88_223
; %bb.222:                              ;   in Loop: Header=BB88_13 Depth=1
	global_load_ushort v3, v[0:1], off
.LBB88_223:                             ;   in Loop: Header=BB88_13 Depth=1
	s_or_b64 exec, exec, s[2:3]
	s_and_saveexec_b64 s[2:3], s[28:29]
	s_cbranch_execz .LBB88_225
; %bb.224:                              ;   in Loop: Header=BB88_13 Depth=1
	global_load_ushort v2, v[0:1], off offset:128
.LBB88_225:                             ;   in Loop: Header=BB88_13 Depth=1
	s_or_b64 exec, exec, s[2:3]
	v_mov_b32_e32 v4, 0
	v_mov_b32_e32 v5, 0
	s_and_saveexec_b64 s[2:3], s[30:31]
	s_cbranch_execz .LBB88_227
; %bb.226:                              ;   in Loop: Header=BB88_13 Depth=1
	global_load_ushort v5, v[0:1], off offset:256
.LBB88_227:                             ;   in Loop: Header=BB88_13 Depth=1
	s_or_b64 exec, exec, s[2:3]
	s_and_saveexec_b64 s[2:3], s[34:35]
	s_cbranch_execz .LBB88_229
; %bb.228:                              ;   in Loop: Header=BB88_13 Depth=1
	global_load_ushort v4, v[0:1], off offset:384
.LBB88_229:                             ;   in Loop: Header=BB88_13 Depth=1
	s_or_b64 exec, exec, s[2:3]
	v_mov_b32_e32 v6, 0
	v_mov_b32_e32 v7, 0
	s_and_saveexec_b64 s[2:3], s[36:37]
	s_cbranch_execz .LBB88_231
; %bb.230:                              ;   in Loop: Header=BB88_13 Depth=1
	global_load_ushort v7, v[0:1], off offset:512
.LBB88_231:                             ;   in Loop: Header=BB88_13 Depth=1
	s_or_b64 exec, exec, s[2:3]
	s_and_saveexec_b64 s[2:3], s[38:39]
	s_cbranch_execz .LBB88_233
; %bb.232:                              ;   in Loop: Header=BB88_13 Depth=1
	global_load_ushort v6, v[0:1], off offset:640
.LBB88_233:                             ;   in Loop: Header=BB88_13 Depth=1
	s_or_b64 exec, exec, s[2:3]
	v_mov_b32_e32 v8, 0
	v_mov_b32_e32 v9, 0
	s_and_saveexec_b64 s[2:3], s[40:41]
	s_cbranch_execz .LBB88_235
; %bb.234:                              ;   in Loop: Header=BB88_13 Depth=1
	global_load_ushort v9, v[0:1], off offset:768
.LBB88_235:                             ;   in Loop: Header=BB88_13 Depth=1
	s_or_b64 exec, exec, s[2:3]
	s_and_saveexec_b64 s[2:3], s[42:43]
	s_cbranch_execz .LBB88_237
; %bb.236:                              ;   in Loop: Header=BB88_13 Depth=1
	global_load_ushort v8, v[0:1], off offset:896
.LBB88_237:                             ;   in Loop: Header=BB88_13 Depth=1
	s_or_b64 exec, exec, s[2:3]
	v_mov_b32_e32 v10, 0
	v_mov_b32_e32 v11, 0
	s_and_saveexec_b64 s[2:3], s[44:45]
	s_cbranch_execz .LBB88_239
; %bb.238:                              ;   in Loop: Header=BB88_13 Depth=1
	global_load_ushort v11, v[0:1], off offset:1024
.LBB88_239:                             ;   in Loop: Header=BB88_13 Depth=1
	s_or_b64 exec, exec, s[2:3]
	s_and_saveexec_b64 s[2:3], s[46:47]
	s_cbranch_execz .LBB88_241
; %bb.240:                              ;   in Loop: Header=BB88_13 Depth=1
	global_load_ushort v10, v[0:1], off offset:1152
.LBB88_241:                             ;   in Loop: Header=BB88_13 Depth=1
	s_or_b64 exec, exec, s[2:3]
	v_mov_b32_e32 v12, 0
	v_mov_b32_e32 v13, 0
	s_and_saveexec_b64 s[2:3], s[48:49]
	s_cbranch_execz .LBB88_243
; %bb.242:                              ;   in Loop: Header=BB88_13 Depth=1
	global_load_ushort v13, v[0:1], off offset:1280
.LBB88_243:                             ;   in Loop: Header=BB88_13 Depth=1
	s_or_b64 exec, exec, s[2:3]
	s_and_saveexec_b64 s[2:3], s[50:51]
	s_cbranch_execz .LBB88_245
; %bb.244:                              ;   in Loop: Header=BB88_13 Depth=1
	global_load_ushort v12, v[0:1], off offset:1408
.LBB88_245:                             ;   in Loop: Header=BB88_13 Depth=1
	s_or_b64 exec, exec, s[2:3]
	v_mov_b32_e32 v14, 0
	v_mov_b32_e32 v15, 0
	s_and_saveexec_b64 s[2:3], s[52:53]
	s_cbranch_execz .LBB88_247
; %bb.246:                              ;   in Loop: Header=BB88_13 Depth=1
	global_load_ushort v15, v[0:1], off offset:1536
.LBB88_247:                             ;   in Loop: Header=BB88_13 Depth=1
	s_or_b64 exec, exec, s[2:3]
	s_and_saveexec_b64 s[2:3], s[54:55]
	s_cbranch_execz .LBB88_249
; %bb.248:                              ;   in Loop: Header=BB88_13 Depth=1
	global_load_ushort v14, v[0:1], off offset:1664
.LBB88_249:                             ;   in Loop: Header=BB88_13 Depth=1
	s_or_b64 exec, exec, s[2:3]
	v_mov_b32_e32 v16, 0
	v_mov_b32_e32 v27, 0
	s_and_saveexec_b64 s[2:3], s[56:57]
	s_cbranch_execz .LBB88_251
; %bb.250:                              ;   in Loop: Header=BB88_13 Depth=1
	global_load_ushort v27, v[0:1], off offset:1792
.LBB88_251:                             ;   in Loop: Header=BB88_13 Depth=1
	s_or_b64 exec, exec, s[2:3]
	s_and_saveexec_b64 s[2:3], s[58:59]
	s_cbranch_execz .LBB88_253
; %bb.252:                              ;   in Loop: Header=BB88_13 Depth=1
	global_load_ushort v16, v[0:1], off offset:1920
.LBB88_253:                             ;   in Loop: Header=BB88_13 Depth=1
	s_or_b64 exec, exec, s[2:3]
	s_waitcnt vmcnt(0)
	ds_write_b16 v88, v3
	ds_write_b16 v89, v2 offset:128
	ds_write_b16 v90, v5 offset:256
	;; [unrolled: 1-line block ×15, first 2 shown]
	; wave barrier
	ds_read_b128 v[4:7], v119
	ds_read_b128 v[0:3], v119 offset:16
	s_mov_b32 s4, 0xbfb8aa3b
	s_mov_b32 s5, 0xb2a5705f
	;; [unrolled: 1-line block ×3, first 2 shown]
	s_waitcnt lgkmcnt(1)
	v_cvt_f32_f16_e32 v13, v4
	v_cvt_f32_f16_sdwa v11, v4 dst_sel:DWORD dst_unused:UNUSED_PAD src0_sel:WORD_1
	v_cvt_f32_f16_e32 v12, v5
	s_mov_b32 s15, 0xc2b17218
	v_mul_f32_e32 v8, 0xbfb8aa3b, v13
	v_rndne_f32_e32 v9, v8
	v_sub_f32_e32 v14, v8, v9
	v_fma_mix_f32 v8, v4, s4, -v8 op_sel_hi:[1,0,0]
	v_cvt_i32_f32_e32 v9, v9
	v_fma_mix_f32 v8, v4, s5, v8 op_sel_hi:[1,0,0]
	v_cmp_nlt_f32_e32 vcc, s14, v13
	v_add_f32_e32 v8, v14, v8
	v_exp_f32_e32 v8, v8
	v_cvt_f32_f16_sdwa v10, v5 dst_sel:DWORD dst_unused:UNUSED_PAD src0_sel:WORD_1
	s_waitcnt lgkmcnt(0)
	s_barrier
	v_ldexp_f32 v8, v8, v9
	v_mul_f32_e32 v9, 0xbfb8aa3b, v11
	v_rndne_f32_e32 v14, v9
	v_sub_f32_e32 v15, v9, v14
	v_fma_mix_f32 v9, v4, s4, -v9 op_sel:[1,0,0] op_sel_hi:[1,0,0]
	v_cndmask_b32_e32 v8, 0, v8, vcc
	v_fma_mix_f32 v4, v4, s5, v9 op_sel:[1,0,0] op_sel_hi:[1,0,0]
	v_cvt_i32_f32_e32 v9, v14
	v_add_f32_e32 v4, v15, v4
	v_exp_f32_e32 v4, v4
	v_cmp_ngt_f32_e32 vcc, s15, v13
	v_ldexp_f32 v4, v4, v9
	s_nop 0
	v_cndmask_b32_e32 v8, v140, v8, vcc
	v_cmp_nlt_f32_e32 vcc, s14, v11
	s_nop 1
	v_cndmask_b32_e32 v4, 0, v4, vcc
	v_cmp_ngt_f32_e32 vcc, s15, v11
	s_nop 1
	v_cndmask_b32_e32 v9, v140, v4, vcc
	v_mul_f32_e32 v4, 0xbfb8aa3b, v12
	v_rndne_f32_e32 v14, v4
	v_sub_f32_e32 v15, v4, v14
	v_fma_mix_f32 v4, v5, s4, -v4 op_sel_hi:[1,0,0]
	v_cvt_i32_f32_e32 v14, v14
	v_fma_mix_f32 v4, v5, s5, v4 op_sel_hi:[1,0,0]
	v_pk_add_f32 v[8:9], v[8:9], 1.0 op_sel_hi:[1,0]
	v_add_f32_e32 v4, v15, v4
	v_exp_f32_e32 v4, v4
	v_cmp_nlt_f32_e32 vcc, s14, v12
	v_ldexp_f32 v4, v4, v14
	v_mul_f32_e32 v14, 0xbfb8aa3b, v10
	v_rndne_f32_e32 v15, v14
	v_sub_f32_e32 v16, v14, v15
	v_fma_mix_f32 v14, v5, s4, -v14 op_sel:[1,0,0] op_sel_hi:[1,0,0]
	v_cndmask_b32_e32 v4, 0, v4, vcc
	v_fma_mix_f32 v5, v5, s5, v14 op_sel:[1,0,0] op_sel_hi:[1,0,0]
	v_cvt_i32_f32_e32 v14, v15
	v_add_f32_e32 v5, v16, v5
	v_exp_f32_e32 v5, v5
	v_cmp_ngt_f32_e32 vcc, s15, v12
	v_ldexp_f32 v5, v5, v14
	v_div_scale_f32 v14, s[2:3], v9, v9, v11
	v_rcp_f32_e32 v15, v14
	v_cndmask_b32_e32 v4, v140, v4, vcc
	v_cmp_nlt_f32_e32 vcc, s14, v10
	v_fma_f32 v16, -v14, v15, 1.0
	s_nop 0
	v_cndmask_b32_e32 v5, 0, v5, vcc
	v_cmp_ngt_f32_e32 vcc, s15, v10
	v_fmac_f32_e32 v15, v16, v15
	s_nop 0
	v_cndmask_b32_e32 v5, v140, v5, vcc
	v_div_scale_f32 v16, vcc, v11, v9, v11
	v_mul_f32_e32 v27, v16, v15
	v_fma_f32 v29, -v14, v27, v16
	v_fmac_f32_e32 v27, v29, v15
	v_fma_f32 v14, -v14, v27, v16
	v_div_fmas_f32 v14, v14, v15, v27
	v_div_fixup_f32 v9, v14, v9, v11
	v_div_scale_f32 v11, s[2:3], v8, v8, v13
	v_rcp_f32_e32 v14, v11
	v_pk_add_f32 v[4:5], v[4:5], 1.0 op_sel_hi:[1,0]
	v_fma_f32 v15, -v11, v14, 1.0
	v_fmac_f32_e32 v14, v15, v14
	v_div_scale_f32 v15, vcc, v13, v8, v13
	v_mul_f32_e32 v16, v15, v14
	v_fma_f32 v27, -v11, v16, v15
	v_fmac_f32_e32 v16, v27, v14
	v_fma_f32 v11, -v11, v16, v15
	v_div_fmas_f32 v11, v11, v14, v16
	v_div_fixup_f32 v8, v11, v8, v13
	v_div_scale_f32 v11, s[2:3], v5, v5, v10
	v_rcp_f32_e32 v13, v11
	v_pk_mul_f32 v[8:9], v[42:43], v[8:9]
	v_fma_f32 v14, -v11, v13, 1.0
	v_fmac_f32_e32 v13, v14, v13
	v_div_scale_f32 v14, vcc, v10, v5, v10
	v_mul_f32_e32 v15, v14, v13
	v_fma_f32 v16, -v11, v15, v14
	v_fmac_f32_e32 v15, v16, v13
	v_fma_f32 v11, -v11, v15, v14
	v_div_fmas_f32 v11, v11, v13, v15
	v_div_fixup_f32 v5, v11, v5, v10
	v_div_scale_f32 v10, s[2:3], v4, v4, v12
	v_rcp_f32_e32 v11, v10
	s_nop 0
	v_fma_f32 v13, -v10, v11, 1.0
	v_fmac_f32_e32 v11, v13, v11
	v_div_scale_f32 v13, vcc, v12, v4, v12
	v_mul_f32_e32 v14, v13, v11
	v_fma_f32 v15, -v10, v14, v13
	v_fmac_f32_e32 v14, v15, v11
	v_fma_f32 v10, -v10, v14, v13
	v_cvt_f32_f16_e32 v15, v6
	v_div_fmas_f32 v10, v10, v11, v14
	v_div_fixup_f32 v4, v10, v4, v12
	v_pk_mul_f32 v[10:11], v[44:45], v[4:5]
	v_cvt_f16_f32_e32 v4, v9
	v_cvt_f16_f32_e32 v9, v10
	v_mul_f32_e32 v10, 0xbfb8aa3b, v15
	v_cvt_f16_f32_e32 v5, v8
	v_cvt_f16_f32_e32 v8, v11
	v_rndne_f32_e32 v11, v10
	v_sub_f32_e32 v16, v10, v11
	v_fma_mix_f32 v10, v6, s4, -v10 op_sel_hi:[1,0,0]
	v_cvt_f32_f16_sdwa v13, v6 dst_sel:DWORD dst_unused:UNUSED_PAD src0_sel:WORD_1
	v_fma_mix_f32 v10, v6, s5, v10 op_sel_hi:[1,0,0]
	v_cvt_i32_f32_e32 v11, v11
	v_add_f32_e32 v10, v16, v10
	v_exp_f32_e32 v10, v10
	v_cvt_f32_f16_e32 v14, v7
	v_cmp_nlt_f32_e32 vcc, s14, v15
	v_cvt_f32_f16_sdwa v12, v7 dst_sel:DWORD dst_unused:UNUSED_PAD src0_sel:WORD_1
	v_ldexp_f32 v10, v10, v11
	v_mul_f32_e32 v11, 0xbfb8aa3b, v13
	v_rndne_f32_e32 v16, v11
	v_sub_f32_e32 v27, v11, v16
	v_fma_mix_f32 v11, v6, s4, -v11 op_sel:[1,0,0] op_sel_hi:[1,0,0]
	v_cndmask_b32_e32 v10, 0, v10, vcc
	v_fma_mix_f32 v6, v6, s5, v11 op_sel:[1,0,0] op_sel_hi:[1,0,0]
	v_cvt_i32_f32_e32 v11, v16
	v_add_f32_e32 v6, v27, v6
	v_exp_f32_e32 v6, v6
	v_cmp_ngt_f32_e32 vcc, s15, v15
	v_ldexp_f32 v6, v6, v11
	s_nop 0
	v_cndmask_b32_e32 v10, v140, v10, vcc
	v_cmp_nlt_f32_e32 vcc, s14, v13
	s_nop 1
	v_cndmask_b32_e32 v6, 0, v6, vcc
	v_cmp_ngt_f32_e32 vcc, s15, v13
	s_nop 1
	v_cndmask_b32_e32 v11, v140, v6, vcc
	v_mul_f32_e32 v6, 0xbfb8aa3b, v14
	v_rndne_f32_e32 v16, v6
	v_sub_f32_e32 v27, v6, v16
	v_fma_mix_f32 v6, v7, s4, -v6 op_sel_hi:[1,0,0]
	v_cvt_i32_f32_e32 v16, v16
	v_fma_mix_f32 v6, v7, s5, v6 op_sel_hi:[1,0,0]
	v_pk_add_f32 v[10:11], v[10:11], 1.0 op_sel_hi:[1,0]
	v_add_f32_e32 v6, v27, v6
	v_exp_f32_e32 v6, v6
	v_cmp_nlt_f32_e32 vcc, s14, v14
	v_ldexp_f32 v6, v6, v16
	v_mul_f32_e32 v16, 0xbfb8aa3b, v12
	v_rndne_f32_e32 v27, v16
	v_sub_f32_e32 v29, v16, v27
	v_fma_mix_f32 v16, v7, s4, -v16 op_sel:[1,0,0] op_sel_hi:[1,0,0]
	v_cndmask_b32_e32 v6, 0, v6, vcc
	v_fma_mix_f32 v7, v7, s5, v16 op_sel:[1,0,0] op_sel_hi:[1,0,0]
	v_cvt_i32_f32_e32 v16, v27
	v_add_f32_e32 v7, v29, v7
	v_exp_f32_e32 v7, v7
	v_cmp_ngt_f32_e32 vcc, s15, v14
	v_ldexp_f32 v7, v7, v16
	v_div_scale_f32 v16, s[2:3], v11, v11, v13
	v_rcp_f32_e32 v27, v16
	v_cndmask_b32_e32 v6, v140, v6, vcc
	v_cmp_nlt_f32_e32 vcc, s14, v12
	v_fma_f32 v29, -v16, v27, 1.0
	s_nop 0
	v_cndmask_b32_e32 v7, 0, v7, vcc
	v_cmp_ngt_f32_e32 vcc, s15, v12
	v_fmac_f32_e32 v27, v29, v27
	s_nop 0
	v_cndmask_b32_e32 v7, v140, v7, vcc
	v_div_scale_f32 v29, vcc, v13, v11, v13
	v_mul_f32_e32 v42, v29, v27
	v_fma_f32 v43, -v16, v42, v29
	v_fmac_f32_e32 v42, v43, v27
	v_fma_f32 v16, -v16, v42, v29
	v_div_fmas_f32 v16, v16, v27, v42
	v_div_fixup_f32 v11, v16, v11, v13
	v_div_scale_f32 v13, s[2:3], v10, v10, v15
	v_rcp_f32_e32 v16, v13
	v_pk_add_f32 v[6:7], v[6:7], 1.0 op_sel_hi:[1,0]
	v_fma_f32 v27, -v13, v16, 1.0
	v_fmac_f32_e32 v16, v27, v16
	v_div_scale_f32 v27, vcc, v15, v10, v15
	v_mul_f32_e32 v29, v27, v16
	v_fma_f32 v42, -v13, v29, v27
	v_fmac_f32_e32 v29, v42, v16
	v_fma_f32 v13, -v13, v29, v27
	v_div_fmas_f32 v13, v13, v16, v29
	v_div_fixup_f32 v10, v13, v10, v15
	v_div_scale_f32 v13, s[2:3], v7, v7, v12
	v_rcp_f32_e32 v15, v13
	v_pk_mul_f32 v[10:11], v[38:39], v[10:11]
	v_fma_f32 v16, -v13, v15, 1.0
	v_fmac_f32_e32 v15, v16, v15
	v_div_scale_f32 v16, vcc, v12, v7, v12
	v_mul_f32_e32 v27, v16, v15
	v_fma_f32 v29, -v13, v27, v16
	v_fmac_f32_e32 v27, v29, v15
	v_fma_f32 v13, -v13, v27, v16
	v_div_fmas_f32 v13, v13, v15, v27
	v_div_fixup_f32 v7, v13, v7, v12
	v_div_scale_f32 v12, s[2:3], v6, v6, v14
	v_rcp_f32_e32 v13, v12
	s_nop 0
	v_fma_f32 v15, -v12, v13, 1.0
	v_fmac_f32_e32 v13, v15, v13
	v_div_scale_f32 v15, vcc, v14, v6, v14
	v_mul_f32_e32 v16, v15, v13
	v_fma_f32 v27, -v12, v16, v15
	v_fmac_f32_e32 v16, v27, v13
	v_fma_f32 v12, -v12, v16, v15
	v_cvt_f32_f16_e32 v27, v0
	v_div_fmas_f32 v12, v12, v13, v16
	v_div_fixup_f32 v6, v12, v6, v14
	v_pk_mul_f32 v[12:13], v[40:41], v[6:7]
	v_cvt_f16_f32_e32 v6, v11
	v_cvt_f16_f32_e32 v11, v12
	v_mul_f32_e32 v12, 0xbfb8aa3b, v27
	v_cvt_f16_f32_e32 v7, v10
	v_cvt_f16_f32_e32 v10, v13
	v_rndne_f32_e32 v13, v12
	v_sub_f32_e32 v29, v12, v13
	v_fma_mix_f32 v12, v0, s4, -v12 op_sel_hi:[1,0,0]
	v_cvt_f32_f16_sdwa v15, v0 dst_sel:DWORD dst_unused:UNUSED_PAD src0_sel:WORD_1
	v_fma_mix_f32 v12, v0, s5, v12 op_sel_hi:[1,0,0]
	v_cvt_i32_f32_e32 v13, v13
	v_add_f32_e32 v12, v29, v12
	v_exp_f32_e32 v12, v12
	v_cvt_f32_f16_e32 v16, v1
	v_cmp_nlt_f32_e32 vcc, s14, v27
	v_cvt_f32_f16_sdwa v14, v1 dst_sel:DWORD dst_unused:UNUSED_PAD src0_sel:WORD_1
	v_ldexp_f32 v12, v12, v13
	v_mul_f32_e32 v13, 0xbfb8aa3b, v15
	v_rndne_f32_e32 v29, v13
	v_sub_f32_e32 v38, v13, v29
	v_fma_mix_f32 v13, v0, s4, -v13 op_sel:[1,0,0] op_sel_hi:[1,0,0]
	v_cndmask_b32_e32 v12, 0, v12, vcc
	v_fma_mix_f32 v0, v0, s5, v13 op_sel:[1,0,0] op_sel_hi:[1,0,0]
	v_cvt_i32_f32_e32 v13, v29
	v_add_f32_e32 v0, v38, v0
	v_exp_f32_e32 v0, v0
	v_cmp_ngt_f32_e32 vcc, s15, v27
	v_ldexp_f32 v0, v0, v13
	s_nop 0
	v_cndmask_b32_e32 v12, v140, v12, vcc
	v_cmp_nlt_f32_e32 vcc, s14, v15
	s_nop 1
	v_cndmask_b32_e32 v0, 0, v0, vcc
	v_cmp_ngt_f32_e32 vcc, s15, v15
	s_nop 1
	v_cndmask_b32_e32 v13, v140, v0, vcc
	v_mul_f32_e32 v0, 0xbfb8aa3b, v16
	v_rndne_f32_e32 v29, v0
	v_sub_f32_e32 v38, v0, v29
	v_fma_mix_f32 v0, v1, s4, -v0 op_sel_hi:[1,0,0]
	v_cvt_i32_f32_e32 v29, v29
	v_fma_mix_f32 v0, v1, s5, v0 op_sel_hi:[1,0,0]
	v_pk_add_f32 v[12:13], v[12:13], 1.0 op_sel_hi:[1,0]
	v_add_f32_e32 v0, v38, v0
	v_exp_f32_e32 v0, v0
	v_cmp_nlt_f32_e32 vcc, s14, v16
	v_ldexp_f32 v0, v0, v29
	v_mul_f32_e32 v29, 0xbfb8aa3b, v14
	v_rndne_f32_e32 v38, v29
	v_sub_f32_e32 v39, v29, v38
	v_fma_mix_f32 v29, v1, s4, -v29 op_sel:[1,0,0] op_sel_hi:[1,0,0]
	v_cndmask_b32_e32 v0, 0, v0, vcc
	v_fma_mix_f32 v1, v1, s5, v29 op_sel:[1,0,0] op_sel_hi:[1,0,0]
	v_cvt_i32_f32_e32 v29, v38
	v_add_f32_e32 v1, v39, v1
	v_exp_f32_e32 v1, v1
	v_cmp_ngt_f32_e32 vcc, s15, v16
	v_ldexp_f32 v1, v1, v29
	v_div_scale_f32 v29, s[2:3], v13, v13, v15
	v_rcp_f32_e32 v38, v29
	v_cndmask_b32_e32 v0, v140, v0, vcc
	v_cmp_nlt_f32_e32 vcc, s14, v14
	v_fma_f32 v39, -v29, v38, 1.0
	s_nop 0
	v_cndmask_b32_e32 v1, 0, v1, vcc
	v_cmp_ngt_f32_e32 vcc, s15, v14
	v_fmac_f32_e32 v38, v39, v38
	s_nop 0
	v_cndmask_b32_e32 v1, v140, v1, vcc
	v_div_scale_f32 v39, vcc, v15, v13, v15
	v_mul_f32_e32 v40, v39, v38
	v_fma_f32 v41, -v29, v40, v39
	v_fmac_f32_e32 v40, v41, v38
	v_fma_f32 v29, -v29, v40, v39
	v_div_fmas_f32 v29, v29, v38, v40
	v_div_fixup_f32 v13, v29, v13, v15
	v_div_scale_f32 v15, s[2:3], v12, v12, v27
	v_rcp_f32_e32 v29, v15
	v_pk_add_f32 v[0:1], v[0:1], 1.0 op_sel_hi:[1,0]
	v_fma_f32 v38, -v15, v29, 1.0
	v_fmac_f32_e32 v29, v38, v29
	v_div_scale_f32 v38, vcc, v27, v12, v27
	v_mul_f32_e32 v39, v38, v29
	v_fma_f32 v40, -v15, v39, v38
	v_fmac_f32_e32 v39, v40, v29
	v_fma_f32 v15, -v15, v39, v38
	v_div_fmas_f32 v15, v15, v29, v39
	v_div_fixup_f32 v12, v15, v12, v27
	v_div_scale_f32 v15, s[2:3], v1, v1, v14
	v_rcp_f32_e32 v27, v15
	v_pk_mul_f32 v[12:13], v[34:35], v[12:13]
	v_cvt_f32_f16_e32 v34, v2
	v_cvt_f16_f32_e32 v13, v13
	v_fma_f32 v29, -v15, v27, 1.0
	v_fmac_f32_e32 v27, v29, v27
	v_div_scale_f32 v29, vcc, v14, v1, v14
	v_mul_f32_e32 v38, v29, v27
	v_fma_f32 v39, -v15, v38, v29
	v_fmac_f32_e32 v38, v39, v27
	v_fma_f32 v15, -v15, v38, v29
	v_div_fmas_f32 v15, v15, v27, v38
	v_div_fixup_f32 v1, v15, v1, v14
	v_div_scale_f32 v14, s[2:3], v0, v0, v16
	v_rcp_f32_e32 v15, v14
	v_cvt_f16_f32_e32 v12, v12
	v_fma_f32 v27, -v14, v15, 1.0
	v_fmac_f32_e32 v15, v27, v15
	v_div_scale_f32 v27, vcc, v16, v0, v16
	v_mul_f32_e32 v29, v27, v15
	v_fma_f32 v38, -v14, v29, v27
	v_fmac_f32_e32 v29, v38, v15
	v_fma_f32 v14, -v14, v29, v27
	v_div_fmas_f32 v14, v14, v15, v29
	v_div_fixup_f32 v0, v14, v0, v16
	v_pk_mul_f32 v[0:1], v[36:37], v[0:1]
	v_cvt_f32_f16_sdwa v27, v2 dst_sel:DWORD dst_unused:UNUSED_PAD src0_sel:WORD_1
	v_cvt_f16_f32_e32 v15, v0
	v_mul_f32_e32 v0, 0xbfb8aa3b, v34
	v_cvt_f16_f32_e32 v14, v1
	v_rndne_f32_e32 v1, v0
	v_sub_f32_e32 v35, v0, v1
	v_fma_mix_f32 v0, v2, s4, -v0 op_sel_hi:[1,0,0]
	v_cvt_i32_f32_e32 v1, v1
	v_fma_mix_f32 v0, v2, s5, v0 op_sel_hi:[1,0,0]
	v_cvt_f32_f16_e32 v29, v3
	v_add_f32_e32 v0, v35, v0
	v_exp_f32_e32 v0, v0
	v_cvt_f32_f16_sdwa v16, v3 dst_sel:DWORD dst_unused:UNUSED_PAD src0_sel:WORD_1
	v_cmp_nlt_f32_e32 vcc, s14, v34
	v_ldexp_f32 v0, v0, v1
	v_mul_f32_e32 v1, 0xbfb8aa3b, v27
	v_rndne_f32_e32 v35, v1
	v_sub_f32_e32 v36, v1, v35
	v_fma_mix_f32 v1, v2, s4, -v1 op_sel:[1,0,0] op_sel_hi:[1,0,0]
	v_cndmask_b32_e32 v0, 0, v0, vcc
	v_fma_mix_f32 v1, v2, s5, v1 op_sel:[1,0,0] op_sel_hi:[1,0,0]
	v_cvt_i32_f32_e32 v2, v35
	v_add_f32_e32 v1, v36, v1
	v_exp_f32_e32 v1, v1
	v_cmp_ngt_f32_e32 vcc, s15, v34
	v_ldexp_f32 v1, v1, v2
	v_mul_f32_e32 v2, 0xbfb8aa3b, v29
	v_rndne_f32_e32 v35, v2
	v_sub_f32_e32 v36, v2, v35
	v_fma_mix_f32 v2, v3, s4, -v2 op_sel_hi:[1,0,0]
	v_cvt_i32_f32_e32 v35, v35
	v_fma_mix_f32 v2, v3, s5, v2 op_sel_hi:[1,0,0]
	v_cndmask_b32_e32 v0, v140, v0, vcc
	v_add_f32_e32 v2, v36, v2
	v_exp_f32_e32 v2, v2
	v_cmp_nlt_f32_e32 vcc, s14, v27
	v_ldexp_f32 v2, v2, v35
	v_mul_f32_e32 v35, 0xbfb8aa3b, v16
	v_rndne_f32_e32 v36, v35
	v_sub_f32_e32 v37, v35, v36
	v_fma_mix_f32 v35, v3, s4, -v35 op_sel:[1,0,0] op_sel_hi:[1,0,0]
	v_cndmask_b32_e32 v1, 0, v1, vcc
	v_fma_mix_f32 v3, v3, s5, v35 op_sel:[1,0,0] op_sel_hi:[1,0,0]
	v_cvt_i32_f32_e32 v35, v36
	v_add_f32_e32 v3, v37, v3
	v_exp_f32_e32 v3, v3
	v_cmp_ngt_f32_e32 vcc, s15, v27
	v_ldexp_f32 v3, v3, v35
	s_nop 0
	v_cndmask_b32_e32 v1, v140, v1, vcc
	v_pk_add_f32 v[0:1], v[0:1], 1.0 op_sel_hi:[1,0]
	v_cmp_nlt_f32_e32 vcc, s14, v29
	v_div_scale_f32 v35, s[2:3], v1, v1, v27
	v_rcp_f32_e32 v36, v35
	v_cndmask_b32_e32 v2, 0, v2, vcc
	v_cmp_ngt_f32_e32 vcc, s15, v29
	v_fma_f32 v37, -v35, v36, 1.0
	s_nop 0
	v_cndmask_b32_e32 v2, v140, v2, vcc
	v_cmp_nlt_f32_e32 vcc, s14, v16
	v_fmac_f32_e32 v36, v37, v36
	s_nop 0
	v_cndmask_b32_e32 v3, 0, v3, vcc
	v_cmp_ngt_f32_e32 vcc, s15, v16
	s_nop 1
	v_cndmask_b32_e32 v3, v140, v3, vcc
	v_div_scale_f32 v37, vcc, v27, v1, v27
	v_mul_f32_e32 v38, v37, v36
	v_fma_f32 v39, -v35, v38, v37
	v_fmac_f32_e32 v38, v39, v36
	v_fma_f32 v35, -v35, v38, v37
	v_div_fmas_f32 v35, v35, v36, v38
	v_div_fixup_f32 v1, v35, v1, v27
	v_div_scale_f32 v27, s[2:3], v0, v0, v34
	v_rcp_f32_e32 v35, v27
	v_pk_add_f32 v[2:3], v[2:3], 1.0 op_sel_hi:[1,0]
	v_fma_f32 v36, -v27, v35, 1.0
	v_fmac_f32_e32 v35, v36, v35
	v_div_scale_f32 v36, vcc, v34, v0, v34
	v_mul_f32_e32 v37, v36, v35
	v_fma_f32 v38, -v27, v37, v36
	v_fmac_f32_e32 v37, v38, v35
	v_fma_f32 v27, -v27, v37, v36
	v_div_fmas_f32 v27, v27, v35, v37
	v_div_fixup_f32 v0, v27, v0, v34
	v_div_scale_f32 v27, s[2:3], v3, v3, v16
	v_rcp_f32_e32 v34, v27
	v_pk_mul_f32 v[0:1], v[30:31], v[0:1]
	v_fma_f32 v35, -v27, v34, 1.0
	v_fmac_f32_e32 v34, v35, v34
	v_div_scale_f32 v35, vcc, v16, v3, v16
	v_mul_f32_e32 v36, v35, v34
	v_fma_f32 v37, -v27, v36, v35
	v_fmac_f32_e32 v36, v37, v34
	v_fma_f32 v27, -v27, v36, v35
	v_div_fmas_f32 v27, v27, v34, v36
	v_div_fixup_f32 v3, v27, v3, v16
	v_div_scale_f32 v16, s[2:3], v2, v2, v29
	v_rcp_f32_e32 v27, v16
	s_nop 0
	v_fma_f32 v34, -v16, v27, 1.0
	v_fmac_f32_e32 v27, v34, v27
	v_div_scale_f32 v34, vcc, v29, v2, v29
	v_mul_f32_e32 v35, v34, v27
	v_fma_f32 v36, -v16, v35, v34
	v_fmac_f32_e32 v35, v36, v27
	v_fma_f32 v16, -v16, v35, v34
	v_div_fmas_f32 v16, v16, v27, v35
	v_div_fixup_f32 v2, v16, v2, v29
	v_pk_mul_f32 v[2:3], v[32:33], v[2:3]
	v_cvt_f16_f32_e32 v16, v1
	v_cvt_f16_f32_e32 v27, v0
	v_cvt_f16_f32_e32 v29, v3
	v_cvt_f16_f32_e32 v30, v2
	v_pack_b32_f16 v3, v11, v10
	v_pack_b32_f16 v2, v7, v6
	;; [unrolled: 1-line block ×4, first 2 shown]
	ds_write_b128 v119, v[0:3]
	v_pack_b32_f16 v3, v30, v29
	v_pack_b32_f16 v2, v27, v16
	;; [unrolled: 1-line block ×4, first 2 shown]
	ds_write_b128 v119, v[0:3] offset:16
	; wave barrier
	ds_read_u16 v16, v89 offset:128
	ds_read_u16 v15, v90 offset:256
	;; [unrolled: 1-line block ×15, first 2 shown]
	v_lshl_add_u64 v[0:1], s[18:19], 1, v[24:25]
	s_and_saveexec_b64 s[2:3], s[26:27]
	s_cbranch_execnz .LBB88_286
; %bb.254:                              ;   in Loop: Header=BB88_13 Depth=1
	s_or_b64 exec, exec, s[2:3]
	s_and_saveexec_b64 s[2:3], s[28:29]
	s_cbranch_execnz .LBB88_287
.LBB88_255:                             ;   in Loop: Header=BB88_13 Depth=1
	s_or_b64 exec, exec, s[2:3]
	s_and_saveexec_b64 s[2:3], s[30:31]
	s_cbranch_execnz .LBB88_288
.LBB88_256:                             ;   in Loop: Header=BB88_13 Depth=1
	s_or_b64 exec, exec, s[2:3]
	s_and_saveexec_b64 s[2:3], s[34:35]
	s_cbranch_execnz .LBB88_289
.LBB88_257:                             ;   in Loop: Header=BB88_13 Depth=1
	s_or_b64 exec, exec, s[2:3]
	s_and_saveexec_b64 s[2:3], s[36:37]
	s_cbranch_execnz .LBB88_290
.LBB88_258:                             ;   in Loop: Header=BB88_13 Depth=1
	s_or_b64 exec, exec, s[2:3]
	s_and_saveexec_b64 s[2:3], s[38:39]
	s_cbranch_execnz .LBB88_291
.LBB88_259:                             ;   in Loop: Header=BB88_13 Depth=1
	s_or_b64 exec, exec, s[2:3]
	s_and_saveexec_b64 s[2:3], s[40:41]
	s_cbranch_execnz .LBB88_292
.LBB88_260:                             ;   in Loop: Header=BB88_13 Depth=1
	s_or_b64 exec, exec, s[2:3]
	s_and_saveexec_b64 s[2:3], s[42:43]
	s_cbranch_execnz .LBB88_293
.LBB88_261:                             ;   in Loop: Header=BB88_13 Depth=1
	s_or_b64 exec, exec, s[2:3]
	s_and_saveexec_b64 s[2:3], s[44:45]
	s_cbranch_execnz .LBB88_294
.LBB88_262:                             ;   in Loop: Header=BB88_13 Depth=1
	s_or_b64 exec, exec, s[2:3]
	s_and_saveexec_b64 s[2:3], s[46:47]
	s_cbranch_execnz .LBB88_295
.LBB88_263:                             ;   in Loop: Header=BB88_13 Depth=1
	s_or_b64 exec, exec, s[2:3]
	s_and_saveexec_b64 s[2:3], s[48:49]
	s_cbranch_execnz .LBB88_296
.LBB88_264:                             ;   in Loop: Header=BB88_13 Depth=1
	s_or_b64 exec, exec, s[2:3]
	s_and_saveexec_b64 s[2:3], s[50:51]
	s_cbranch_execnz .LBB88_297
.LBB88_265:                             ;   in Loop: Header=BB88_13 Depth=1
	s_or_b64 exec, exec, s[2:3]
	s_and_saveexec_b64 s[2:3], s[52:53]
	s_cbranch_execnz .LBB88_298
.LBB88_266:                             ;   in Loop: Header=BB88_13 Depth=1
	s_or_b64 exec, exec, s[2:3]
	s_and_saveexec_b64 s[2:3], s[54:55]
	s_cbranch_execnz .LBB88_299
.LBB88_267:                             ;   in Loop: Header=BB88_13 Depth=1
	s_or_b64 exec, exec, s[2:3]
	s_and_saveexec_b64 s[2:3], s[56:57]
	s_cbranch_execnz .LBB88_300
.LBB88_268:                             ;   in Loop: Header=BB88_13 Depth=1
	s_or_b64 exec, exec, s[2:3]
	s_and_saveexec_b64 s[2:3], s[58:59]
	s_cbranch_execz .LBB88_12
	s_branch .LBB88_301
.LBB88_269:                             ;   in Loop: Header=BB88_13 Depth=1
	global_load_ushort v36, v[8:9], off offset:1664
	s_or_b64 exec, exec, s[2:3]
	s_and_saveexec_b64 s[2:3], s[56:57]
	s_cbranch_execz .LBB88_73
.LBB88_270:                             ;   in Loop: Header=BB88_13 Depth=1
	global_load_ushort v35, v[8:9], off offset:1792
	s_or_b64 exec, exec, s[2:3]
	v_mov_b32_e32 v37, 0
	s_and_saveexec_b64 s[2:3], s[58:59]
	s_cbranch_execnz .LBB88_74
	s_branch .LBB88_75
.LBB88_271:                             ;   in Loop: Header=BB88_13 Depth=1
	ds_read_u16 v27, v88
	s_waitcnt lgkmcnt(0)
	global_store_short v[0:1], v27, off
	s_or_b64 exec, exec, s[2:3]
	s_and_saveexec_b64 s[2:3], s[28:29]
	s_cbranch_execz .LBB88_206
.LBB88_272:                             ;   in Loop: Header=BB88_13 Depth=1
	s_waitcnt lgkmcnt(14)
	global_store_short v[0:1], v16, off offset:128
	s_or_b64 exec, exec, s[2:3]
	s_and_saveexec_b64 s[2:3], s[30:31]
	s_cbranch_execz .LBB88_207
.LBB88_273:                             ;   in Loop: Header=BB88_13 Depth=1
	s_waitcnt lgkmcnt(13)
	global_store_short v[0:1], v15, off offset:256
	s_or_b64 exec, exec, s[2:3]
	s_and_saveexec_b64 s[2:3], s[34:35]
	s_cbranch_execz .LBB88_208
.LBB88_274:                             ;   in Loop: Header=BB88_13 Depth=1
	s_waitcnt lgkmcnt(12)
	global_store_short v[0:1], v14, off offset:384
	s_or_b64 exec, exec, s[2:3]
	s_and_saveexec_b64 s[2:3], s[36:37]
	s_cbranch_execz .LBB88_209
.LBB88_275:                             ;   in Loop: Header=BB88_13 Depth=1
	s_waitcnt lgkmcnt(11)
	global_store_short v[0:1], v13, off offset:512
	s_or_b64 exec, exec, s[2:3]
	s_and_saveexec_b64 s[2:3], s[38:39]
	s_cbranch_execz .LBB88_210
.LBB88_276:                             ;   in Loop: Header=BB88_13 Depth=1
	s_waitcnt lgkmcnt(10)
	global_store_short v[0:1], v12, off offset:640
	s_or_b64 exec, exec, s[2:3]
	s_and_saveexec_b64 s[2:3], s[40:41]
	s_cbranch_execz .LBB88_211
.LBB88_277:                             ;   in Loop: Header=BB88_13 Depth=1
	s_waitcnt lgkmcnt(9)
	global_store_short v[0:1], v11, off offset:768
	s_or_b64 exec, exec, s[2:3]
	s_and_saveexec_b64 s[2:3], s[42:43]
	s_cbranch_execz .LBB88_212
.LBB88_278:                             ;   in Loop: Header=BB88_13 Depth=1
	s_waitcnt lgkmcnt(8)
	global_store_short v[0:1], v10, off offset:896
	s_or_b64 exec, exec, s[2:3]
	s_and_saveexec_b64 s[2:3], s[44:45]
	s_cbranch_execz .LBB88_213
.LBB88_279:                             ;   in Loop: Header=BB88_13 Depth=1
	s_waitcnt lgkmcnt(7)
	global_store_short v[0:1], v9, off offset:1024
	s_or_b64 exec, exec, s[2:3]
	s_and_saveexec_b64 s[2:3], s[46:47]
	s_cbranch_execz .LBB88_214
.LBB88_280:                             ;   in Loop: Header=BB88_13 Depth=1
	s_waitcnt lgkmcnt(6)
	global_store_short v[0:1], v8, off offset:1152
	s_or_b64 exec, exec, s[2:3]
	s_and_saveexec_b64 s[2:3], s[48:49]
	s_cbranch_execz .LBB88_215
.LBB88_281:                             ;   in Loop: Header=BB88_13 Depth=1
	s_waitcnt lgkmcnt(5)
	global_store_short v[0:1], v7, off offset:1280
	s_or_b64 exec, exec, s[2:3]
	s_and_saveexec_b64 s[2:3], s[50:51]
	s_cbranch_execz .LBB88_216
.LBB88_282:                             ;   in Loop: Header=BB88_13 Depth=1
	s_waitcnt lgkmcnt(4)
	global_store_short v[0:1], v6, off offset:1408
	s_or_b64 exec, exec, s[2:3]
	s_and_saveexec_b64 s[2:3], s[52:53]
	s_cbranch_execz .LBB88_217
.LBB88_283:                             ;   in Loop: Header=BB88_13 Depth=1
	s_waitcnt lgkmcnt(3)
	global_store_short v[0:1], v5, off offset:1536
	s_or_b64 exec, exec, s[2:3]
	s_and_saveexec_b64 s[2:3], s[54:55]
	s_cbranch_execz .LBB88_218
.LBB88_284:                             ;   in Loop: Header=BB88_13 Depth=1
	s_waitcnt lgkmcnt(2)
	global_store_short v[0:1], v4, off offset:1664
	s_or_b64 exec, exec, s[2:3]
	s_and_saveexec_b64 s[2:3], s[56:57]
	s_cbranch_execz .LBB88_219
.LBB88_285:                             ;   in Loop: Header=BB88_13 Depth=1
	s_waitcnt lgkmcnt(1)
	global_store_short v[0:1], v3, off offset:1792
	s_or_b64 exec, exec, s[2:3]
	s_and_saveexec_b64 s[2:3], s[58:59]
	s_cbranch_execnz .LBB88_220
	s_branch .LBB88_221
.LBB88_286:                             ;   in Loop: Header=BB88_13 Depth=1
	ds_read_u16 v27, v88
	s_waitcnt lgkmcnt(0)
	global_store_short v[0:1], v27, off
	s_or_b64 exec, exec, s[2:3]
	s_and_saveexec_b64 s[2:3], s[28:29]
	s_cbranch_execz .LBB88_255
.LBB88_287:                             ;   in Loop: Header=BB88_13 Depth=1
	s_waitcnt lgkmcnt(14)
	global_store_short v[0:1], v16, off offset:128
	s_or_b64 exec, exec, s[2:3]
	s_and_saveexec_b64 s[2:3], s[30:31]
	s_cbranch_execz .LBB88_256
.LBB88_288:                             ;   in Loop: Header=BB88_13 Depth=1
	s_waitcnt lgkmcnt(13)
	global_store_short v[0:1], v15, off offset:256
	s_or_b64 exec, exec, s[2:3]
	s_and_saveexec_b64 s[2:3], s[34:35]
	s_cbranch_execz .LBB88_257
.LBB88_289:                             ;   in Loop: Header=BB88_13 Depth=1
	s_waitcnt lgkmcnt(12)
	global_store_short v[0:1], v14, off offset:384
	s_or_b64 exec, exec, s[2:3]
	s_and_saveexec_b64 s[2:3], s[36:37]
	s_cbranch_execz .LBB88_258
.LBB88_290:                             ;   in Loop: Header=BB88_13 Depth=1
	s_waitcnt lgkmcnt(11)
	global_store_short v[0:1], v13, off offset:512
	s_or_b64 exec, exec, s[2:3]
	s_and_saveexec_b64 s[2:3], s[38:39]
	s_cbranch_execz .LBB88_259
.LBB88_291:                             ;   in Loop: Header=BB88_13 Depth=1
	s_waitcnt lgkmcnt(10)
	global_store_short v[0:1], v12, off offset:640
	s_or_b64 exec, exec, s[2:3]
	s_and_saveexec_b64 s[2:3], s[40:41]
	s_cbranch_execz .LBB88_260
.LBB88_292:                             ;   in Loop: Header=BB88_13 Depth=1
	s_waitcnt lgkmcnt(9)
	global_store_short v[0:1], v11, off offset:768
	s_or_b64 exec, exec, s[2:3]
	s_and_saveexec_b64 s[2:3], s[42:43]
	s_cbranch_execz .LBB88_261
.LBB88_293:                             ;   in Loop: Header=BB88_13 Depth=1
	s_waitcnt lgkmcnt(8)
	global_store_short v[0:1], v10, off offset:896
	s_or_b64 exec, exec, s[2:3]
	s_and_saveexec_b64 s[2:3], s[44:45]
	s_cbranch_execz .LBB88_262
.LBB88_294:                             ;   in Loop: Header=BB88_13 Depth=1
	s_waitcnt lgkmcnt(7)
	global_store_short v[0:1], v9, off offset:1024
	s_or_b64 exec, exec, s[2:3]
	s_and_saveexec_b64 s[2:3], s[46:47]
	s_cbranch_execz .LBB88_263
.LBB88_295:                             ;   in Loop: Header=BB88_13 Depth=1
	s_waitcnt lgkmcnt(6)
	global_store_short v[0:1], v8, off offset:1152
	s_or_b64 exec, exec, s[2:3]
	s_and_saveexec_b64 s[2:3], s[48:49]
	s_cbranch_execz .LBB88_264
.LBB88_296:                             ;   in Loop: Header=BB88_13 Depth=1
	s_waitcnt lgkmcnt(5)
	global_store_short v[0:1], v7, off offset:1280
	s_or_b64 exec, exec, s[2:3]
	s_and_saveexec_b64 s[2:3], s[50:51]
	s_cbranch_execz .LBB88_265
.LBB88_297:                             ;   in Loop: Header=BB88_13 Depth=1
	s_waitcnt lgkmcnt(4)
	global_store_short v[0:1], v6, off offset:1408
	s_or_b64 exec, exec, s[2:3]
	s_and_saveexec_b64 s[2:3], s[52:53]
	s_cbranch_execz .LBB88_266
.LBB88_298:                             ;   in Loop: Header=BB88_13 Depth=1
	s_waitcnt lgkmcnt(3)
	global_store_short v[0:1], v5, off offset:1536
	s_or_b64 exec, exec, s[2:3]
	s_and_saveexec_b64 s[2:3], s[54:55]
	s_cbranch_execz .LBB88_267
.LBB88_299:                             ;   in Loop: Header=BB88_13 Depth=1
	s_waitcnt lgkmcnt(2)
	global_store_short v[0:1], v4, off offset:1664
	s_or_b64 exec, exec, s[2:3]
	s_and_saveexec_b64 s[2:3], s[56:57]
	s_cbranch_execz .LBB88_268
.LBB88_300:                             ;   in Loop: Header=BB88_13 Depth=1
	s_waitcnt lgkmcnt(1)
	global_store_short v[0:1], v3, off offset:1792
	s_or_b64 exec, exec, s[2:3]
	s_and_saveexec_b64 s[2:3], s[58:59]
	s_cbranch_execz .LBB88_12
.LBB88_301:                             ;   in Loop: Header=BB88_13 Depth=1
	s_waitcnt lgkmcnt(0)
	global_store_short v[0:1], v2, off offset:1920
	s_branch .LBB88_12
.LBB88_302:
	s_endpgm
	.section	.rodata,"a",@progbits
	.p2align	6, 0x0
	.amdhsa_kernel _Z25selective_scan_fwd_kernelI32Selective_Scan_fwd_kernel_traitsILi128ELi16ELi1ELb1ELb1ELb1ELb1ELb1EN3c104HalfEfS2_EEv13SSMParamsBase
		.amdhsa_group_segment_fixed_size 0
		.amdhsa_private_segment_fixed_size 0
		.amdhsa_kernarg_size 248
		.amdhsa_user_sgpr_count 2
		.amdhsa_user_sgpr_dispatch_ptr 0
		.amdhsa_user_sgpr_queue_ptr 0
		.amdhsa_user_sgpr_kernarg_segment_ptr 1
		.amdhsa_user_sgpr_dispatch_id 0
		.amdhsa_user_sgpr_kernarg_preload_length 0
		.amdhsa_user_sgpr_kernarg_preload_offset 0
		.amdhsa_user_sgpr_private_segment_size 0
		.amdhsa_uses_dynamic_stack 0
		.amdhsa_enable_private_segment 0
		.amdhsa_system_sgpr_workgroup_id_x 1
		.amdhsa_system_sgpr_workgroup_id_y 1
		.amdhsa_system_sgpr_workgroup_id_z 0
		.amdhsa_system_sgpr_workgroup_info 0
		.amdhsa_system_vgpr_workitem_id 0
		.amdhsa_next_free_vgpr 168
		.amdhsa_next_free_sgpr 100
		.amdhsa_accum_offset 168
		.amdhsa_reserve_vcc 1
		.amdhsa_float_round_mode_32 0
		.amdhsa_float_round_mode_16_64 0
		.amdhsa_float_denorm_mode_32 3
		.amdhsa_float_denorm_mode_16_64 3
		.amdhsa_dx10_clamp 1
		.amdhsa_ieee_mode 1
		.amdhsa_fp16_overflow 0
		.amdhsa_tg_split 0
		.amdhsa_exception_fp_ieee_invalid_op 0
		.amdhsa_exception_fp_denorm_src 0
		.amdhsa_exception_fp_ieee_div_zero 0
		.amdhsa_exception_fp_ieee_overflow 0
		.amdhsa_exception_fp_ieee_underflow 0
		.amdhsa_exception_fp_ieee_inexact 0
		.amdhsa_exception_int_div_zero 0
	.end_amdhsa_kernel
	.section	.text._Z25selective_scan_fwd_kernelI32Selective_Scan_fwd_kernel_traitsILi128ELi16ELi1ELb1ELb1ELb1ELb1ELb1EN3c104HalfEfS2_EEv13SSMParamsBase,"axG",@progbits,_Z25selective_scan_fwd_kernelI32Selective_Scan_fwd_kernel_traitsILi128ELi16ELi1ELb1ELb1ELb1ELb1ELb1EN3c104HalfEfS2_EEv13SSMParamsBase,comdat
.Lfunc_end88:
	.size	_Z25selective_scan_fwd_kernelI32Selective_Scan_fwd_kernel_traitsILi128ELi16ELi1ELb1ELb1ELb1ELb1ELb1EN3c104HalfEfS2_EEv13SSMParamsBase, .Lfunc_end88-_Z25selective_scan_fwd_kernelI32Selective_Scan_fwd_kernel_traitsILi128ELi16ELi1ELb1ELb1ELb1ELb1ELb1EN3c104HalfEfS2_EEv13SSMParamsBase
                                        ; -- End function
	.section	.AMDGPU.csdata,"",@progbits
; Kernel info:
; codeLenInByte = 25088
; NumSgprs: 106
; NumVgprs: 168
; NumAgprs: 0
; TotalNumVgprs: 168
; ScratchSize: 0
; MemoryBound: 0
; FloatMode: 240
; IeeeMode: 1
; LDSByteSize: 0 bytes/workgroup (compile time only)
; SGPRBlocks: 13
; VGPRBlocks: 20
; NumSGPRsForWavesPerEU: 106
; NumVGPRsForWavesPerEU: 168
; AccumOffset: 168
; Occupancy: 3
; WaveLimiterHint : 1
; COMPUTE_PGM_RSRC2:SCRATCH_EN: 0
; COMPUTE_PGM_RSRC2:USER_SGPR: 2
; COMPUTE_PGM_RSRC2:TRAP_HANDLER: 0
; COMPUTE_PGM_RSRC2:TGID_X_EN: 1
; COMPUTE_PGM_RSRC2:TGID_Y_EN: 1
; COMPUTE_PGM_RSRC2:TGID_Z_EN: 0
; COMPUTE_PGM_RSRC2:TIDIG_COMP_CNT: 0
; COMPUTE_PGM_RSRC3_GFX90A:ACCUM_OFFSET: 41
; COMPUTE_PGM_RSRC3_GFX90A:TG_SPLIT: 0
	.section	.text._Z25selective_scan_fwd_kernelI32Selective_Scan_fwd_kernel_traitsILi128ELi16ELi1ELb1ELb1ELb1ELb1ELb0EN3c104HalfEfS2_EEv13SSMParamsBase,"axG",@progbits,_Z25selective_scan_fwd_kernelI32Selective_Scan_fwd_kernel_traitsILi128ELi16ELi1ELb1ELb1ELb1ELb1ELb0EN3c104HalfEfS2_EEv13SSMParamsBase,comdat
	.protected	_Z25selective_scan_fwd_kernelI32Selective_Scan_fwd_kernel_traitsILi128ELi16ELi1ELb1ELb1ELb1ELb1ELb0EN3c104HalfEfS2_EEv13SSMParamsBase ; -- Begin function _Z25selective_scan_fwd_kernelI32Selective_Scan_fwd_kernel_traitsILi128ELi16ELi1ELb1ELb1ELb1ELb1ELb0EN3c104HalfEfS2_EEv13SSMParamsBase
	.globl	_Z25selective_scan_fwd_kernelI32Selective_Scan_fwd_kernel_traitsILi128ELi16ELi1ELb1ELb1ELb1ELb1ELb0EN3c104HalfEfS2_EEv13SSMParamsBase
	.p2align	8
	.type	_Z25selective_scan_fwd_kernelI32Selective_Scan_fwd_kernel_traitsILi128ELi16ELi1ELb1ELb1ELb1ELb1ELb0EN3c104HalfEfS2_EEv13SSMParamsBase,@function
_Z25selective_scan_fwd_kernelI32Selective_Scan_fwd_kernel_traitsILi128ELi16ELi1ELb1ELb1ELb1ELb1ELb0EN3c104HalfEfS2_EEv13SSMParamsBase: ; @_Z25selective_scan_fwd_kernelI32Selective_Scan_fwd_kernel_traitsILi128ELi16ELi1ELb1ELb1ELb1ELb1ELb0EN3c104HalfEfS2_EEv13SSMParamsBase
; %bb.0:
	s_load_dword s35, s[0:1], 0x18
	s_load_dwordx4 s[4:7], s[0:1], 0xe8
	s_mov_b32 s28, s3
                                        ; implicit-def: $vgpr166 : SGPR spill to VGPR lane
	s_waitcnt lgkmcnt(0)
	s_abs_i32 s34, s35
	v_cvt_f32_u32_e32 v1, s34
	s_cmp_eq_u64 s[6:7], 0
	v_rcp_iflag_f32_e32 v1, v1
	s_nop 0
	v_mul_f32_e32 v1, 0x4f7ffffe, v1
	v_cvt_u32_f32_e32 v1, v1
	s_nop 0
	v_readfirstlane_b32 s24, v1
	s_cbranch_scc1 .LBB89_2
; %bb.1:
	s_ashr_i32 s3, s2, 31
	s_add_u32 s6, s6, s2
	s_addc_u32 s7, s7, s3
	v_mov_b32_e32 v1, 0
	global_load_ubyte v1, v1, s[6:7]
	s_waitcnt vmcnt(0)
	v_and_b32_e32 v1, 1, v1
	v_cmp_eq_u32_e64 s[6:7], 1, v1
	s_branch .LBB89_3
.LBB89_2:
	s_mov_b64 s[6:7], 0
.LBB89_3:
	s_nop 0
	v_writelane_b32 v166, s6, 0
	s_cmp_eq_u64 s[4:5], 0
	s_nop 0
	v_writelane_b32 v166, s7, 1
	s_load_dwordx2 s[6:7], s[0:1], 0x20
	s_cbranch_scc1 .LBB89_5
; %bb.4:
	s_ashr_i32 s3, s2, 31
	s_lshl_b64 s[8:9], s[2:3], 2
	s_add_u32 s4, s4, s8
	s_addc_u32 s5, s5, s9
	s_load_dword s30, s[4:5], 0x0
	s_waitcnt lgkmcnt(0)
	s_ashr_i32 s31, s30, 31
	s_cmp_eq_u64 s[6:7], s[30:31]
	s_cbranch_scc0 .LBB89_6
	s_branch .LBB89_90
.LBB89_5:
	s_mov_b32 s30, s2
	s_ashr_i32 s31, s30, 31
	s_waitcnt lgkmcnt(0)
	s_cmp_eq_u64 s[6:7], s[30:31]
	s_cbranch_scc1 .LBB89_90
.LBB89_6:
	s_load_dwordx16 s[4:19], s[0:1], 0x88
	s_load_dwordx2 s[36:37], s[0:1], 0x8
	s_mov_b32 s33, 0
	s_mov_b32 s64, 0
	s_waitcnt lgkmcnt(0)
	s_cmp_eq_u64 s[10:11], 0
	s_cbranch_scc1 .LBB89_8
; %bb.7:
	s_ashr_i32 s29, s28, 31
	s_lshl_b64 s[20:21], s[28:29], 2
	s_add_u32 s10, s10, s20
	s_addc_u32 s11, s11, s21
	s_load_dword s64, s[10:11], 0x0
.LBB89_8:
	s_cmp_eq_u64 s[16:17], 0
	s_cbranch_scc1 .LBB89_10
; %bb.9:
	s_ashr_i32 s29, s28, 31
	s_lshl_b64 s[10:11], s[28:29], 2
	s_add_u32 s10, s16, s10
	s_addc_u32 s11, s17, s11
	s_load_dword s33, s[10:11], 0x0
.LBB89_10:
	s_cmp_lt_i32 s36, 1
	s_cbranch_scc1 .LBB89_90
; %bb.11:
	s_sub_i32 s3, 0, s34
	s_mul_i32 s3, s3, s24
	s_mul_hi_u32 s3, s24, s3
	s_abs_i32 s29, s28
	s_add_i32 s3, s24, s3
	s_load_dwordx8 s[68:75], s[0:1], 0x2c
	s_load_dwordx2 s[16:17], s[0:1], 0x7c
	s_load_dwordx4 s[20:23], s[0:1], 0x6c
	s_load_dwordx8 s[76:83], s[0:1], 0x4c
	s_load_dwordx2 s[10:11], s[0:1], 0xd8
	s_load_dwordx4 s[24:27], s[0:1], 0xc8
	s_load_dword s65, s[0:1], 0x84
	s_mul_hi_u32 s3, s29, s3
	s_load_dword s31, s[0:1], 0x28
	s_ashr_i32 s0, s28, 31
	s_ashr_i32 s1, s35, 31
	s_xor_b32 s0, s0, s1
	s_mul_i32 s1, s3, s34
	s_sub_i32 s1, s29, s1
	s_add_i32 s29, s3, 1
	s_sub_i32 s35, s1, s34
	s_cmp_ge_u32 s1, s34
	s_cselect_b32 s3, s29, s3
	s_cselect_b32 s1, s35, s1
	s_add_i32 s29, s3, 1
	s_cmp_ge_u32 s1, s34
	s_cselect_b32 s1, s29, s3
	s_xor_b32 s1, s1, s0
	s_waitcnt lgkmcnt(0)
	s_mul_i32 s92, s78, s2
	s_mov_b32 s93, 0
	s_sub_i32 s3, s1, s0
	s_lshl_b64 s[0:1], s[92:93], 1
	s_add_u32 s12, s12, s0
	s_mul_i32 s92, s79, s28
	s_addc_u32 s13, s13, s1
	s_lshl_b64 s[0:1], s[92:93], 1
	s_add_u32 s78, s12, s0
	s_mul_i32 s92, s80, s2
	s_addc_u32 s79, s13, s1
	;; [unrolled: 4-line block ×10, first 2 shown]
	s_lshl_b64 s[4:5], s[92:93], 1
	s_add_u32 s1, s1, s4
	s_addc_u32 s73, s3, s5
	s_add_i32 s3, s36, 0x7ff
	s_lshr_b32 s4, s3, 11
	s_bitcmp1_b32 s31, 0
	s_cselect_b64 s[88:89], -1, 0
	s_cmp_gt_i32 s37, 0
	s_cselect_b64 s[6:7], -1, 0
	v_writelane_b32 v166, s6, 2
	v_mbcnt_lo_u32_b32 v1, -1, 0
	v_mbcnt_hi_u32_b32 v2, -1, v1
	v_writelane_b32 v166, s7, 3
	v_writelane_b32 v166, s36, 4
	v_lshlrev_b32_e32 v1, 1, v0
	s_mul_i32 s92, s20, s2
	v_writelane_b32 v166, s37, 5
	v_writelane_b32 v166, s4, 6
	s_add_i32 s4, s4, -1
	v_and_b32_e32 v4, 0x80, v1
	s_add_i32 s6, 0, 0x1080
	s_and_b32 s7, s36, 0x7ff
	v_writelane_b32 v166, s4, 7
	s_lshl_b64 s[4:5], s[92:93], 1
	v_or_b32_e32 v1, v2, v4
	s_movk_i32 s3, 0x100
	s_add_u32 s8, s18, s4
	s_addc_u32 s9, s19, s5
	v_cmp_gt_u32_e64 s[4:5], s3, v1
	v_add_u32_e32 v3, 64, v1
	v_lshrrev_b32_e32 v5, 5, v1
	v_writelane_b32 v166, s4, 8
	s_mul_i32 s92, s21, s28
	v_add_u32_e32 v5, v5, v1
	v_writelane_b32 v166, s5, 9
	v_cmp_gt_u32_e64 s[4:5], s3, v3
	v_lshrrev_b32_e32 v3, 5, v3
	v_add_lshl_u32 v1, v3, v1, 4
	v_writelane_b32 v166, s4, 10
	v_and_b32_e32 v3, 64, v0
	v_lshl_add_u32 v96, v5, 4, 0
	v_writelane_b32 v166, s5, 11
	s_lshl_b64 s[4:5], s[92:93], 1
	v_add_u32_e32 v5, v2, v3
	s_add_u32 s30, s8, s4
	s_mul_i32 s92, s82, s2
	v_lshlrev_b32_e32 v6, 1, v5
	v_bfe_u32 v5, v5, 4, 27
	s_addc_u32 s31, s9, s5
	s_lshl_b64 s[4:5], s[92:93], 1
	v_add_lshl_u32 v5, v5, v6, 4
	s_add_u32 s3, s26, s4
	s_mul_i32 s92, s83, s28
	v_add_u32_e32 v99, s6, v1
	v_add_u32_e32 v100, s6, v5
	s_addc_u32 s6, s27, s5
	s_lshl_b64 s[4:5], s[92:93], 1
	s_add_u32 s34, s3, s4
	s_mul_i32 s92, s22, s2
	s_addc_u32 s35, s6, s5
	s_lshl_b64 s[2:3], s[92:93], 1
	s_add_u32 s4, s10, s2
	s_mul_i32 s92, s23, s28
	s_addc_u32 s5, s11, s3
	s_lshl_b64 s[2:3], s[92:93], 1
	s_add_u32 s2, s4, s2
	s_addc_u32 s3, s5, s3
	s_cmp_eq_u32 s7, 0
	s_cselect_b64 s[4:5], -1, 0
	v_add_u32_e32 v97, 0, v1
	v_writelane_b32 v166, s4, 12
	v_and_b32_e32 v1, 15, v2
	v_cmp_lt_u32_e64 s[6:7], 1, v1
	v_writelane_b32 v166, s5, 13
	v_cmp_eq_u32_e64 s[4:5], 0, v1
	v_cmp_lt_u32_e64 s[8:9], 3, v1
	v_cmp_lt_u32_e64 s[10:11], 7, v1
	v_and_b32_e32 v1, 16, v2
	v_cmp_ne_u32_e64 s[12:13], 0, v1
	v_or_b32_e32 v1, 63, v3
	v_cmp_eq_u32_e64 s[16:17], v1, v0
	v_lshrrev_b32_e32 v1, 3, v0
	v_and_b32_e32 v1, 8, v1
	v_add_u32_e32 v102, 0, v1
	v_and_b32_e32 v1, 1, v2
	v_cmp_eq_u32_e64 s[20:21], 0, v1
	v_add_u32_e32 v1, -1, v2
	v_and_b32_e32 v3, 64, v2
	v_cmp_lt_i32_e32 vcc, v1, v3
	v_mov_b32_e32 v41, 0
	v_lshlrev_b32_e32 v40, 4, v2
	v_cndmask_b32_e32 v1, v1, v2, vcc
	v_lshlrev_b32_e32 v101, 4, v0
	v_cmp_gt_u32_e64 s[18:19], 2, v0
	v_lshl_add_u32 v103, v0, 3, 0
	v_cmp_gt_u32_e64 s[22:23], 64, v0
	v_cmp_lt_u32_e64 s[24:25], 63, v0
	v_lshlrev_b32_e32 v104, 2, v1
	v_cmp_eq_u32_e64 s[26:27], 0, v0
	v_lshl_add_u64 v[0:1], s[30:31], 0, v[40:41]
	v_lshlrev_b32_e32 v6, 4, v4
	v_mov_b32_e32 v7, v41
	v_lshl_add_u64 v[42:43], v[0:1], 0, v[6:7]
	v_lshl_add_u64 v[0:1], s[34:35], 0, v[40:41]
	;; [unrolled: 1-line block ×4, first 2 shown]
	v_lshlrev_b32_e32 v48, 4, v4
	v_add_u32_e32 v98, 0, v5
	v_cmp_lt_u32_e64 s[14:15], 31, v2
	v_lshl_add_u64 v[46:47], v[0:1], 0, v[6:7]
	v_or_b32_e32 v105, 1, v101
	v_or_b32_e32 v106, 2, v101
	;; [unrolled: 1-line block ×12, first 2 shown]
	s_mov_b32 s67, 0x41a00000
	s_mov_b32 s34, 0x3fb8aa3b
	;; [unrolled: 1-line block ×6, first 2 shown]
                                        ; implicit-def: $vgpr0
	s_mov_b32 s39, 0x3f317218
	v_mov_b32_e32 v50, v48
	v_mov_b32_e32 v52, 0x3f317218
	s_mov_b32 s40, 0x33800000
	v_or_b32_e32 v117, 13, v101
	s_add_i32 s2, 0, 0x2110
	v_or_b32_e32 v118, 14, v101
	s_mov_b32 s77, 0xc2fc0000
	v_or_b32_e32 v119, 15, v101
	v_mov_b32_e32 v120, 0x3ecc95a3
	v_mov_b32_e32 v121, 0x7f800000
	;; [unrolled: 1-line block ×3, first 2 shown]
	v_lshlrev_b32_e32 v40, 4, v2
	v_mov_b32_e32 v51, v41
	v_mov_b32_e32 v123, 0x1f800000
	s_mov_b32 s41, 0
	v_cmp_eq_u32_e64 s[28:29], 0, v2
                                        ; implicit-def: $vgpr8_vgpr9
                                        ; implicit-def: $vgpr0_vgpr1
                                        ; implicit-def: $vgpr16_vgpr17
                                        ; implicit-def: $vgpr4_vgpr5
                                        ; implicit-def: $vgpr20_vgpr21
                                        ; implicit-def: $vgpr12_vgpr13
	v_writelane_b32 v166, s2, 14
	s_branch .LBB89_13
.LBB89_12:                              ;   in Loop: Header=BB89_13 Depth=1
	s_or_b64 exec, exec, s[2:3]
	s_waitcnt vmcnt(0)
	ds_write2_b64 v96, v[8:9], v[10:11] offset1:1
	ds_write_b128 v97, v[0:3] offset:1024
	; wave barrier
	ds_read_b128 v[8:11], v98
	ds_read_b128 v[0:3], v98 offset:16
	s_mov_b32 s30, 0xbfb8aa3b
	s_mov_b32 s31, 0xb2a5705f
	;; [unrolled: 1-line block ×3, first 2 shown]
	s_waitcnt lgkmcnt(1)
	v_cvt_f32_f16_e32 v28, v8
	v_cvt_f32_f16_sdwa v29, v8 dst_sel:DWORD dst_unused:UNUSED_PAD src0_sel:WORD_1
	v_cvt_f32_f16_e32 v31, v9
	v_cvt_f32_f16_sdwa v30, v9 dst_sel:DWORD dst_unused:UNUSED_PAD src0_sel:WORD_1
	v_mul_f32_e32 v24, 0xbfb8aa3b, v28
	v_rndne_f32_e32 v25, v24
	v_fma_mix_f32 v26, v8, s30, -v24 op_sel_hi:[1,0,0]
	v_sub_f32_e32 v24, v24, v25
	v_fma_mix_f32 v26, v8, s31, v26 op_sel_hi:[1,0,0]
	v_cvt_i32_f32_e32 v25, v25
	v_add_f32_e32 v24, v24, v26
	v_exp_f32_e32 v24, v24
	v_cmp_nlt_f32_e32 vcc, s41, v28
	s_mov_b32 s42, 0xc2b17218
	s_add_u32 s80, s80, 0x1000
	v_ldexp_f32 v24, v24, v25
	v_mul_f32_e32 v25, 0xbfb8aa3b, v29
	v_rndne_f32_e32 v26, v25
	v_sub_f32_e32 v27, v25, v26
	v_fma_mix_f32 v25, v8, s30, -v25 op_sel:[1,0,0] op_sel_hi:[1,0,0]
	v_cvt_i32_f32_e32 v26, v26
	v_fma_mix_f32 v25, v8, s31, v25 op_sel:[1,0,0] op_sel_hi:[1,0,0]
	v_cndmask_b32_e32 v24, 0, v24, vcc
	v_add_f32_e32 v25, v27, v25
	v_exp_f32_e32 v25, v25
	v_cmp_ngt_f32_e32 vcc, s42, v28
	s_addc_u32 s81, s81, 0
	s_waitcnt lgkmcnt(0)
	v_ldexp_f32 v25, v25, v26
	v_mul_f32_e32 v26, 0xbfb8aa3b, v31
	v_rndne_f32_e32 v27, v26
	v_sub_f32_e32 v32, v26, v27
	v_fma_mix_f32 v26, v9, s30, -v26 op_sel_hi:[1,0,0]
	v_cvt_i32_f32_e32 v27, v27
	v_fma_mix_f32 v26, v9, s31, v26 op_sel_hi:[1,0,0]
	v_cndmask_b32_e32 v24, v121, v24, vcc
	v_add_f32_e32 v26, v32, v26
	v_exp_f32_e32 v26, v26
	v_cmp_nlt_f32_e32 vcc, s41, v29
	s_barrier
	v_ldexp_f32 v26, v26, v27
	v_mul_f32_e32 v27, 0xbfb8aa3b, v30
	v_rndne_f32_e32 v32, v27
	v_sub_f32_e32 v33, v27, v32
	v_fma_mix_f32 v27, v9, s30, -v27 op_sel:[1,0,0] op_sel_hi:[1,0,0]
	v_cvt_i32_f32_e32 v32, v32
	v_fma_mix_f32 v27, v9, s31, v27 op_sel:[1,0,0] op_sel_hi:[1,0,0]
	v_cndmask_b32_e32 v25, 0, v25, vcc
	v_add_f32_e32 v27, v33, v27
	v_exp_f32_e32 v27, v27
	v_cmp_ngt_f32_e32 vcc, s42, v29
	s_add_u32 s78, s78, 0x1000
	s_addc_u32 s79, s79, 0
	v_cndmask_b32_e32 v25, v121, v25, vcc
	v_pk_add_f32 v[24:25], v[24:25], 1.0 op_sel_hi:[1,0]
	v_ldexp_f32 v27, v27, v32
	v_div_scale_f32 v32, s[2:3], v25, v25, v29
	v_rcp_f32_e32 v33, v32
	v_cmp_nlt_f32_e32 vcc, s41, v31
	s_add_u32 s70, s70, 0x1000
	s_addc_u32 s71, s71, 0
	v_cndmask_b32_e32 v26, 0, v26, vcc
	v_cmp_ngt_f32_e32 vcc, s42, v31
	v_fma_f32 v34, -v32, v33, 1.0
	v_fmac_f32_e32 v33, v34, v33
	v_cndmask_b32_e32 v26, v121, v26, vcc
	v_cmp_nlt_f32_e32 vcc, s41, v30
	s_add_u32 s74, s74, 0x1000
	s_addc_u32 s75, s75, 0
	v_cndmask_b32_e32 v27, 0, v27, vcc
	v_cmp_ngt_f32_e32 vcc, s42, v30
	s_nop 1
	v_cndmask_b32_e32 v27, v121, v27, vcc
	v_div_scale_f32 v34, vcc, v29, v25, v29
	v_mul_f32_e32 v35, v34, v33
	v_fma_f32 v36, -v32, v35, v34
	v_fmac_f32_e32 v35, v36, v33
	v_fma_f32 v32, -v32, v35, v34
	v_div_scale_f32 v34, s[2:3], v24, v24, v28
	v_rcp_f32_e32 v36, v34
	v_div_fmas_f32 v32, v32, v33, v35
	v_div_fixup_f32 v25, v32, v25, v29
	v_pk_add_f32 v[26:27], v[26:27], 1.0 op_sel_hi:[1,0]
	v_fma_f32 v29, -v34, v36, 1.0
	v_fmac_f32_e32 v36, v29, v36
	v_div_scale_f32 v29, vcc, v28, v24, v28
	v_mul_f32_e32 v32, v29, v36
	v_fma_f32 v33, -v34, v32, v29
	v_fmac_f32_e32 v32, v33, v36
	v_div_scale_f32 v33, s[2:3], v27, v27, v30
	v_fma_f32 v29, -v34, v32, v29
	v_rcp_f32_e32 v34, v33
	v_div_fmas_f32 v29, v29, v36, v32
	v_div_fixup_f32 v24, v29, v24, v28
	v_cvt_f32_f16_e32 v35, v11
	v_fma_f32 v28, -v33, v34, 1.0
	v_fmac_f32_e32 v34, v28, v34
	v_div_scale_f32 v28, vcc, v30, v27, v30
	v_mul_f32_e32 v29, v28, v34
	v_fma_f32 v32, -v33, v29, v28
	v_fmac_f32_e32 v29, v32, v34
	v_div_scale_f32 v32, s[2:3], v26, v26, v31
	v_fma_f32 v28, -v33, v29, v28
	v_rcp_f32_e32 v33, v32
	v_div_fmas_f32 v28, v28, v34, v29
	v_div_fixup_f32 v27, v28, v27, v30
	v_cvt_f32_f16_sdwa v34, v11 dst_sel:DWORD dst_unused:UNUSED_PAD src0_sel:WORD_1
	v_fma_f32 v28, -v32, v33, 1.0
	v_fmac_f32_e32 v33, v28, v33
	v_div_scale_f32 v28, vcc, v31, v26, v31
	v_mul_f32_e32 v29, v28, v33
	v_fma_f32 v30, -v32, v29, v28
	v_fmac_f32_e32 v29, v30, v33
	v_fma_f32 v28, -v32, v29, v28
	v_cvt_f32_f16_e32 v32, v10
	v_div_fmas_f32 v28, v28, v33, v29
	v_div_fixup_f32 v26, v28, v26, v31
	v_pk_mul_f32 v[28:29], v[68:69], v[26:27]
	v_pk_mul_f32 v[26:27], v[66:67], v[24:25]
	v_cvt_f32_f16_sdwa v33, v10 dst_sel:DWORD dst_unused:UNUSED_PAD src0_sel:WORD_1
	v_cvt_f16_f32_e32 v24, v27
	v_cvt_f16_f32_e32 v27, v28
	v_mul_f32_e32 v28, 0xbfb8aa3b, v32
	v_cvt_f16_f32_e32 v25, v26
	v_cvt_f16_f32_e32 v26, v29
	v_rndne_f32_e32 v29, v28
	v_sub_f32_e32 v30, v28, v29
	v_fma_mix_f32 v28, v10, s30, -v28 op_sel_hi:[1,0,0]
	v_cvt_i32_f32_e32 v29, v29
	v_fma_mix_f32 v28, v10, s31, v28 op_sel_hi:[1,0,0]
	v_cmp_nlt_f32_e32 vcc, s41, v32
	v_add_f32_e32 v28, v30, v28
	v_exp_f32_e32 v28, v28
	v_pack_b32_f16 v27, v27, v26
	v_pack_b32_f16 v26, v25, v24
	v_ldexp_f32 v28, v28, v29
	v_mul_f32_e32 v29, 0xbfb8aa3b, v33
	v_rndne_f32_e32 v30, v29
	v_sub_f32_e32 v31, v29, v30
	v_fma_mix_f32 v29, v10, s30, -v29 op_sel:[1,0,0] op_sel_hi:[1,0,0]
	v_cvt_i32_f32_e32 v30, v30
	v_fma_mix_f32 v29, v10, s31, v29 op_sel:[1,0,0] op_sel_hi:[1,0,0]
	v_cndmask_b32_e32 v28, 0, v28, vcc
	v_add_f32_e32 v29, v31, v29
	v_exp_f32_e32 v29, v29
	v_cmp_ngt_f32_e32 vcc, s42, v32
	v_ldexp_f32 v29, v29, v30
	v_mul_f32_e32 v30, 0xbfb8aa3b, v35
	v_rndne_f32_e32 v31, v30
	v_sub_f32_e32 v36, v30, v31
	v_fma_mix_f32 v30, v11, s30, -v30 op_sel_hi:[1,0,0]
	v_cvt_i32_f32_e32 v31, v31
	v_fma_mix_f32 v30, v11, s31, v30 op_sel_hi:[1,0,0]
	v_cndmask_b32_e32 v28, v121, v28, vcc
	v_add_f32_e32 v30, v36, v30
	v_exp_f32_e32 v30, v30
	v_cmp_nlt_f32_e32 vcc, s41, v33
	v_ldexp_f32 v30, v30, v31
	v_mul_f32_e32 v31, 0xbfb8aa3b, v34
	v_rndne_f32_e32 v36, v31
	v_sub_f32_e32 v37, v31, v36
	v_fma_mix_f32 v31, v11, s30, -v31 op_sel:[1,0,0] op_sel_hi:[1,0,0]
	v_cvt_i32_f32_e32 v36, v36
	v_fma_mix_f32 v31, v11, s31, v31 op_sel:[1,0,0] op_sel_hi:[1,0,0]
	v_cndmask_b32_e32 v29, 0, v29, vcc
	v_add_f32_e32 v31, v37, v31
	v_exp_f32_e32 v31, v31
	v_cmp_ngt_f32_e32 vcc, s42, v33
	v_ldexp_f32 v31, v31, v36
	s_nop 0
	v_cndmask_b32_e32 v29, v121, v29, vcc
	v_pk_add_f32 v[28:29], v[28:29], 1.0 op_sel_hi:[1,0]
	v_cmp_nlt_f32_e32 vcc, s41, v35
	v_div_scale_f32 v36, s[2:3], v29, v29, v33
	v_rcp_f32_e32 v37, v36
	v_cndmask_b32_e32 v30, 0, v30, vcc
	v_cmp_ngt_f32_e32 vcc, s42, v35
	v_fma_f32 v38, -v36, v37, 1.0
	s_nop 0
	v_cndmask_b32_e32 v30, v121, v30, vcc
	v_cmp_nlt_f32_e32 vcc, s41, v34
	v_fmac_f32_e32 v37, v38, v37
	s_nop 0
	v_cndmask_b32_e32 v31, 0, v31, vcc
	v_cmp_ngt_f32_e32 vcc, s42, v34
	s_nop 1
	v_cndmask_b32_e32 v31, v121, v31, vcc
	v_div_scale_f32 v38, vcc, v33, v29, v33
	v_mul_f32_e32 v39, v38, v37
	v_fma_f32 v49, -v36, v39, v38
	v_fmac_f32_e32 v39, v49, v37
	v_fma_f32 v36, -v36, v39, v38
	v_div_scale_f32 v38, s[2:3], v28, v28, v32
	v_rcp_f32_e32 v49, v38
	v_div_fmas_f32 v36, v36, v37, v39
	v_div_fixup_f32 v29, v36, v29, v33
	v_pk_add_f32 v[30:31], v[30:31], 1.0 op_sel_hi:[1,0]
	v_fma_f32 v33, -v38, v49, 1.0
	v_fmac_f32_e32 v49, v33, v49
	v_div_scale_f32 v33, vcc, v32, v28, v32
	v_mul_f32_e32 v36, v33, v49
	v_fma_f32 v37, -v38, v36, v33
	v_fmac_f32_e32 v36, v37, v49
	v_div_scale_f32 v37, s[2:3], v31, v31, v34
	v_fma_f32 v33, -v38, v36, v33
	v_rcp_f32_e32 v38, v37
	v_div_fmas_f32 v33, v33, v49, v36
	v_div_fixup_f32 v28, v33, v28, v32
	v_cvt_f32_f16_e32 v39, v1
	v_fma_f32 v32, -v37, v38, 1.0
	v_fmac_f32_e32 v38, v32, v38
	v_div_scale_f32 v32, vcc, v34, v31, v34
	v_mul_f32_e32 v33, v32, v38
	v_fma_f32 v36, -v37, v33, v32
	v_fmac_f32_e32 v33, v36, v38
	v_div_scale_f32 v36, s[2:3], v30, v30, v35
	v_fma_f32 v32, -v37, v33, v32
	v_rcp_f32_e32 v37, v36
	v_div_fmas_f32 v32, v32, v38, v33
	v_div_fixup_f32 v31, v32, v31, v34
	v_cvt_f32_f16_sdwa v38, v1 dst_sel:DWORD dst_unused:UNUSED_PAD src0_sel:WORD_1
	v_fma_f32 v32, -v36, v37, 1.0
	v_fmac_f32_e32 v37, v32, v37
	v_div_scale_f32 v32, vcc, v35, v30, v35
	v_mul_f32_e32 v33, v32, v37
	v_fma_f32 v34, -v36, v33, v32
	v_fmac_f32_e32 v33, v34, v37
	v_fma_f32 v32, -v36, v33, v32
	v_div_fmas_f32 v32, v32, v37, v33
	v_div_fixup_f32 v30, v32, v30, v35
	v_pk_mul_f32 v[32:33], v[62:63], v[28:29]
	v_cvt_f32_f16_e32 v29, v0
	v_pk_mul_f32 v[30:31], v[64:65], v[30:31]
	v_cvt_f16_f32_e32 v34, v32
	v_cvt_f16_f32_e32 v36, v30
	v_mul_f32_e32 v30, 0xbfb8aa3b, v29
	v_cvt_f16_f32_e32 v35, v31
	v_rndne_f32_e32 v31, v30
	v_sub_f32_e32 v32, v30, v31
	v_fma_mix_f32 v30, v0, s30, -v30 op_sel_hi:[1,0,0]
	v_cvt_i32_f32_e32 v31, v31
	v_fma_mix_f32 v30, v0, s31, v30 op_sel_hi:[1,0,0]
	v_cvt_f32_f16_sdwa v37, v0 dst_sel:DWORD dst_unused:UNUSED_PAD src0_sel:WORD_1
	v_add_f32_e32 v30, v32, v30
	v_exp_f32_e32 v30, v30
	v_cvt_f16_f32_e32 v28, v33
	v_cmp_nlt_f32_e32 vcc, s41, v29
	v_ldexp_f32 v30, v30, v31
	v_mul_f32_e32 v31, 0xbfb8aa3b, v37
	v_rndne_f32_e32 v32, v31
	v_sub_f32_e32 v33, v31, v32
	v_fma_mix_f32 v31, v0, s30, -v31 op_sel:[1,0,0] op_sel_hi:[1,0,0]
	v_cvt_i32_f32_e32 v32, v32
	v_fma_mix_f32 v31, v0, s31, v31 op_sel:[1,0,0] op_sel_hi:[1,0,0]
	v_cndmask_b32_e32 v30, 0, v30, vcc
	v_add_f32_e32 v31, v33, v31
	v_exp_f32_e32 v31, v31
	v_cmp_ngt_f32_e32 vcc, s42, v29
	v_pack_b32_f16 v28, v34, v28
	v_ldexp_f32 v31, v31, v32
	v_mul_f32_e32 v32, 0xbfb8aa3b, v39
	v_rndne_f32_e32 v33, v32
	v_sub_f32_e32 v49, v32, v33
	v_fma_mix_f32 v32, v1, s30, -v32 op_sel_hi:[1,0,0]
	v_cvt_i32_f32_e32 v33, v33
	v_fma_mix_f32 v32, v1, s31, v32 op_sel_hi:[1,0,0]
	v_cndmask_b32_e32 v30, v121, v30, vcc
	v_add_f32_e32 v32, v49, v32
	v_exp_f32_e32 v32, v32
	v_cmp_nlt_f32_e32 vcc, s41, v37
	v_ldexp_f32 v32, v32, v33
	v_mul_f32_e32 v33, 0xbfb8aa3b, v38
	v_rndne_f32_e32 v49, v33
	v_sub_f32_e32 v53, v33, v49
	v_fma_mix_f32 v33, v1, s30, -v33 op_sel:[1,0,0] op_sel_hi:[1,0,0]
	v_cvt_i32_f32_e32 v49, v49
	v_fma_mix_f32 v33, v1, s31, v33 op_sel:[1,0,0] op_sel_hi:[1,0,0]
	v_cndmask_b32_e32 v31, 0, v31, vcc
	v_add_f32_e32 v33, v53, v33
	v_exp_f32_e32 v33, v33
	v_cmp_ngt_f32_e32 vcc, s42, v37
	v_ldexp_f32 v33, v33, v49
	s_nop 0
	v_cndmask_b32_e32 v31, v121, v31, vcc
	v_pk_add_f32 v[30:31], v[30:31], 1.0 op_sel_hi:[1,0]
	v_cmp_nlt_f32_e32 vcc, s41, v39
	v_div_scale_f32 v49, s[2:3], v31, v31, v37
	v_rcp_f32_e32 v53, v49
	v_cndmask_b32_e32 v32, 0, v32, vcc
	v_cmp_ngt_f32_e32 vcc, s42, v39
	v_fma_f32 v62, -v49, v53, 1.0
	s_nop 0
	v_cndmask_b32_e32 v32, v121, v32, vcc
	v_cmp_nlt_f32_e32 vcc, s41, v38
	v_fmac_f32_e32 v53, v62, v53
	s_nop 0
	v_cndmask_b32_e32 v33, 0, v33, vcc
	v_cmp_ngt_f32_e32 vcc, s42, v38
	s_nop 1
	v_cndmask_b32_e32 v33, v121, v33, vcc
	v_div_scale_f32 v62, vcc, v37, v31, v37
	v_mul_f32_e32 v63, v62, v53
	v_fma_f32 v64, -v49, v63, v62
	v_fmac_f32_e32 v63, v64, v53
	v_fma_f32 v49, -v49, v63, v62
	v_div_scale_f32 v62, s[2:3], v30, v30, v29
	v_rcp_f32_e32 v64, v62
	v_div_fmas_f32 v49, v49, v53, v63
	v_div_fixup_f32 v31, v49, v31, v37
	v_pk_add_f32 v[32:33], v[32:33], 1.0 op_sel_hi:[1,0]
	v_fma_f32 v37, -v62, v64, 1.0
	v_fmac_f32_e32 v64, v37, v64
	v_div_scale_f32 v37, vcc, v29, v30, v29
	v_mul_f32_e32 v49, v37, v64
	v_fma_f32 v53, -v62, v49, v37
	v_fmac_f32_e32 v49, v53, v64
	v_div_scale_f32 v53, s[2:3], v33, v33, v38
	v_fma_f32 v37, -v62, v49, v37
	v_rcp_f32_e32 v62, v53
	v_div_fmas_f32 v37, v37, v64, v49
	v_div_fixup_f32 v30, v37, v30, v29
	v_pk_mul_f32 v[30:31], v[58:59], v[30:31]
	v_fma_f32 v29, -v53, v62, 1.0
	v_fmac_f32_e32 v62, v29, v62
	v_div_scale_f32 v29, vcc, v38, v33, v38
	v_mul_f32_e32 v37, v29, v62
	v_fma_f32 v49, -v53, v37, v29
	v_fmac_f32_e32 v37, v49, v62
	v_div_scale_f32 v49, s[2:3], v32, v32, v39
	v_fma_f32 v29, -v53, v37, v29
	v_rcp_f32_e32 v53, v49
	v_div_fmas_f32 v29, v29, v62, v37
	v_div_fixup_f32 v33, v29, v33, v38
	v_cvt_f32_f16_e32 v59, v3
	v_fma_f32 v29, -v49, v53, 1.0
	v_fmac_f32_e32 v53, v29, v53
	v_div_scale_f32 v29, vcc, v39, v32, v39
	v_mul_f32_e32 v37, v29, v53
	v_fma_f32 v38, -v49, v37, v29
	v_fmac_f32_e32 v37, v38, v53
	v_fma_f32 v29, -v49, v37, v29
	v_div_fmas_f32 v29, v29, v53, v37
	v_div_fixup_f32 v32, v29, v32, v39
	v_cvt_f32_f16_e32 v29, v2
	v_cvt_f16_f32_e32 v38, v30
	v_pk_mul_f32 v[32:33], v[60:61], v[32:33]
	v_cvt_f16_f32_e32 v37, v31
	v_mul_f32_e32 v30, 0xbfb8aa3b, v29
	v_rndne_f32_e32 v31, v30
	v_cvt_f16_f32_e32 v49, v32
	v_sub_f32_e32 v32, v30, v31
	v_fma_mix_f32 v30, v2, s30, -v30 op_sel_hi:[1,0,0]
	v_cvt_i32_f32_e32 v31, v31
	v_fma_mix_f32 v30, v2, s31, v30 op_sel_hi:[1,0,0]
	v_cvt_f32_f16_sdwa v53, v2 dst_sel:DWORD dst_unused:UNUSED_PAD src0_sel:WORD_1
	v_add_f32_e32 v30, v32, v30
	v_exp_f32_e32 v30, v30
	v_cvt_f16_f32_e32 v39, v33
	v_cvt_f32_f16_sdwa v58, v3 dst_sel:DWORD dst_unused:UNUSED_PAD src0_sel:WORD_1
	v_cmp_nlt_f32_e32 vcc, s41, v29
	v_ldexp_f32 v30, v30, v31
	v_mul_f32_e32 v31, 0xbfb8aa3b, v53
	v_rndne_f32_e32 v32, v31
	v_sub_f32_e32 v33, v31, v32
	v_fma_mix_f32 v31, v2, s30, -v31 op_sel:[1,0,0] op_sel_hi:[1,0,0]
	v_cvt_i32_f32_e32 v32, v32
	v_fma_mix_f32 v31, v2, s31, v31 op_sel:[1,0,0] op_sel_hi:[1,0,0]
	v_cndmask_b32_e32 v30, 0, v30, vcc
	v_add_f32_e32 v31, v33, v31
	v_exp_f32_e32 v31, v31
	v_cmp_ngt_f32_e32 vcc, s42, v29
	v_pack_b32_f16 v25, v49, v39
	v_pack_b32_f16 v24, v38, v37
	v_ldexp_f32 v31, v31, v32
	v_mul_f32_e32 v32, 0xbfb8aa3b, v59
	v_rndne_f32_e32 v33, v32
	v_sub_f32_e32 v60, v32, v33
	v_fma_mix_f32 v32, v3, s30, -v32 op_sel_hi:[1,0,0]
	v_cvt_i32_f32_e32 v33, v33
	v_fma_mix_f32 v32, v3, s31, v32 op_sel_hi:[1,0,0]
	v_cndmask_b32_e32 v30, v121, v30, vcc
	v_add_f32_e32 v32, v60, v32
	v_exp_f32_e32 v32, v32
	v_cmp_nlt_f32_e32 vcc, s41, v53
	v_ldexp_f32 v32, v32, v33
	v_mul_f32_e32 v33, 0xbfb8aa3b, v58
	v_rndne_f32_e32 v60, v33
	v_sub_f32_e32 v61, v33, v60
	v_fma_mix_f32 v33, v3, s30, -v33 op_sel:[1,0,0] op_sel_hi:[1,0,0]
	v_cvt_i32_f32_e32 v60, v60
	v_fma_mix_f32 v33, v3, s31, v33 op_sel:[1,0,0] op_sel_hi:[1,0,0]
	v_cndmask_b32_e32 v31, 0, v31, vcc
	v_add_f32_e32 v33, v61, v33
	v_exp_f32_e32 v33, v33
	v_cmp_ngt_f32_e32 vcc, s42, v53
	v_ldexp_f32 v33, v33, v60
	s_nop 0
	v_cndmask_b32_e32 v31, v121, v31, vcc
	v_pk_add_f32 v[30:31], v[30:31], 1.0 op_sel_hi:[1,0]
	v_cmp_nlt_f32_e32 vcc, s41, v59
	v_div_scale_f32 v60, s[2:3], v31, v31, v53
	v_rcp_f32_e32 v61, v60
	v_cndmask_b32_e32 v32, 0, v32, vcc
	v_cmp_ngt_f32_e32 vcc, s42, v59
	v_fma_f32 v62, -v60, v61, 1.0
	s_nop 0
	v_cndmask_b32_e32 v32, v121, v32, vcc
	v_cmp_nlt_f32_e32 vcc, s41, v58
	v_fmac_f32_e32 v61, v62, v61
	v_readlane_b32 s41, v166, 15
	v_cndmask_b32_e32 v33, 0, v33, vcc
	v_cmp_ngt_f32_e32 vcc, s42, v58
	s_add_i32 s41, s41, 1
	s_nop 0
	v_cndmask_b32_e32 v33, v121, v33, vcc
	v_div_scale_f32 v62, vcc, v53, v31, v53
	v_mul_f32_e32 v63, v62, v61
	v_fma_f32 v64, -v60, v63, v62
	v_fmac_f32_e32 v63, v64, v61
	v_fma_f32 v60, -v60, v63, v62
	v_div_scale_f32 v62, s[2:3], v30, v30, v29
	v_rcp_f32_e32 v64, v62
	v_div_fmas_f32 v60, v60, v61, v63
	v_div_fixup_f32 v31, v60, v31, v53
	v_pk_add_f32 v[32:33], v[32:33], 1.0 op_sel_hi:[1,0]
	v_fma_f32 v53, -v62, v64, 1.0
	v_fmac_f32_e32 v64, v53, v64
	v_div_scale_f32 v53, vcc, v29, v30, v29
	v_mul_f32_e32 v60, v53, v64
	v_fma_f32 v61, -v62, v60, v53
	v_fmac_f32_e32 v60, v61, v64
	v_div_scale_f32 v61, s[2:3], v33, v33, v58
	v_fma_f32 v53, -v62, v60, v53
	v_rcp_f32_e32 v62, v61
	v_div_fmas_f32 v53, v53, v64, v60
	v_div_fixup_f32 v30, v53, v30, v29
	v_pk_mul_f32 v[30:31], v[54:55], v[30:31]
	v_fma_f32 v29, -v61, v62, 1.0
	v_fmac_f32_e32 v62, v29, v62
	v_div_scale_f32 v29, vcc, v58, v33, v58
	v_mul_f32_e32 v53, v29, v62
	v_fma_f32 v60, -v61, v53, v29
	v_fmac_f32_e32 v53, v60, v62
	v_div_scale_f32 v60, s[2:3], v32, v32, v59
	v_fma_f32 v29, -v61, v53, v29
	v_rcp_f32_e32 v61, v60
	v_div_fmas_f32 v29, v29, v62, v53
	v_div_fixup_f32 v33, v29, v33, v58
	v_cvt_f16_f32_e32 v31, v31
	v_fma_f32 v29, -v60, v61, 1.0
	v_fmac_f32_e32 v61, v29, v61
	v_div_scale_f32 v29, vcc, v59, v32, v59
	v_mul_f32_e32 v53, v29, v61
	v_fma_f32 v58, -v60, v53, v29
	v_fmac_f32_e32 v53, v58, v61
	v_fma_f32 v29, -v60, v53, v29
	v_div_fmas_f32 v29, v29, v61, v53
	v_div_fixup_f32 v32, v29, v32, v59
	v_pk_mul_f32 v[32:33], v[56:57], v[32:33]
	v_cvt_f16_f32_e32 v30, v30
	v_cvt_f16_f32_e32 v33, v33
	;; [unrolled: 1-line block ×3, first 2 shown]
	v_pack_b32_f16 v29, v36, v35
	ds_write_b128 v98, v[26:29]
	v_pack_b32_f16 v26, v30, v31
	v_pack_b32_f16 v27, v32, v33
	ds_write_b128 v98, v[24:27] offset:16
	; wave barrier
	ds_read_b128 v[24:27], v96
	ds_read_b128 v[28:31], v97 offset:1024
	v_readlane_b32 s2, v166, 6
	v_lshl_add_u64 v[32:33], s[84:85], 1, v[46:47]
	s_cmp_eq_u32 s41, s2
	s_waitcnt lgkmcnt(1)
	v_lshrrev_b32_e32 v36, 16, v27
	global_store_short v[32:33], v24, off
	v_alignbit_b32 v35, v26, v25, 16
	v_alignbit_b32 v34, v25, v24, 16
	;; [unrolled: 1-line block ×3, first 2 shown]
	global_store_short v[32:33], v36, off offset:14
	global_store_dword v[32:33], v24, off offset:10
	global_store_dwordx2 v[32:33], v[34:35], off offset:2
	s_waitcnt lgkmcnt(0)
	global_store_dwordx4 v[32:33], v[28:31], off offset:1024
	s_cbranch_scc1 .LBB89_90
.LBB89_13:                              ; =>This Loop Header: Depth=1
                                        ;     Child Loop BB89_56 Depth 2
	v_lshl_add_u64 v[24:25], s[78:79], 0, v[40:41]
	v_lshl_add_u64 v[24:25], v[24:25], 0, v[50:51]
	s_barrier
	s_mov_b64 s[2:3], exec
	v_readlane_b32 s30, v166, 8
	v_readlane_b32 s31, v166, 9
	s_and_b64 s[30:31], s[2:3], s[30:31]
	s_mov_b64 exec, s[30:31]
	s_cbranch_execz .LBB89_15
; %bb.14:                               ;   in Loop: Header=BB89_13 Depth=1
	global_load_dwordx4 v[20:23], v[24:25], off
.LBB89_15:                              ;   in Loop: Header=BB89_13 Depth=1
	s_or_b64 exec, exec, s[2:3]
	s_mov_b64 s[2:3], exec
	v_readlane_b32 s30, v166, 10
	v_readlane_b32 s31, v166, 11
	s_and_b64 s[30:31], s[2:3], s[30:31]
	s_mov_b64 exec, s[30:31]
	s_cbranch_execz .LBB89_17
; %bb.16:                               ;   in Loop: Header=BB89_13 Depth=1
	global_load_dwordx4 v[12:15], v[24:25], off offset:1024
.LBB89_17:                              ;   in Loop: Header=BB89_13 Depth=1
	s_or_b64 exec, exec, s[2:3]
	s_waitcnt vmcnt(0)
	ds_write_b128 v96, v[20:23]
	ds_write_b128 v97, v[12:15] offset:1024
	; wave barrier
	ds_read_b128 v[20:23], v98
	ds_read_b128 v[12:15], v98 offset:16
	v_lshl_add_u64 v[24:25], s[80:81], 0, v[40:41]
	v_mov_b32_e32 v49, v41
	v_lshl_add_u64 v[24:25], v[24:25], 0, v[48:49]
	s_waitcnt lgkmcnt(0)
	s_barrier
	s_mov_b64 s[2:3], exec
	v_readlane_b32 s30, v166, 8
	v_readlane_b32 s31, v166, 9
	s_and_b64 s[30:31], s[2:3], s[30:31]
	s_mov_b64 exec, s[30:31]
	s_cbranch_execz .LBB89_19
; %bb.18:                               ;   in Loop: Header=BB89_13 Depth=1
	global_load_dwordx4 v[16:19], v[24:25], off
.LBB89_19:                              ;   in Loop: Header=BB89_13 Depth=1
	s_or_b64 exec, exec, s[2:3]
	s_mov_b64 s[2:3], exec
	v_readlane_b32 s30, v166, 10
	v_readlane_b32 s31, v166, 11
	s_and_b64 s[30:31], s[2:3], s[30:31]
	s_mov_b64 exec, s[30:31]
	s_cbranch_execz .LBB89_21
; %bb.20:                               ;   in Loop: Header=BB89_13 Depth=1
	global_load_dwordx4 v[4:7], v[24:25], off offset:1024
.LBB89_21:                              ;   in Loop: Header=BB89_13 Depth=1
	s_or_b64 exec, exec, s[2:3]
	s_waitcnt vmcnt(0)
	ds_write_b128 v96, v[16:19]
	ds_write_b128 v97, v[4:7] offset:1024
	; wave barrier
	ds_read_b128 v[16:19], v98
	ds_read_b128 v[4:7], v98 offset:16
	s_waitcnt lgkmcnt(1)
	v_cvt_f32_f16_e32 v24, v16
	v_add_f32_e32 v124, s33, v24
	v_cmp_ge_f32_e32 vcc, s67, v124
	s_and_b64 s[2:3], s[88:89], vcc
	s_and_saveexec_b64 s[30:31], s[2:3]
	s_cbranch_execz .LBB89_23
; %bb.22:                               ;   in Loop: Header=BB89_13 Depth=1
	v_mul_f32_e32 v24, 0x3fb8aa3b, v124
	v_rndne_f32_e32 v25, v24
	v_sub_f32_e32 v26, v24, v25
	v_fma_f32 v24, v124, s34, -v24
	v_fmac_f32_e32 v24, 0x32a5705f, v124
	v_add_f32_e32 v24, v26, v24
	v_cvt_i32_f32_e32 v25, v25
	v_exp_f32_e32 v24, v24
	v_cmp_ngt_f32_e32 vcc, s35, v124
	v_ldexp_f32 v24, v24, v25
	s_nop 0
	v_cndmask_b32_e32 v24, 0, v24, vcc
	v_cmp_nlt_f32_e32 vcc, s36, v124
	s_nop 1
	v_cndmask_b32_e32 v49, v121, v24, vcc
	v_add_f32_e32 v26, 1.0, v49
	v_add_f32_e32 v24, -1.0, v26
	v_sub_f32_e32 v25, v24, v26
	v_add_f32_e32 v25, 1.0, v25
	v_sub_f32_e32 v24, v49, v24
	v_add_f32_e32 v27, v24, v25
	v_frexp_mant_f32_e32 v28, v26
	v_cvt_f64_f32_e32 v[24:25], v26
	v_frexp_exp_i32_f64_e32 v24, v[24:25]
	v_cmp_gt_f32_e32 vcc, s38, v28
	v_cmp_gt_f32_e64 s[2:3], s40, v49
	s_nop 0
	v_subbrev_co_u32_e32 v32, vcc, 0, v24, vcc
	v_sub_u32_e32 v24, 0, v32
	v_ldexp_f32 v25, v26, v24
	v_add_f32_e32 v26, -1.0, v25
	v_add_f32_e32 v28, 1.0, v25
	v_ldexp_f32 v24, v27, v24
	v_add_f32_e32 v27, 1.0, v26
	v_add_f32_e32 v29, -1.0, v28
	v_sub_f32_e32 v27, v25, v27
	v_sub_f32_e32 v25, v25, v29
	v_add_f32_e32 v27, v24, v27
	v_add_f32_e32 v24, v24, v25
	v_add_f32_e32 v33, v28, v24
	v_rcp_f32_e32 v35, v33
	v_sub_f32_e32 v25, v28, v33
	v_add_f32_e32 v34, v24, v25
	v_add_f32_e32 v25, v26, v27
	v_mul_f32_e32 v37, v25, v35
	v_sub_f32_e32 v24, v26, v25
	v_mul_f32_e32 v26, v33, v37
	v_fma_f32 v28, v37, v33, -v26
	v_fmac_f32_e32 v28, v37, v34
	v_add_f32_e32 v36, v27, v24
	v_add_f32_e32 v24, v26, v28
	v_sub_f32_e32 v27, v25, v24
	v_pk_add_f32 v[30:31], v[24:25], v[26:27] neg_lo:[0,1] neg_hi:[0,1]
	v_mov_b32_e32 v29, v24
	v_pk_add_f32 v[24:25], v[30:31], v[28:29] neg_lo:[0,1] neg_hi:[0,1]
	v_cmp_eq_f32_e32 vcc, s37, v49
	v_add_f32_e32 v25, v36, v25
	v_add_f32_e32 v24, v24, v25
	;; [unrolled: 1-line block ×3, first 2 shown]
	v_mul_f32_e32 v36, v35, v25
	v_mul_f32_e32 v26, v33, v36
	v_fma_f32 v28, v36, v33, -v26
	v_fmac_f32_e32 v28, v36, v34
	v_sub_f32_e32 v27, v27, v25
	v_add_f32_e32 v33, v24, v27
	v_add_f32_e32 v24, v26, v28
	v_sub_f32_e32 v27, v25, v24
	v_pk_add_f32 v[30:31], v[24:25], v[26:27] neg_lo:[0,1] neg_hi:[0,1]
	v_mov_b32_e32 v29, v24
	v_pk_add_f32 v[24:25], v[30:31], v[28:29] neg_lo:[0,1] neg_hi:[0,1]
	s_or_b64 vcc, s[2:3], vcc
	v_add_f32_e32 v25, v33, v25
	v_add_f32_e32 v24, v24, v25
	;; [unrolled: 1-line block ×4, first 2 shown]
	v_sub_f32_e32 v26, v25, v37
	v_mul_f32_e32 v24, v35, v24
	v_sub_f32_e32 v26, v36, v26
	v_add_f32_e32 v26, v26, v24
	v_add_f32_e32 v28, v25, v26
	v_mul_f32_e32 v29, v28, v28
	v_fmamk_f32 v24, v29, 0x3e9b6dac, v120
	v_fmaak_f32 v53, v29, v24, 0x3f2aaada
	v_cvt_f32_i32_e32 v24, v32
	v_sub_f32_e32 v25, v28, v25
	v_sub_f32_e32 v25, v26, v25
	v_ldexp_f32 v30, v25, 1
	v_mul_f32_e32 v25, v28, v29
	v_ldexp_f32 v27, v28, 1
	v_pk_mul_f32 v[28:29], v[24:25], v[52:53]
	s_nop 0
	v_fma_f32 v26, v24, s39, -v28
	v_fmac_f32_e32 v26, 0xb102e308, v24
	v_pk_add_f32 v[24:25], v[28:29], v[26:27]
	s_nop 0
	v_sub_f32_e32 v27, v25, v27
	v_sub_f32_e32 v27, v29, v27
	v_add_f32_e32 v31, v30, v27
	v_mov_b32_e32 v30, v28
	v_pk_add_f32 v[28:29], v[24:25], v[28:29] neg_lo:[0,1] neg_hi:[0,1]
	v_pk_add_f32 v[32:33], v[24:25], v[30:31]
	v_mov_b32_e32 v27, v24
	v_mov_b32_e32 v29, v33
	v_pk_add_f32 v[34:35], v[26:27], v[28:29] neg_lo:[0,1] neg_hi:[0,1]
	v_pk_add_f32 v[26:27], v[26:27], v[28:29]
	v_mov_b32_e32 v30, v31
	v_mov_b32_e32 v28, v27
	v_pk_add_f32 v[36:37], v[28:29], v[24:25] neg_lo:[0,1] neg_hi:[0,1]
	v_mov_b32_e32 v26, v33
	v_mov_b32_e32 v29, v36
	v_pk_add_f32 v[38:39], v[32:33], v[28:29] neg_lo:[0,1] neg_hi:[0,1]
	v_mov_b32_e32 v32, v25
	v_mov_b32_e32 v33, v36
	;; [unrolled: 1-line block ×3, first 2 shown]
	v_pk_add_f32 v[26:27], v[26:27], v[32:33] neg_lo:[0,1] neg_hi:[0,1]
	v_mov_b32_e32 v31, v24
	v_pk_add_f32 v[24:25], v[30:31], v[26:27] neg_lo:[0,1] neg_hi:[0,1]
	v_mov_b32_e32 v38, v34
	v_pk_add_f32 v[26:27], v[38:39], v[24:25]
	s_nop 0
	v_mov_b32_e32 v30, v27
	v_pk_add_f32 v[30:31], v[26:27], v[30:31]
	s_nop 0
	v_pk_add_f32 v[28:29], v[28:29], v[30:31]
	v_mov_b32_e32 v25, v30
	v_mov_b32_e32 v27, v28
	v_pk_add_f32 v[32:33], v[26:27], v[34:35] neg_lo:[0,1] neg_hi:[0,1]
	s_nop 0
	v_sub_f32_e32 v26, v26, v32
	v_pk_add_f32 v[24:25], v[24:25], v[32:33] neg_lo:[0,1] neg_hi:[0,1]
	v_sub_f32_e32 v26, v34, v26
	v_add_f32_e32 v24, v24, v26
	v_add_f32_e32 v24, v24, v25
	;; [unrolled: 1-line block ×3, first 2 shown]
	v_cndmask_b32_e32 v124, v24, v49, vcc
.LBB89_23:                              ;   in Loop: Header=BB89_13 Depth=1
	s_or_b64 exec, exec, s[30:31]
	v_cvt_f32_f16_sdwa v24, v16 dst_sel:DWORD dst_unused:UNUSED_PAD src0_sel:WORD_1
	v_add_f32_e32 v125, s33, v24
	v_cmp_ge_f32_e32 vcc, s67, v125
	s_and_b64 s[2:3], s[88:89], vcc
	s_and_saveexec_b64 s[30:31], s[2:3]
	s_cbranch_execz .LBB89_25
; %bb.24:                               ;   in Loop: Header=BB89_13 Depth=1
	v_mul_f32_e32 v24, 0x3fb8aa3b, v125
	v_rndne_f32_e32 v25, v24
	v_sub_f32_e32 v26, v24, v25
	v_fma_f32 v24, v125, s34, -v24
	v_fmac_f32_e32 v24, 0x32a5705f, v125
	v_add_f32_e32 v24, v26, v24
	v_cvt_i32_f32_e32 v25, v25
	v_exp_f32_e32 v24, v24
	v_cmp_ngt_f32_e32 vcc, s35, v125
	v_ldexp_f32 v24, v24, v25
	s_nop 0
	v_cndmask_b32_e32 v24, 0, v24, vcc
	v_cmp_nlt_f32_e32 vcc, s36, v125
	s_nop 1
	v_cndmask_b32_e32 v49, v121, v24, vcc
	v_add_f32_e32 v26, 1.0, v49
	v_add_f32_e32 v24, -1.0, v26
	v_sub_f32_e32 v25, v24, v26
	v_add_f32_e32 v25, 1.0, v25
	v_sub_f32_e32 v24, v49, v24
	v_add_f32_e32 v27, v24, v25
	v_frexp_mant_f32_e32 v28, v26
	v_cvt_f64_f32_e32 v[24:25], v26
	v_frexp_exp_i32_f64_e32 v24, v[24:25]
	v_cmp_gt_f32_e32 vcc, s38, v28
	v_cmp_gt_f32_e64 s[2:3], s40, v49
	s_nop 0
	v_subbrev_co_u32_e32 v32, vcc, 0, v24, vcc
	v_sub_u32_e32 v24, 0, v32
	v_ldexp_f32 v25, v26, v24
	v_add_f32_e32 v26, -1.0, v25
	v_add_f32_e32 v28, 1.0, v25
	v_ldexp_f32 v24, v27, v24
	v_add_f32_e32 v27, 1.0, v26
	v_add_f32_e32 v29, -1.0, v28
	v_sub_f32_e32 v27, v25, v27
	v_sub_f32_e32 v25, v25, v29
	v_add_f32_e32 v27, v24, v27
	v_add_f32_e32 v24, v24, v25
	;; [unrolled: 1-line block ×3, first 2 shown]
	v_rcp_f32_e32 v35, v33
	v_sub_f32_e32 v25, v28, v33
	v_add_f32_e32 v34, v24, v25
	v_add_f32_e32 v25, v26, v27
	v_mul_f32_e32 v37, v25, v35
	v_sub_f32_e32 v24, v26, v25
	v_mul_f32_e32 v26, v33, v37
	v_fma_f32 v28, v37, v33, -v26
	v_fmac_f32_e32 v28, v37, v34
	v_add_f32_e32 v36, v27, v24
	v_add_f32_e32 v24, v26, v28
	v_sub_f32_e32 v27, v25, v24
	v_pk_add_f32 v[30:31], v[24:25], v[26:27] neg_lo:[0,1] neg_hi:[0,1]
	v_mov_b32_e32 v29, v24
	v_pk_add_f32 v[24:25], v[30:31], v[28:29] neg_lo:[0,1] neg_hi:[0,1]
	v_cmp_eq_f32_e32 vcc, s37, v49
	v_add_f32_e32 v25, v36, v25
	v_add_f32_e32 v24, v24, v25
	;; [unrolled: 1-line block ×3, first 2 shown]
	v_mul_f32_e32 v36, v35, v25
	v_mul_f32_e32 v26, v33, v36
	v_fma_f32 v28, v36, v33, -v26
	v_fmac_f32_e32 v28, v36, v34
	v_sub_f32_e32 v27, v27, v25
	v_add_f32_e32 v33, v24, v27
	v_add_f32_e32 v24, v26, v28
	v_sub_f32_e32 v27, v25, v24
	v_pk_add_f32 v[30:31], v[24:25], v[26:27] neg_lo:[0,1] neg_hi:[0,1]
	v_mov_b32_e32 v29, v24
	v_pk_add_f32 v[24:25], v[30:31], v[28:29] neg_lo:[0,1] neg_hi:[0,1]
	s_or_b64 vcc, s[2:3], vcc
	v_add_f32_e32 v25, v33, v25
	v_add_f32_e32 v24, v24, v25
	;; [unrolled: 1-line block ×4, first 2 shown]
	v_sub_f32_e32 v26, v25, v37
	v_mul_f32_e32 v24, v35, v24
	v_sub_f32_e32 v26, v36, v26
	v_add_f32_e32 v26, v26, v24
	v_add_f32_e32 v28, v25, v26
	v_mul_f32_e32 v29, v28, v28
	v_fmamk_f32 v24, v29, 0x3e9b6dac, v120
	v_fmaak_f32 v53, v29, v24, 0x3f2aaada
	v_cvt_f32_i32_e32 v24, v32
	v_sub_f32_e32 v25, v28, v25
	v_sub_f32_e32 v25, v26, v25
	v_ldexp_f32 v30, v25, 1
	v_mul_f32_e32 v25, v28, v29
	v_ldexp_f32 v27, v28, 1
	v_pk_mul_f32 v[28:29], v[24:25], v[52:53]
	s_nop 0
	v_fma_f32 v26, v24, s39, -v28
	v_fmac_f32_e32 v26, 0xb102e308, v24
	v_pk_add_f32 v[24:25], v[28:29], v[26:27]
	s_nop 0
	v_sub_f32_e32 v27, v25, v27
	v_sub_f32_e32 v27, v29, v27
	v_add_f32_e32 v31, v30, v27
	v_mov_b32_e32 v30, v28
	v_pk_add_f32 v[28:29], v[24:25], v[28:29] neg_lo:[0,1] neg_hi:[0,1]
	v_pk_add_f32 v[32:33], v[24:25], v[30:31]
	v_mov_b32_e32 v27, v24
	v_mov_b32_e32 v29, v33
	v_pk_add_f32 v[34:35], v[26:27], v[28:29] neg_lo:[0,1] neg_hi:[0,1]
	v_pk_add_f32 v[26:27], v[26:27], v[28:29]
	v_mov_b32_e32 v30, v31
	v_mov_b32_e32 v28, v27
	v_pk_add_f32 v[36:37], v[28:29], v[24:25] neg_lo:[0,1] neg_hi:[0,1]
	v_mov_b32_e32 v26, v33
	v_mov_b32_e32 v29, v36
	v_pk_add_f32 v[38:39], v[32:33], v[28:29] neg_lo:[0,1] neg_hi:[0,1]
	v_mov_b32_e32 v32, v25
	v_mov_b32_e32 v33, v36
	v_mov_b32_e32 v35, v27
	v_pk_add_f32 v[26:27], v[26:27], v[32:33] neg_lo:[0,1] neg_hi:[0,1]
	v_mov_b32_e32 v31, v24
	v_pk_add_f32 v[24:25], v[30:31], v[26:27] neg_lo:[0,1] neg_hi:[0,1]
	v_mov_b32_e32 v38, v34
	v_pk_add_f32 v[26:27], v[38:39], v[24:25]
	s_nop 0
	v_mov_b32_e32 v30, v27
	v_pk_add_f32 v[30:31], v[26:27], v[30:31]
	s_nop 0
	v_pk_add_f32 v[28:29], v[28:29], v[30:31]
	v_mov_b32_e32 v25, v30
	v_mov_b32_e32 v27, v28
	v_pk_add_f32 v[32:33], v[26:27], v[34:35] neg_lo:[0,1] neg_hi:[0,1]
	s_nop 0
	v_sub_f32_e32 v26, v26, v32
	v_pk_add_f32 v[24:25], v[24:25], v[32:33] neg_lo:[0,1] neg_hi:[0,1]
	v_sub_f32_e32 v26, v34, v26
	v_add_f32_e32 v24, v24, v26
	v_add_f32_e32 v24, v24, v25
	;; [unrolled: 1-line block ×3, first 2 shown]
	v_cndmask_b32_e32 v125, v24, v49, vcc
.LBB89_25:                              ;   in Loop: Header=BB89_13 Depth=1
	s_or_b64 exec, exec, s[30:31]
	v_cvt_f32_f16_e32 v24, v17
	v_add_f32_e32 v126, s33, v24
	v_cmp_ge_f32_e32 vcc, s67, v126
	s_and_b64 s[2:3], s[88:89], vcc
	s_and_saveexec_b64 s[30:31], s[2:3]
	s_cbranch_execz .LBB89_27
; %bb.26:                               ;   in Loop: Header=BB89_13 Depth=1
	v_mul_f32_e32 v24, 0x3fb8aa3b, v126
	v_rndne_f32_e32 v25, v24
	v_sub_f32_e32 v26, v24, v25
	v_fma_f32 v24, v126, s34, -v24
	v_fmac_f32_e32 v24, 0x32a5705f, v126
	v_add_f32_e32 v24, v26, v24
	v_cvt_i32_f32_e32 v25, v25
	v_exp_f32_e32 v24, v24
	v_cmp_ngt_f32_e32 vcc, s35, v126
	v_ldexp_f32 v24, v24, v25
	s_nop 0
	v_cndmask_b32_e32 v24, 0, v24, vcc
	v_cmp_nlt_f32_e32 vcc, s36, v126
	s_nop 1
	v_cndmask_b32_e32 v49, v121, v24, vcc
	v_add_f32_e32 v26, 1.0, v49
	v_add_f32_e32 v24, -1.0, v26
	v_sub_f32_e32 v25, v24, v26
	v_add_f32_e32 v25, 1.0, v25
	v_sub_f32_e32 v24, v49, v24
	v_add_f32_e32 v27, v24, v25
	v_frexp_mant_f32_e32 v28, v26
	v_cvt_f64_f32_e32 v[24:25], v26
	v_frexp_exp_i32_f64_e32 v24, v[24:25]
	v_cmp_gt_f32_e32 vcc, s38, v28
	v_cmp_gt_f32_e64 s[2:3], s40, v49
	s_nop 0
	v_subbrev_co_u32_e32 v32, vcc, 0, v24, vcc
	v_sub_u32_e32 v24, 0, v32
	v_ldexp_f32 v25, v26, v24
	v_add_f32_e32 v26, -1.0, v25
	v_add_f32_e32 v28, 1.0, v25
	v_ldexp_f32 v24, v27, v24
	v_add_f32_e32 v27, 1.0, v26
	v_add_f32_e32 v29, -1.0, v28
	v_sub_f32_e32 v27, v25, v27
	v_sub_f32_e32 v25, v25, v29
	v_add_f32_e32 v27, v24, v27
	v_add_f32_e32 v24, v24, v25
	v_add_f32_e32 v33, v28, v24
	v_rcp_f32_e32 v35, v33
	v_sub_f32_e32 v25, v28, v33
	v_add_f32_e32 v34, v24, v25
	v_add_f32_e32 v25, v26, v27
	v_mul_f32_e32 v37, v25, v35
	v_sub_f32_e32 v24, v26, v25
	v_mul_f32_e32 v26, v33, v37
	v_fma_f32 v28, v37, v33, -v26
	v_fmac_f32_e32 v28, v37, v34
	v_add_f32_e32 v36, v27, v24
	v_add_f32_e32 v24, v26, v28
	v_sub_f32_e32 v27, v25, v24
	v_pk_add_f32 v[30:31], v[24:25], v[26:27] neg_lo:[0,1] neg_hi:[0,1]
	v_mov_b32_e32 v29, v24
	v_pk_add_f32 v[24:25], v[30:31], v[28:29] neg_lo:[0,1] neg_hi:[0,1]
	v_cmp_eq_f32_e32 vcc, s37, v49
	v_add_f32_e32 v25, v36, v25
	v_add_f32_e32 v24, v24, v25
	v_add_f32_e32 v25, v27, v24
	v_mul_f32_e32 v36, v35, v25
	v_mul_f32_e32 v26, v33, v36
	v_fma_f32 v28, v36, v33, -v26
	v_fmac_f32_e32 v28, v36, v34
	v_sub_f32_e32 v27, v27, v25
	v_add_f32_e32 v33, v24, v27
	v_add_f32_e32 v24, v26, v28
	v_sub_f32_e32 v27, v25, v24
	v_pk_add_f32 v[30:31], v[24:25], v[26:27] neg_lo:[0,1] neg_hi:[0,1]
	v_mov_b32_e32 v29, v24
	v_pk_add_f32 v[24:25], v[30:31], v[28:29] neg_lo:[0,1] neg_hi:[0,1]
	s_or_b64 vcc, s[2:3], vcc
	v_add_f32_e32 v25, v33, v25
	v_add_f32_e32 v24, v24, v25
	;; [unrolled: 1-line block ×4, first 2 shown]
	v_sub_f32_e32 v26, v25, v37
	v_mul_f32_e32 v24, v35, v24
	v_sub_f32_e32 v26, v36, v26
	v_add_f32_e32 v26, v26, v24
	v_add_f32_e32 v28, v25, v26
	v_mul_f32_e32 v29, v28, v28
	v_fmamk_f32 v24, v29, 0x3e9b6dac, v120
	v_fmaak_f32 v53, v29, v24, 0x3f2aaada
	v_cvt_f32_i32_e32 v24, v32
	v_sub_f32_e32 v25, v28, v25
	v_sub_f32_e32 v25, v26, v25
	v_ldexp_f32 v30, v25, 1
	v_mul_f32_e32 v25, v28, v29
	v_ldexp_f32 v27, v28, 1
	v_pk_mul_f32 v[28:29], v[24:25], v[52:53]
	s_nop 0
	v_fma_f32 v26, v24, s39, -v28
	v_fmac_f32_e32 v26, 0xb102e308, v24
	v_pk_add_f32 v[24:25], v[28:29], v[26:27]
	s_nop 0
	v_sub_f32_e32 v27, v25, v27
	v_sub_f32_e32 v27, v29, v27
	v_add_f32_e32 v31, v30, v27
	v_mov_b32_e32 v30, v28
	v_pk_add_f32 v[28:29], v[24:25], v[28:29] neg_lo:[0,1] neg_hi:[0,1]
	v_pk_add_f32 v[32:33], v[24:25], v[30:31]
	v_mov_b32_e32 v27, v24
	v_mov_b32_e32 v29, v33
	v_pk_add_f32 v[34:35], v[26:27], v[28:29] neg_lo:[0,1] neg_hi:[0,1]
	v_pk_add_f32 v[26:27], v[26:27], v[28:29]
	v_mov_b32_e32 v30, v31
	v_mov_b32_e32 v28, v27
	v_pk_add_f32 v[36:37], v[28:29], v[24:25] neg_lo:[0,1] neg_hi:[0,1]
	v_mov_b32_e32 v26, v33
	v_mov_b32_e32 v29, v36
	v_pk_add_f32 v[38:39], v[32:33], v[28:29] neg_lo:[0,1] neg_hi:[0,1]
	v_mov_b32_e32 v32, v25
	v_mov_b32_e32 v33, v36
	;; [unrolled: 1-line block ×3, first 2 shown]
	v_pk_add_f32 v[26:27], v[26:27], v[32:33] neg_lo:[0,1] neg_hi:[0,1]
	v_mov_b32_e32 v31, v24
	v_pk_add_f32 v[24:25], v[30:31], v[26:27] neg_lo:[0,1] neg_hi:[0,1]
	v_mov_b32_e32 v38, v34
	v_pk_add_f32 v[26:27], v[38:39], v[24:25]
	s_nop 0
	v_mov_b32_e32 v30, v27
	v_pk_add_f32 v[30:31], v[26:27], v[30:31]
	s_nop 0
	v_pk_add_f32 v[28:29], v[28:29], v[30:31]
	v_mov_b32_e32 v25, v30
	v_mov_b32_e32 v27, v28
	v_pk_add_f32 v[32:33], v[26:27], v[34:35] neg_lo:[0,1] neg_hi:[0,1]
	s_nop 0
	v_sub_f32_e32 v26, v26, v32
	v_pk_add_f32 v[24:25], v[24:25], v[32:33] neg_lo:[0,1] neg_hi:[0,1]
	v_sub_f32_e32 v26, v34, v26
	v_add_f32_e32 v24, v24, v26
	v_add_f32_e32 v24, v24, v25
	;; [unrolled: 1-line block ×3, first 2 shown]
	v_cndmask_b32_e32 v126, v24, v49, vcc
.LBB89_27:                              ;   in Loop: Header=BB89_13 Depth=1
	s_or_b64 exec, exec, s[30:31]
	v_cvt_f32_f16_sdwa v24, v17 dst_sel:DWORD dst_unused:UNUSED_PAD src0_sel:WORD_1
	v_add_f32_e32 v127, s33, v24
	v_cmp_ge_f32_e32 vcc, s67, v127
	s_and_b64 s[2:3], s[88:89], vcc
	s_and_saveexec_b64 s[30:31], s[2:3]
	s_cbranch_execz .LBB89_29
; %bb.28:                               ;   in Loop: Header=BB89_13 Depth=1
	v_mul_f32_e32 v24, 0x3fb8aa3b, v127
	v_rndne_f32_e32 v25, v24
	v_sub_f32_e32 v26, v24, v25
	v_fma_f32 v24, v127, s34, -v24
	v_fmac_f32_e32 v24, 0x32a5705f, v127
	v_add_f32_e32 v24, v26, v24
	v_cvt_i32_f32_e32 v25, v25
	v_exp_f32_e32 v24, v24
	v_cmp_ngt_f32_e32 vcc, s35, v127
	v_ldexp_f32 v24, v24, v25
	s_nop 0
	v_cndmask_b32_e32 v24, 0, v24, vcc
	v_cmp_nlt_f32_e32 vcc, s36, v127
	s_nop 1
	v_cndmask_b32_e32 v49, v121, v24, vcc
	v_add_f32_e32 v26, 1.0, v49
	v_add_f32_e32 v24, -1.0, v26
	v_sub_f32_e32 v25, v24, v26
	v_add_f32_e32 v25, 1.0, v25
	v_sub_f32_e32 v24, v49, v24
	v_add_f32_e32 v27, v24, v25
	v_frexp_mant_f32_e32 v28, v26
	v_cvt_f64_f32_e32 v[24:25], v26
	v_frexp_exp_i32_f64_e32 v24, v[24:25]
	v_cmp_gt_f32_e32 vcc, s38, v28
	v_cmp_gt_f32_e64 s[2:3], s40, v49
	s_nop 0
	v_subbrev_co_u32_e32 v32, vcc, 0, v24, vcc
	v_sub_u32_e32 v24, 0, v32
	v_ldexp_f32 v25, v26, v24
	v_add_f32_e32 v26, -1.0, v25
	v_add_f32_e32 v28, 1.0, v25
	v_ldexp_f32 v24, v27, v24
	v_add_f32_e32 v27, 1.0, v26
	v_add_f32_e32 v29, -1.0, v28
	v_sub_f32_e32 v27, v25, v27
	v_sub_f32_e32 v25, v25, v29
	v_add_f32_e32 v27, v24, v27
	v_add_f32_e32 v24, v24, v25
	;; [unrolled: 1-line block ×3, first 2 shown]
	v_rcp_f32_e32 v35, v33
	v_sub_f32_e32 v25, v28, v33
	v_add_f32_e32 v34, v24, v25
	v_add_f32_e32 v25, v26, v27
	v_mul_f32_e32 v37, v25, v35
	v_sub_f32_e32 v24, v26, v25
	v_mul_f32_e32 v26, v33, v37
	v_fma_f32 v28, v37, v33, -v26
	v_fmac_f32_e32 v28, v37, v34
	v_add_f32_e32 v36, v27, v24
	v_add_f32_e32 v24, v26, v28
	v_sub_f32_e32 v27, v25, v24
	v_pk_add_f32 v[30:31], v[24:25], v[26:27] neg_lo:[0,1] neg_hi:[0,1]
	v_mov_b32_e32 v29, v24
	v_pk_add_f32 v[24:25], v[30:31], v[28:29] neg_lo:[0,1] neg_hi:[0,1]
	v_cmp_eq_f32_e32 vcc, s37, v49
	v_add_f32_e32 v25, v36, v25
	v_add_f32_e32 v24, v24, v25
	v_add_f32_e32 v25, v27, v24
	v_mul_f32_e32 v36, v35, v25
	v_mul_f32_e32 v26, v33, v36
	v_fma_f32 v28, v36, v33, -v26
	v_fmac_f32_e32 v28, v36, v34
	v_sub_f32_e32 v27, v27, v25
	v_add_f32_e32 v33, v24, v27
	v_add_f32_e32 v24, v26, v28
	v_sub_f32_e32 v27, v25, v24
	v_pk_add_f32 v[30:31], v[24:25], v[26:27] neg_lo:[0,1] neg_hi:[0,1]
	v_mov_b32_e32 v29, v24
	v_pk_add_f32 v[24:25], v[30:31], v[28:29] neg_lo:[0,1] neg_hi:[0,1]
	s_or_b64 vcc, s[2:3], vcc
	v_add_f32_e32 v25, v33, v25
	v_add_f32_e32 v24, v24, v25
	v_add_f32_e32 v25, v37, v36
	v_add_f32_e32 v24, v27, v24
	v_sub_f32_e32 v26, v25, v37
	v_mul_f32_e32 v24, v35, v24
	v_sub_f32_e32 v26, v36, v26
	v_add_f32_e32 v26, v26, v24
	v_add_f32_e32 v28, v25, v26
	v_mul_f32_e32 v29, v28, v28
	v_fmamk_f32 v24, v29, 0x3e9b6dac, v120
	v_fmaak_f32 v53, v29, v24, 0x3f2aaada
	v_cvt_f32_i32_e32 v24, v32
	v_sub_f32_e32 v25, v28, v25
	v_sub_f32_e32 v25, v26, v25
	v_ldexp_f32 v30, v25, 1
	v_mul_f32_e32 v25, v28, v29
	v_ldexp_f32 v27, v28, 1
	v_pk_mul_f32 v[28:29], v[24:25], v[52:53]
	s_nop 0
	v_fma_f32 v26, v24, s39, -v28
	v_fmac_f32_e32 v26, 0xb102e308, v24
	v_pk_add_f32 v[24:25], v[28:29], v[26:27]
	s_nop 0
	v_sub_f32_e32 v27, v25, v27
	v_sub_f32_e32 v27, v29, v27
	v_add_f32_e32 v31, v30, v27
	v_mov_b32_e32 v30, v28
	v_pk_add_f32 v[28:29], v[24:25], v[28:29] neg_lo:[0,1] neg_hi:[0,1]
	v_pk_add_f32 v[32:33], v[24:25], v[30:31]
	v_mov_b32_e32 v27, v24
	v_mov_b32_e32 v29, v33
	v_pk_add_f32 v[34:35], v[26:27], v[28:29] neg_lo:[0,1] neg_hi:[0,1]
	v_pk_add_f32 v[26:27], v[26:27], v[28:29]
	v_mov_b32_e32 v30, v31
	v_mov_b32_e32 v28, v27
	v_pk_add_f32 v[36:37], v[28:29], v[24:25] neg_lo:[0,1] neg_hi:[0,1]
	v_mov_b32_e32 v26, v33
	v_mov_b32_e32 v29, v36
	v_pk_add_f32 v[38:39], v[32:33], v[28:29] neg_lo:[0,1] neg_hi:[0,1]
	v_mov_b32_e32 v32, v25
	v_mov_b32_e32 v33, v36
	;; [unrolled: 1-line block ×3, first 2 shown]
	v_pk_add_f32 v[26:27], v[26:27], v[32:33] neg_lo:[0,1] neg_hi:[0,1]
	v_mov_b32_e32 v31, v24
	v_pk_add_f32 v[24:25], v[30:31], v[26:27] neg_lo:[0,1] neg_hi:[0,1]
	v_mov_b32_e32 v38, v34
	v_pk_add_f32 v[26:27], v[38:39], v[24:25]
	s_nop 0
	v_mov_b32_e32 v30, v27
	v_pk_add_f32 v[30:31], v[26:27], v[30:31]
	s_nop 0
	v_pk_add_f32 v[28:29], v[28:29], v[30:31]
	v_mov_b32_e32 v25, v30
	v_mov_b32_e32 v27, v28
	v_pk_add_f32 v[32:33], v[26:27], v[34:35] neg_lo:[0,1] neg_hi:[0,1]
	s_nop 0
	v_sub_f32_e32 v26, v26, v32
	v_pk_add_f32 v[24:25], v[24:25], v[32:33] neg_lo:[0,1] neg_hi:[0,1]
	v_sub_f32_e32 v26, v34, v26
	v_add_f32_e32 v24, v24, v26
	v_add_f32_e32 v24, v24, v25
	;; [unrolled: 1-line block ×3, first 2 shown]
	v_cndmask_b32_e32 v127, v24, v49, vcc
.LBB89_29:                              ;   in Loop: Header=BB89_13 Depth=1
	s_or_b64 exec, exec, s[30:31]
	v_cvt_f32_f16_e32 v24, v18
	v_add_f32_e32 v128, s33, v24
	v_cmp_ge_f32_e32 vcc, s67, v128
	s_and_b64 s[2:3], s[88:89], vcc
	s_and_saveexec_b64 s[30:31], s[2:3]
	s_cbranch_execz .LBB89_31
; %bb.30:                               ;   in Loop: Header=BB89_13 Depth=1
	v_mul_f32_e32 v24, 0x3fb8aa3b, v128
	v_rndne_f32_e32 v25, v24
	v_sub_f32_e32 v26, v24, v25
	v_fma_f32 v24, v128, s34, -v24
	v_fmac_f32_e32 v24, 0x32a5705f, v128
	v_add_f32_e32 v24, v26, v24
	v_cvt_i32_f32_e32 v25, v25
	v_exp_f32_e32 v24, v24
	v_cmp_ngt_f32_e32 vcc, s35, v128
	v_ldexp_f32 v24, v24, v25
	s_nop 0
	v_cndmask_b32_e32 v24, 0, v24, vcc
	v_cmp_nlt_f32_e32 vcc, s36, v128
	s_nop 1
	v_cndmask_b32_e32 v49, v121, v24, vcc
	v_add_f32_e32 v26, 1.0, v49
	v_add_f32_e32 v24, -1.0, v26
	v_sub_f32_e32 v25, v24, v26
	v_add_f32_e32 v25, 1.0, v25
	v_sub_f32_e32 v24, v49, v24
	v_add_f32_e32 v27, v24, v25
	v_frexp_mant_f32_e32 v28, v26
	v_cvt_f64_f32_e32 v[24:25], v26
	v_frexp_exp_i32_f64_e32 v24, v[24:25]
	v_cmp_gt_f32_e32 vcc, s38, v28
	v_cmp_gt_f32_e64 s[2:3], s40, v49
	s_nop 0
	v_subbrev_co_u32_e32 v32, vcc, 0, v24, vcc
	v_sub_u32_e32 v24, 0, v32
	v_ldexp_f32 v25, v26, v24
	v_add_f32_e32 v26, -1.0, v25
	v_add_f32_e32 v28, 1.0, v25
	v_ldexp_f32 v24, v27, v24
	v_add_f32_e32 v27, 1.0, v26
	v_add_f32_e32 v29, -1.0, v28
	v_sub_f32_e32 v27, v25, v27
	v_sub_f32_e32 v25, v25, v29
	v_add_f32_e32 v27, v24, v27
	v_add_f32_e32 v24, v24, v25
	;; [unrolled: 1-line block ×3, first 2 shown]
	v_rcp_f32_e32 v35, v33
	v_sub_f32_e32 v25, v28, v33
	v_add_f32_e32 v34, v24, v25
	v_add_f32_e32 v25, v26, v27
	v_mul_f32_e32 v37, v25, v35
	v_sub_f32_e32 v24, v26, v25
	v_mul_f32_e32 v26, v33, v37
	v_fma_f32 v28, v37, v33, -v26
	v_fmac_f32_e32 v28, v37, v34
	v_add_f32_e32 v36, v27, v24
	v_add_f32_e32 v24, v26, v28
	v_sub_f32_e32 v27, v25, v24
	v_pk_add_f32 v[30:31], v[24:25], v[26:27] neg_lo:[0,1] neg_hi:[0,1]
	v_mov_b32_e32 v29, v24
	v_pk_add_f32 v[24:25], v[30:31], v[28:29] neg_lo:[0,1] neg_hi:[0,1]
	v_cmp_eq_f32_e32 vcc, s37, v49
	v_add_f32_e32 v25, v36, v25
	v_add_f32_e32 v24, v24, v25
	;; [unrolled: 1-line block ×3, first 2 shown]
	v_mul_f32_e32 v36, v35, v25
	v_mul_f32_e32 v26, v33, v36
	v_fma_f32 v28, v36, v33, -v26
	v_fmac_f32_e32 v28, v36, v34
	v_sub_f32_e32 v27, v27, v25
	v_add_f32_e32 v33, v24, v27
	v_add_f32_e32 v24, v26, v28
	v_sub_f32_e32 v27, v25, v24
	v_pk_add_f32 v[30:31], v[24:25], v[26:27] neg_lo:[0,1] neg_hi:[0,1]
	v_mov_b32_e32 v29, v24
	v_pk_add_f32 v[24:25], v[30:31], v[28:29] neg_lo:[0,1] neg_hi:[0,1]
	s_or_b64 vcc, s[2:3], vcc
	v_add_f32_e32 v25, v33, v25
	v_add_f32_e32 v24, v24, v25
	;; [unrolled: 1-line block ×4, first 2 shown]
	v_sub_f32_e32 v26, v25, v37
	v_mul_f32_e32 v24, v35, v24
	v_sub_f32_e32 v26, v36, v26
	v_add_f32_e32 v26, v26, v24
	v_add_f32_e32 v28, v25, v26
	v_mul_f32_e32 v29, v28, v28
	v_fmamk_f32 v24, v29, 0x3e9b6dac, v120
	v_fmaak_f32 v53, v29, v24, 0x3f2aaada
	v_cvt_f32_i32_e32 v24, v32
	v_sub_f32_e32 v25, v28, v25
	v_sub_f32_e32 v25, v26, v25
	v_ldexp_f32 v30, v25, 1
	v_mul_f32_e32 v25, v28, v29
	v_ldexp_f32 v27, v28, 1
	v_pk_mul_f32 v[28:29], v[24:25], v[52:53]
	s_nop 0
	v_fma_f32 v26, v24, s39, -v28
	v_fmac_f32_e32 v26, 0xb102e308, v24
	v_pk_add_f32 v[24:25], v[28:29], v[26:27]
	s_nop 0
	v_sub_f32_e32 v27, v25, v27
	v_sub_f32_e32 v27, v29, v27
	v_add_f32_e32 v31, v30, v27
	v_mov_b32_e32 v30, v28
	v_pk_add_f32 v[28:29], v[24:25], v[28:29] neg_lo:[0,1] neg_hi:[0,1]
	v_pk_add_f32 v[32:33], v[24:25], v[30:31]
	v_mov_b32_e32 v27, v24
	v_mov_b32_e32 v29, v33
	v_pk_add_f32 v[34:35], v[26:27], v[28:29] neg_lo:[0,1] neg_hi:[0,1]
	v_pk_add_f32 v[26:27], v[26:27], v[28:29]
	v_mov_b32_e32 v30, v31
	v_mov_b32_e32 v28, v27
	v_pk_add_f32 v[36:37], v[28:29], v[24:25] neg_lo:[0,1] neg_hi:[0,1]
	v_mov_b32_e32 v26, v33
	v_mov_b32_e32 v29, v36
	v_pk_add_f32 v[38:39], v[32:33], v[28:29] neg_lo:[0,1] neg_hi:[0,1]
	v_mov_b32_e32 v32, v25
	v_mov_b32_e32 v33, v36
	;; [unrolled: 1-line block ×3, first 2 shown]
	v_pk_add_f32 v[26:27], v[26:27], v[32:33] neg_lo:[0,1] neg_hi:[0,1]
	v_mov_b32_e32 v31, v24
	v_pk_add_f32 v[24:25], v[30:31], v[26:27] neg_lo:[0,1] neg_hi:[0,1]
	v_mov_b32_e32 v38, v34
	v_pk_add_f32 v[26:27], v[38:39], v[24:25]
	s_nop 0
	v_mov_b32_e32 v30, v27
	v_pk_add_f32 v[30:31], v[26:27], v[30:31]
	s_nop 0
	v_pk_add_f32 v[28:29], v[28:29], v[30:31]
	v_mov_b32_e32 v25, v30
	v_mov_b32_e32 v27, v28
	v_pk_add_f32 v[32:33], v[26:27], v[34:35] neg_lo:[0,1] neg_hi:[0,1]
	s_nop 0
	v_sub_f32_e32 v26, v26, v32
	v_pk_add_f32 v[24:25], v[24:25], v[32:33] neg_lo:[0,1] neg_hi:[0,1]
	v_sub_f32_e32 v26, v34, v26
	v_add_f32_e32 v24, v24, v26
	v_add_f32_e32 v24, v24, v25
	;; [unrolled: 1-line block ×3, first 2 shown]
	v_cndmask_b32_e32 v128, v24, v49, vcc
.LBB89_31:                              ;   in Loop: Header=BB89_13 Depth=1
	s_or_b64 exec, exec, s[30:31]
	v_cvt_f32_f16_sdwa v24, v18 dst_sel:DWORD dst_unused:UNUSED_PAD src0_sel:WORD_1
	v_add_f32_e32 v129, s33, v24
	v_cmp_ge_f32_e32 vcc, s67, v129
	s_and_b64 s[2:3], s[88:89], vcc
	s_and_saveexec_b64 s[30:31], s[2:3]
	s_cbranch_execz .LBB89_33
; %bb.32:                               ;   in Loop: Header=BB89_13 Depth=1
	v_mul_f32_e32 v24, 0x3fb8aa3b, v129
	v_rndne_f32_e32 v25, v24
	v_sub_f32_e32 v26, v24, v25
	v_fma_f32 v24, v129, s34, -v24
	v_fmac_f32_e32 v24, 0x32a5705f, v129
	v_add_f32_e32 v24, v26, v24
	v_cvt_i32_f32_e32 v25, v25
	v_exp_f32_e32 v24, v24
	v_cmp_ngt_f32_e32 vcc, s35, v129
	v_ldexp_f32 v24, v24, v25
	s_nop 0
	v_cndmask_b32_e32 v24, 0, v24, vcc
	v_cmp_nlt_f32_e32 vcc, s36, v129
	s_nop 1
	v_cndmask_b32_e32 v49, v121, v24, vcc
	v_add_f32_e32 v26, 1.0, v49
	v_add_f32_e32 v24, -1.0, v26
	v_sub_f32_e32 v25, v24, v26
	v_add_f32_e32 v25, 1.0, v25
	v_sub_f32_e32 v24, v49, v24
	v_add_f32_e32 v27, v24, v25
	v_frexp_mant_f32_e32 v28, v26
	v_cvt_f64_f32_e32 v[24:25], v26
	v_frexp_exp_i32_f64_e32 v24, v[24:25]
	v_cmp_gt_f32_e32 vcc, s38, v28
	v_cmp_gt_f32_e64 s[2:3], s40, v49
	s_nop 0
	v_subbrev_co_u32_e32 v32, vcc, 0, v24, vcc
	v_sub_u32_e32 v24, 0, v32
	v_ldexp_f32 v25, v26, v24
	v_add_f32_e32 v26, -1.0, v25
	v_add_f32_e32 v28, 1.0, v25
	v_ldexp_f32 v24, v27, v24
	v_add_f32_e32 v27, 1.0, v26
	v_add_f32_e32 v29, -1.0, v28
	v_sub_f32_e32 v27, v25, v27
	v_sub_f32_e32 v25, v25, v29
	v_add_f32_e32 v27, v24, v27
	v_add_f32_e32 v24, v24, v25
	;; [unrolled: 1-line block ×3, first 2 shown]
	v_rcp_f32_e32 v35, v33
	v_sub_f32_e32 v25, v28, v33
	v_add_f32_e32 v34, v24, v25
	v_add_f32_e32 v25, v26, v27
	v_mul_f32_e32 v37, v25, v35
	v_sub_f32_e32 v24, v26, v25
	v_mul_f32_e32 v26, v33, v37
	v_fma_f32 v28, v37, v33, -v26
	v_fmac_f32_e32 v28, v37, v34
	v_add_f32_e32 v36, v27, v24
	v_add_f32_e32 v24, v26, v28
	v_sub_f32_e32 v27, v25, v24
	v_pk_add_f32 v[30:31], v[24:25], v[26:27] neg_lo:[0,1] neg_hi:[0,1]
	v_mov_b32_e32 v29, v24
	v_pk_add_f32 v[24:25], v[30:31], v[28:29] neg_lo:[0,1] neg_hi:[0,1]
	v_cmp_eq_f32_e32 vcc, s37, v49
	v_add_f32_e32 v25, v36, v25
	v_add_f32_e32 v24, v24, v25
	;; [unrolled: 1-line block ×3, first 2 shown]
	v_mul_f32_e32 v36, v35, v25
	v_mul_f32_e32 v26, v33, v36
	v_fma_f32 v28, v36, v33, -v26
	v_fmac_f32_e32 v28, v36, v34
	v_sub_f32_e32 v27, v27, v25
	v_add_f32_e32 v33, v24, v27
	v_add_f32_e32 v24, v26, v28
	v_sub_f32_e32 v27, v25, v24
	v_pk_add_f32 v[30:31], v[24:25], v[26:27] neg_lo:[0,1] neg_hi:[0,1]
	v_mov_b32_e32 v29, v24
	v_pk_add_f32 v[24:25], v[30:31], v[28:29] neg_lo:[0,1] neg_hi:[0,1]
	s_or_b64 vcc, s[2:3], vcc
	v_add_f32_e32 v25, v33, v25
	v_add_f32_e32 v24, v24, v25
	;; [unrolled: 1-line block ×4, first 2 shown]
	v_sub_f32_e32 v26, v25, v37
	v_mul_f32_e32 v24, v35, v24
	v_sub_f32_e32 v26, v36, v26
	v_add_f32_e32 v26, v26, v24
	v_add_f32_e32 v28, v25, v26
	v_mul_f32_e32 v29, v28, v28
	v_fmamk_f32 v24, v29, 0x3e9b6dac, v120
	v_fmaak_f32 v53, v29, v24, 0x3f2aaada
	v_cvt_f32_i32_e32 v24, v32
	v_sub_f32_e32 v25, v28, v25
	v_sub_f32_e32 v25, v26, v25
	v_ldexp_f32 v30, v25, 1
	v_mul_f32_e32 v25, v28, v29
	v_ldexp_f32 v27, v28, 1
	v_pk_mul_f32 v[28:29], v[24:25], v[52:53]
	s_nop 0
	v_fma_f32 v26, v24, s39, -v28
	v_fmac_f32_e32 v26, 0xb102e308, v24
	v_pk_add_f32 v[24:25], v[28:29], v[26:27]
	s_nop 0
	v_sub_f32_e32 v27, v25, v27
	v_sub_f32_e32 v27, v29, v27
	v_add_f32_e32 v31, v30, v27
	v_mov_b32_e32 v30, v28
	v_pk_add_f32 v[28:29], v[24:25], v[28:29] neg_lo:[0,1] neg_hi:[0,1]
	v_pk_add_f32 v[32:33], v[24:25], v[30:31]
	v_mov_b32_e32 v27, v24
	v_mov_b32_e32 v29, v33
	v_pk_add_f32 v[34:35], v[26:27], v[28:29] neg_lo:[0,1] neg_hi:[0,1]
	v_pk_add_f32 v[26:27], v[26:27], v[28:29]
	v_mov_b32_e32 v30, v31
	v_mov_b32_e32 v28, v27
	v_pk_add_f32 v[36:37], v[28:29], v[24:25] neg_lo:[0,1] neg_hi:[0,1]
	v_mov_b32_e32 v26, v33
	v_mov_b32_e32 v29, v36
	v_pk_add_f32 v[38:39], v[32:33], v[28:29] neg_lo:[0,1] neg_hi:[0,1]
	v_mov_b32_e32 v32, v25
	v_mov_b32_e32 v33, v36
	v_mov_b32_e32 v35, v27
	v_pk_add_f32 v[26:27], v[26:27], v[32:33] neg_lo:[0,1] neg_hi:[0,1]
	v_mov_b32_e32 v31, v24
	v_pk_add_f32 v[24:25], v[30:31], v[26:27] neg_lo:[0,1] neg_hi:[0,1]
	v_mov_b32_e32 v38, v34
	v_pk_add_f32 v[26:27], v[38:39], v[24:25]
	s_nop 0
	v_mov_b32_e32 v30, v27
	v_pk_add_f32 v[30:31], v[26:27], v[30:31]
	s_nop 0
	v_pk_add_f32 v[28:29], v[28:29], v[30:31]
	v_mov_b32_e32 v25, v30
	v_mov_b32_e32 v27, v28
	v_pk_add_f32 v[32:33], v[26:27], v[34:35] neg_lo:[0,1] neg_hi:[0,1]
	s_nop 0
	v_sub_f32_e32 v26, v26, v32
	v_pk_add_f32 v[24:25], v[24:25], v[32:33] neg_lo:[0,1] neg_hi:[0,1]
	v_sub_f32_e32 v26, v34, v26
	v_add_f32_e32 v24, v24, v26
	v_add_f32_e32 v24, v24, v25
	;; [unrolled: 1-line block ×3, first 2 shown]
	v_cndmask_b32_e32 v129, v24, v49, vcc
.LBB89_33:                              ;   in Loop: Header=BB89_13 Depth=1
	s_or_b64 exec, exec, s[30:31]
	v_cvt_f32_f16_e32 v24, v19
	v_add_f32_e32 v130, s33, v24
	v_cmp_ge_f32_e32 vcc, s67, v130
	s_and_b64 s[2:3], s[88:89], vcc
	s_and_saveexec_b64 s[30:31], s[2:3]
	s_cbranch_execz .LBB89_35
; %bb.34:                               ;   in Loop: Header=BB89_13 Depth=1
	v_mul_f32_e32 v24, 0x3fb8aa3b, v130
	v_rndne_f32_e32 v25, v24
	v_sub_f32_e32 v26, v24, v25
	v_fma_f32 v24, v130, s34, -v24
	v_fmac_f32_e32 v24, 0x32a5705f, v130
	v_add_f32_e32 v24, v26, v24
	v_cvt_i32_f32_e32 v25, v25
	v_exp_f32_e32 v24, v24
	v_cmp_ngt_f32_e32 vcc, s35, v130
	v_ldexp_f32 v24, v24, v25
	s_nop 0
	v_cndmask_b32_e32 v24, 0, v24, vcc
	v_cmp_nlt_f32_e32 vcc, s36, v130
	s_nop 1
	v_cndmask_b32_e32 v49, v121, v24, vcc
	v_add_f32_e32 v26, 1.0, v49
	v_add_f32_e32 v24, -1.0, v26
	v_sub_f32_e32 v25, v24, v26
	v_add_f32_e32 v25, 1.0, v25
	v_sub_f32_e32 v24, v49, v24
	v_add_f32_e32 v27, v24, v25
	v_frexp_mant_f32_e32 v28, v26
	v_cvt_f64_f32_e32 v[24:25], v26
	v_frexp_exp_i32_f64_e32 v24, v[24:25]
	v_cmp_gt_f32_e32 vcc, s38, v28
	v_cmp_gt_f32_e64 s[2:3], s40, v49
	s_nop 0
	v_subbrev_co_u32_e32 v32, vcc, 0, v24, vcc
	v_sub_u32_e32 v24, 0, v32
	v_ldexp_f32 v25, v26, v24
	v_add_f32_e32 v26, -1.0, v25
	v_add_f32_e32 v28, 1.0, v25
	v_ldexp_f32 v24, v27, v24
	v_add_f32_e32 v27, 1.0, v26
	v_add_f32_e32 v29, -1.0, v28
	v_sub_f32_e32 v27, v25, v27
	v_sub_f32_e32 v25, v25, v29
	v_add_f32_e32 v27, v24, v27
	v_add_f32_e32 v24, v24, v25
	;; [unrolled: 1-line block ×3, first 2 shown]
	v_rcp_f32_e32 v35, v33
	v_sub_f32_e32 v25, v28, v33
	v_add_f32_e32 v34, v24, v25
	v_add_f32_e32 v25, v26, v27
	v_mul_f32_e32 v37, v25, v35
	v_sub_f32_e32 v24, v26, v25
	v_mul_f32_e32 v26, v33, v37
	v_fma_f32 v28, v37, v33, -v26
	v_fmac_f32_e32 v28, v37, v34
	v_add_f32_e32 v36, v27, v24
	v_add_f32_e32 v24, v26, v28
	v_sub_f32_e32 v27, v25, v24
	v_pk_add_f32 v[30:31], v[24:25], v[26:27] neg_lo:[0,1] neg_hi:[0,1]
	v_mov_b32_e32 v29, v24
	v_pk_add_f32 v[24:25], v[30:31], v[28:29] neg_lo:[0,1] neg_hi:[0,1]
	v_cmp_eq_f32_e32 vcc, s37, v49
	v_add_f32_e32 v25, v36, v25
	v_add_f32_e32 v24, v24, v25
	;; [unrolled: 1-line block ×3, first 2 shown]
	v_mul_f32_e32 v36, v35, v25
	v_mul_f32_e32 v26, v33, v36
	v_fma_f32 v28, v36, v33, -v26
	v_fmac_f32_e32 v28, v36, v34
	v_sub_f32_e32 v27, v27, v25
	v_add_f32_e32 v33, v24, v27
	v_add_f32_e32 v24, v26, v28
	v_sub_f32_e32 v27, v25, v24
	v_pk_add_f32 v[30:31], v[24:25], v[26:27] neg_lo:[0,1] neg_hi:[0,1]
	v_mov_b32_e32 v29, v24
	v_pk_add_f32 v[24:25], v[30:31], v[28:29] neg_lo:[0,1] neg_hi:[0,1]
	s_or_b64 vcc, s[2:3], vcc
	v_add_f32_e32 v25, v33, v25
	v_add_f32_e32 v24, v24, v25
	;; [unrolled: 1-line block ×4, first 2 shown]
	v_sub_f32_e32 v26, v25, v37
	v_mul_f32_e32 v24, v35, v24
	v_sub_f32_e32 v26, v36, v26
	v_add_f32_e32 v26, v26, v24
	v_add_f32_e32 v28, v25, v26
	v_mul_f32_e32 v29, v28, v28
	v_fmamk_f32 v24, v29, 0x3e9b6dac, v120
	v_fmaak_f32 v53, v29, v24, 0x3f2aaada
	v_cvt_f32_i32_e32 v24, v32
	v_sub_f32_e32 v25, v28, v25
	v_sub_f32_e32 v25, v26, v25
	v_ldexp_f32 v30, v25, 1
	v_mul_f32_e32 v25, v28, v29
	v_ldexp_f32 v27, v28, 1
	v_pk_mul_f32 v[28:29], v[24:25], v[52:53]
	s_nop 0
	v_fma_f32 v26, v24, s39, -v28
	v_fmac_f32_e32 v26, 0xb102e308, v24
	v_pk_add_f32 v[24:25], v[28:29], v[26:27]
	s_nop 0
	v_sub_f32_e32 v27, v25, v27
	v_sub_f32_e32 v27, v29, v27
	v_add_f32_e32 v31, v30, v27
	v_mov_b32_e32 v30, v28
	v_pk_add_f32 v[28:29], v[24:25], v[28:29] neg_lo:[0,1] neg_hi:[0,1]
	v_pk_add_f32 v[32:33], v[24:25], v[30:31]
	v_mov_b32_e32 v27, v24
	v_mov_b32_e32 v29, v33
	v_pk_add_f32 v[34:35], v[26:27], v[28:29] neg_lo:[0,1] neg_hi:[0,1]
	v_pk_add_f32 v[26:27], v[26:27], v[28:29]
	v_mov_b32_e32 v30, v31
	v_mov_b32_e32 v28, v27
	v_pk_add_f32 v[36:37], v[28:29], v[24:25] neg_lo:[0,1] neg_hi:[0,1]
	v_mov_b32_e32 v26, v33
	v_mov_b32_e32 v29, v36
	v_pk_add_f32 v[38:39], v[32:33], v[28:29] neg_lo:[0,1] neg_hi:[0,1]
	v_mov_b32_e32 v32, v25
	v_mov_b32_e32 v33, v36
	;; [unrolled: 1-line block ×3, first 2 shown]
	v_pk_add_f32 v[26:27], v[26:27], v[32:33] neg_lo:[0,1] neg_hi:[0,1]
	v_mov_b32_e32 v31, v24
	v_pk_add_f32 v[24:25], v[30:31], v[26:27] neg_lo:[0,1] neg_hi:[0,1]
	v_mov_b32_e32 v38, v34
	v_pk_add_f32 v[26:27], v[38:39], v[24:25]
	s_nop 0
	v_mov_b32_e32 v30, v27
	v_pk_add_f32 v[30:31], v[26:27], v[30:31]
	s_nop 0
	v_pk_add_f32 v[28:29], v[28:29], v[30:31]
	v_mov_b32_e32 v25, v30
	v_mov_b32_e32 v27, v28
	v_pk_add_f32 v[32:33], v[26:27], v[34:35] neg_lo:[0,1] neg_hi:[0,1]
	s_nop 0
	v_sub_f32_e32 v26, v26, v32
	v_pk_add_f32 v[24:25], v[24:25], v[32:33] neg_lo:[0,1] neg_hi:[0,1]
	v_sub_f32_e32 v26, v34, v26
	v_add_f32_e32 v24, v24, v26
	v_add_f32_e32 v24, v24, v25
	;; [unrolled: 1-line block ×3, first 2 shown]
	v_cndmask_b32_e32 v130, v24, v49, vcc
.LBB89_35:                              ;   in Loop: Header=BB89_13 Depth=1
	s_or_b64 exec, exec, s[30:31]
	v_cvt_f32_f16_sdwa v24, v19 dst_sel:DWORD dst_unused:UNUSED_PAD src0_sel:WORD_1
	v_add_f32_e32 v131, s33, v24
	v_cmp_ge_f32_e32 vcc, s67, v131
	s_and_b64 s[2:3], s[88:89], vcc
	s_and_saveexec_b64 s[30:31], s[2:3]
	s_cbranch_execz .LBB89_37
; %bb.36:                               ;   in Loop: Header=BB89_13 Depth=1
	v_mul_f32_e32 v24, 0x3fb8aa3b, v131
	v_rndne_f32_e32 v25, v24
	v_sub_f32_e32 v26, v24, v25
	v_fma_f32 v24, v131, s34, -v24
	v_fmac_f32_e32 v24, 0x32a5705f, v131
	v_add_f32_e32 v24, v26, v24
	v_cvt_i32_f32_e32 v25, v25
	v_exp_f32_e32 v24, v24
	v_cmp_ngt_f32_e32 vcc, s35, v131
	v_ldexp_f32 v24, v24, v25
	s_nop 0
	v_cndmask_b32_e32 v24, 0, v24, vcc
	v_cmp_nlt_f32_e32 vcc, s36, v131
	s_nop 1
	v_cndmask_b32_e32 v49, v121, v24, vcc
	v_add_f32_e32 v26, 1.0, v49
	v_add_f32_e32 v24, -1.0, v26
	v_sub_f32_e32 v25, v24, v26
	v_add_f32_e32 v25, 1.0, v25
	v_sub_f32_e32 v24, v49, v24
	v_add_f32_e32 v27, v24, v25
	v_frexp_mant_f32_e32 v28, v26
	v_cvt_f64_f32_e32 v[24:25], v26
	v_frexp_exp_i32_f64_e32 v24, v[24:25]
	v_cmp_gt_f32_e32 vcc, s38, v28
	v_cmp_gt_f32_e64 s[2:3], s40, v49
	s_nop 0
	v_subbrev_co_u32_e32 v32, vcc, 0, v24, vcc
	v_sub_u32_e32 v24, 0, v32
	v_ldexp_f32 v25, v26, v24
	v_add_f32_e32 v26, -1.0, v25
	v_add_f32_e32 v28, 1.0, v25
	v_ldexp_f32 v24, v27, v24
	v_add_f32_e32 v27, 1.0, v26
	v_add_f32_e32 v29, -1.0, v28
	v_sub_f32_e32 v27, v25, v27
	v_sub_f32_e32 v25, v25, v29
	v_add_f32_e32 v27, v24, v27
	v_add_f32_e32 v24, v24, v25
	;; [unrolled: 1-line block ×3, first 2 shown]
	v_rcp_f32_e32 v35, v33
	v_sub_f32_e32 v25, v28, v33
	v_add_f32_e32 v34, v24, v25
	v_add_f32_e32 v25, v26, v27
	v_mul_f32_e32 v37, v25, v35
	v_sub_f32_e32 v24, v26, v25
	v_mul_f32_e32 v26, v33, v37
	v_fma_f32 v28, v37, v33, -v26
	v_fmac_f32_e32 v28, v37, v34
	v_add_f32_e32 v36, v27, v24
	v_add_f32_e32 v24, v26, v28
	v_sub_f32_e32 v27, v25, v24
	v_pk_add_f32 v[30:31], v[24:25], v[26:27] neg_lo:[0,1] neg_hi:[0,1]
	v_mov_b32_e32 v29, v24
	v_pk_add_f32 v[24:25], v[30:31], v[28:29] neg_lo:[0,1] neg_hi:[0,1]
	v_cmp_eq_f32_e32 vcc, s37, v49
	v_add_f32_e32 v25, v36, v25
	v_add_f32_e32 v24, v24, v25
	;; [unrolled: 1-line block ×3, first 2 shown]
	v_mul_f32_e32 v36, v35, v25
	v_mul_f32_e32 v26, v33, v36
	v_fma_f32 v28, v36, v33, -v26
	v_fmac_f32_e32 v28, v36, v34
	v_sub_f32_e32 v27, v27, v25
	v_add_f32_e32 v33, v24, v27
	v_add_f32_e32 v24, v26, v28
	v_sub_f32_e32 v27, v25, v24
	v_pk_add_f32 v[30:31], v[24:25], v[26:27] neg_lo:[0,1] neg_hi:[0,1]
	v_mov_b32_e32 v29, v24
	v_pk_add_f32 v[24:25], v[30:31], v[28:29] neg_lo:[0,1] neg_hi:[0,1]
	s_or_b64 vcc, s[2:3], vcc
	v_add_f32_e32 v25, v33, v25
	v_add_f32_e32 v24, v24, v25
	v_add_f32_e32 v25, v37, v36
	v_add_f32_e32 v24, v27, v24
	v_sub_f32_e32 v26, v25, v37
	v_mul_f32_e32 v24, v35, v24
	v_sub_f32_e32 v26, v36, v26
	v_add_f32_e32 v26, v26, v24
	v_add_f32_e32 v28, v25, v26
	v_mul_f32_e32 v29, v28, v28
	v_fmamk_f32 v24, v29, 0x3e9b6dac, v120
	v_fmaak_f32 v53, v29, v24, 0x3f2aaada
	v_cvt_f32_i32_e32 v24, v32
	v_sub_f32_e32 v25, v28, v25
	v_sub_f32_e32 v25, v26, v25
	v_ldexp_f32 v30, v25, 1
	v_mul_f32_e32 v25, v28, v29
	v_ldexp_f32 v27, v28, 1
	v_pk_mul_f32 v[28:29], v[24:25], v[52:53]
	s_nop 0
	v_fma_f32 v26, v24, s39, -v28
	v_fmac_f32_e32 v26, 0xb102e308, v24
	v_pk_add_f32 v[24:25], v[28:29], v[26:27]
	s_nop 0
	v_sub_f32_e32 v27, v25, v27
	v_sub_f32_e32 v27, v29, v27
	v_add_f32_e32 v31, v30, v27
	v_mov_b32_e32 v30, v28
	v_pk_add_f32 v[28:29], v[24:25], v[28:29] neg_lo:[0,1] neg_hi:[0,1]
	v_pk_add_f32 v[32:33], v[24:25], v[30:31]
	v_mov_b32_e32 v27, v24
	v_mov_b32_e32 v29, v33
	v_pk_add_f32 v[34:35], v[26:27], v[28:29] neg_lo:[0,1] neg_hi:[0,1]
	v_pk_add_f32 v[26:27], v[26:27], v[28:29]
	v_mov_b32_e32 v30, v31
	v_mov_b32_e32 v28, v27
	v_pk_add_f32 v[36:37], v[28:29], v[24:25] neg_lo:[0,1] neg_hi:[0,1]
	v_mov_b32_e32 v26, v33
	v_mov_b32_e32 v29, v36
	v_pk_add_f32 v[38:39], v[32:33], v[28:29] neg_lo:[0,1] neg_hi:[0,1]
	v_mov_b32_e32 v32, v25
	v_mov_b32_e32 v33, v36
	;; [unrolled: 1-line block ×3, first 2 shown]
	v_pk_add_f32 v[26:27], v[26:27], v[32:33] neg_lo:[0,1] neg_hi:[0,1]
	v_mov_b32_e32 v31, v24
	v_pk_add_f32 v[24:25], v[30:31], v[26:27] neg_lo:[0,1] neg_hi:[0,1]
	v_mov_b32_e32 v38, v34
	v_pk_add_f32 v[26:27], v[38:39], v[24:25]
	s_nop 0
	v_mov_b32_e32 v30, v27
	v_pk_add_f32 v[30:31], v[26:27], v[30:31]
	s_nop 0
	v_pk_add_f32 v[28:29], v[28:29], v[30:31]
	v_mov_b32_e32 v25, v30
	v_mov_b32_e32 v27, v28
	v_pk_add_f32 v[32:33], v[26:27], v[34:35] neg_lo:[0,1] neg_hi:[0,1]
	s_nop 0
	v_sub_f32_e32 v26, v26, v32
	v_pk_add_f32 v[24:25], v[24:25], v[32:33] neg_lo:[0,1] neg_hi:[0,1]
	v_sub_f32_e32 v26, v34, v26
	v_add_f32_e32 v24, v24, v26
	v_add_f32_e32 v24, v24, v25
	;; [unrolled: 1-line block ×3, first 2 shown]
	v_cndmask_b32_e32 v131, v24, v49, vcc
.LBB89_37:                              ;   in Loop: Header=BB89_13 Depth=1
	s_or_b64 exec, exec, s[30:31]
	s_waitcnt lgkmcnt(0)
	v_cvt_f32_f16_e32 v24, v4
	v_add_f32_e32 v132, s33, v24
	v_cmp_ge_f32_e32 vcc, s67, v132
	s_and_b64 s[2:3], s[88:89], vcc
	s_and_saveexec_b64 s[30:31], s[2:3]
	s_cbranch_execz .LBB89_39
; %bb.38:                               ;   in Loop: Header=BB89_13 Depth=1
	v_mul_f32_e32 v24, 0x3fb8aa3b, v132
	v_rndne_f32_e32 v25, v24
	v_sub_f32_e32 v26, v24, v25
	v_fma_f32 v24, v132, s34, -v24
	v_fmac_f32_e32 v24, 0x32a5705f, v132
	v_add_f32_e32 v24, v26, v24
	v_cvt_i32_f32_e32 v25, v25
	v_exp_f32_e32 v24, v24
	v_cmp_ngt_f32_e32 vcc, s35, v132
	v_ldexp_f32 v24, v24, v25
	s_nop 0
	v_cndmask_b32_e32 v24, 0, v24, vcc
	v_cmp_nlt_f32_e32 vcc, s36, v132
	s_nop 1
	v_cndmask_b32_e32 v49, v121, v24, vcc
	v_add_f32_e32 v26, 1.0, v49
	v_add_f32_e32 v24, -1.0, v26
	v_sub_f32_e32 v25, v24, v26
	v_add_f32_e32 v25, 1.0, v25
	v_sub_f32_e32 v24, v49, v24
	v_add_f32_e32 v27, v24, v25
	v_frexp_mant_f32_e32 v28, v26
	v_cvt_f64_f32_e32 v[24:25], v26
	v_frexp_exp_i32_f64_e32 v24, v[24:25]
	v_cmp_gt_f32_e32 vcc, s38, v28
	v_cmp_gt_f32_e64 s[2:3], s40, v49
	s_nop 0
	v_subbrev_co_u32_e32 v32, vcc, 0, v24, vcc
	v_sub_u32_e32 v24, 0, v32
	v_ldexp_f32 v25, v26, v24
	v_add_f32_e32 v26, -1.0, v25
	v_add_f32_e32 v28, 1.0, v25
	v_ldexp_f32 v24, v27, v24
	v_add_f32_e32 v27, 1.0, v26
	v_add_f32_e32 v29, -1.0, v28
	v_sub_f32_e32 v27, v25, v27
	v_sub_f32_e32 v25, v25, v29
	v_add_f32_e32 v27, v24, v27
	v_add_f32_e32 v24, v24, v25
	;; [unrolled: 1-line block ×3, first 2 shown]
	v_rcp_f32_e32 v35, v33
	v_sub_f32_e32 v25, v28, v33
	v_add_f32_e32 v34, v24, v25
	v_add_f32_e32 v25, v26, v27
	v_mul_f32_e32 v37, v25, v35
	v_sub_f32_e32 v24, v26, v25
	v_mul_f32_e32 v26, v33, v37
	v_fma_f32 v28, v37, v33, -v26
	v_fmac_f32_e32 v28, v37, v34
	v_add_f32_e32 v36, v27, v24
	v_add_f32_e32 v24, v26, v28
	v_sub_f32_e32 v27, v25, v24
	v_pk_add_f32 v[30:31], v[24:25], v[26:27] neg_lo:[0,1] neg_hi:[0,1]
	v_mov_b32_e32 v29, v24
	v_pk_add_f32 v[24:25], v[30:31], v[28:29] neg_lo:[0,1] neg_hi:[0,1]
	v_cmp_eq_f32_e32 vcc, s37, v49
	v_add_f32_e32 v25, v36, v25
	v_add_f32_e32 v24, v24, v25
	;; [unrolled: 1-line block ×3, first 2 shown]
	v_mul_f32_e32 v36, v35, v25
	v_mul_f32_e32 v26, v33, v36
	v_fma_f32 v28, v36, v33, -v26
	v_fmac_f32_e32 v28, v36, v34
	v_sub_f32_e32 v27, v27, v25
	v_add_f32_e32 v33, v24, v27
	v_add_f32_e32 v24, v26, v28
	v_sub_f32_e32 v27, v25, v24
	v_pk_add_f32 v[30:31], v[24:25], v[26:27] neg_lo:[0,1] neg_hi:[0,1]
	v_mov_b32_e32 v29, v24
	v_pk_add_f32 v[24:25], v[30:31], v[28:29] neg_lo:[0,1] neg_hi:[0,1]
	s_or_b64 vcc, s[2:3], vcc
	v_add_f32_e32 v25, v33, v25
	v_add_f32_e32 v24, v24, v25
	;; [unrolled: 1-line block ×4, first 2 shown]
	v_sub_f32_e32 v26, v25, v37
	v_mul_f32_e32 v24, v35, v24
	v_sub_f32_e32 v26, v36, v26
	v_add_f32_e32 v26, v26, v24
	v_add_f32_e32 v28, v25, v26
	v_mul_f32_e32 v29, v28, v28
	v_fmamk_f32 v24, v29, 0x3e9b6dac, v120
	v_fmaak_f32 v53, v29, v24, 0x3f2aaada
	v_cvt_f32_i32_e32 v24, v32
	v_sub_f32_e32 v25, v28, v25
	v_sub_f32_e32 v25, v26, v25
	v_ldexp_f32 v30, v25, 1
	v_mul_f32_e32 v25, v28, v29
	v_ldexp_f32 v27, v28, 1
	v_pk_mul_f32 v[28:29], v[24:25], v[52:53]
	s_nop 0
	v_fma_f32 v26, v24, s39, -v28
	v_fmac_f32_e32 v26, 0xb102e308, v24
	v_pk_add_f32 v[24:25], v[28:29], v[26:27]
	s_nop 0
	v_sub_f32_e32 v27, v25, v27
	v_sub_f32_e32 v27, v29, v27
	v_add_f32_e32 v31, v30, v27
	v_mov_b32_e32 v30, v28
	v_pk_add_f32 v[28:29], v[24:25], v[28:29] neg_lo:[0,1] neg_hi:[0,1]
	v_pk_add_f32 v[32:33], v[24:25], v[30:31]
	v_mov_b32_e32 v27, v24
	v_mov_b32_e32 v29, v33
	v_pk_add_f32 v[34:35], v[26:27], v[28:29] neg_lo:[0,1] neg_hi:[0,1]
	v_pk_add_f32 v[26:27], v[26:27], v[28:29]
	v_mov_b32_e32 v30, v31
	v_mov_b32_e32 v28, v27
	v_pk_add_f32 v[36:37], v[28:29], v[24:25] neg_lo:[0,1] neg_hi:[0,1]
	v_mov_b32_e32 v26, v33
	v_mov_b32_e32 v29, v36
	v_pk_add_f32 v[38:39], v[32:33], v[28:29] neg_lo:[0,1] neg_hi:[0,1]
	v_mov_b32_e32 v32, v25
	v_mov_b32_e32 v33, v36
	;; [unrolled: 1-line block ×3, first 2 shown]
	v_pk_add_f32 v[26:27], v[26:27], v[32:33] neg_lo:[0,1] neg_hi:[0,1]
	v_mov_b32_e32 v31, v24
	v_pk_add_f32 v[24:25], v[30:31], v[26:27] neg_lo:[0,1] neg_hi:[0,1]
	v_mov_b32_e32 v38, v34
	v_pk_add_f32 v[26:27], v[38:39], v[24:25]
	s_nop 0
	v_mov_b32_e32 v30, v27
	v_pk_add_f32 v[30:31], v[26:27], v[30:31]
	s_nop 0
	v_pk_add_f32 v[28:29], v[28:29], v[30:31]
	v_mov_b32_e32 v25, v30
	v_mov_b32_e32 v27, v28
	v_pk_add_f32 v[32:33], v[26:27], v[34:35] neg_lo:[0,1] neg_hi:[0,1]
	s_nop 0
	v_sub_f32_e32 v26, v26, v32
	v_pk_add_f32 v[24:25], v[24:25], v[32:33] neg_lo:[0,1] neg_hi:[0,1]
	v_sub_f32_e32 v26, v34, v26
	v_add_f32_e32 v24, v24, v26
	v_add_f32_e32 v24, v24, v25
	;; [unrolled: 1-line block ×3, first 2 shown]
	v_cndmask_b32_e32 v132, v24, v49, vcc
.LBB89_39:                              ;   in Loop: Header=BB89_13 Depth=1
	s_or_b64 exec, exec, s[30:31]
	v_cvt_f32_f16_sdwa v24, v4 dst_sel:DWORD dst_unused:UNUSED_PAD src0_sel:WORD_1
	v_add_f32_e32 v133, s33, v24
	v_cmp_ge_f32_e32 vcc, s67, v133
	s_and_b64 s[2:3], s[88:89], vcc
	s_and_saveexec_b64 s[30:31], s[2:3]
	s_cbranch_execz .LBB89_41
; %bb.40:                               ;   in Loop: Header=BB89_13 Depth=1
	v_mul_f32_e32 v24, 0x3fb8aa3b, v133
	v_rndne_f32_e32 v25, v24
	v_sub_f32_e32 v26, v24, v25
	v_fma_f32 v24, v133, s34, -v24
	v_fmac_f32_e32 v24, 0x32a5705f, v133
	v_add_f32_e32 v24, v26, v24
	v_cvt_i32_f32_e32 v25, v25
	v_exp_f32_e32 v24, v24
	v_cmp_ngt_f32_e32 vcc, s35, v133
	v_ldexp_f32 v24, v24, v25
	s_nop 0
	v_cndmask_b32_e32 v24, 0, v24, vcc
	v_cmp_nlt_f32_e32 vcc, s36, v133
	s_nop 1
	v_cndmask_b32_e32 v49, v121, v24, vcc
	v_add_f32_e32 v26, 1.0, v49
	v_add_f32_e32 v24, -1.0, v26
	v_sub_f32_e32 v25, v24, v26
	v_add_f32_e32 v25, 1.0, v25
	v_sub_f32_e32 v24, v49, v24
	v_add_f32_e32 v27, v24, v25
	v_frexp_mant_f32_e32 v28, v26
	v_cvt_f64_f32_e32 v[24:25], v26
	v_frexp_exp_i32_f64_e32 v24, v[24:25]
	v_cmp_gt_f32_e32 vcc, s38, v28
	v_cmp_gt_f32_e64 s[2:3], s40, v49
	s_nop 0
	v_subbrev_co_u32_e32 v32, vcc, 0, v24, vcc
	v_sub_u32_e32 v24, 0, v32
	v_ldexp_f32 v25, v26, v24
	v_add_f32_e32 v26, -1.0, v25
	v_add_f32_e32 v28, 1.0, v25
	v_ldexp_f32 v24, v27, v24
	v_add_f32_e32 v27, 1.0, v26
	v_add_f32_e32 v29, -1.0, v28
	v_sub_f32_e32 v27, v25, v27
	v_sub_f32_e32 v25, v25, v29
	v_add_f32_e32 v27, v24, v27
	v_add_f32_e32 v24, v24, v25
	;; [unrolled: 1-line block ×3, first 2 shown]
	v_rcp_f32_e32 v35, v33
	v_sub_f32_e32 v25, v28, v33
	v_add_f32_e32 v34, v24, v25
	v_add_f32_e32 v25, v26, v27
	v_mul_f32_e32 v37, v25, v35
	v_sub_f32_e32 v24, v26, v25
	v_mul_f32_e32 v26, v33, v37
	v_fma_f32 v28, v37, v33, -v26
	v_fmac_f32_e32 v28, v37, v34
	v_add_f32_e32 v36, v27, v24
	v_add_f32_e32 v24, v26, v28
	v_sub_f32_e32 v27, v25, v24
	v_pk_add_f32 v[30:31], v[24:25], v[26:27] neg_lo:[0,1] neg_hi:[0,1]
	v_mov_b32_e32 v29, v24
	v_pk_add_f32 v[24:25], v[30:31], v[28:29] neg_lo:[0,1] neg_hi:[0,1]
	v_cmp_eq_f32_e32 vcc, s37, v49
	v_add_f32_e32 v25, v36, v25
	v_add_f32_e32 v24, v24, v25
	;; [unrolled: 1-line block ×3, first 2 shown]
	v_mul_f32_e32 v36, v35, v25
	v_mul_f32_e32 v26, v33, v36
	v_fma_f32 v28, v36, v33, -v26
	v_fmac_f32_e32 v28, v36, v34
	v_sub_f32_e32 v27, v27, v25
	v_add_f32_e32 v33, v24, v27
	v_add_f32_e32 v24, v26, v28
	v_sub_f32_e32 v27, v25, v24
	v_pk_add_f32 v[30:31], v[24:25], v[26:27] neg_lo:[0,1] neg_hi:[0,1]
	v_mov_b32_e32 v29, v24
	v_pk_add_f32 v[24:25], v[30:31], v[28:29] neg_lo:[0,1] neg_hi:[0,1]
	s_or_b64 vcc, s[2:3], vcc
	v_add_f32_e32 v25, v33, v25
	v_add_f32_e32 v24, v24, v25
	;; [unrolled: 1-line block ×4, first 2 shown]
	v_sub_f32_e32 v26, v25, v37
	v_mul_f32_e32 v24, v35, v24
	v_sub_f32_e32 v26, v36, v26
	v_add_f32_e32 v26, v26, v24
	v_add_f32_e32 v28, v25, v26
	v_mul_f32_e32 v29, v28, v28
	v_fmamk_f32 v24, v29, 0x3e9b6dac, v120
	v_fmaak_f32 v53, v29, v24, 0x3f2aaada
	v_cvt_f32_i32_e32 v24, v32
	v_sub_f32_e32 v25, v28, v25
	v_sub_f32_e32 v25, v26, v25
	v_ldexp_f32 v30, v25, 1
	v_mul_f32_e32 v25, v28, v29
	v_ldexp_f32 v27, v28, 1
	v_pk_mul_f32 v[28:29], v[24:25], v[52:53]
	s_nop 0
	v_fma_f32 v26, v24, s39, -v28
	v_fmac_f32_e32 v26, 0xb102e308, v24
	v_pk_add_f32 v[24:25], v[28:29], v[26:27]
	s_nop 0
	v_sub_f32_e32 v27, v25, v27
	v_sub_f32_e32 v27, v29, v27
	v_add_f32_e32 v31, v30, v27
	v_mov_b32_e32 v30, v28
	v_pk_add_f32 v[28:29], v[24:25], v[28:29] neg_lo:[0,1] neg_hi:[0,1]
	v_pk_add_f32 v[32:33], v[24:25], v[30:31]
	v_mov_b32_e32 v27, v24
	v_mov_b32_e32 v29, v33
	v_pk_add_f32 v[34:35], v[26:27], v[28:29] neg_lo:[0,1] neg_hi:[0,1]
	v_pk_add_f32 v[26:27], v[26:27], v[28:29]
	v_mov_b32_e32 v30, v31
	v_mov_b32_e32 v28, v27
	v_pk_add_f32 v[36:37], v[28:29], v[24:25] neg_lo:[0,1] neg_hi:[0,1]
	v_mov_b32_e32 v26, v33
	v_mov_b32_e32 v29, v36
	v_pk_add_f32 v[38:39], v[32:33], v[28:29] neg_lo:[0,1] neg_hi:[0,1]
	v_mov_b32_e32 v32, v25
	v_mov_b32_e32 v33, v36
	v_mov_b32_e32 v35, v27
	v_pk_add_f32 v[26:27], v[26:27], v[32:33] neg_lo:[0,1] neg_hi:[0,1]
	v_mov_b32_e32 v31, v24
	v_pk_add_f32 v[24:25], v[30:31], v[26:27] neg_lo:[0,1] neg_hi:[0,1]
	v_mov_b32_e32 v38, v34
	v_pk_add_f32 v[26:27], v[38:39], v[24:25]
	s_nop 0
	v_mov_b32_e32 v30, v27
	v_pk_add_f32 v[30:31], v[26:27], v[30:31]
	s_nop 0
	v_pk_add_f32 v[28:29], v[28:29], v[30:31]
	v_mov_b32_e32 v25, v30
	v_mov_b32_e32 v27, v28
	v_pk_add_f32 v[32:33], v[26:27], v[34:35] neg_lo:[0,1] neg_hi:[0,1]
	s_nop 0
	v_sub_f32_e32 v26, v26, v32
	v_pk_add_f32 v[24:25], v[24:25], v[32:33] neg_lo:[0,1] neg_hi:[0,1]
	v_sub_f32_e32 v26, v34, v26
	v_add_f32_e32 v24, v24, v26
	v_add_f32_e32 v24, v24, v25
	;; [unrolled: 1-line block ×3, first 2 shown]
	v_cndmask_b32_e32 v133, v24, v49, vcc
.LBB89_41:                              ;   in Loop: Header=BB89_13 Depth=1
	s_or_b64 exec, exec, s[30:31]
	v_cvt_f32_f16_e32 v24, v5
	v_add_f32_e32 v134, s33, v24
	v_cmp_ge_f32_e32 vcc, s67, v134
	s_and_b64 s[2:3], s[88:89], vcc
	s_and_saveexec_b64 s[30:31], s[2:3]
	s_cbranch_execz .LBB89_43
; %bb.42:                               ;   in Loop: Header=BB89_13 Depth=1
	v_mul_f32_e32 v24, 0x3fb8aa3b, v134
	v_rndne_f32_e32 v25, v24
	v_sub_f32_e32 v26, v24, v25
	v_fma_f32 v24, v134, s34, -v24
	v_fmac_f32_e32 v24, 0x32a5705f, v134
	v_add_f32_e32 v24, v26, v24
	v_cvt_i32_f32_e32 v25, v25
	v_exp_f32_e32 v24, v24
	v_cmp_ngt_f32_e32 vcc, s35, v134
	v_ldexp_f32 v24, v24, v25
	s_nop 0
	v_cndmask_b32_e32 v24, 0, v24, vcc
	v_cmp_nlt_f32_e32 vcc, s36, v134
	s_nop 1
	v_cndmask_b32_e32 v49, v121, v24, vcc
	v_add_f32_e32 v26, 1.0, v49
	v_add_f32_e32 v24, -1.0, v26
	v_sub_f32_e32 v25, v24, v26
	v_add_f32_e32 v25, 1.0, v25
	v_sub_f32_e32 v24, v49, v24
	v_add_f32_e32 v27, v24, v25
	v_frexp_mant_f32_e32 v28, v26
	v_cvt_f64_f32_e32 v[24:25], v26
	v_frexp_exp_i32_f64_e32 v24, v[24:25]
	v_cmp_gt_f32_e32 vcc, s38, v28
	v_cmp_gt_f32_e64 s[2:3], s40, v49
	s_nop 0
	v_subbrev_co_u32_e32 v32, vcc, 0, v24, vcc
	v_sub_u32_e32 v24, 0, v32
	v_ldexp_f32 v25, v26, v24
	v_add_f32_e32 v26, -1.0, v25
	v_add_f32_e32 v28, 1.0, v25
	v_ldexp_f32 v24, v27, v24
	v_add_f32_e32 v27, 1.0, v26
	v_add_f32_e32 v29, -1.0, v28
	v_sub_f32_e32 v27, v25, v27
	v_sub_f32_e32 v25, v25, v29
	v_add_f32_e32 v27, v24, v27
	v_add_f32_e32 v24, v24, v25
	;; [unrolled: 1-line block ×3, first 2 shown]
	v_rcp_f32_e32 v35, v33
	v_sub_f32_e32 v25, v28, v33
	v_add_f32_e32 v34, v24, v25
	v_add_f32_e32 v25, v26, v27
	v_mul_f32_e32 v37, v25, v35
	v_sub_f32_e32 v24, v26, v25
	v_mul_f32_e32 v26, v33, v37
	v_fma_f32 v28, v37, v33, -v26
	v_fmac_f32_e32 v28, v37, v34
	v_add_f32_e32 v36, v27, v24
	v_add_f32_e32 v24, v26, v28
	v_sub_f32_e32 v27, v25, v24
	v_pk_add_f32 v[30:31], v[24:25], v[26:27] neg_lo:[0,1] neg_hi:[0,1]
	v_mov_b32_e32 v29, v24
	v_pk_add_f32 v[24:25], v[30:31], v[28:29] neg_lo:[0,1] neg_hi:[0,1]
	v_cmp_eq_f32_e32 vcc, s37, v49
	v_add_f32_e32 v25, v36, v25
	v_add_f32_e32 v24, v24, v25
	;; [unrolled: 1-line block ×3, first 2 shown]
	v_mul_f32_e32 v36, v35, v25
	v_mul_f32_e32 v26, v33, v36
	v_fma_f32 v28, v36, v33, -v26
	v_fmac_f32_e32 v28, v36, v34
	v_sub_f32_e32 v27, v27, v25
	v_add_f32_e32 v33, v24, v27
	v_add_f32_e32 v24, v26, v28
	v_sub_f32_e32 v27, v25, v24
	v_pk_add_f32 v[30:31], v[24:25], v[26:27] neg_lo:[0,1] neg_hi:[0,1]
	v_mov_b32_e32 v29, v24
	v_pk_add_f32 v[24:25], v[30:31], v[28:29] neg_lo:[0,1] neg_hi:[0,1]
	s_or_b64 vcc, s[2:3], vcc
	v_add_f32_e32 v25, v33, v25
	v_add_f32_e32 v24, v24, v25
	;; [unrolled: 1-line block ×4, first 2 shown]
	v_sub_f32_e32 v26, v25, v37
	v_mul_f32_e32 v24, v35, v24
	v_sub_f32_e32 v26, v36, v26
	v_add_f32_e32 v26, v26, v24
	v_add_f32_e32 v28, v25, v26
	v_mul_f32_e32 v29, v28, v28
	v_fmamk_f32 v24, v29, 0x3e9b6dac, v120
	v_fmaak_f32 v53, v29, v24, 0x3f2aaada
	v_cvt_f32_i32_e32 v24, v32
	v_sub_f32_e32 v25, v28, v25
	v_sub_f32_e32 v25, v26, v25
	v_ldexp_f32 v30, v25, 1
	v_mul_f32_e32 v25, v28, v29
	v_ldexp_f32 v27, v28, 1
	v_pk_mul_f32 v[28:29], v[24:25], v[52:53]
	s_nop 0
	v_fma_f32 v26, v24, s39, -v28
	v_fmac_f32_e32 v26, 0xb102e308, v24
	v_pk_add_f32 v[24:25], v[28:29], v[26:27]
	s_nop 0
	v_sub_f32_e32 v27, v25, v27
	v_sub_f32_e32 v27, v29, v27
	v_add_f32_e32 v31, v30, v27
	v_mov_b32_e32 v30, v28
	v_pk_add_f32 v[28:29], v[24:25], v[28:29] neg_lo:[0,1] neg_hi:[0,1]
	v_pk_add_f32 v[32:33], v[24:25], v[30:31]
	v_mov_b32_e32 v27, v24
	v_mov_b32_e32 v29, v33
	v_pk_add_f32 v[34:35], v[26:27], v[28:29] neg_lo:[0,1] neg_hi:[0,1]
	v_pk_add_f32 v[26:27], v[26:27], v[28:29]
	v_mov_b32_e32 v30, v31
	v_mov_b32_e32 v28, v27
	v_pk_add_f32 v[36:37], v[28:29], v[24:25] neg_lo:[0,1] neg_hi:[0,1]
	v_mov_b32_e32 v26, v33
	v_mov_b32_e32 v29, v36
	v_pk_add_f32 v[38:39], v[32:33], v[28:29] neg_lo:[0,1] neg_hi:[0,1]
	v_mov_b32_e32 v32, v25
	v_mov_b32_e32 v33, v36
	;; [unrolled: 1-line block ×3, first 2 shown]
	v_pk_add_f32 v[26:27], v[26:27], v[32:33] neg_lo:[0,1] neg_hi:[0,1]
	v_mov_b32_e32 v31, v24
	v_pk_add_f32 v[24:25], v[30:31], v[26:27] neg_lo:[0,1] neg_hi:[0,1]
	v_mov_b32_e32 v38, v34
	v_pk_add_f32 v[26:27], v[38:39], v[24:25]
	s_nop 0
	v_mov_b32_e32 v30, v27
	v_pk_add_f32 v[30:31], v[26:27], v[30:31]
	s_nop 0
	v_pk_add_f32 v[28:29], v[28:29], v[30:31]
	v_mov_b32_e32 v25, v30
	v_mov_b32_e32 v27, v28
	v_pk_add_f32 v[32:33], v[26:27], v[34:35] neg_lo:[0,1] neg_hi:[0,1]
	s_nop 0
	v_sub_f32_e32 v26, v26, v32
	v_pk_add_f32 v[24:25], v[24:25], v[32:33] neg_lo:[0,1] neg_hi:[0,1]
	v_sub_f32_e32 v26, v34, v26
	v_add_f32_e32 v24, v24, v26
	v_add_f32_e32 v24, v24, v25
	;; [unrolled: 1-line block ×3, first 2 shown]
	v_cndmask_b32_e32 v134, v24, v49, vcc
.LBB89_43:                              ;   in Loop: Header=BB89_13 Depth=1
	s_or_b64 exec, exec, s[30:31]
	v_cvt_f32_f16_sdwa v24, v5 dst_sel:DWORD dst_unused:UNUSED_PAD src0_sel:WORD_1
	v_add_f32_e32 v135, s33, v24
	v_cmp_ge_f32_e32 vcc, s67, v135
	s_and_b64 s[2:3], s[88:89], vcc
	s_and_saveexec_b64 s[30:31], s[2:3]
	s_cbranch_execz .LBB89_45
; %bb.44:                               ;   in Loop: Header=BB89_13 Depth=1
	v_mul_f32_e32 v24, 0x3fb8aa3b, v135
	v_rndne_f32_e32 v25, v24
	v_sub_f32_e32 v26, v24, v25
	v_fma_f32 v24, v135, s34, -v24
	v_fmac_f32_e32 v24, 0x32a5705f, v135
	v_add_f32_e32 v24, v26, v24
	v_cvt_i32_f32_e32 v25, v25
	v_exp_f32_e32 v24, v24
	v_cmp_ngt_f32_e32 vcc, s35, v135
	v_ldexp_f32 v24, v24, v25
	s_nop 0
	v_cndmask_b32_e32 v24, 0, v24, vcc
	v_cmp_nlt_f32_e32 vcc, s36, v135
	s_nop 1
	v_cndmask_b32_e32 v49, v121, v24, vcc
	v_add_f32_e32 v26, 1.0, v49
	v_add_f32_e32 v24, -1.0, v26
	v_sub_f32_e32 v25, v24, v26
	v_add_f32_e32 v25, 1.0, v25
	v_sub_f32_e32 v24, v49, v24
	v_add_f32_e32 v27, v24, v25
	v_frexp_mant_f32_e32 v28, v26
	v_cvt_f64_f32_e32 v[24:25], v26
	v_frexp_exp_i32_f64_e32 v24, v[24:25]
	v_cmp_gt_f32_e32 vcc, s38, v28
	v_cmp_gt_f32_e64 s[2:3], s40, v49
	s_nop 0
	v_subbrev_co_u32_e32 v32, vcc, 0, v24, vcc
	v_sub_u32_e32 v24, 0, v32
	v_ldexp_f32 v25, v26, v24
	v_add_f32_e32 v26, -1.0, v25
	v_add_f32_e32 v28, 1.0, v25
	v_ldexp_f32 v24, v27, v24
	v_add_f32_e32 v27, 1.0, v26
	v_add_f32_e32 v29, -1.0, v28
	v_sub_f32_e32 v27, v25, v27
	v_sub_f32_e32 v25, v25, v29
	v_add_f32_e32 v27, v24, v27
	v_add_f32_e32 v24, v24, v25
	;; [unrolled: 1-line block ×3, first 2 shown]
	v_rcp_f32_e32 v35, v33
	v_sub_f32_e32 v25, v28, v33
	v_add_f32_e32 v34, v24, v25
	v_add_f32_e32 v25, v26, v27
	v_mul_f32_e32 v37, v25, v35
	v_sub_f32_e32 v24, v26, v25
	v_mul_f32_e32 v26, v33, v37
	v_fma_f32 v28, v37, v33, -v26
	v_fmac_f32_e32 v28, v37, v34
	v_add_f32_e32 v36, v27, v24
	v_add_f32_e32 v24, v26, v28
	v_sub_f32_e32 v27, v25, v24
	v_pk_add_f32 v[30:31], v[24:25], v[26:27] neg_lo:[0,1] neg_hi:[0,1]
	v_mov_b32_e32 v29, v24
	v_pk_add_f32 v[24:25], v[30:31], v[28:29] neg_lo:[0,1] neg_hi:[0,1]
	v_cmp_eq_f32_e32 vcc, s37, v49
	v_add_f32_e32 v25, v36, v25
	v_add_f32_e32 v24, v24, v25
	;; [unrolled: 1-line block ×3, first 2 shown]
	v_mul_f32_e32 v36, v35, v25
	v_mul_f32_e32 v26, v33, v36
	v_fma_f32 v28, v36, v33, -v26
	v_fmac_f32_e32 v28, v36, v34
	v_sub_f32_e32 v27, v27, v25
	v_add_f32_e32 v33, v24, v27
	v_add_f32_e32 v24, v26, v28
	v_sub_f32_e32 v27, v25, v24
	v_pk_add_f32 v[30:31], v[24:25], v[26:27] neg_lo:[0,1] neg_hi:[0,1]
	v_mov_b32_e32 v29, v24
	v_pk_add_f32 v[24:25], v[30:31], v[28:29] neg_lo:[0,1] neg_hi:[0,1]
	s_or_b64 vcc, s[2:3], vcc
	v_add_f32_e32 v25, v33, v25
	v_add_f32_e32 v24, v24, v25
	;; [unrolled: 1-line block ×4, first 2 shown]
	v_sub_f32_e32 v26, v25, v37
	v_mul_f32_e32 v24, v35, v24
	v_sub_f32_e32 v26, v36, v26
	v_add_f32_e32 v26, v26, v24
	v_add_f32_e32 v28, v25, v26
	v_mul_f32_e32 v29, v28, v28
	v_fmamk_f32 v24, v29, 0x3e9b6dac, v120
	v_fmaak_f32 v53, v29, v24, 0x3f2aaada
	v_cvt_f32_i32_e32 v24, v32
	v_sub_f32_e32 v25, v28, v25
	v_sub_f32_e32 v25, v26, v25
	v_ldexp_f32 v30, v25, 1
	v_mul_f32_e32 v25, v28, v29
	v_ldexp_f32 v27, v28, 1
	v_pk_mul_f32 v[28:29], v[24:25], v[52:53]
	s_nop 0
	v_fma_f32 v26, v24, s39, -v28
	v_fmac_f32_e32 v26, 0xb102e308, v24
	v_pk_add_f32 v[24:25], v[28:29], v[26:27]
	s_nop 0
	v_sub_f32_e32 v27, v25, v27
	v_sub_f32_e32 v27, v29, v27
	v_add_f32_e32 v31, v30, v27
	v_mov_b32_e32 v30, v28
	v_pk_add_f32 v[28:29], v[24:25], v[28:29] neg_lo:[0,1] neg_hi:[0,1]
	v_pk_add_f32 v[32:33], v[24:25], v[30:31]
	v_mov_b32_e32 v27, v24
	v_mov_b32_e32 v29, v33
	v_pk_add_f32 v[34:35], v[26:27], v[28:29] neg_lo:[0,1] neg_hi:[0,1]
	v_pk_add_f32 v[26:27], v[26:27], v[28:29]
	v_mov_b32_e32 v30, v31
	v_mov_b32_e32 v28, v27
	v_pk_add_f32 v[36:37], v[28:29], v[24:25] neg_lo:[0,1] neg_hi:[0,1]
	v_mov_b32_e32 v26, v33
	v_mov_b32_e32 v29, v36
	v_pk_add_f32 v[38:39], v[32:33], v[28:29] neg_lo:[0,1] neg_hi:[0,1]
	v_mov_b32_e32 v32, v25
	v_mov_b32_e32 v33, v36
	;; [unrolled: 1-line block ×3, first 2 shown]
	v_pk_add_f32 v[26:27], v[26:27], v[32:33] neg_lo:[0,1] neg_hi:[0,1]
	v_mov_b32_e32 v31, v24
	v_pk_add_f32 v[24:25], v[30:31], v[26:27] neg_lo:[0,1] neg_hi:[0,1]
	v_mov_b32_e32 v38, v34
	v_pk_add_f32 v[26:27], v[38:39], v[24:25]
	s_nop 0
	v_mov_b32_e32 v30, v27
	v_pk_add_f32 v[30:31], v[26:27], v[30:31]
	s_nop 0
	v_pk_add_f32 v[28:29], v[28:29], v[30:31]
	v_mov_b32_e32 v25, v30
	v_mov_b32_e32 v27, v28
	v_pk_add_f32 v[32:33], v[26:27], v[34:35] neg_lo:[0,1] neg_hi:[0,1]
	s_nop 0
	v_sub_f32_e32 v26, v26, v32
	v_pk_add_f32 v[24:25], v[24:25], v[32:33] neg_lo:[0,1] neg_hi:[0,1]
	v_sub_f32_e32 v26, v34, v26
	v_add_f32_e32 v24, v24, v26
	v_add_f32_e32 v24, v24, v25
	;; [unrolled: 1-line block ×3, first 2 shown]
	v_cndmask_b32_e32 v135, v24, v49, vcc
.LBB89_45:                              ;   in Loop: Header=BB89_13 Depth=1
	s_or_b64 exec, exec, s[30:31]
	v_cvt_f32_f16_e32 v24, v6
	v_add_f32_e32 v136, s33, v24
	v_cmp_ge_f32_e32 vcc, s67, v136
	s_and_b64 s[2:3], s[88:89], vcc
	s_and_saveexec_b64 s[30:31], s[2:3]
	s_cbranch_execz .LBB89_47
; %bb.46:                               ;   in Loop: Header=BB89_13 Depth=1
	v_mul_f32_e32 v24, 0x3fb8aa3b, v136
	v_rndne_f32_e32 v25, v24
	v_sub_f32_e32 v26, v24, v25
	v_fma_f32 v24, v136, s34, -v24
	v_fmac_f32_e32 v24, 0x32a5705f, v136
	v_add_f32_e32 v24, v26, v24
	v_cvt_i32_f32_e32 v25, v25
	v_exp_f32_e32 v24, v24
	v_cmp_ngt_f32_e32 vcc, s35, v136
	v_ldexp_f32 v24, v24, v25
	s_nop 0
	v_cndmask_b32_e32 v24, 0, v24, vcc
	v_cmp_nlt_f32_e32 vcc, s36, v136
	s_nop 1
	v_cndmask_b32_e32 v49, v121, v24, vcc
	v_add_f32_e32 v26, 1.0, v49
	v_add_f32_e32 v24, -1.0, v26
	v_sub_f32_e32 v25, v24, v26
	v_add_f32_e32 v25, 1.0, v25
	v_sub_f32_e32 v24, v49, v24
	v_add_f32_e32 v27, v24, v25
	v_frexp_mant_f32_e32 v28, v26
	v_cvt_f64_f32_e32 v[24:25], v26
	v_frexp_exp_i32_f64_e32 v24, v[24:25]
	v_cmp_gt_f32_e32 vcc, s38, v28
	v_cmp_gt_f32_e64 s[2:3], s40, v49
	s_nop 0
	v_subbrev_co_u32_e32 v32, vcc, 0, v24, vcc
	v_sub_u32_e32 v24, 0, v32
	v_ldexp_f32 v25, v26, v24
	v_add_f32_e32 v26, -1.0, v25
	v_add_f32_e32 v28, 1.0, v25
	v_ldexp_f32 v24, v27, v24
	v_add_f32_e32 v27, 1.0, v26
	v_add_f32_e32 v29, -1.0, v28
	v_sub_f32_e32 v27, v25, v27
	v_sub_f32_e32 v25, v25, v29
	v_add_f32_e32 v27, v24, v27
	v_add_f32_e32 v24, v24, v25
	;; [unrolled: 1-line block ×3, first 2 shown]
	v_rcp_f32_e32 v35, v33
	v_sub_f32_e32 v25, v28, v33
	v_add_f32_e32 v34, v24, v25
	v_add_f32_e32 v25, v26, v27
	v_mul_f32_e32 v37, v25, v35
	v_sub_f32_e32 v24, v26, v25
	v_mul_f32_e32 v26, v33, v37
	v_fma_f32 v28, v37, v33, -v26
	v_fmac_f32_e32 v28, v37, v34
	v_add_f32_e32 v36, v27, v24
	v_add_f32_e32 v24, v26, v28
	v_sub_f32_e32 v27, v25, v24
	v_pk_add_f32 v[30:31], v[24:25], v[26:27] neg_lo:[0,1] neg_hi:[0,1]
	v_mov_b32_e32 v29, v24
	v_pk_add_f32 v[24:25], v[30:31], v[28:29] neg_lo:[0,1] neg_hi:[0,1]
	v_cmp_eq_f32_e32 vcc, s37, v49
	v_add_f32_e32 v25, v36, v25
	v_add_f32_e32 v24, v24, v25
	;; [unrolled: 1-line block ×3, first 2 shown]
	v_mul_f32_e32 v36, v35, v25
	v_mul_f32_e32 v26, v33, v36
	v_fma_f32 v28, v36, v33, -v26
	v_fmac_f32_e32 v28, v36, v34
	v_sub_f32_e32 v27, v27, v25
	v_add_f32_e32 v33, v24, v27
	v_add_f32_e32 v24, v26, v28
	v_sub_f32_e32 v27, v25, v24
	v_pk_add_f32 v[30:31], v[24:25], v[26:27] neg_lo:[0,1] neg_hi:[0,1]
	v_mov_b32_e32 v29, v24
	v_pk_add_f32 v[24:25], v[30:31], v[28:29] neg_lo:[0,1] neg_hi:[0,1]
	s_or_b64 vcc, s[2:3], vcc
	v_add_f32_e32 v25, v33, v25
	v_add_f32_e32 v24, v24, v25
	;; [unrolled: 1-line block ×4, first 2 shown]
	v_sub_f32_e32 v26, v25, v37
	v_mul_f32_e32 v24, v35, v24
	v_sub_f32_e32 v26, v36, v26
	v_add_f32_e32 v26, v26, v24
	v_add_f32_e32 v28, v25, v26
	v_mul_f32_e32 v29, v28, v28
	v_fmamk_f32 v24, v29, 0x3e9b6dac, v120
	v_fmaak_f32 v53, v29, v24, 0x3f2aaada
	v_cvt_f32_i32_e32 v24, v32
	v_sub_f32_e32 v25, v28, v25
	v_sub_f32_e32 v25, v26, v25
	v_ldexp_f32 v30, v25, 1
	v_mul_f32_e32 v25, v28, v29
	v_ldexp_f32 v27, v28, 1
	v_pk_mul_f32 v[28:29], v[24:25], v[52:53]
	s_nop 0
	v_fma_f32 v26, v24, s39, -v28
	v_fmac_f32_e32 v26, 0xb102e308, v24
	v_pk_add_f32 v[24:25], v[28:29], v[26:27]
	s_nop 0
	v_sub_f32_e32 v27, v25, v27
	v_sub_f32_e32 v27, v29, v27
	v_add_f32_e32 v31, v30, v27
	v_mov_b32_e32 v30, v28
	v_pk_add_f32 v[28:29], v[24:25], v[28:29] neg_lo:[0,1] neg_hi:[0,1]
	v_pk_add_f32 v[32:33], v[24:25], v[30:31]
	v_mov_b32_e32 v27, v24
	v_mov_b32_e32 v29, v33
	v_pk_add_f32 v[34:35], v[26:27], v[28:29] neg_lo:[0,1] neg_hi:[0,1]
	v_pk_add_f32 v[26:27], v[26:27], v[28:29]
	v_mov_b32_e32 v30, v31
	v_mov_b32_e32 v28, v27
	v_pk_add_f32 v[36:37], v[28:29], v[24:25] neg_lo:[0,1] neg_hi:[0,1]
	v_mov_b32_e32 v26, v33
	v_mov_b32_e32 v29, v36
	v_pk_add_f32 v[38:39], v[32:33], v[28:29] neg_lo:[0,1] neg_hi:[0,1]
	v_mov_b32_e32 v32, v25
	v_mov_b32_e32 v33, v36
	;; [unrolled: 1-line block ×3, first 2 shown]
	v_pk_add_f32 v[26:27], v[26:27], v[32:33] neg_lo:[0,1] neg_hi:[0,1]
	v_mov_b32_e32 v31, v24
	v_pk_add_f32 v[24:25], v[30:31], v[26:27] neg_lo:[0,1] neg_hi:[0,1]
	v_mov_b32_e32 v38, v34
	v_pk_add_f32 v[26:27], v[38:39], v[24:25]
	s_nop 0
	v_mov_b32_e32 v30, v27
	v_pk_add_f32 v[30:31], v[26:27], v[30:31]
	s_nop 0
	v_pk_add_f32 v[28:29], v[28:29], v[30:31]
	v_mov_b32_e32 v25, v30
	v_mov_b32_e32 v27, v28
	v_pk_add_f32 v[32:33], v[26:27], v[34:35] neg_lo:[0,1] neg_hi:[0,1]
	s_nop 0
	v_sub_f32_e32 v26, v26, v32
	v_pk_add_f32 v[24:25], v[24:25], v[32:33] neg_lo:[0,1] neg_hi:[0,1]
	v_sub_f32_e32 v26, v34, v26
	v_add_f32_e32 v24, v24, v26
	v_add_f32_e32 v24, v24, v25
	;; [unrolled: 1-line block ×3, first 2 shown]
	v_cndmask_b32_e32 v136, v24, v49, vcc
.LBB89_47:                              ;   in Loop: Header=BB89_13 Depth=1
	s_or_b64 exec, exec, s[30:31]
	v_cvt_f32_f16_sdwa v24, v6 dst_sel:DWORD dst_unused:UNUSED_PAD src0_sel:WORD_1
	v_add_f32_e32 v137, s33, v24
	v_cmp_ge_f32_e32 vcc, s67, v137
	s_and_b64 s[2:3], s[88:89], vcc
	s_and_saveexec_b64 s[30:31], s[2:3]
	s_cbranch_execz .LBB89_49
; %bb.48:                               ;   in Loop: Header=BB89_13 Depth=1
	v_mul_f32_e32 v24, 0x3fb8aa3b, v137
	v_rndne_f32_e32 v25, v24
	v_sub_f32_e32 v26, v24, v25
	v_fma_f32 v24, v137, s34, -v24
	v_fmac_f32_e32 v24, 0x32a5705f, v137
	v_add_f32_e32 v24, v26, v24
	v_cvt_i32_f32_e32 v25, v25
	v_exp_f32_e32 v24, v24
	v_cmp_ngt_f32_e32 vcc, s35, v137
	v_ldexp_f32 v24, v24, v25
	s_nop 0
	v_cndmask_b32_e32 v24, 0, v24, vcc
	v_cmp_nlt_f32_e32 vcc, s36, v137
	s_nop 1
	v_cndmask_b32_e32 v49, v121, v24, vcc
	v_add_f32_e32 v26, 1.0, v49
	v_add_f32_e32 v24, -1.0, v26
	v_sub_f32_e32 v25, v24, v26
	v_add_f32_e32 v25, 1.0, v25
	v_sub_f32_e32 v24, v49, v24
	v_add_f32_e32 v27, v24, v25
	v_frexp_mant_f32_e32 v28, v26
	v_cvt_f64_f32_e32 v[24:25], v26
	v_frexp_exp_i32_f64_e32 v24, v[24:25]
	v_cmp_gt_f32_e32 vcc, s38, v28
	v_cmp_gt_f32_e64 s[2:3], s40, v49
	s_nop 0
	v_subbrev_co_u32_e32 v32, vcc, 0, v24, vcc
	v_sub_u32_e32 v24, 0, v32
	v_ldexp_f32 v25, v26, v24
	v_add_f32_e32 v26, -1.0, v25
	v_add_f32_e32 v28, 1.0, v25
	v_ldexp_f32 v24, v27, v24
	v_add_f32_e32 v27, 1.0, v26
	v_add_f32_e32 v29, -1.0, v28
	v_sub_f32_e32 v27, v25, v27
	v_sub_f32_e32 v25, v25, v29
	v_add_f32_e32 v27, v24, v27
	v_add_f32_e32 v24, v24, v25
	;; [unrolled: 1-line block ×3, first 2 shown]
	v_rcp_f32_e32 v35, v33
	v_sub_f32_e32 v25, v28, v33
	v_add_f32_e32 v34, v24, v25
	v_add_f32_e32 v25, v26, v27
	v_mul_f32_e32 v37, v25, v35
	v_sub_f32_e32 v24, v26, v25
	v_mul_f32_e32 v26, v33, v37
	v_fma_f32 v28, v37, v33, -v26
	v_fmac_f32_e32 v28, v37, v34
	v_add_f32_e32 v36, v27, v24
	v_add_f32_e32 v24, v26, v28
	v_sub_f32_e32 v27, v25, v24
	v_pk_add_f32 v[30:31], v[24:25], v[26:27] neg_lo:[0,1] neg_hi:[0,1]
	v_mov_b32_e32 v29, v24
	v_pk_add_f32 v[24:25], v[30:31], v[28:29] neg_lo:[0,1] neg_hi:[0,1]
	v_cmp_eq_f32_e32 vcc, s37, v49
	v_add_f32_e32 v25, v36, v25
	v_add_f32_e32 v24, v24, v25
	;; [unrolled: 1-line block ×3, first 2 shown]
	v_mul_f32_e32 v36, v35, v25
	v_mul_f32_e32 v26, v33, v36
	v_fma_f32 v28, v36, v33, -v26
	v_fmac_f32_e32 v28, v36, v34
	v_sub_f32_e32 v27, v27, v25
	v_add_f32_e32 v33, v24, v27
	v_add_f32_e32 v24, v26, v28
	v_sub_f32_e32 v27, v25, v24
	v_pk_add_f32 v[30:31], v[24:25], v[26:27] neg_lo:[0,1] neg_hi:[0,1]
	v_mov_b32_e32 v29, v24
	v_pk_add_f32 v[24:25], v[30:31], v[28:29] neg_lo:[0,1] neg_hi:[0,1]
	s_or_b64 vcc, s[2:3], vcc
	v_add_f32_e32 v25, v33, v25
	v_add_f32_e32 v24, v24, v25
	;; [unrolled: 1-line block ×4, first 2 shown]
	v_sub_f32_e32 v26, v25, v37
	v_mul_f32_e32 v24, v35, v24
	v_sub_f32_e32 v26, v36, v26
	v_add_f32_e32 v26, v26, v24
	v_add_f32_e32 v28, v25, v26
	v_mul_f32_e32 v29, v28, v28
	v_fmamk_f32 v24, v29, 0x3e9b6dac, v120
	v_fmaak_f32 v53, v29, v24, 0x3f2aaada
	v_cvt_f32_i32_e32 v24, v32
	v_sub_f32_e32 v25, v28, v25
	v_sub_f32_e32 v25, v26, v25
	v_ldexp_f32 v30, v25, 1
	v_mul_f32_e32 v25, v28, v29
	v_ldexp_f32 v27, v28, 1
	v_pk_mul_f32 v[28:29], v[24:25], v[52:53]
	s_nop 0
	v_fma_f32 v26, v24, s39, -v28
	v_fmac_f32_e32 v26, 0xb102e308, v24
	v_pk_add_f32 v[24:25], v[28:29], v[26:27]
	s_nop 0
	v_sub_f32_e32 v27, v25, v27
	v_sub_f32_e32 v27, v29, v27
	v_add_f32_e32 v31, v30, v27
	v_mov_b32_e32 v30, v28
	v_pk_add_f32 v[28:29], v[24:25], v[28:29] neg_lo:[0,1] neg_hi:[0,1]
	v_pk_add_f32 v[32:33], v[24:25], v[30:31]
	v_mov_b32_e32 v27, v24
	v_mov_b32_e32 v29, v33
	v_pk_add_f32 v[34:35], v[26:27], v[28:29] neg_lo:[0,1] neg_hi:[0,1]
	v_pk_add_f32 v[26:27], v[26:27], v[28:29]
	v_mov_b32_e32 v30, v31
	v_mov_b32_e32 v28, v27
	v_pk_add_f32 v[36:37], v[28:29], v[24:25] neg_lo:[0,1] neg_hi:[0,1]
	v_mov_b32_e32 v26, v33
	v_mov_b32_e32 v29, v36
	v_pk_add_f32 v[38:39], v[32:33], v[28:29] neg_lo:[0,1] neg_hi:[0,1]
	v_mov_b32_e32 v32, v25
	v_mov_b32_e32 v33, v36
	;; [unrolled: 1-line block ×3, first 2 shown]
	v_pk_add_f32 v[26:27], v[26:27], v[32:33] neg_lo:[0,1] neg_hi:[0,1]
	v_mov_b32_e32 v31, v24
	v_pk_add_f32 v[24:25], v[30:31], v[26:27] neg_lo:[0,1] neg_hi:[0,1]
	v_mov_b32_e32 v38, v34
	v_pk_add_f32 v[26:27], v[38:39], v[24:25]
	s_nop 0
	v_mov_b32_e32 v30, v27
	v_pk_add_f32 v[30:31], v[26:27], v[30:31]
	s_nop 0
	v_pk_add_f32 v[28:29], v[28:29], v[30:31]
	v_mov_b32_e32 v25, v30
	v_mov_b32_e32 v27, v28
	v_pk_add_f32 v[32:33], v[26:27], v[34:35] neg_lo:[0,1] neg_hi:[0,1]
	s_nop 0
	v_sub_f32_e32 v26, v26, v32
	v_pk_add_f32 v[24:25], v[24:25], v[32:33] neg_lo:[0,1] neg_hi:[0,1]
	v_sub_f32_e32 v26, v34, v26
	v_add_f32_e32 v24, v24, v26
	v_add_f32_e32 v24, v24, v25
	;; [unrolled: 1-line block ×3, first 2 shown]
	v_cndmask_b32_e32 v137, v24, v49, vcc
.LBB89_49:                              ;   in Loop: Header=BB89_13 Depth=1
	s_or_b64 exec, exec, s[30:31]
	v_cvt_f32_f16_e32 v24, v7
	v_add_f32_e32 v70, s33, v24
	v_cmp_ge_f32_e32 vcc, s67, v70
	s_and_b64 s[2:3], s[88:89], vcc
	s_and_saveexec_b64 s[30:31], s[2:3]
	s_cbranch_execz .LBB89_51
; %bb.50:                               ;   in Loop: Header=BB89_13 Depth=1
	v_mul_f32_e32 v24, 0x3fb8aa3b, v70
	v_rndne_f32_e32 v25, v24
	v_sub_f32_e32 v26, v24, v25
	v_fma_f32 v24, v70, s34, -v24
	v_fmac_f32_e32 v24, 0x32a5705f, v70
	v_add_f32_e32 v24, v26, v24
	v_cvt_i32_f32_e32 v25, v25
	v_exp_f32_e32 v24, v24
	v_cmp_ngt_f32_e32 vcc, s35, v70
	v_ldexp_f32 v24, v24, v25
	s_nop 0
	v_cndmask_b32_e32 v24, 0, v24, vcc
	v_cmp_nlt_f32_e32 vcc, s36, v70
	s_nop 1
	v_cndmask_b32_e32 v49, v121, v24, vcc
	v_add_f32_e32 v26, 1.0, v49
	v_add_f32_e32 v24, -1.0, v26
	v_sub_f32_e32 v25, v24, v26
	v_add_f32_e32 v25, 1.0, v25
	v_sub_f32_e32 v24, v49, v24
	v_add_f32_e32 v27, v24, v25
	v_frexp_mant_f32_e32 v28, v26
	v_cvt_f64_f32_e32 v[24:25], v26
	v_frexp_exp_i32_f64_e32 v24, v[24:25]
	v_cmp_gt_f32_e32 vcc, s38, v28
	v_cmp_gt_f32_e64 s[2:3], s40, v49
	s_nop 0
	v_subbrev_co_u32_e32 v32, vcc, 0, v24, vcc
	v_sub_u32_e32 v24, 0, v32
	v_ldexp_f32 v25, v26, v24
	v_add_f32_e32 v26, -1.0, v25
	v_add_f32_e32 v28, 1.0, v25
	v_ldexp_f32 v24, v27, v24
	v_add_f32_e32 v27, 1.0, v26
	v_add_f32_e32 v29, -1.0, v28
	v_sub_f32_e32 v27, v25, v27
	v_sub_f32_e32 v25, v25, v29
	v_add_f32_e32 v27, v24, v27
	v_add_f32_e32 v24, v24, v25
	;; [unrolled: 1-line block ×3, first 2 shown]
	v_rcp_f32_e32 v35, v33
	v_sub_f32_e32 v25, v28, v33
	v_add_f32_e32 v34, v24, v25
	v_add_f32_e32 v25, v26, v27
	v_mul_f32_e32 v37, v25, v35
	v_sub_f32_e32 v24, v26, v25
	v_mul_f32_e32 v26, v33, v37
	v_fma_f32 v28, v37, v33, -v26
	v_fmac_f32_e32 v28, v37, v34
	v_add_f32_e32 v36, v27, v24
	v_add_f32_e32 v24, v26, v28
	v_sub_f32_e32 v27, v25, v24
	v_pk_add_f32 v[30:31], v[24:25], v[26:27] neg_lo:[0,1] neg_hi:[0,1]
	v_mov_b32_e32 v29, v24
	v_pk_add_f32 v[24:25], v[30:31], v[28:29] neg_lo:[0,1] neg_hi:[0,1]
	v_cmp_eq_f32_e32 vcc, s37, v49
	v_add_f32_e32 v25, v36, v25
	v_add_f32_e32 v24, v24, v25
	;; [unrolled: 1-line block ×3, first 2 shown]
	v_mul_f32_e32 v36, v35, v25
	v_mul_f32_e32 v26, v33, v36
	v_fma_f32 v28, v36, v33, -v26
	v_fmac_f32_e32 v28, v36, v34
	v_sub_f32_e32 v27, v27, v25
	v_add_f32_e32 v33, v24, v27
	v_add_f32_e32 v24, v26, v28
	v_sub_f32_e32 v27, v25, v24
	v_pk_add_f32 v[30:31], v[24:25], v[26:27] neg_lo:[0,1] neg_hi:[0,1]
	v_mov_b32_e32 v29, v24
	v_pk_add_f32 v[24:25], v[30:31], v[28:29] neg_lo:[0,1] neg_hi:[0,1]
	s_or_b64 vcc, s[2:3], vcc
	v_add_f32_e32 v25, v33, v25
	v_add_f32_e32 v24, v24, v25
	v_add_f32_e32 v25, v37, v36
	v_add_f32_e32 v24, v27, v24
	v_sub_f32_e32 v26, v25, v37
	v_mul_f32_e32 v24, v35, v24
	v_sub_f32_e32 v26, v36, v26
	v_add_f32_e32 v26, v26, v24
	v_add_f32_e32 v28, v25, v26
	v_mul_f32_e32 v29, v28, v28
	v_fmamk_f32 v24, v29, 0x3e9b6dac, v120
	v_fmaak_f32 v53, v29, v24, 0x3f2aaada
	v_cvt_f32_i32_e32 v24, v32
	v_sub_f32_e32 v25, v28, v25
	v_sub_f32_e32 v25, v26, v25
	v_ldexp_f32 v30, v25, 1
	v_mul_f32_e32 v25, v28, v29
	v_ldexp_f32 v27, v28, 1
	v_pk_mul_f32 v[28:29], v[24:25], v[52:53]
	s_nop 0
	v_fma_f32 v26, v24, s39, -v28
	v_fmac_f32_e32 v26, 0xb102e308, v24
	v_pk_add_f32 v[24:25], v[28:29], v[26:27]
	s_nop 0
	v_sub_f32_e32 v27, v25, v27
	v_sub_f32_e32 v27, v29, v27
	v_add_f32_e32 v31, v30, v27
	v_mov_b32_e32 v30, v28
	v_pk_add_f32 v[28:29], v[24:25], v[28:29] neg_lo:[0,1] neg_hi:[0,1]
	v_pk_add_f32 v[32:33], v[24:25], v[30:31]
	v_mov_b32_e32 v27, v24
	v_mov_b32_e32 v29, v33
	v_pk_add_f32 v[34:35], v[26:27], v[28:29] neg_lo:[0,1] neg_hi:[0,1]
	v_pk_add_f32 v[26:27], v[26:27], v[28:29]
	v_mov_b32_e32 v30, v31
	v_mov_b32_e32 v28, v27
	v_pk_add_f32 v[36:37], v[28:29], v[24:25] neg_lo:[0,1] neg_hi:[0,1]
	v_mov_b32_e32 v26, v33
	v_mov_b32_e32 v29, v36
	v_pk_add_f32 v[38:39], v[32:33], v[28:29] neg_lo:[0,1] neg_hi:[0,1]
	v_mov_b32_e32 v32, v25
	v_mov_b32_e32 v33, v36
	;; [unrolled: 1-line block ×3, first 2 shown]
	v_pk_add_f32 v[26:27], v[26:27], v[32:33] neg_lo:[0,1] neg_hi:[0,1]
	v_mov_b32_e32 v31, v24
	v_pk_add_f32 v[24:25], v[30:31], v[26:27] neg_lo:[0,1] neg_hi:[0,1]
	v_mov_b32_e32 v38, v34
	v_pk_add_f32 v[26:27], v[38:39], v[24:25]
	s_nop 0
	v_mov_b32_e32 v30, v27
	v_pk_add_f32 v[30:31], v[26:27], v[30:31]
	s_nop 0
	v_pk_add_f32 v[28:29], v[28:29], v[30:31]
	v_mov_b32_e32 v25, v30
	v_mov_b32_e32 v27, v28
	v_pk_add_f32 v[32:33], v[26:27], v[34:35] neg_lo:[0,1] neg_hi:[0,1]
	s_nop 0
	v_sub_f32_e32 v26, v26, v32
	v_pk_add_f32 v[24:25], v[24:25], v[32:33] neg_lo:[0,1] neg_hi:[0,1]
	v_sub_f32_e32 v26, v34, v26
	v_add_f32_e32 v24, v24, v26
	v_add_f32_e32 v24, v24, v25
	;; [unrolled: 1-line block ×3, first 2 shown]
	v_cndmask_b32_e32 v70, v24, v49, vcc
.LBB89_51:                              ;   in Loop: Header=BB89_13 Depth=1
	s_or_b64 exec, exec, s[30:31]
	v_cvt_f32_f16_sdwa v24, v7 dst_sel:DWORD dst_unused:UNUSED_PAD src0_sel:WORD_1
	v_add_f32_e32 v71, s33, v24
	v_cmp_ge_f32_e32 vcc, s67, v71
	s_and_b64 s[2:3], s[88:89], vcc
	s_and_saveexec_b64 s[30:31], s[2:3]
	s_cbranch_execz .LBB89_53
; %bb.52:                               ;   in Loop: Header=BB89_13 Depth=1
	v_mul_f32_e32 v24, 0x3fb8aa3b, v71
	v_rndne_f32_e32 v25, v24
	v_sub_f32_e32 v26, v24, v25
	v_fma_f32 v24, v71, s34, -v24
	v_fmac_f32_e32 v24, 0x32a5705f, v71
	v_add_f32_e32 v24, v26, v24
	v_cvt_i32_f32_e32 v25, v25
	v_exp_f32_e32 v24, v24
	v_cmp_ngt_f32_e32 vcc, s35, v71
	v_ldexp_f32 v24, v24, v25
	s_nop 0
	v_cndmask_b32_e32 v24, 0, v24, vcc
	v_cmp_nlt_f32_e32 vcc, s36, v71
	s_nop 1
	v_cndmask_b32_e32 v49, v121, v24, vcc
	v_add_f32_e32 v26, 1.0, v49
	v_add_f32_e32 v24, -1.0, v26
	v_sub_f32_e32 v25, v24, v26
	v_add_f32_e32 v25, 1.0, v25
	v_sub_f32_e32 v24, v49, v24
	v_add_f32_e32 v27, v24, v25
	v_frexp_mant_f32_e32 v28, v26
	v_cvt_f64_f32_e32 v[24:25], v26
	v_frexp_exp_i32_f64_e32 v24, v[24:25]
	v_cmp_gt_f32_e32 vcc, s38, v28
	v_cmp_gt_f32_e64 s[2:3], s40, v49
	s_nop 0
	v_subbrev_co_u32_e32 v32, vcc, 0, v24, vcc
	v_sub_u32_e32 v24, 0, v32
	v_ldexp_f32 v25, v26, v24
	v_add_f32_e32 v26, -1.0, v25
	v_add_f32_e32 v28, 1.0, v25
	v_ldexp_f32 v24, v27, v24
	v_add_f32_e32 v27, 1.0, v26
	v_add_f32_e32 v29, -1.0, v28
	v_sub_f32_e32 v27, v25, v27
	v_sub_f32_e32 v25, v25, v29
	v_add_f32_e32 v27, v24, v27
	v_add_f32_e32 v24, v24, v25
	;; [unrolled: 1-line block ×3, first 2 shown]
	v_rcp_f32_e32 v35, v33
	v_sub_f32_e32 v25, v28, v33
	v_add_f32_e32 v34, v24, v25
	v_add_f32_e32 v25, v26, v27
	v_mul_f32_e32 v37, v25, v35
	v_sub_f32_e32 v24, v26, v25
	v_mul_f32_e32 v26, v33, v37
	v_fma_f32 v28, v37, v33, -v26
	v_fmac_f32_e32 v28, v37, v34
	v_add_f32_e32 v36, v27, v24
	v_add_f32_e32 v24, v26, v28
	v_sub_f32_e32 v27, v25, v24
	v_pk_add_f32 v[30:31], v[24:25], v[26:27] neg_lo:[0,1] neg_hi:[0,1]
	v_mov_b32_e32 v29, v24
	v_pk_add_f32 v[24:25], v[30:31], v[28:29] neg_lo:[0,1] neg_hi:[0,1]
	v_cmp_eq_f32_e32 vcc, s37, v49
	v_add_f32_e32 v25, v36, v25
	v_add_f32_e32 v24, v24, v25
	;; [unrolled: 1-line block ×3, first 2 shown]
	v_mul_f32_e32 v36, v35, v25
	v_mul_f32_e32 v26, v33, v36
	v_fma_f32 v28, v36, v33, -v26
	v_fmac_f32_e32 v28, v36, v34
	v_sub_f32_e32 v27, v27, v25
	v_add_f32_e32 v33, v24, v27
	v_add_f32_e32 v24, v26, v28
	v_sub_f32_e32 v27, v25, v24
	v_pk_add_f32 v[30:31], v[24:25], v[26:27] neg_lo:[0,1] neg_hi:[0,1]
	v_mov_b32_e32 v29, v24
	v_pk_add_f32 v[24:25], v[30:31], v[28:29] neg_lo:[0,1] neg_hi:[0,1]
	s_or_b64 vcc, s[2:3], vcc
	v_add_f32_e32 v25, v33, v25
	v_add_f32_e32 v24, v24, v25
	;; [unrolled: 1-line block ×4, first 2 shown]
	v_sub_f32_e32 v26, v25, v37
	v_mul_f32_e32 v24, v35, v24
	v_sub_f32_e32 v26, v36, v26
	v_add_f32_e32 v26, v26, v24
	v_add_f32_e32 v28, v25, v26
	v_mul_f32_e32 v29, v28, v28
	v_fmamk_f32 v24, v29, 0x3e9b6dac, v120
	v_fmaak_f32 v53, v29, v24, 0x3f2aaada
	v_cvt_f32_i32_e32 v24, v32
	v_sub_f32_e32 v25, v28, v25
	v_sub_f32_e32 v25, v26, v25
	v_ldexp_f32 v30, v25, 1
	v_mul_f32_e32 v25, v28, v29
	v_ldexp_f32 v27, v28, 1
	v_pk_mul_f32 v[28:29], v[24:25], v[52:53]
	s_nop 0
	v_fma_f32 v26, v24, s39, -v28
	v_fmac_f32_e32 v26, 0xb102e308, v24
	v_pk_add_f32 v[24:25], v[28:29], v[26:27]
	s_nop 0
	v_sub_f32_e32 v27, v25, v27
	v_sub_f32_e32 v27, v29, v27
	v_add_f32_e32 v31, v30, v27
	v_mov_b32_e32 v30, v28
	v_pk_add_f32 v[28:29], v[24:25], v[28:29] neg_lo:[0,1] neg_hi:[0,1]
	v_pk_add_f32 v[32:33], v[24:25], v[30:31]
	v_mov_b32_e32 v27, v24
	v_mov_b32_e32 v29, v33
	v_pk_add_f32 v[34:35], v[26:27], v[28:29] neg_lo:[0,1] neg_hi:[0,1]
	v_pk_add_f32 v[26:27], v[26:27], v[28:29]
	v_mov_b32_e32 v30, v31
	v_mov_b32_e32 v28, v27
	v_pk_add_f32 v[36:37], v[28:29], v[24:25] neg_lo:[0,1] neg_hi:[0,1]
	v_mov_b32_e32 v26, v33
	v_mov_b32_e32 v29, v36
	v_pk_add_f32 v[38:39], v[32:33], v[28:29] neg_lo:[0,1] neg_hi:[0,1]
	v_mov_b32_e32 v32, v25
	v_mov_b32_e32 v33, v36
	;; [unrolled: 1-line block ×3, first 2 shown]
	v_pk_add_f32 v[26:27], v[26:27], v[32:33] neg_lo:[0,1] neg_hi:[0,1]
	v_mov_b32_e32 v31, v24
	v_pk_add_f32 v[24:25], v[30:31], v[26:27] neg_lo:[0,1] neg_hi:[0,1]
	v_mov_b32_e32 v38, v34
	v_pk_add_f32 v[26:27], v[38:39], v[24:25]
	s_nop 0
	v_mov_b32_e32 v30, v27
	v_pk_add_f32 v[30:31], v[26:27], v[30:31]
	s_nop 0
	v_pk_add_f32 v[28:29], v[28:29], v[30:31]
	v_mov_b32_e32 v25, v30
	v_mov_b32_e32 v27, v28
	v_pk_add_f32 v[32:33], v[26:27], v[34:35] neg_lo:[0,1] neg_hi:[0,1]
	s_nop 0
	v_sub_f32_e32 v26, v26, v32
	v_pk_add_f32 v[24:25], v[24:25], v[32:33] neg_lo:[0,1] neg_hi:[0,1]
	v_sub_f32_e32 v26, v34, v26
	v_add_f32_e32 v24, v24, v26
	v_add_f32_e32 v24, v24, v25
	;; [unrolled: 1-line block ×3, first 2 shown]
	v_cndmask_b32_e32 v71, v24, v49, vcc
.LBB89_53:                              ;   in Loop: Header=BB89_13 Depth=1
	s_or_b64 exec, exec, s[30:31]
	v_cvt_f32_f16_e32 v24, v15
	v_cvt_f32_f16_sdwa v25, v14 dst_sel:DWORD dst_unused:UNUSED_PAD src0_sel:WORD_1
	v_cvt_f32_f16_e32 v26, v14
	v_cvt_f32_f16_sdwa v31, v15 dst_sel:DWORD dst_unused:UNUSED_PAD src0_sel:WORD_1
	v_cvt_f32_f16_sdwa v27, v13 dst_sel:DWORD dst_unused:UNUSED_PAD src0_sel:WORD_1
	v_cvt_f32_f16_e32 v28, v13
	v_cvt_f32_f16_sdwa v29, v12 dst_sel:DWORD dst_unused:UNUSED_PAD src0_sel:WORD_1
	v_cvt_f32_f16_e32 v30, v12
	;; [unrolled: 2-line block ×6, first 2 shown]
	v_readlane_b32 s2, v166, 2
	v_readlane_b32 s3, v166, 3
	v_mul_f32_e32 v56, s64, v24
	v_mul_f32_e32 v55, s64, v25
	;; [unrolled: 1-line block ×15, first 2 shown]
	s_lshl_b32 s84, s41, 11
	v_mul_f32_e32 v57, s64, v31
	s_and_b64 vcc, exec, s[2:3]
	s_barrier
	v_writelane_b32 v166, s41, 15
	s_cbranch_vccz .LBB89_86
; %bb.54:                               ;   in Loop: Header=BB89_13 Depth=1
	v_readlane_b32 s66, v166, 4
	s_sub_i32 s2, s66, s84
	s_cmp_lg_u32 s41, 0
	v_readlane_b32 s3, v166, 7
	v_readlane_b32 s62, v166, 12
	s_cselect_b64 s[94:95], -1, 0
	s_cmp_eq_u32 s41, s3
	v_cmp_gt_u32_e32 vcc, s2, v101
	v_readlane_b32 s63, v166, 13
	s_cselect_b64 s[96:97], -1, 0
	s_or_b64 s[30:31], s[62:63], vcc
	v_cmp_gt_u32_e32 vcc, s2, v105
	s_or_b64 s[34:35], s[62:63], vcc
	v_cmp_gt_u32_e32 vcc, s2, v106
	;; [unrolled: 2-line block ×13, first 2 shown]
	v_lshl_add_u64 v[72:73], s[70:71], 0, v[40:41]
	v_mov_b32_e32 v49, v41
	v_lshl_add_u64 v[74:75], s[74:75], 0, v[40:41]
	v_readlane_b32 s67, v166, 5
	s_mov_b32 s92, 0
	s_or_b64 s[58:59], s[62:63], vcc
	v_cmp_gt_u32_e32 vcc, s2, v118
	v_cmp_gt_u32_e64 s[2:3], s2, v119
	v_mul_f32_e32 v53, v71, v31
	v_lshl_add_u64 v[72:73], v[72:73], 0, v[48:49]
	v_lshl_add_u64 v[74:75], v[74:75], 0, v[48:49]
	v_mul_f32_e32 v49, v70, v24
	v_mul_f32_e32 v138, v137, v25
	;; [unrolled: 1-line block ×15, first 2 shown]
	s_or_b64 s[60:61], s[62:63], s[2:3]
	s_or_b64 s[62:63], s[62:63], vcc
	s_mov_b32 s2, s92
	s_mov_b32 s98, s92
	;; [unrolled: 1-line block ×5, first 2 shown]
	v_readlane_b32 s66, v166, 14
	s_branch .LBB89_56
.LBB89_55:                              ;   in Loop: Header=BB89_56 Depth=2
	s_or_b64 exec, exec, s[90:91]
	v_cndmask_b32_e64 v76, v86, v95, s[28:29]
	v_cndmask_b32_e64 v77, v89, v94, s[28:29]
	v_mul_f32_e32 v77, v77, v152
	v_fma_f32 v76, v76, v152, v32
	v_cndmask_b32_e64 v32, v76, v32, s[26:27]
	v_cndmask_b32_e64 v76, v77, v152, s[26:27]
	s_waitcnt lgkmcnt(0)
	v_fmac_f32_e32 v32, v92, v76
	v_fmac_f32_e32 v33, v32, v153
	;; [unrolled: 1-line block ×16, first 2 shown]
	v_cvt_f32_f16_sdwa v77, v28 dst_sel:DWORD dst_unused:UNUSED_PAD src0_sel:WORD_1
	v_cvt_f32_f16_sdwa v89, v29 dst_sel:DWORD dst_unused:UNUSED_PAD src0_sel:WORD_1
	v_cvt_f32_f16_e32 v76, v28
	v_cvt_f32_f16_e32 v88, v29
	v_cvt_f32_f16_sdwa v29, v30 dst_sel:DWORD dst_unused:UNUSED_PAD src0_sel:WORD_1
	v_cvt_f32_f16_sdwa v91, v31 dst_sel:DWORD dst_unused:UNUSED_PAD src0_sel:WORD_1
	v_cvt_f32_f16_e32 v28, v30
	v_cvt_f32_f16_e32 v90, v31
	;; [unrolled: 4-line block ×4, first 2 shown]
	v_mov_b32_e32 v86, v85
	s_add_i32 s66, s66, 8
	s_add_i32 s85, s85, -1
	s_add_i32 s86, s86, s65
	s_add_i32 s98, s98, s76
	;; [unrolled: 1-line block ×4, first 2 shown]
	v_pk_fma_f32 v[68:69], v[34:35], v[88:89], v[68:69]
	v_pk_fma_f32 v[66:67], v[32:33], v[76:77], v[66:67]
	;; [unrolled: 1-line block ×7, first 2 shown]
	s_cmp_eq_u32 s85, 0
	v_pk_fma_f32 v[54:55], v[82:83], v[24:25], v[54:55]
	s_cbranch_scc1 .LBB89_85
.LBB89_56:                              ;   Parent Loop BB89_13 Depth=1
                                        ; =>  This Inner Loop Header: Depth=2
	s_mov_b32 s3, s93
	v_lshl_add_u64 v[28:29], s[2:3], 1, v[72:73]
	global_load_dwordx4 v[24:27], v[28:29], off
	s_lshl_b64 s[90:91], s[92:93], 2
	s_add_u32 s90, s68, s90
	s_mov_b32 s99, s93
	s_addc_u32 s91, s0, s91
	global_load_dword v78, v41, s[90:91]
	s_andn2_b64 vcc, exec, s[94:95]
	s_waitcnt vmcnt(1)
	ds_write_b128 v96, v[24:27]
	global_load_dwordx4 v[24:27], v[28:29], off offset:1024
	v_lshl_add_u64 v[28:29], s[98:99], 1, v[74:75]
	s_waitcnt vmcnt(0)
	ds_write_b128 v97, v[24:27] offset:1024
	; wave barrier
	ds_read_b128 v[36:39], v98
	ds_read_b128 v[32:35], v98 offset:16
	global_load_dwordx4 v[24:27], v[28:29], off
	s_waitcnt vmcnt(0)
	ds_write_b128 v96, v[24:27] offset:4224
	global_load_dwordx4 v[24:27], v[28:29], off offset:1024
	s_waitcnt vmcnt(0)
	ds_write_b128 v99, v[24:27] offset:1024
	; wave barrier
	ds_read_b128 v[28:31], v98 offset:4224
	ds_read_b128 v[24:27], v100 offset:16
	s_cbranch_vccnz .LBB89_58
; %bb.57:                               ;   in Loop: Header=BB89_56 Depth=2
	v_mov_b32_e32 v76, s66
	ds_read_b64 v[76:77], v76
	s_cbranch_execz .LBB89_59
	s_branch .LBB89_62
.LBB89_58:                              ;   in Loop: Header=BB89_56 Depth=2
                                        ; implicit-def: $vgpr77
.LBB89_59:                              ;   in Loop: Header=BB89_56 Depth=2
	v_readlane_b32 s82, v166, 0
	v_readlane_b32 s83, v166, 1
	s_andn2_b64 vcc, exec, s[82:83]
	s_waitcnt lgkmcnt(0)
	v_mov_b32_e32 v77, 0
	s_cbranch_vccnz .LBB89_61
; %bb.60:                               ;   in Loop: Header=BB89_56 Depth=2
	s_mov_b32 s87, s93
	s_lshl_b64 s[90:91], s[86:87], 1
	s_add_u32 s90, s1, s90
	s_addc_u32 s91, s73, s91
	global_load_ushort v76, v41, s[90:91]
	s_waitcnt vmcnt(0)
	v_cvt_f32_f16_e32 v77, v76
.LBB89_61:                              ;   in Loop: Header=BB89_56 Depth=2
	v_mov_b32_e32 v76, 1.0
.LBB89_62:                              ;   in Loop: Header=BB89_56 Depth=2
	v_mul_f32_e32 v86, 0x3fb8aa3b, v78
	s_waitcnt lgkmcnt(4)
	v_cvt_f32_f16_e32 v82, v32
	v_cvt_f32_f16_sdwa v83, v32 dst_sel:DWORD dst_unused:UNUSED_PAD src0_sel:WORD_1
	v_mul_f32_e32 v32, v86, v124
	v_cmp_gt_f32_e32 vcc, s77, v32
	v_cvt_f32_f16_e32 v84, v33
	v_cvt_f32_f16_sdwa v85, v33 dst_sel:DWORD dst_unused:UNUSED_PAD src0_sel:WORD_1
	v_cndmask_b32_e32 v32, 0, v122, vcc
	v_fmac_f32_e32 v32, v86, v124
	v_exp_f32_e32 v32, v32
	v_cndmask_b32_e32 v33, 1.0, v123, vcc
	v_cvt_f32_f16_e32 v88, v34
	v_cvt_f32_f16_sdwa v89, v34 dst_sel:DWORD dst_unused:UNUSED_PAD src0_sel:WORD_1
	v_mul_f32_e32 v33, v32, v33
	v_cndmask_b32_e64 v152, 1.0, v33, s[30:31]
	v_mul_f32_e32 v33, v86, v125
	v_cmp_gt_f32_e32 vcc, s77, v33
	v_cvt_f32_f16_e32 v90, v35
	v_cvt_f32_f16_sdwa v87, v35 dst_sel:DWORD dst_unused:UNUSED_PAD src0_sel:WORD_1
	v_cndmask_b32_e32 v33, 0, v122, vcc
	v_fmac_f32_e32 v33, v86, v125
	v_exp_f32_e32 v33, v33
	v_cndmask_b32_e32 v34, 1.0, v123, vcc
	v_cvt_f32_f16_e32 v78, v36
	v_cvt_f32_f16_sdwa v36, v36 dst_sel:DWORD dst_unused:UNUSED_PAD src0_sel:WORD_1
	v_mul_f32_e32 v34, v33, v34
	v_cndmask_b32_e64 v153, 1.0, v34, s[34:35]
	v_mul_f32_e32 v34, v86, v126
	v_cmp_gt_f32_e32 vcc, s77, v34
	v_mul_f32_e32 v33, v150, v36
	v_cvt_f32_f16_e32 v79, v37
	v_cndmask_b32_e32 v34, 0, v122, vcc
	v_fmac_f32_e32 v34, v86, v126
	v_exp_f32_e32 v34, v34
	v_cndmask_b32_e32 v35, 1.0, v123, vcc
	v_cvt_f32_f16_sdwa v37, v37 dst_sel:DWORD dst_unused:UNUSED_PAD src0_sel:WORD_1
	v_cvt_f32_f16_e32 v80, v38
	v_mul_f32_e32 v35, v34, v35
	v_cndmask_b32_e64 v154, 1.0, v35, s[36:37]
	v_mul_f32_e32 v35, v86, v127
	v_cmp_gt_f32_e32 vcc, s77, v35
	v_cvt_f32_f16_sdwa v38, v38 dst_sel:DWORD dst_unused:UNUSED_PAD src0_sel:WORD_1
	v_mul_f32_e32 v32, v151, v78
	v_cndmask_b32_e32 v35, 0, v122, vcc
	v_fmac_f32_e32 v35, v86, v127
	v_exp_f32_e32 v35, v35
	v_cndmask_b32_e32 v36, 1.0, v123, vcc
	v_mul_f32_e32 v34, v149, v79
	v_cvt_f32_f16_e32 v81, v39
	v_mul_f32_e32 v36, v35, v36
	v_cndmask_b32_e64 v155, 1.0, v36, s[38:39]
	v_mul_f32_e32 v36, v86, v128
	v_cmp_gt_f32_e32 vcc, s77, v36
	v_mul_f32_e32 v35, v148, v37
	v_cndmask_b32_e64 v32, 0, v32, s[30:31]
	v_cndmask_b32_e32 v36, 0, v122, vcc
	v_fmac_f32_e32 v36, v86, v128
	v_exp_f32_e32 v36, v36
	v_cndmask_b32_e32 v37, 1.0, v123, vcc
	v_cndmask_b32_e64 v33, 0, v33, s[34:35]
	v_cvt_f32_f16_sdwa v39, v39 dst_sel:DWORD dst_unused:UNUSED_PAD src0_sel:WORD_1
	v_mul_f32_e32 v37, v36, v37
	v_cndmask_b32_e64 v156, 1.0, v37, s[40:41]
	v_mul_f32_e32 v37, v86, v129
	v_cmp_gt_f32_e32 vcc, s77, v37
	v_mul_f32_e32 v36, v147, v80
	v_cndmask_b32_e64 v34, 0, v34, s[36:37]
	v_cndmask_b32_e32 v37, 0, v122, vcc
	v_fmac_f32_e32 v37, v86, v129
	v_exp_f32_e32 v37, v37
	v_cndmask_b32_e32 v78, 1.0, v123, vcc
	v_cndmask_b32_e64 v35, 0, v35, s[38:39]
	v_cndmask_b32_e64 v36, 0, v36, s[40:41]
	v_mul_f32_e32 v78, v37, v78
	v_mul_f32_e32 v37, v146, v38
	;; [unrolled: 1-line block ×3, first 2 shown]
	v_cmp_gt_f32_e32 vcc, s77, v38
	v_cndmask_b32_e64 v157, 1.0, v78, s[42:43]
	v_cndmask_b32_e64 v37, 0, v37, s[42:43]
	v_cndmask_b32_e32 v38, 0, v122, vcc
	v_fmac_f32_e32 v38, v86, v130
	v_exp_f32_e32 v38, v38
	v_cndmask_b32_e32 v78, 1.0, v123, vcc
	v_mul_f32_e32 v39, v144, v39
	v_cndmask_b32_e64 v39, 0, v39, s[46:47]
	v_mul_f32_e32 v78, v38, v78
	v_cndmask_b32_e64 v158, 1.0, v78, s[44:45]
	v_mul_f32_e32 v78, v86, v131
	v_cmp_gt_f32_e32 vcc, s77, v78
	v_mul_f32_e32 v38, v145, v81
	v_cndmask_b32_e64 v38, 0, v38, s[44:45]
	v_cndmask_b32_e32 v78, 0, v122, vcc
	v_fmac_f32_e32 v78, v86, v131
	v_exp_f32_e32 v78, v78
	v_cndmask_b32_e32 v79, 1.0, v123, vcc
	v_mul_f32_e32 v78, v78, v79
	v_cndmask_b32_e64 v159, 1.0, v78, s[46:47]
	v_mul_f32_e32 v78, v86, v132
	v_cmp_gt_f32_e32 vcc, s77, v78
	s_nop 1
	v_cndmask_b32_e32 v78, 0, v122, vcc
	v_fmac_f32_e32 v78, v86, v132
	v_exp_f32_e32 v78, v78
	v_cndmask_b32_e32 v79, 1.0, v123, vcc
	v_mul_f32_e32 v79, v78, v79
	v_cndmask_b32_e64 v160, 1.0, v79, s[48:49]
	v_mul_f32_e32 v79, v86, v133
	v_cmp_gt_f32_e32 vcc, s77, v79
	v_mul_f32_e32 v78, v143, v82
	v_cndmask_b32_e64 v78, 0, v78, s[48:49]
	v_cndmask_b32_e32 v79, 0, v122, vcc
	v_fmac_f32_e32 v79, v86, v133
	v_exp_f32_e32 v79, v79
	v_cndmask_b32_e32 v80, 1.0, v123, vcc
	v_mul_f32_e32 v80, v79, v80
	v_cndmask_b32_e64 v161, 1.0, v80, s[50:51]
	v_mul_f32_e32 v80, v86, v134
	v_cmp_gt_f32_e32 vcc, s77, v80
	v_mul_f32_e32 v79, v142, v83
	v_cndmask_b32_e64 v79, 0, v79, s[50:51]
	;; [unrolled: 10-line block ×3, first 2 shown]
	v_cndmask_b32_e32 v81, 0, v122, vcc
	v_fmac_f32_e32 v81, v86, v135
	v_exp_f32_e32 v81, v81
	v_cndmask_b32_e32 v82, 1.0, v123, vcc
	v_mul_f32_e32 v82, v81, v82
	v_cndmask_b32_e64 v163, 1.0, v82, s[54:55]
	v_mul_f32_e32 v82, v86, v136
	v_cmp_gt_f32_e32 vcc, s77, v82
	v_mul_f32_e32 v81, v140, v85
	v_mul_f32_e32 v85, v49, v90
	v_cndmask_b32_e32 v82, 0, v122, vcc
	v_fmac_f32_e32 v82, v86, v136
	v_exp_f32_e32 v82, v82
	v_cndmask_b32_e32 v83, 1.0, v123, vcc
	v_pk_mul_f32 v[90:91], v[86:87], v[70:71] op_sel_hi:[0,1]
	v_cndmask_b32_e64 v81, 0, v81, s[54:55]
	v_mul_f32_e32 v83, v82, v83
	v_mul_f32_e32 v82, v139, v88
	v_cndmask_b32_e64 v88, 1.0, v83, s[56:57]
	v_mul_f32_e32 v83, v86, v137
	v_cmp_gt_f32_e32 vcc, s77, v83
	v_cndmask_b32_e64 v82, 0, v82, s[56:57]
	v_cndmask_b32_e64 v85, 0, v85, s[62:63]
	v_cndmask_b32_e32 v83, 0, v122, vcc
	v_cndmask_b32_e32 v84, 1.0, v123, vcc
	v_cmp_gt_f32_e32 vcc, s77, v90
	v_fmac_f32_e32 v83, v86, v137
	v_exp_f32_e32 v83, v83
	v_cndmask_b32_e32 v86, 0, v122, vcc
	v_add_f32_e32 v86, v90, v86
	v_exp_f32_e32 v86, v86
	v_mul_f32_e32 v84, v83, v84
	v_mul_f32_e32 v83, v138, v89
	v_cndmask_b32_e32 v89, 1.0, v123, vcc
	v_cmp_gt_f32_e32 vcc, s77, v91
	v_mul_f32_e32 v86, v86, v89
	v_cndmask_b32_e64 v83, 0, v83, s[58:59]
	v_cndmask_b32_e32 v89, 0, v122, vcc
	v_add_f32_e32 v89, v91, v89
	v_exp_f32_e32 v89, v89
	v_cndmask_b32_e32 v90, 1.0, v123, vcc
	v_cndmask_b32_e64 v84, 1.0, v84, s[58:59]
	v_mul_f32_e32 v87, v53, v87
	v_mul_f32_e32 v89, v89, v90
	v_cndmask_b32_e64 v91, 1.0, v89, s[60:61]
	v_cndmask_b32_e64 v90, 1.0, v86, s[62:63]
	v_mul_f32_e32 v86, v153, v152
	v_fma_f32 v89, v153, v32, v33
	v_mul_f32_e32 v86, v86, v154
	v_fma_f32 v89, v89, v154, v34
	;; [unrolled: 2-line block ×11, first 2 shown]
	v_fma_f32 v86, v86, v88, v82
	v_fma_f32 v93, v86, v84, v83
	v_mov_b32_e32 v89, v90
	v_pk_mul_f32 v[164:165], v[92:93], v[88:89]
	v_pk_fma_f32 v[92:93], v[92:93], v[88:89], v[84:85]
	v_pk_mul_f32 v[164:165], v[164:165], v[84:85]
	v_cndmask_b32_e64 v87, 0, v87, s[60:61]
	v_mov_b32_e32 v165, v93
	v_mov_b32_e32 v94, v91
	;; [unrolled: 1-line block ×3, first 2 shown]
	v_pk_mul_f32 v[92:93], v[164:165], v[90:91]
	v_mov_b32_e32 v86, v91
	v_pk_mul_f32 v[94:95], v[92:93], v[94:95]
	v_pk_fma_f32 v[92:93], v[164:165], v[90:91], v[86:87]
	s_nop 0
	v_mov_b32_dpp v86, v94 row_shr:1 row_mask:0xf bank_mask:0xf
	v_mov_b32_dpp v89, v93 row_shr:1 row_mask:0xf bank_mask:0xf
	v_mul_f32_e32 v164, v94, v86
	v_fma_f32 v89, v94, v89, v93
	v_cndmask_b32_e64 v92, v164, v94, s[4:5]
	v_cndmask_b32_e64 v95, v89, v93, s[4:5]
	;; [unrolled: 1-line block ×4, first 2 shown]
	v_mov_b32_dpp v93, v95 row_shr:2 row_mask:0xf bank_mask:0xf
	v_mov_b32_dpp v89, v94 row_shr:2 row_mask:0xf bank_mask:0xf
	s_and_saveexec_b64 s[90:91], s[6:7]
; %bb.63:                               ;   in Loop: Header=BB89_56 Depth=2
	v_fmac_f32_e32 v95, v94, v93
	v_mul_f32_e32 v94, v94, v89
	v_mov_b32_e32 v92, v94
	v_mov_b32_e32 v86, v95
; %bb.64:                               ;   in Loop: Header=BB89_56 Depth=2
	s_or_b64 exec, exec, s[90:91]
	v_mov_b32_dpp v89, v94 row_shr:4 row_mask:0xf bank_mask:0xf
	v_mov_b32_dpp v93, v95 row_shr:4 row_mask:0xf bank_mask:0xf
	s_and_saveexec_b64 s[90:91], s[8:9]
; %bb.65:                               ;   in Loop: Header=BB89_56 Depth=2
	v_fmac_f32_e32 v95, v94, v93
	v_mul_f32_e32 v94, v94, v89
	v_mov_b32_e32 v92, v94
	v_mov_b32_e32 v86, v95
; %bb.66:                               ;   in Loop: Header=BB89_56 Depth=2
	s_or_b64 exec, exec, s[90:91]
	;; [unrolled: 10-line block ×3, first 2 shown]
	v_mov_b32_dpp v89, v94 row_bcast:15 row_mask:0xf bank_mask:0xf
	v_mov_b32_dpp v93, v95 row_bcast:15 row_mask:0xf bank_mask:0xf
	s_and_saveexec_b64 s[90:91], s[12:13]
; %bb.69:                               ;   in Loop: Header=BB89_56 Depth=2
	v_fmac_f32_e32 v95, v94, v93
	v_mul_f32_e32 v94, v94, v89
	v_mov_b32_e32 v92, v94
	v_mov_b32_e32 v86, v95
; %bb.70:                               ;   in Loop: Header=BB89_56 Depth=2
	s_or_b64 exec, exec, s[90:91]
	v_mov_b32_dpp v93, v94 row_bcast:31 row_mask:0xf bank_mask:0xf
	v_mov_b32_dpp v89, v95 row_bcast:31 row_mask:0xf bank_mask:0xf
	s_and_saveexec_b64 s[90:91], s[14:15]
; %bb.71:                               ;   in Loop: Header=BB89_56 Depth=2
	v_fmac_f32_e32 v95, v94, v89
	v_mul_f32_e32 v92, v94, v93
	v_mov_b32_e32 v93, v95
	v_mov_b32_e32 v86, v95
	v_mov_b64_e32 v[94:95], v[92:93]
; %bb.72:                               ;   in Loop: Header=BB89_56 Depth=2
	s_or_b64 exec, exec, s[90:91]
	s_and_saveexec_b64 s[90:91], s[16:17]
	s_cbranch_execz .LBB89_74
; %bb.73:                               ;   in Loop: Header=BB89_56 Depth=2
	ds_write_b64 v102, v[94:95] offset:8448
.LBB89_74:                              ;   in Loop: Header=BB89_56 Depth=2
	s_or_b64 exec, exec, s[90:91]
	s_waitcnt lgkmcnt(0)
	s_barrier
	s_and_saveexec_b64 s[90:91], s[18:19]
	s_cbranch_execz .LBB89_76
; %bb.75:                               ;   in Loop: Header=BB89_56 Depth=2
	ds_read_b64 v[94:95], v103 offset:8448
	s_waitcnt lgkmcnt(0)
	s_nop 0
	v_mov_b32_dpp v89, v94 row_shr:1 row_mask:0xf bank_mask:0xf
	v_mov_b32_dpp v93, v95 row_shr:1 row_mask:0xf bank_mask:0xf
	v_fma_f32 v93, v94, v93, v95
	v_mul_f32_e32 v89, v94, v89
	v_cndmask_b32_e64 v94, v89, v94, s[20:21]
	v_cndmask_b32_e64 v95, v93, v95, s[20:21]
	ds_write_b64 v103, v[94:95] offset:8448
.LBB89_76:                              ;   in Loop: Header=BB89_56 Depth=2
	s_or_b64 exec, exec, s[90:91]
	s_waitcnt lgkmcnt(0)
	s_barrier
	s_waitcnt lgkmcnt(0)
                                        ; implicit-def: $vgpr94
	s_and_saveexec_b64 s[90:91], s[24:25]
	s_cbranch_execz .LBB89_78
; %bb.77:                               ;   in Loop: Header=BB89_56 Depth=2
	ds_read_b64 v[94:95], v102 offset:8440
	s_waitcnt lgkmcnt(0)
	v_mul_f32_e32 v89, v92, v94
	v_fmac_f32_e32 v86, v92, v95
	v_mov_b32_e32 v92, v89
.LBB89_78:                              ;   in Loop: Header=BB89_56 Depth=2
	s_or_b64 exec, exec, s[90:91]
	ds_bpermute_b32 v89, v104, v92
	ds_bpermute_b32 v86, v104, v86
	v_mov_b32_e32 v93, v77
	s_and_saveexec_b64 s[90:91], s[22:23]
	s_cbranch_execz .LBB89_82
; %bb.79:                               ;   in Loop: Header=BB89_56 Depth=2
	ds_read_b64 v[92:93], v41 offset:8456
	s_and_saveexec_b64 vcc, s[26:27]
	s_cbranch_execz .LBB89_81
; %bb.80:                               ;   in Loop: Header=BB89_56 Depth=2
	ds_write_b64 v41, v[76:77] offset:8456
.LBB89_81:                              ;   in Loop: Header=BB89_56 Depth=2
	s_or_b64 exec, exec, vcc
	s_waitcnt lgkmcnt(0)
	v_fmac_f32_e32 v93, v77, v92
	v_mul_f32_e32 v76, v76, v92
	v_mov_b32_e32 v77, v93
.LBB89_82:                              ;   in Loop: Header=BB89_56 Depth=2
	s_or_b64 exec, exec, s[90:91]
	s_waitcnt lgkmcnt(0)
	s_barrier
	ds_read_b32 v92, v41 offset:8460
	s_and_saveexec_b64 s[90:91], s[26:27]
	s_cbranch_execz .LBB89_55
; %bb.83:                               ;   in Loop: Header=BB89_56 Depth=2
	v_mov_b32_e32 v164, s66
	s_andn2_b64 vcc, exec, s[96:97]
	ds_write_b64 v164, v[76:77]
	s_cbranch_vccnz .LBB89_55
; %bb.84:                               ;   in Loop: Header=BB89_56 Depth=2
	s_mov_b32 s87, s93
	v_cvt_f16_f32_e32 v76, v93
	s_lshl_b64 s[82:83], s[86:87], 1
	s_add_u32 s82, s1, s82
	s_addc_u32 s83, s73, s83
	global_store_short v41, v76, s[82:83]
	s_branch .LBB89_55
.LBB89_85:                              ;   in Loop: Header=BB89_13 Depth=1
	s_mov_b32 s34, 0x3fb8aa3b
	s_mov_b32 s35, 0xc2ce8ed0
	;; [unrolled: 1-line block ×7, first 2 shown]
.LBB89_86:                              ;   in Loop: Header=BB89_13 Depth=1
	v_cvt_f16_f32_e32 v24, v66
	v_cvt_f16_f32_e32 v28, v67
	;; [unrolled: 1-line block ×16, first 2 shown]
	v_pack_b32_f16 v27, v27, v31
	v_pack_b32_f16 v26, v26, v30
	;; [unrolled: 1-line block ×4, first 2 shown]
	s_barrier
	ds_write_b128 v98, v[24:27]
	v_pack_b32_f16 v27, v38, v39
	v_pack_b32_f16 v26, v36, v37
	v_pack_b32_f16 v25, v34, v35
	v_pack_b32_f16 v24, v32, v33
	ds_write_b128 v98, v[24:27] offset:16
	; wave barrier
	ds_read_b128 v[24:27], v96
	ds_read_b128 v[28:31], v97 offset:1024
	s_mov_b32 s85, s93
	s_lshl_b64 s[2:3], s[84:85], 1
	v_lshl_add_u64 v[32:33], v[42:43], 0, s[2:3]
	s_waitcnt lgkmcnt(1)
	v_lshrrev_b32_e32 v36, 16, v27
	global_store_short v[32:33], v24, off
	v_alignbit_b32 v34, v25, v24, 16
	v_alignbit_b32 v24, v27, v26, 16
	;; [unrolled: 1-line block ×3, first 2 shown]
	global_store_short v[32:33], v36, off offset:14
	global_store_dword v[32:33], v24, off offset:10
	global_store_dwordx2 v[32:33], v[34:35], off offset:2
	s_waitcnt lgkmcnt(0)
	global_store_dwordx4 v[32:33], v[28:31], off offset:1024
	v_lshl_add_u64 v[24:25], v[44:45], 0, s[2:3]
	s_barrier
	s_mov_b64 s[2:3], exec
	v_readlane_b32 s30, v166, 8
	v_readlane_b32 s31, v166, 9
	s_and_b64 s[30:31], s[2:3], s[30:31]
	s_mov_b64 exec, s[30:31]
	s_cbranch_execz .LBB89_88
; %bb.87:                               ;   in Loop: Header=BB89_13 Depth=1
	global_load_dwordx4 v[8:11], v[24:25], off
.LBB89_88:                              ;   in Loop: Header=BB89_13 Depth=1
	s_or_b64 exec, exec, s[2:3]
	s_mov_b64 s[2:3], exec
	v_readlane_b32 s30, v166, 10
	v_readlane_b32 s31, v166, 11
	s_and_b64 s[30:31], s[2:3], s[30:31]
	s_mov_b64 exec, s[30:31]
	s_cbranch_execz .LBB89_12
; %bb.89:                               ;   in Loop: Header=BB89_13 Depth=1
	global_load_dwordx4 v[0:3], v[24:25], off offset:1024
	s_branch .LBB89_12
.LBB89_90:
	s_endpgm
	.section	.rodata,"a",@progbits
	.p2align	6, 0x0
	.amdhsa_kernel _Z25selective_scan_fwd_kernelI32Selective_Scan_fwd_kernel_traitsILi128ELi16ELi1ELb1ELb1ELb1ELb1ELb0EN3c104HalfEfS2_EEv13SSMParamsBase
		.amdhsa_group_segment_fixed_size 0
		.amdhsa_private_segment_fixed_size 0
		.amdhsa_kernarg_size 248
		.amdhsa_user_sgpr_count 2
		.amdhsa_user_sgpr_dispatch_ptr 0
		.amdhsa_user_sgpr_queue_ptr 0
		.amdhsa_user_sgpr_kernarg_segment_ptr 1
		.amdhsa_user_sgpr_dispatch_id 0
		.amdhsa_user_sgpr_kernarg_preload_length 0
		.amdhsa_user_sgpr_kernarg_preload_offset 0
		.amdhsa_user_sgpr_private_segment_size 0
		.amdhsa_uses_dynamic_stack 0
		.amdhsa_enable_private_segment 0
		.amdhsa_system_sgpr_workgroup_id_x 1
		.amdhsa_system_sgpr_workgroup_id_y 1
		.amdhsa_system_sgpr_workgroup_id_z 0
		.amdhsa_system_sgpr_workgroup_info 0
		.amdhsa_system_vgpr_workitem_id 0
		.amdhsa_next_free_vgpr 167
		.amdhsa_next_free_sgpr 100
		.amdhsa_accum_offset 168
		.amdhsa_reserve_vcc 1
		.amdhsa_float_round_mode_32 0
		.amdhsa_float_round_mode_16_64 0
		.amdhsa_float_denorm_mode_32 3
		.amdhsa_float_denorm_mode_16_64 3
		.amdhsa_dx10_clamp 1
		.amdhsa_ieee_mode 1
		.amdhsa_fp16_overflow 0
		.amdhsa_tg_split 0
		.amdhsa_exception_fp_ieee_invalid_op 0
		.amdhsa_exception_fp_denorm_src 0
		.amdhsa_exception_fp_ieee_div_zero 0
		.amdhsa_exception_fp_ieee_overflow 0
		.amdhsa_exception_fp_ieee_underflow 0
		.amdhsa_exception_fp_ieee_inexact 0
		.amdhsa_exception_int_div_zero 0
	.end_amdhsa_kernel
	.section	.text._Z25selective_scan_fwd_kernelI32Selective_Scan_fwd_kernel_traitsILi128ELi16ELi1ELb1ELb1ELb1ELb1ELb0EN3c104HalfEfS2_EEv13SSMParamsBase,"axG",@progbits,_Z25selective_scan_fwd_kernelI32Selective_Scan_fwd_kernel_traitsILi128ELi16ELi1ELb1ELb1ELb1ELb1ELb0EN3c104HalfEfS2_EEv13SSMParamsBase,comdat
.Lfunc_end89:
	.size	_Z25selective_scan_fwd_kernelI32Selective_Scan_fwd_kernel_traitsILi128ELi16ELi1ELb1ELb1ELb1ELb1ELb0EN3c104HalfEfS2_EEv13SSMParamsBase, .Lfunc_end89-_Z25selective_scan_fwd_kernelI32Selective_Scan_fwd_kernel_traitsILi128ELi16ELi1ELb1ELb1ELb1ELb1ELb0EN3c104HalfEfS2_EEv13SSMParamsBase
                                        ; -- End function
	.section	.AMDGPU.csdata,"",@progbits
; Kernel info:
; codeLenInByte = 19168
; NumSgprs: 106
; NumVgprs: 167
; NumAgprs: 0
; TotalNumVgprs: 167
; ScratchSize: 0
; MemoryBound: 1
; FloatMode: 240
; IeeeMode: 1
; LDSByteSize: 0 bytes/workgroup (compile time only)
; SGPRBlocks: 13
; VGPRBlocks: 20
; NumSGPRsForWavesPerEU: 106
; NumVGPRsForWavesPerEU: 167
; AccumOffset: 168
; Occupancy: 3
; WaveLimiterHint : 1
; COMPUTE_PGM_RSRC2:SCRATCH_EN: 0
; COMPUTE_PGM_RSRC2:USER_SGPR: 2
; COMPUTE_PGM_RSRC2:TRAP_HANDLER: 0
; COMPUTE_PGM_RSRC2:TGID_X_EN: 1
; COMPUTE_PGM_RSRC2:TGID_Y_EN: 1
; COMPUTE_PGM_RSRC2:TGID_Z_EN: 0
; COMPUTE_PGM_RSRC2:TIDIG_COMP_CNT: 0
; COMPUTE_PGM_RSRC3_GFX90A:ACCUM_OFFSET: 41
; COMPUTE_PGM_RSRC3_GFX90A:TG_SPLIT: 0
	.section	.text._Z25selective_scan_fwd_kernelI32Selective_Scan_fwd_kernel_traitsILi128ELi16ELi1ELb1ELb1ELb1ELb0ELb1EN3c104HalfEfS2_EEv13SSMParamsBase,"axG",@progbits,_Z25selective_scan_fwd_kernelI32Selective_Scan_fwd_kernel_traitsILi128ELi16ELi1ELb1ELb1ELb1ELb0ELb1EN3c104HalfEfS2_EEv13SSMParamsBase,comdat
	.protected	_Z25selective_scan_fwd_kernelI32Selective_Scan_fwd_kernel_traitsILi128ELi16ELi1ELb1ELb1ELb1ELb0ELb1EN3c104HalfEfS2_EEv13SSMParamsBase ; -- Begin function _Z25selective_scan_fwd_kernelI32Selective_Scan_fwd_kernel_traitsILi128ELi16ELi1ELb1ELb1ELb1ELb0ELb1EN3c104HalfEfS2_EEv13SSMParamsBase
	.globl	_Z25selective_scan_fwd_kernelI32Selective_Scan_fwd_kernel_traitsILi128ELi16ELi1ELb1ELb1ELb1ELb0ELb1EN3c104HalfEfS2_EEv13SSMParamsBase
	.p2align	8
	.type	_Z25selective_scan_fwd_kernelI32Selective_Scan_fwd_kernel_traitsILi128ELi16ELi1ELb1ELb1ELb1ELb0ELb1EN3c104HalfEfS2_EEv13SSMParamsBase,@function
_Z25selective_scan_fwd_kernelI32Selective_Scan_fwd_kernel_traitsILi128ELi16ELi1ELb1ELb1ELb1ELb0ELb1EN3c104HalfEfS2_EEv13SSMParamsBase: ; @_Z25selective_scan_fwd_kernelI32Selective_Scan_fwd_kernel_traitsILi128ELi16ELi1ELb1ELb1ELb1ELb0ELb1EN3c104HalfEfS2_EEv13SSMParamsBase
; %bb.0:
	s_load_dword s29, s[0:1], 0x18
	s_load_dwordx4 s[4:7], s[0:1], 0xe0
	s_load_dwordx2 s[10:11], s[0:1], 0xf0
	s_mov_b32 s24, s3
	s_ashr_i32 s3, s2, 31
	s_waitcnt lgkmcnt(0)
	s_abs_i32 s28, s29
	v_cvt_f32_u32_e32 v1, s28
	s_lshl_b64 s[8:9], s[2:3], 2
	s_add_u32 s26, s4, s8
	s_addc_u32 s27, s5, s9
	v_rcp_iflag_f32_e32 v1, v1
	s_cmp_eq_u64 s[10:11], 0
                                        ; implicit-def: $vgpr167 : SGPR spill to VGPR lane
	v_mul_f32_e32 v1, 0x4f7ffffe, v1
	v_cvt_u32_f32_e32 v1, v1
	s_nop 0
	v_readfirstlane_b32 s30, v1
	s_cbranch_scc1 .LBB90_2
; %bb.1:
	s_add_u32 s4, s10, s2
	s_addc_u32 s5, s11, s3
	v_mov_b32_e32 v1, 0
	global_load_ubyte v1, v1, s[4:5]
	s_waitcnt vmcnt(0)
	v_and_b32_e32 v1, 1, v1
	v_cmp_eq_u32_e64 s[4:5], 1, v1
	s_branch .LBB90_3
.LBB90_2:
	s_mov_b64 s[4:5], 0
.LBB90_3:
	s_nop 0
	v_writelane_b32 v167, s4, 0
	s_cmp_eq_u64 s[6:7], 0
	s_nop 0
	v_writelane_b32 v167, s5, 1
	s_load_dwordx2 s[4:5], s[0:1], 0x20
	s_cbranch_scc1 .LBB90_5
; %bb.4:
	s_add_u32 s2, s6, s8
	s_addc_u32 s3, s7, s9
	s_load_dword s2, s[2:3], 0x0
	s_waitcnt lgkmcnt(0)
	s_ashr_i32 s3, s2, 31
.LBB90_5:
	s_waitcnt lgkmcnt(0)
	s_cmp_eq_u64 s[4:5], s[2:3]
	s_cbranch_scc1 .LBB90_238
; %bb.6:
	s_load_dwordx16 s[36:51], s[0:1], 0x88
	s_load_dwordx2 s[4:5], s[26:27], 0x0
	s_mov_b32 s3, 0
	v_writelane_b32 v167, s3, 2
	v_writelane_b32 v167, s3, 3
	s_waitcnt lgkmcnt(0)
	s_cmp_eq_u64 s[42:43], 0
	s_cbranch_scc1 .LBB90_8
; %bb.7:
	s_ashr_i32 s25, s24, 31
	s_lshl_b64 s[6:7], s[24:25], 2
	s_add_u32 s6, s42, s6
	s_addc_u32 s7, s43, s7
	s_load_dword s3, s[6:7], 0x0
	s_waitcnt lgkmcnt(0)
	v_writelane_b32 v167, s3, 3
.LBB90_8:
	s_cmp_eq_u64 s[48:49], 0
	s_cbranch_scc1 .LBB90_10
; %bb.9:
	s_ashr_i32 s25, s24, 31
	s_lshl_b64 s[6:7], s[24:25], 2
	s_add_u32 s6, s48, s6
	s_addc_u32 s7, s49, s7
	s_load_dword s3, s[6:7], 0x0
	s_waitcnt lgkmcnt(0)
	v_writelane_b32 v167, s3, 2
.LBB90_10:
	s_sub_i32 s31, s5, s4
	s_cmp_lt_i32 s31, 1
	s_cbranch_scc1 .LBB90_238
; %bb.11:
	s_sub_i32 s3, 0, s28
	s_mul_i32 s3, s3, s30
	s_mul_hi_u32 s3, s30, s3
	s_load_dwordx8 s[8:15], s[0:1], 0x2c
	s_load_dwordx2 s[20:21], s[0:1], 0x5c
	s_load_dwordx4 s[52:55], s[0:1], 0x4c
	s_abs_i32 s5, s24
	s_add_i32 s30, s30, s3
	s_load_dwordx4 s[56:59], s[0:1], 0x7c
	s_load_dwordx2 s[18:19], s[0:1], 0x6c
	s_load_dwordx2 s[26:27], s[0:1], 0xc8
	s_mul_hi_u32 s3, s5, s30
	s_waitcnt lgkmcnt(0)
	s_load_dword s11, s[0:1], 0xc
	s_load_dword s25, s[0:1], 0x28
	s_ashr_i32 s0, s24, 31
	s_ashr_i32 s1, s29, 31
	s_xor_b32 s0, s0, s1
	s_mul_i32 s1, s3, s28
	s_sub_i32 s1, s5, s1
	s_add_i32 s5, s3, 1
	s_sub_i32 s6, s1, s28
	s_cmp_ge_u32 s1, s28
	s_cselect_b32 s3, s5, s3
	s_cselect_b32 s1, s6, s1
	s_add_i32 s5, s3, 1
	s_cmp_ge_u32 s1, s28
	s_cselect_b32 s1, s5, s3
	s_xor_b32 s1, s1, s0
	s_mul_i32 s6, s4, s54
	s_mov_b32 s7, 0
	s_sub_i32 s3, s1, s0
	s_lshl_b64 s[0:1], s[6:7], 1
	s_add_u32 s5, s44, s0
	s_mul_i32 s6, s55, s24
	s_addc_u32 s16, s45, s1
	s_lshl_b64 s[0:1], s[6:7], 1
	s_add_u32 s22, s5, s0
	s_mul_i32 s6, s4, s20
	s_addc_u32 s23, s16, s1
	;; [unrolled: 4-line block ×3, first 2 shown]
	s_lshl_b64 s[0:1], s[6:7], 1
	s_add_u32 s0, s5, s0
	s_addc_u32 s1, s16, s1
	v_writelane_b32 v167, s0, 4
	s_mul_i32 s6, s8, s24
	v_mbcnt_lo_u32_b32 v1, -1, 0
	v_writelane_b32 v167, s1, 5
	s_lshl_b64 s[0:1], s[6:7], 2
	s_add_u32 s0, s36, s0
	v_writelane_b32 v167, s0, 6
	s_addc_u32 s0, s37, s1
	s_mul_i32 s6, s4, s10
	v_writelane_b32 v167, s0, 7
	s_lshl_b64 s[0:1], s[6:7], 1
	s_add_u32 s5, s38, s0
	s_mul_i32 s6, s3, s13
	s_addc_u32 s8, s39, s1
	s_lshl_b64 s[0:1], s[6:7], 1
	s_add_u32 s0, s5, s0
	s_addc_u32 s1, s8, s1
	v_writelane_b32 v167, s0, 8
	v_lshlrev_b32_e32 v19, 4, v0
	v_mbcnt_hi_u32_b32 v18, -1, v1
	v_writelane_b32 v167, s1, 9
	s_waitcnt lgkmcnt(0)
	v_writelane_b32 v167, s8, 10
	s_mul_i32 s6, s4, s14
	s_lshl_b64 s[0:1], s[6:7], 1
	v_writelane_b32 v167, s9, 11
	v_writelane_b32 v167, s10, 12
	;; [unrolled: 1-line block ×7, first 2 shown]
	s_add_u32 s5, s40, s0
	v_writelane_b32 v167, s52, 18
	s_mul_i32 s6, s3, s53
	s_addc_u32 s8, s41, s1
	v_writelane_b32 v167, s53, 19
	s_lshl_b64 s[0:1], s[6:7], 1
	v_writelane_b32 v167, s54, 20
	s_add_u32 s0, s5, s0
	v_writelane_b32 v167, s55, 21
	s_addc_u32 s1, s8, s1
	v_writelane_b32 v167, s0, 22
	s_mul_i32 s6, s2, s56
	v_and_b32_e32 v2, 0x400, v19
	v_writelane_b32 v167, s1, 23
	s_lshl_b64 s[0:1], s[6:7], 1
	v_writelane_b32 v167, s56, 24
	s_add_u32 s2, s26, s0
	s_mul_i32 s6, s57, s24
	v_writelane_b32 v167, s57, 25
	s_addc_u32 s3, s27, s1
	v_writelane_b32 v167, s58, 26
	s_lshl_b64 s[0:1], s[6:7], 1
	v_writelane_b32 v167, s59, 27
	s_add_u32 s0, s2, s0
	v_writelane_b32 v167, s0, 28
	s_addc_u32 s0, s3, s1
	v_writelane_b32 v167, s0, 29
	s_add_i32 s0, s31, 0x7ff
	s_lshr_b32 s1, s0, 11
	s_bitcmp1_b32 s25, 0
	v_or_b32_e32 v68, v18, v2
	s_cselect_b64 s[2:3], -1, 0
	v_lshrrev_b32_e32 v1, 5, v68
	v_writelane_b32 v167, s2, 30
	v_and_b32_e32 v1, 34, v1
	v_and_b32_e32 v20, 64, v0
	v_writelane_b32 v167, s3, 31
	s_cmp_gt_i32 s11, 0
	v_add_u32_e32 v69, 64, v68
	v_or_b32_e32 v70, 0x80, v68
	v_add_u32_e32 v71, 0xc0, v68
	v_or_b32_e32 v72, 0x100, v68
	;; [unrolled: 2-line block ×7, first 2 shown]
	v_add_u32_e32 v83, 0x3c0, v68
	v_add_u32_e32 v1, v1, v68
	v_add_u16_e32 v22, v18, v20
	v_writelane_b32 v167, s11, 32
	s_cselect_b64 s[2:3], -1, 0
	v_lshl_add_u32 v84, v1, 1, 0
	v_lshrrev_b32_e32 v1, 5, v69
	v_lshrrev_b32_e32 v3, 5, v70
	;; [unrolled: 1-line block ×15, first 2 shown]
	v_lshrrev_b16_e32 v22, 1, v22
	v_writelane_b32 v167, s2, 33
	v_and_b32_e32 v1, 38, v1
	v_and_b32_e32 v3, 38, v3
	;; [unrolled: 1-line block ×15, first 2 shown]
	v_add_lshl_u32 v21, v18, v20, 4
	v_and_b32_e32 v22, 0x7e, v22
	v_writelane_b32 v167, s3, 34
	v_add_lshl_u32 v1, v1, v68, 1
	v_add_lshl_u32 v3, v3, v68, 1
	v_add_lshl_u32 v4, v4, v68, 1
	v_add_lshl_u32 v5, v5, v68, 1
	v_add_lshl_u32 v6, v6, v68, 1
	v_add_lshl_u32 v7, v7, v68, 1
	v_add_lshl_u32 v8, v8, v68, 1
	v_add_lshl_u32 v9, v9, v68, 1
	v_add_lshl_u32 v10, v10, v68, 1
	v_add_lshl_u32 v11, v11, v68, 1
	v_add_lshl_u32 v12, v12, v68, 1
	v_add_lshl_u32 v13, v13, v68, 1
	v_add_lshl_u32 v14, v14, v68, 1
	v_add_lshl_u32 v15, v15, v68, 1
	v_add_lshl_u32 v16, v16, v68, 1
	v_add_lshl_u32 v21, v22, v21, 1
	s_add_i32 s0, 0, 0x1080
	v_writelane_b32 v167, s31, 35
	v_add_u32_e32 v101, s0, v1
	v_add_u32_e32 v102, s0, v3
	;; [unrolled: 1-line block ×16, first 2 shown]
	v_writelane_b32 v167, s1, 36
	s_add_i32 s0, s1, -1
	s_mul_i32 s6, s4, s18
	s_and_b32 s5, s31, 0x7ff
	v_writelane_b32 v167, s0, 37
	s_lshl_b64 s[0:1], s[6:7], 1
	s_add_u32 s2, s50, s0
	s_mul_i32 s6, s19, s24
	s_addc_u32 s3, s51, s1
	s_lshl_b64 s[0:1], s[6:7], 1
	s_add_u32 s2, s2, s0
	s_addc_u32 s3, s3, s1
	s_cmp_eq_u32 s5, 0
	s_cselect_b64 s[0:1], -1, 0
	v_add_u32_e32 v85, 0, v1
	v_writelane_b32 v167, s0, 38
	v_and_b32_e32 v1, 15, v18
	v_cmp_lt_u32_e64 s[4:5], 1, v1
	v_writelane_b32 v167, s1, 39
	v_cmp_eq_u32_e64 s[0:1], 0, v1
	v_writelane_b32 v167, s4, 40
	v_add_u32_e32 v86, 0, v3
	v_and_b32_e32 v3, 64, v18
	v_writelane_b32 v167, s5, 41
	v_cmp_lt_u32_e64 s[4:5], 3, v1
	v_mov_b32_e32 v17, 0
	v_add_u32_e32 v99, 0, v16
	v_writelane_b32 v167, s4, 42
	v_lshlrev_b32_e32 v16, 1, v18
	s_mov_b64 s[8:9], s[22:23]
	v_writelane_b32 v167, s5, 43
	v_cmp_lt_u32_e64 s[4:5], 7, v1
	v_and_b32_e32 v1, 16, v18
	v_lshl_add_u32 v118, v0, 3, 0
	v_writelane_b32 v167, s4, 44
	v_cmp_lt_u32_e64 s[20:21], 63, v0
	v_cmp_eq_u32_e64 s[22:23], 0, v0
	v_writelane_b32 v167, s5, 45
	v_cmp_ne_u32_e64 s[4:5], 0, v1
	v_or_b32_e32 v1, 63, v20
	v_add_u32_e32 v87, 0, v4
	v_writelane_b32 v167, s4, 46
	v_add_u32_e32 v88, 0, v5
	v_add_u32_e32 v89, 0, v6
	v_writelane_b32 v167, s5, 47
	v_cmp_lt_u32_e64 s[4:5], 31, v18
	v_add_u32_e32 v90, 0, v7
	v_add_u32_e32 v91, 0, v8
	v_writelane_b32 v167, s4, 48
	v_add_u32_e32 v92, 0, v9
	v_add_u32_e32 v93, 0, v10
	v_writelane_b32 v167, s5, 49
	v_cmp_eq_u32_e64 s[4:5], v1, v0
	v_lshrrev_b32_e32 v1, 3, v0
	v_and_b32_e32 v1, 8, v1
	v_writelane_b32 v167, s4, 50
	v_add_u32_e32 v117, 0, v1
	v_and_b32_e32 v1, 1, v18
	v_writelane_b32 v167, s5, 51
	v_cmp_gt_u32_e64 s[4:5], 2, v0
	v_add_u32_e32 v94, 0, v11
	v_add_u32_e32 v95, 0, v12
	v_writelane_b32 v167, s4, 52
	v_add_u32_e32 v96, 0, v13
	v_add_u32_e32 v97, 0, v14
	v_writelane_b32 v167, s5, 53
	v_cmp_eq_u32_e64 s[4:5], 0, v1
	v_add_u32_e32 v1, -1, v18
	v_cmp_lt_i32_e32 vcc, v1, v3
	v_writelane_b32 v167, s4, 54
	v_add_u32_e32 v98, 0, v15
	v_cndmask_b32_e32 v1, v1, v18, vcc
	v_writelane_b32 v167, s5, 55
	v_cmp_gt_u32_e64 s[4:5], 64, v0
	v_lshlrev_b32_e32 v119, 2, v1
	v_lshl_add_u64 v[0:1], s[2:3], 0, v[16:17]
	v_writelane_b32 v167, s4, 56
	v_lshlrev_b32_e32 v16, 1, v2
	s_add_i32 s2, 0, 0x2110
	v_writelane_b32 v167, s5, 57
	v_add_u32_e32 v100, 0, v21
	v_cmp_eq_u32_e64 s[24:25], 0, v18
	v_lshl_add_u64 v[20:21], v[0:1], 0, v[16:17]
	v_lshlrev_b32_e32 v22, 1, v2
	s_mov_b32 s6, 0x41a00000
	s_mov_b32 s10, 0x3fb8aa3b
	;; [unrolled: 1-line block ×8, first 2 shown]
	v_writelane_b32 v167, s2, 58
	s_mov_b32 s33, 0xc2fc0000
	s_mov_b32 s3, 0
	v_or_b32_e32 v134, 15, v19
	v_mov_b32_e32 v135, 0x3ecc95a3
	v_mov_b32_e32 v136, 0x7f800000
	;; [unrolled: 1-line block ×5, first 2 shown]
                                        ; implicit-def: $vgpr0
	s_branch .LBB90_13
.LBB90_12:                              ;   in Loop: Header=BB90_13 Depth=1
	s_or_b64 exec, exec, s[2:3]
	v_readlane_b32 s2, v167, 4
	v_readlane_b32 s3, v167, 5
	s_add_u32 s2, s2, 0x1000
	s_addc_u32 s3, s3, 0
	v_writelane_b32 v167, s2, 4
	s_add_u32 s8, s8, 0x1000
	s_addc_u32 s9, s9, 0
	v_writelane_b32 v167, s3, 5
	s_nop 0
	v_readlane_b32 s2, v167, 8
	v_readlane_b32 s3, v167, 9
	s_add_u32 s2, s2, 0x1000
	s_addc_u32 s3, s3, 0
	v_writelane_b32 v167, s2, 8
	s_nop 1
	v_writelane_b32 v167, s3, 9
	s_nop 0
	v_readlane_b32 s2, v167, 22
	v_readlane_b32 s3, v167, 23
	s_add_u32 s2, s2, 0x1000
	s_addc_u32 s3, s3, 0
	v_writelane_b32 v167, s2, 22
	s_nop 1
	v_writelane_b32 v167, s3, 23
	s_nop 0
	v_readlane_b32 s3, v167, 59
	s_add_i32 s3, s3, 1
	v_readlane_b32 s2, v167, 36
	s_cmp_eq_u32 s3, s2
	s_cbranch_scc1 .LBB90_238
.LBB90_13:                              ; =>This Loop Header: Depth=1
                                        ;     Child Loop BB90_110 Depth 2
	s_lshl_b32 s18, s3, 11
	v_writelane_b32 v167, s3, 59
	s_mov_b32 s4, s18
	v_readlane_b32 s2, v167, 35
	v_writelane_b32 v167, s4, 60
	s_waitcnt lgkmcnt(14)
	v_lshlrev_b32_e32 v16, 1, v18
	s_sub_i32 s88, s2, s18
	v_writelane_b32 v167, s5, 61
	v_writelane_b32 v167, s8, 62
	v_mov_b32_e32 v23, v17
	v_cmp_gt_u32_e64 s[26:27], s88, v68
	v_lshl_add_u64 v[0:1], s[8:9], 0, v[16:17]
	v_writelane_b32 v167, s9, 63
	v_lshl_add_u64 v[0:1], v[0:1], 0, v[22:23]
	s_waitcnt lgkmcnt(0)
	v_mov_b32_e32 v2, 0
	s_barrier
	s_and_saveexec_b64 s[2:3], s[26:27]
	s_cbranch_execz .LBB90_15
; %bb.14:                               ;   in Loop: Header=BB90_13 Depth=1
	global_load_ushort v2, v[0:1], off
.LBB90_15:                              ;   in Loop: Header=BB90_13 Depth=1
	s_or_b64 exec, exec, s[2:3]
	v_cmp_gt_u32_e64 s[28:29], s88, v69
	v_mov_b32_e32 v3, 0
	v_mov_b32_e32 v4, 0
	s_and_saveexec_b64 s[2:3], s[28:29]
	s_cbranch_execz .LBB90_17
; %bb.16:                               ;   in Loop: Header=BB90_13 Depth=1
	global_load_ushort v4, v[0:1], off offset:128
.LBB90_17:                              ;   in Loop: Header=BB90_13 Depth=1
	s_or_b64 exec, exec, s[2:3]
	v_cmp_gt_u32_e64 s[30:31], s88, v70
	s_and_saveexec_b64 s[2:3], s[30:31]
	s_cbranch_execz .LBB90_19
; %bb.18:                               ;   in Loop: Header=BB90_13 Depth=1
	global_load_ushort v3, v[0:1], off offset:256
.LBB90_19:                              ;   in Loop: Header=BB90_13 Depth=1
	s_or_b64 exec, exec, s[2:3]
	v_cmp_gt_u32_e64 s[34:35], s88, v71
	v_mov_b32_e32 v5, 0
	v_mov_b32_e32 v6, 0
	s_and_saveexec_b64 s[2:3], s[34:35]
	s_cbranch_execz .LBB90_21
; %bb.20:                               ;   in Loop: Header=BB90_13 Depth=1
	global_load_ushort v6, v[0:1], off offset:384
.LBB90_21:                              ;   in Loop: Header=BB90_13 Depth=1
	s_or_b64 exec, exec, s[2:3]
	v_cmp_gt_u32_e64 s[36:37], s88, v72
	s_and_saveexec_b64 s[2:3], s[36:37]
	s_cbranch_execz .LBB90_23
; %bb.22:                               ;   in Loop: Header=BB90_13 Depth=1
	global_load_ushort v5, v[0:1], off offset:512
.LBB90_23:                              ;   in Loop: Header=BB90_13 Depth=1
	;; [unrolled: 16-line block ×7, first 2 shown]
	s_or_b64 exec, exec, s[2:3]
	v_cmp_gt_u32_e64 s[58:59], s88, v83
	v_mov_b32_e32 v10, 0
	v_mov_b32_e32 v26, 0
	s_and_saveexec_b64 s[2:3], s[58:59]
	s_cbranch_execz .LBB90_45
; %bb.44:                               ;   in Loop: Header=BB90_13 Depth=1
	global_load_ushort v26, v[0:1], off offset:1920
.LBB90_45:                              ;   in Loop: Header=BB90_13 Depth=1
	s_or_b64 exec, exec, s[2:3]
	s_waitcnt vmcnt(0)
	ds_write_b16 v84, v2
	ds_write_b16 v85, v4 offset:128
	ds_write_b16 v86, v3 offset:256
	;; [unrolled: 1-line block ×15, first 2 shown]
	; wave barrier
	ds_read_b128 v[0:3], v100
	ds_read_b128 v[4:7], v100 offset:16
	v_readlane_b32 s2, v167, 4
	v_readlane_b32 s3, v167, 5
	v_mov_b32_e32 v23, v17
	s_waitcnt lgkmcnt(0)
	v_lshl_add_u64 v[8:9], s[2:3], 0, v[16:17]
	v_lshl_add_u64 v[8:9], v[8:9], 0, v[22:23]
	s_barrier
	s_and_saveexec_b64 s[2:3], s[26:27]
	s_cbranch_execz .LBB90_47
; %bb.46:                               ;   in Loop: Header=BB90_13 Depth=1
	global_load_ushort v10, v[8:9], off
.LBB90_47:                              ;   in Loop: Header=BB90_13 Depth=1
	s_or_b64 exec, exec, s[2:3]
	v_mov_b32_e32 v11, 0
	v_mov_b32_e32 v12, 0
	s_and_saveexec_b64 s[2:3], s[28:29]
	s_cbranch_execz .LBB90_49
; %bb.48:                               ;   in Loop: Header=BB90_13 Depth=1
	global_load_ushort v12, v[8:9], off offset:128
.LBB90_49:                              ;   in Loop: Header=BB90_13 Depth=1
	s_or_b64 exec, exec, s[2:3]
	s_and_saveexec_b64 s[2:3], s[30:31]
	s_cbranch_execz .LBB90_51
; %bb.50:                               ;   in Loop: Header=BB90_13 Depth=1
	global_load_ushort v11, v[8:9], off offset:256
.LBB90_51:                              ;   in Loop: Header=BB90_13 Depth=1
	s_or_b64 exec, exec, s[2:3]
	v_mov_b32_e32 v13, 0
	v_mov_b32_e32 v14, 0
	s_and_saveexec_b64 s[2:3], s[34:35]
	s_cbranch_execz .LBB90_53
; %bb.52:                               ;   in Loop: Header=BB90_13 Depth=1
	global_load_ushort v14, v[8:9], off offset:384
.LBB90_53:                              ;   in Loop: Header=BB90_13 Depth=1
	s_or_b64 exec, exec, s[2:3]
	s_and_saveexec_b64 s[2:3], s[36:37]
	s_cbranch_execz .LBB90_55
; %bb.54:                               ;   in Loop: Header=BB90_13 Depth=1
	global_load_ushort v13, v[8:9], off offset:512
.LBB90_55:                              ;   in Loop: Header=BB90_13 Depth=1
	;; [unrolled: 14-line block ×6, first 2 shown]
	s_or_b64 exec, exec, s[2:3]
	v_mov_b32_e32 v31, 0
	v_mov_b32_e32 v32, 0
	s_and_saveexec_b64 s[2:3], s[54:55]
	s_cbranch_execnz .LBB90_221
; %bb.72:                               ;   in Loop: Header=BB90_13 Depth=1
	s_or_b64 exec, exec, s[2:3]
	s_and_saveexec_b64 s[2:3], s[56:57]
	s_cbranch_execnz .LBB90_222
.LBB90_73:                              ;   in Loop: Header=BB90_13 Depth=1
	s_or_b64 exec, exec, s[2:3]
	v_mov_b32_e32 v33, 0
	s_and_saveexec_b64 s[2:3], s[58:59]
	s_cbranch_execz .LBB90_75
.LBB90_74:                              ;   in Loop: Header=BB90_13 Depth=1
	global_load_ushort v33, v[8:9], off offset:1920
.LBB90_75:                              ;   in Loop: Header=BB90_13 Depth=1
	s_or_b64 exec, exec, s[2:3]
	s_waitcnt vmcnt(0)
	ds_write_b16 v84, v10
	ds_write_b16 v85, v12 offset:128
	ds_write_b16 v86, v11 offset:256
	;; [unrolled: 1-line block ×15, first 2 shown]
	; wave barrier
	ds_read_b128 v[12:15], v100
	ds_read_b128 v[8:11], v100 offset:16
	v_readlane_b32 s2, v167, 2
	s_waitcnt lgkmcnt(1)
	v_cvt_f32_f16_e32 v23, v12
	v_add_f32_e32 v139, s2, v23
	v_readlane_b32 s2, v167, 30
	v_cmp_ge_f32_e32 vcc, s6, v139
	v_readlane_b32 s3, v167, 31
	s_and_b64 s[2:3], s[2:3], vcc
	s_and_saveexec_b64 s[4:5], s[2:3]
	s_cbranch_execz .LBB90_77
; %bb.76:                               ;   in Loop: Header=BB90_13 Depth=1
	v_mul_f32_e32 v23, 0x3fb8aa3b, v139
	v_rndne_f32_e32 v25, v23
	v_sub_f32_e32 v26, v23, v25
	v_fma_f32 v23, v139, s10, -v23
	v_fmac_f32_e32 v23, 0x32a5705f, v139
	v_add_f32_e32 v23, v26, v23
	v_cvt_i32_f32_e32 v25, v25
	v_exp_f32_e32 v23, v23
	v_cmp_ngt_f32_e32 vcc, s11, v139
	v_ldexp_f32 v23, v23, v25
	s_nop 0
	v_cndmask_b32_e32 v23, 0, v23, vcc
	v_cmp_nlt_f32_e32 vcc, s12, v139
	s_nop 1
	v_cndmask_b32_e32 v42, v136, v23, vcc
	v_add_f32_e32 v23, 1.0, v42
	v_add_f32_e32 v25, -1.0, v23
	v_sub_f32_e32 v26, v25, v23
	v_add_f32_e32 v26, 1.0, v26
	v_sub_f32_e32 v25, v42, v25
	v_add_f32_e32 v25, v25, v26
	v_frexp_mant_f32_e32 v28, v23
	v_cvt_f64_f32_e32 v[26:27], v23
	v_frexp_exp_i32_f64_e32 v26, v[26:27]
	v_cmp_gt_f32_e32 vcc, s14, v28
	v_cmp_gt_f32_e64 s[60:61], s16, v42
	s_nop 0
	v_subbrev_co_u32_e32 v34, vcc, 0, v26, vcc
	v_sub_u32_e32 v26, 0, v34
	v_ldexp_f32 v23, v23, v26
	v_ldexp_f32 v25, v25, v26
	v_add_f32_e32 v26, -1.0, v23
	v_add_f32_e32 v27, 1.0, v26
	v_sub_f32_e32 v27, v23, v27
	v_add_f32_e32 v28, v25, v27
	v_add_f32_e32 v27, 1.0, v23
	v_add_f32_e32 v29, -1.0, v27
	v_sub_f32_e32 v23, v23, v29
	v_add_f32_e32 v23, v25, v23
	v_add_f32_e32 v25, v27, v23
	v_rcp_f32_e32 v35, v25
	v_sub_f32_e32 v27, v27, v25
	v_add_f32_e32 v23, v23, v27
	v_add_f32_e32 v27, v26, v28
	v_sub_f32_e32 v26, v26, v27
	v_mul_f32_e32 v37, v27, v35
	v_add_f32_e32 v36, v28, v26
	v_mul_f32_e32 v28, v25, v37
	v_fma_f32 v30, v37, v25, -v28
	v_fmac_f32_e32 v30, v37, v23
	v_add_f32_e32 v26, v28, v30
	v_sub_f32_e32 v29, v27, v26
	v_pk_add_f32 v[32:33], v[26:27], v[28:29] neg_lo:[0,1] neg_hi:[0,1]
	v_mov_b32_e32 v31, v26
	v_pk_add_f32 v[26:27], v[32:33], v[30:31] neg_lo:[0,1] neg_hi:[0,1]
	v_cmp_eq_f32_e32 vcc, s13, v42
	v_add_f32_e32 v27, v36, v27
	v_add_f32_e32 v26, v26, v27
	;; [unrolled: 1-line block ×3, first 2 shown]
	v_mul_f32_e32 v36, v35, v27
	v_mul_f32_e32 v28, v25, v36
	v_fma_f32 v30, v36, v25, -v28
	v_fmac_f32_e32 v30, v36, v23
	v_sub_f32_e32 v23, v29, v27
	v_add_f32_e32 v23, v26, v23
	v_add_f32_e32 v26, v28, v30
	v_sub_f32_e32 v29, v27, v26
	v_pk_add_f32 v[32:33], v[26:27], v[28:29] neg_lo:[0,1] neg_hi:[0,1]
	v_mov_b32_e32 v31, v26
	v_pk_add_f32 v[26:27], v[32:33], v[30:31] neg_lo:[0,1] neg_hi:[0,1]
	s_or_b64 vcc, s[60:61], vcc
	v_add_f32_e32 v23, v23, v27
	v_add_f32_e32 v23, v26, v23
	;; [unrolled: 1-line block ×4, first 2 shown]
	v_sub_f32_e32 v25, v27, v37
	v_mul_f32_e32 v23, v35, v23
	v_sub_f32_e32 v25, v36, v25
	v_add_f32_e32 v23, v25, v23
	v_add_f32_e32 v28, v27, v23
	v_cvt_f32_i32_e32 v26, v34
	v_mul_f32_e32 v30, v28, v28
	v_fmamk_f32 v25, v30, 0x3e9b6dac, v135
	v_sub_f32_e32 v27, v28, v27
	v_fmaak_f32 v25, v30, v25, 0x3f2aaada
	v_sub_f32_e32 v23, v23, v27
	v_mul_f32_e32 v27, v28, v30
	v_pk_mul_f32 v[30:31], v[26:27], v[24:25]
	v_ldexp_f32 v29, v28, 1
	v_fma_f32 v28, v26, s15, -v30
	v_fmac_f32_e32 v28, 0xb102e308, v26
	v_pk_add_f32 v[26:27], v[30:31], v[28:29]
	v_ldexp_f32 v23, v23, 1
	v_sub_f32_e32 v25, v27, v29
	v_sub_f32_e32 v25, v31, v25
	v_add_f32_e32 v33, v23, v25
	v_mov_b32_e32 v32, v30
	v_pk_add_f32 v[30:31], v[26:27], v[30:31] neg_lo:[0,1] neg_hi:[0,1]
	v_pk_add_f32 v[34:35], v[26:27], v[32:33]
	v_mov_b32_e32 v29, v26
	v_mov_b32_e32 v31, v35
	v_pk_add_f32 v[36:37], v[28:29], v[30:31] neg_lo:[0,1] neg_hi:[0,1]
	v_pk_add_f32 v[28:29], v[28:29], v[30:31]
	v_mov_b32_e32 v32, v33
	v_mov_b32_e32 v30, v29
	v_pk_add_f32 v[38:39], v[30:31], v[26:27] neg_lo:[0,1] neg_hi:[0,1]
	v_mov_b32_e32 v28, v35
	v_mov_b32_e32 v23, v38
	v_pk_add_f32 v[40:41], v[34:35], v[22:23] neg_lo:[0,1] neg_hi:[0,1]
	v_mov_b32_e32 v34, v27
	v_mov_b32_e32 v35, v38
	;; [unrolled: 1-line block ×3, first 2 shown]
	v_pk_add_f32 v[28:29], v[28:29], v[34:35] neg_lo:[0,1] neg_hi:[0,1]
	v_mov_b32_e32 v33, v26
	v_pk_add_f32 v[26:27], v[32:33], v[28:29] neg_lo:[0,1] neg_hi:[0,1]
	v_mov_b32_e32 v40, v36
	v_pk_add_f32 v[28:29], v[40:41], v[26:27]
	s_nop 0
	v_mov_b32_e32 v32, v29
	v_pk_add_f32 v[32:33], v[28:29], v[32:33]
	s_nop 0
	v_pk_add_f32 v[30:31], v[30:31], v[32:33]
	v_mov_b32_e32 v27, v32
	v_mov_b32_e32 v29, v30
	v_pk_add_f32 v[34:35], v[28:29], v[36:37] neg_lo:[0,1] neg_hi:[0,1]
	s_nop 0
	v_sub_f32_e32 v23, v28, v34
	v_pk_add_f32 v[26:27], v[26:27], v[34:35] neg_lo:[0,1] neg_hi:[0,1]
	v_sub_f32_e32 v23, v36, v23
	v_add_f32_e32 v23, v26, v23
	v_add_f32_e32 v23, v23, v27
	;; [unrolled: 1-line block ×3, first 2 shown]
	v_cndmask_b32_e32 v139, v23, v42, vcc
.LBB90_77:                              ;   in Loop: Header=BB90_13 Depth=1
	s_or_b64 exec, exec, s[4:5]
	v_cvt_f32_f16_sdwa v12, v12 dst_sel:DWORD dst_unused:UNUSED_PAD src0_sel:WORD_1
	v_readlane_b32 s2, v167, 2
	s_nop 1
	v_add_f32_e32 v140, s2, v12
	v_readlane_b32 s2, v167, 30
	v_cmp_ge_f32_e32 vcc, s6, v140
	v_readlane_b32 s3, v167, 31
	s_and_b64 s[2:3], s[2:3], vcc
	s_and_saveexec_b64 s[4:5], s[2:3]
	s_cbranch_execz .LBB90_79
; %bb.78:                               ;   in Loop: Header=BB90_13 Depth=1
	v_mul_f32_e32 v12, 0x3fb8aa3b, v140
	v_rndne_f32_e32 v23, v12
	v_sub_f32_e32 v25, v12, v23
	v_fma_f32 v12, v140, s10, -v12
	v_fmac_f32_e32 v12, 0x32a5705f, v140
	v_add_f32_e32 v12, v25, v12
	v_cvt_i32_f32_e32 v23, v23
	v_exp_f32_e32 v12, v12
	v_cmp_ngt_f32_e32 vcc, s11, v140
	v_ldexp_f32 v12, v12, v23
	s_nop 0
	v_cndmask_b32_e32 v12, 0, v12, vcc
	v_cmp_nlt_f32_e32 vcc, s12, v140
	s_nop 1
	v_cndmask_b32_e32 v40, v136, v12, vcc
	v_add_f32_e32 v12, 1.0, v40
	v_add_f32_e32 v23, -1.0, v12
	v_sub_f32_e32 v25, v23, v12
	v_add_f32_e32 v25, 1.0, v25
	v_sub_f32_e32 v23, v40, v23
	v_add_f32_e32 v23, v23, v25
	v_frexp_mant_f32_e32 v25, v12
	v_cvt_f64_f32_e32 v[26:27], v12
	v_frexp_exp_i32_f64_e32 v26, v[26:27]
	v_cmp_gt_f32_e32 vcc, s14, v25
	v_cmp_gt_f32_e64 s[60:61], s16, v40
	s_nop 0
	v_subbrev_co_u32_e32 v34, vcc, 0, v26, vcc
	v_sub_u32_e32 v25, 0, v34
	v_ldexp_f32 v12, v12, v25
	v_ldexp_f32 v23, v23, v25
	v_add_f32_e32 v25, -1.0, v12
	v_add_f32_e32 v27, 1.0, v12
	v_add_f32_e32 v26, 1.0, v25
	v_add_f32_e32 v28, -1.0, v27
	v_sub_f32_e32 v26, v12, v26
	v_sub_f32_e32 v12, v12, v28
	v_add_f32_e32 v12, v23, v12
	v_add_f32_e32 v26, v23, v26
	;; [unrolled: 1-line block ×3, first 2 shown]
	v_rcp_f32_e32 v35, v23
	v_sub_f32_e32 v27, v27, v23
	v_add_f32_e32 v12, v12, v27
	v_add_f32_e32 v27, v25, v26
	v_mul_f32_e32 v36, v27, v35
	v_mul_f32_e32 v28, v23, v36
	v_fma_f32 v30, v36, v23, -v28
	v_sub_f32_e32 v25, v25, v27
	v_fmac_f32_e32 v30, v36, v12
	v_add_f32_e32 v25, v26, v25
	v_add_f32_e32 v26, v28, v30
	v_sub_f32_e32 v29, v27, v26
	v_pk_add_f32 v[32:33], v[26:27], v[28:29] neg_lo:[0,1] neg_hi:[0,1]
	v_mov_b32_e32 v31, v26
	v_pk_add_f32 v[26:27], v[32:33], v[30:31] neg_lo:[0,1] neg_hi:[0,1]
	v_cmp_eq_f32_e32 vcc, s13, v40
	v_add_f32_e32 v25, v25, v27
	v_add_f32_e32 v25, v26, v25
	;; [unrolled: 1-line block ×3, first 2 shown]
	v_mul_f32_e32 v37, v35, v27
	v_mul_f32_e32 v28, v23, v37
	v_fma_f32 v30, v37, v23, -v28
	v_fmac_f32_e32 v30, v37, v12
	v_add_f32_e32 v26, v28, v30
	v_sub_f32_e32 v12, v29, v27
	v_sub_f32_e32 v29, v27, v26
	v_pk_add_f32 v[32:33], v[26:27], v[28:29] neg_lo:[0,1] neg_hi:[0,1]
	v_mov_b32_e32 v31, v26
	v_add_f32_e32 v12, v25, v12
	v_pk_add_f32 v[26:27], v[32:33], v[30:31] neg_lo:[0,1] neg_hi:[0,1]
	v_add_f32_e32 v23, v36, v37
	v_add_f32_e32 v12, v12, v27
	;; [unrolled: 1-line block ×4, first 2 shown]
	v_sub_f32_e32 v25, v23, v36
	v_mul_f32_e32 v12, v35, v12
	v_sub_f32_e32 v25, v37, v25
	v_add_f32_e32 v12, v25, v12
	v_add_f32_e32 v27, v23, v12
	v_cvt_f32_i32_e32 v26, v34
	v_mul_f32_e32 v28, v27, v27
	v_fmamk_f32 v25, v28, 0x3e9b6dac, v135
	v_fmaak_f32 v25, v28, v25, 0x3f2aaada
	v_sub_f32_e32 v23, v27, v23
	v_ldexp_f32 v29, v27, 1
	v_mul_f32_e32 v27, v27, v28
	v_pk_mul_f32 v[30:31], v[26:27], v[24:25]
	v_sub_f32_e32 v12, v12, v23
	v_fma_f32 v28, v26, s15, -v30
	v_fmac_f32_e32 v28, 0xb102e308, v26
	v_pk_add_f32 v[26:27], v[30:31], v[28:29]
	v_ldexp_f32 v12, v12, 1
	v_sub_f32_e32 v23, v27, v29
	v_sub_f32_e32 v23, v31, v23
	v_add_f32_e32 v33, v12, v23
	v_mov_b32_e32 v32, v30
	v_pk_add_f32 v[30:31], v[26:27], v[30:31] neg_lo:[0,1] neg_hi:[0,1]
	v_pk_add_f32 v[34:35], v[26:27], v[32:33]
	v_mov_b32_e32 v29, v26
	v_mov_b32_e32 v31, v35
	v_pk_add_f32 v[36:37], v[28:29], v[30:31] neg_lo:[0,1] neg_hi:[0,1]
	v_pk_add_f32 v[28:29], v[28:29], v[30:31]
	s_or_b64 vcc, s[60:61], vcc
	v_mov_b32_e32 v12, v29
	v_pk_add_f32 v[30:31], v[12:13], v[26:27] neg_lo:[0,1] neg_hi:[0,1]
	v_mov_b32_e32 v28, v35
	v_mov_b32_e32 v23, v30
	v_pk_add_f32 v[38:39], v[34:35], v[22:23] neg_lo:[0,1] neg_hi:[0,1]
	v_mov_b32_e32 v34, v27
	v_mov_b32_e32 v35, v30
	;; [unrolled: 1-line block ×3, first 2 shown]
	v_pk_add_f32 v[28:29], v[28:29], v[34:35] neg_lo:[0,1] neg_hi:[0,1]
	v_mov_b32_e32 v30, v33
	v_mov_b32_e32 v31, v26
	v_pk_add_f32 v[26:27], v[30:31], v[28:29] neg_lo:[0,1] neg_hi:[0,1]
	v_mov_b32_e32 v38, v36
	v_pk_add_f32 v[28:29], v[38:39], v[26:27]
	s_nop 0
	v_mov_b32_e32 v30, v29
	v_pk_add_f32 v[30:31], v[28:29], v[30:31]
	s_nop 0
	v_pk_add_f32 v[32:33], v[12:13], v[30:31]
	v_mov_b32_e32 v27, v30
	v_mov_b32_e32 v29, v32
	v_pk_add_f32 v[34:35], v[28:29], v[36:37] neg_lo:[0,1] neg_hi:[0,1]
	s_nop 0
	v_sub_f32_e32 v12, v28, v34
	v_pk_add_f32 v[26:27], v[26:27], v[34:35] neg_lo:[0,1] neg_hi:[0,1]
	v_sub_f32_e32 v12, v36, v12
	v_add_f32_e32 v12, v26, v12
	v_add_f32_e32 v12, v12, v27
	;; [unrolled: 1-line block ×3, first 2 shown]
	v_cndmask_b32_e32 v140, v12, v40, vcc
.LBB90_79:                              ;   in Loop: Header=BB90_13 Depth=1
	s_or_b64 exec, exec, s[4:5]
	v_cvt_f32_f16_e32 v12, v13
	v_readlane_b32 s2, v167, 2
	s_nop 1
	v_add_f32_e32 v141, s2, v12
	v_readlane_b32 s2, v167, 30
	v_cmp_ge_f32_e32 vcc, s6, v141
	v_readlane_b32 s3, v167, 31
	s_and_b64 s[2:3], s[2:3], vcc
	s_and_saveexec_b64 s[4:5], s[2:3]
	s_cbranch_execz .LBB90_81
; %bb.80:                               ;   in Loop: Header=BB90_13 Depth=1
	v_mul_f32_e32 v12, 0x3fb8aa3b, v141
	v_rndne_f32_e32 v23, v12
	v_sub_f32_e32 v25, v12, v23
	v_fma_f32 v12, v141, s10, -v12
	v_fmac_f32_e32 v12, 0x32a5705f, v141
	v_add_f32_e32 v12, v25, v12
	v_cvt_i32_f32_e32 v23, v23
	v_exp_f32_e32 v12, v12
	v_cmp_ngt_f32_e32 vcc, s11, v141
	v_ldexp_f32 v12, v12, v23
	s_nop 0
	v_cndmask_b32_e32 v12, 0, v12, vcc
	v_cmp_nlt_f32_e32 vcc, s12, v141
	s_nop 1
	v_cndmask_b32_e32 v40, v136, v12, vcc
	v_add_f32_e32 v12, 1.0, v40
	v_add_f32_e32 v23, -1.0, v12
	v_sub_f32_e32 v25, v23, v12
	v_add_f32_e32 v25, 1.0, v25
	v_sub_f32_e32 v23, v40, v23
	v_add_f32_e32 v23, v23, v25
	v_frexp_mant_f32_e32 v25, v12
	v_cvt_f64_f32_e32 v[26:27], v12
	v_frexp_exp_i32_f64_e32 v26, v[26:27]
	v_cmp_gt_f32_e32 vcc, s14, v25
	v_cmp_gt_f32_e64 s[60:61], s16, v40
	s_nop 0
	v_subbrev_co_u32_e32 v34, vcc, 0, v26, vcc
	v_sub_u32_e32 v25, 0, v34
	v_ldexp_f32 v12, v12, v25
	v_ldexp_f32 v23, v23, v25
	v_add_f32_e32 v25, -1.0, v12
	v_add_f32_e32 v27, 1.0, v12
	v_add_f32_e32 v26, 1.0, v25
	v_add_f32_e32 v28, -1.0, v27
	v_sub_f32_e32 v26, v12, v26
	v_sub_f32_e32 v12, v12, v28
	v_add_f32_e32 v12, v23, v12
	v_add_f32_e32 v26, v23, v26
	;; [unrolled: 1-line block ×3, first 2 shown]
	v_rcp_f32_e32 v35, v23
	v_sub_f32_e32 v27, v27, v23
	v_add_f32_e32 v12, v12, v27
	v_add_f32_e32 v27, v25, v26
	v_mul_f32_e32 v36, v27, v35
	v_mul_f32_e32 v28, v23, v36
	v_fma_f32 v30, v36, v23, -v28
	v_sub_f32_e32 v25, v25, v27
	v_fmac_f32_e32 v30, v36, v12
	v_add_f32_e32 v25, v26, v25
	v_add_f32_e32 v26, v28, v30
	v_sub_f32_e32 v29, v27, v26
	v_pk_add_f32 v[32:33], v[26:27], v[28:29] neg_lo:[0,1] neg_hi:[0,1]
	v_mov_b32_e32 v31, v26
	v_pk_add_f32 v[26:27], v[32:33], v[30:31] neg_lo:[0,1] neg_hi:[0,1]
	v_cmp_eq_f32_e32 vcc, s13, v40
	v_add_f32_e32 v25, v25, v27
	v_add_f32_e32 v25, v26, v25
	;; [unrolled: 1-line block ×3, first 2 shown]
	v_mul_f32_e32 v37, v35, v27
	v_mul_f32_e32 v28, v23, v37
	v_fma_f32 v30, v37, v23, -v28
	v_fmac_f32_e32 v30, v37, v12
	v_add_f32_e32 v26, v28, v30
	v_sub_f32_e32 v12, v29, v27
	v_sub_f32_e32 v29, v27, v26
	v_pk_add_f32 v[32:33], v[26:27], v[28:29] neg_lo:[0,1] neg_hi:[0,1]
	v_mov_b32_e32 v31, v26
	v_add_f32_e32 v12, v25, v12
	v_pk_add_f32 v[26:27], v[32:33], v[30:31] neg_lo:[0,1] neg_hi:[0,1]
	v_add_f32_e32 v23, v36, v37
	v_add_f32_e32 v12, v12, v27
	;; [unrolled: 1-line block ×4, first 2 shown]
	v_sub_f32_e32 v25, v23, v36
	v_mul_f32_e32 v12, v35, v12
	v_sub_f32_e32 v25, v37, v25
	v_add_f32_e32 v12, v25, v12
	v_add_f32_e32 v27, v23, v12
	v_cvt_f32_i32_e32 v26, v34
	v_mul_f32_e32 v28, v27, v27
	v_fmamk_f32 v25, v28, 0x3e9b6dac, v135
	v_fmaak_f32 v25, v28, v25, 0x3f2aaada
	v_sub_f32_e32 v23, v27, v23
	v_ldexp_f32 v29, v27, 1
	v_mul_f32_e32 v27, v27, v28
	v_pk_mul_f32 v[30:31], v[26:27], v[24:25]
	v_sub_f32_e32 v12, v12, v23
	v_fma_f32 v28, v26, s15, -v30
	v_fmac_f32_e32 v28, 0xb102e308, v26
	v_pk_add_f32 v[26:27], v[30:31], v[28:29]
	v_ldexp_f32 v12, v12, 1
	v_sub_f32_e32 v23, v27, v29
	v_sub_f32_e32 v23, v31, v23
	v_add_f32_e32 v33, v12, v23
	v_mov_b32_e32 v32, v30
	v_pk_add_f32 v[30:31], v[26:27], v[30:31] neg_lo:[0,1] neg_hi:[0,1]
	v_pk_add_f32 v[34:35], v[26:27], v[32:33]
	v_mov_b32_e32 v29, v26
	v_mov_b32_e32 v31, v35
	v_pk_add_f32 v[36:37], v[28:29], v[30:31] neg_lo:[0,1] neg_hi:[0,1]
	v_pk_add_f32 v[28:29], v[28:29], v[30:31]
	s_or_b64 vcc, s[60:61], vcc
	v_mov_b32_e32 v12, v29
	v_pk_add_f32 v[30:31], v[12:13], v[26:27] neg_lo:[0,1] neg_hi:[0,1]
	v_mov_b32_e32 v28, v35
	v_mov_b32_e32 v23, v30
	v_pk_add_f32 v[38:39], v[34:35], v[22:23] neg_lo:[0,1] neg_hi:[0,1]
	v_mov_b32_e32 v34, v27
	v_mov_b32_e32 v35, v30
	;; [unrolled: 1-line block ×3, first 2 shown]
	v_pk_add_f32 v[28:29], v[28:29], v[34:35] neg_lo:[0,1] neg_hi:[0,1]
	v_mov_b32_e32 v30, v33
	v_mov_b32_e32 v31, v26
	v_pk_add_f32 v[26:27], v[30:31], v[28:29] neg_lo:[0,1] neg_hi:[0,1]
	v_mov_b32_e32 v38, v36
	v_pk_add_f32 v[28:29], v[38:39], v[26:27]
	s_nop 0
	v_mov_b32_e32 v30, v29
	v_pk_add_f32 v[30:31], v[28:29], v[30:31]
	s_nop 0
	v_pk_add_f32 v[32:33], v[12:13], v[30:31]
	v_mov_b32_e32 v27, v30
	v_mov_b32_e32 v29, v32
	v_pk_add_f32 v[34:35], v[28:29], v[36:37] neg_lo:[0,1] neg_hi:[0,1]
	s_nop 0
	v_sub_f32_e32 v12, v28, v34
	v_pk_add_f32 v[26:27], v[26:27], v[34:35] neg_lo:[0,1] neg_hi:[0,1]
	v_sub_f32_e32 v12, v36, v12
	v_add_f32_e32 v12, v26, v12
	v_add_f32_e32 v12, v12, v27
	;; [unrolled: 1-line block ×3, first 2 shown]
	v_cndmask_b32_e32 v141, v12, v40, vcc
.LBB90_81:                              ;   in Loop: Header=BB90_13 Depth=1
	s_or_b64 exec, exec, s[4:5]
	v_cvt_f32_f16_sdwa v12, v13 dst_sel:DWORD dst_unused:UNUSED_PAD src0_sel:WORD_1
	v_readlane_b32 s2, v167, 2
	s_nop 1
	v_add_f32_e32 v142, s2, v12
	v_readlane_b32 s2, v167, 30
	v_cmp_ge_f32_e32 vcc, s6, v142
	v_readlane_b32 s3, v167, 31
	s_and_b64 s[2:3], s[2:3], vcc
	s_and_saveexec_b64 s[4:5], s[2:3]
	s_cbranch_execz .LBB90_83
; %bb.82:                               ;   in Loop: Header=BB90_13 Depth=1
	v_mul_f32_e32 v12, 0x3fb8aa3b, v142
	v_rndne_f32_e32 v13, v12
	v_sub_f32_e32 v23, v12, v13
	v_fma_f32 v12, v142, s10, -v12
	v_fmac_f32_e32 v12, 0x32a5705f, v142
	v_add_f32_e32 v12, v23, v12
	v_cvt_i32_f32_e32 v13, v13
	v_exp_f32_e32 v12, v12
	v_cmp_ngt_f32_e32 vcc, s11, v142
	v_ldexp_f32 v12, v12, v13
	s_nop 0
	v_cndmask_b32_e32 v12, 0, v12, vcc
	v_cmp_nlt_f32_e32 vcc, s12, v142
	s_nop 1
	v_cndmask_b32_e32 v40, v136, v12, vcc
	v_add_f32_e32 v23, 1.0, v40
	v_add_f32_e32 v12, -1.0, v23
	v_sub_f32_e32 v13, v12, v23
	v_add_f32_e32 v13, 1.0, v13
	v_sub_f32_e32 v12, v40, v12
	v_add_f32_e32 v25, v12, v13
	v_frexp_mant_f32_e32 v26, v23
	v_cvt_f64_f32_e32 v[12:13], v23
	v_frexp_exp_i32_f64_e32 v12, v[12:13]
	v_cmp_gt_f32_e32 vcc, s14, v26
	v_cmp_gt_f32_e64 s[60:61], s16, v40
	s_nop 0
	v_subbrev_co_u32_e32 v32, vcc, 0, v12, vcc
	v_sub_u32_e32 v12, 0, v32
	v_ldexp_f32 v13, v23, v12
	v_add_f32_e32 v23, -1.0, v13
	v_add_f32_e32 v26, 1.0, v13
	v_ldexp_f32 v12, v25, v12
	v_add_f32_e32 v25, 1.0, v23
	v_add_f32_e32 v27, -1.0, v26
	v_sub_f32_e32 v25, v13, v25
	v_sub_f32_e32 v13, v13, v27
	v_add_f32_e32 v25, v12, v25
	v_add_f32_e32 v12, v12, v13
	;; [unrolled: 1-line block ×3, first 2 shown]
	v_rcp_f32_e32 v35, v33
	v_sub_f32_e32 v13, v26, v33
	v_add_f32_e32 v34, v12, v13
	v_add_f32_e32 v13, v23, v25
	v_sub_f32_e32 v12, v23, v13
	v_add_f32_e32 v23, v25, v12
	v_mul_f32_e32 v25, v13, v35
	v_mul_f32_e32 v26, v33, v25
	v_fma_f32 v28, v25, v33, -v26
	v_fmac_f32_e32 v28, v25, v34
	v_add_f32_e32 v12, v26, v28
	v_sub_f32_e32 v27, v13, v12
	v_pk_add_f32 v[30:31], v[12:13], v[26:27] neg_lo:[0,1] neg_hi:[0,1]
	v_mov_b32_e32 v29, v12
	v_pk_add_f32 v[12:13], v[30:31], v[28:29] neg_lo:[0,1] neg_hi:[0,1]
	v_cmp_eq_f32_e32 vcc, s13, v40
	v_add_f32_e32 v13, v23, v13
	v_add_f32_e32 v12, v12, v13
	;; [unrolled: 1-line block ×3, first 2 shown]
	v_mul_f32_e32 v23, v35, v13
	v_mul_f32_e32 v26, v33, v23
	v_fma_f32 v28, v23, v33, -v26
	v_fmac_f32_e32 v28, v23, v34
	v_sub_f32_e32 v27, v27, v13
	v_add_f32_e32 v33, v12, v27
	v_add_f32_e32 v12, v26, v28
	v_sub_f32_e32 v27, v13, v12
	v_pk_add_f32 v[30:31], v[12:13], v[26:27] neg_lo:[0,1] neg_hi:[0,1]
	v_mov_b32_e32 v29, v12
	v_pk_add_f32 v[12:13], v[30:31], v[28:29] neg_lo:[0,1] neg_hi:[0,1]
	s_or_b64 vcc, s[60:61], vcc
	v_add_f32_e32 v13, v33, v13
	v_add_f32_e32 v12, v12, v13
	;; [unrolled: 1-line block ×4, first 2 shown]
	v_sub_f32_e32 v25, v13, v25
	v_mul_f32_e32 v12, v35, v12
	v_sub_f32_e32 v23, v23, v25
	v_add_f32_e32 v23, v23, v12
	v_add_f32_e32 v26, v13, v23
	v_mul_f32_e32 v28, v26, v26
	v_fmamk_f32 v12, v28, 0x3e9b6dac, v135
	v_fmaak_f32 v25, v28, v12, 0x3f2aaada
	v_cvt_f32_i32_e32 v12, v32
	v_sub_f32_e32 v13, v26, v13
	v_sub_f32_e32 v13, v23, v13
	v_ldexp_f32 v23, v13, 1
	v_mul_f32_e32 v13, v26, v28
	v_pk_mul_f32 v[28:29], v[12:13], v[24:25]
	v_ldexp_f32 v27, v26, 1
	v_fma_f32 v26, v12, s15, -v28
	v_fmac_f32_e32 v26, 0xb102e308, v12
	v_pk_add_f32 v[12:13], v[28:29], v[26:27]
	v_mov_b32_e32 v30, v28
	v_sub_f32_e32 v25, v13, v27
	v_sub_f32_e32 v25, v29, v25
	v_add_f32_e32 v31, v23, v25
	v_pk_add_f32 v[28:29], v[12:13], v[28:29] neg_lo:[0,1] neg_hi:[0,1]
	v_pk_add_f32 v[32:33], v[12:13], v[30:31]
	v_mov_b32_e32 v27, v12
	v_mov_b32_e32 v29, v33
	v_pk_add_f32 v[34:35], v[26:27], v[28:29] neg_lo:[0,1] neg_hi:[0,1]
	v_pk_add_f32 v[26:27], v[26:27], v[28:29]
	v_mov_b32_e32 v30, v31
	v_mov_b32_e32 v28, v27
	v_pk_add_f32 v[36:37], v[28:29], v[12:13] neg_lo:[0,1] neg_hi:[0,1]
	v_mov_b32_e32 v26, v33
	v_mov_b32_e32 v23, v36
	v_pk_add_f32 v[38:39], v[32:33], v[22:23] neg_lo:[0,1] neg_hi:[0,1]
	v_mov_b32_e32 v32, v13
	v_mov_b32_e32 v33, v36
	;; [unrolled: 1-line block ×3, first 2 shown]
	v_pk_add_f32 v[26:27], v[26:27], v[32:33] neg_lo:[0,1] neg_hi:[0,1]
	v_mov_b32_e32 v31, v12
	v_pk_add_f32 v[12:13], v[30:31], v[26:27] neg_lo:[0,1] neg_hi:[0,1]
	v_mov_b32_e32 v38, v34
	v_pk_add_f32 v[26:27], v[38:39], v[12:13]
	s_nop 0
	v_mov_b32_e32 v30, v27
	v_pk_add_f32 v[30:31], v[26:27], v[30:31]
	s_nop 0
	v_pk_add_f32 v[28:29], v[28:29], v[30:31]
	v_mov_b32_e32 v13, v30
	v_mov_b32_e32 v27, v28
	v_pk_add_f32 v[32:33], v[26:27], v[34:35] neg_lo:[0,1] neg_hi:[0,1]
	s_nop 0
	v_sub_f32_e32 v23, v26, v32
	v_pk_add_f32 v[12:13], v[12:13], v[32:33] neg_lo:[0,1] neg_hi:[0,1]
	v_sub_f32_e32 v23, v34, v23
	v_add_f32_e32 v12, v12, v23
	v_add_f32_e32 v12, v12, v13
	;; [unrolled: 1-line block ×3, first 2 shown]
	v_cndmask_b32_e32 v142, v12, v40, vcc
.LBB90_83:                              ;   in Loop: Header=BB90_13 Depth=1
	s_or_b64 exec, exec, s[4:5]
	v_cvt_f32_f16_e32 v12, v14
	v_readlane_b32 s2, v167, 2
	s_nop 1
	v_add_f32_e32 v143, s2, v12
	v_readlane_b32 s2, v167, 30
	v_cmp_ge_f32_e32 vcc, s6, v143
	v_readlane_b32 s3, v167, 31
	s_and_b64 s[2:3], s[2:3], vcc
	s_and_saveexec_b64 s[4:5], s[2:3]
	s_cbranch_execz .LBB90_85
; %bb.84:                               ;   in Loop: Header=BB90_13 Depth=1
	v_mul_f32_e32 v12, 0x3fb8aa3b, v143
	v_rndne_f32_e32 v13, v12
	v_sub_f32_e32 v23, v12, v13
	v_fma_f32 v12, v143, s10, -v12
	v_fmac_f32_e32 v12, 0x32a5705f, v143
	v_add_f32_e32 v12, v23, v12
	v_cvt_i32_f32_e32 v13, v13
	v_exp_f32_e32 v12, v12
	v_cmp_ngt_f32_e32 vcc, s11, v143
	v_ldexp_f32 v12, v12, v13
	s_nop 0
	v_cndmask_b32_e32 v12, 0, v12, vcc
	v_cmp_nlt_f32_e32 vcc, s12, v143
	s_nop 1
	v_cndmask_b32_e32 v40, v136, v12, vcc
	v_add_f32_e32 v23, 1.0, v40
	v_add_f32_e32 v12, -1.0, v23
	v_sub_f32_e32 v13, v12, v23
	v_add_f32_e32 v13, 1.0, v13
	v_sub_f32_e32 v12, v40, v12
	v_add_f32_e32 v25, v12, v13
	v_frexp_mant_f32_e32 v26, v23
	v_cvt_f64_f32_e32 v[12:13], v23
	v_frexp_exp_i32_f64_e32 v12, v[12:13]
	v_cmp_gt_f32_e32 vcc, s14, v26
	v_cmp_gt_f32_e64 s[60:61], s16, v40
	s_nop 0
	v_subbrev_co_u32_e32 v32, vcc, 0, v12, vcc
	v_sub_u32_e32 v12, 0, v32
	v_ldexp_f32 v13, v23, v12
	v_add_f32_e32 v23, -1.0, v13
	v_add_f32_e32 v26, 1.0, v13
	v_ldexp_f32 v12, v25, v12
	v_add_f32_e32 v25, 1.0, v23
	v_add_f32_e32 v27, -1.0, v26
	v_sub_f32_e32 v25, v13, v25
	v_sub_f32_e32 v13, v13, v27
	v_add_f32_e32 v25, v12, v25
	v_add_f32_e32 v12, v12, v13
	;; [unrolled: 1-line block ×3, first 2 shown]
	v_rcp_f32_e32 v35, v33
	v_sub_f32_e32 v13, v26, v33
	v_add_f32_e32 v34, v12, v13
	v_add_f32_e32 v13, v23, v25
	v_sub_f32_e32 v12, v23, v13
	v_add_f32_e32 v23, v25, v12
	v_mul_f32_e32 v25, v13, v35
	v_mul_f32_e32 v26, v33, v25
	v_fma_f32 v28, v25, v33, -v26
	v_fmac_f32_e32 v28, v25, v34
	v_add_f32_e32 v12, v26, v28
	v_sub_f32_e32 v27, v13, v12
	v_pk_add_f32 v[30:31], v[12:13], v[26:27] neg_lo:[0,1] neg_hi:[0,1]
	v_mov_b32_e32 v29, v12
	v_pk_add_f32 v[12:13], v[30:31], v[28:29] neg_lo:[0,1] neg_hi:[0,1]
	v_cmp_eq_f32_e32 vcc, s13, v40
	v_add_f32_e32 v13, v23, v13
	v_add_f32_e32 v12, v12, v13
	;; [unrolled: 1-line block ×3, first 2 shown]
	v_mul_f32_e32 v23, v35, v13
	v_mul_f32_e32 v26, v33, v23
	v_fma_f32 v28, v23, v33, -v26
	v_fmac_f32_e32 v28, v23, v34
	v_sub_f32_e32 v27, v27, v13
	v_add_f32_e32 v33, v12, v27
	v_add_f32_e32 v12, v26, v28
	v_sub_f32_e32 v27, v13, v12
	v_pk_add_f32 v[30:31], v[12:13], v[26:27] neg_lo:[0,1] neg_hi:[0,1]
	v_mov_b32_e32 v29, v12
	v_pk_add_f32 v[12:13], v[30:31], v[28:29] neg_lo:[0,1] neg_hi:[0,1]
	s_or_b64 vcc, s[60:61], vcc
	v_add_f32_e32 v13, v33, v13
	v_add_f32_e32 v12, v12, v13
	;; [unrolled: 1-line block ×4, first 2 shown]
	v_sub_f32_e32 v25, v13, v25
	v_mul_f32_e32 v12, v35, v12
	v_sub_f32_e32 v23, v23, v25
	v_add_f32_e32 v23, v23, v12
	v_add_f32_e32 v26, v13, v23
	v_mul_f32_e32 v28, v26, v26
	v_fmamk_f32 v12, v28, 0x3e9b6dac, v135
	v_fmaak_f32 v25, v28, v12, 0x3f2aaada
	v_cvt_f32_i32_e32 v12, v32
	v_sub_f32_e32 v13, v26, v13
	v_sub_f32_e32 v13, v23, v13
	v_ldexp_f32 v23, v13, 1
	v_mul_f32_e32 v13, v26, v28
	v_pk_mul_f32 v[28:29], v[12:13], v[24:25]
	v_ldexp_f32 v27, v26, 1
	v_fma_f32 v26, v12, s15, -v28
	v_fmac_f32_e32 v26, 0xb102e308, v12
	v_pk_add_f32 v[12:13], v[28:29], v[26:27]
	v_mov_b32_e32 v30, v28
	v_sub_f32_e32 v25, v13, v27
	v_sub_f32_e32 v25, v29, v25
	v_add_f32_e32 v31, v23, v25
	v_pk_add_f32 v[28:29], v[12:13], v[28:29] neg_lo:[0,1] neg_hi:[0,1]
	v_pk_add_f32 v[32:33], v[12:13], v[30:31]
	v_mov_b32_e32 v27, v12
	v_mov_b32_e32 v29, v33
	v_pk_add_f32 v[34:35], v[26:27], v[28:29] neg_lo:[0,1] neg_hi:[0,1]
	v_pk_add_f32 v[26:27], v[26:27], v[28:29]
	v_mov_b32_e32 v30, v31
	v_mov_b32_e32 v28, v27
	v_pk_add_f32 v[36:37], v[28:29], v[12:13] neg_lo:[0,1] neg_hi:[0,1]
	v_mov_b32_e32 v26, v33
	v_mov_b32_e32 v23, v36
	v_pk_add_f32 v[38:39], v[32:33], v[22:23] neg_lo:[0,1] neg_hi:[0,1]
	v_mov_b32_e32 v32, v13
	v_mov_b32_e32 v33, v36
	;; [unrolled: 1-line block ×3, first 2 shown]
	v_pk_add_f32 v[26:27], v[26:27], v[32:33] neg_lo:[0,1] neg_hi:[0,1]
	v_mov_b32_e32 v31, v12
	v_pk_add_f32 v[12:13], v[30:31], v[26:27] neg_lo:[0,1] neg_hi:[0,1]
	v_mov_b32_e32 v38, v34
	v_pk_add_f32 v[26:27], v[38:39], v[12:13]
	s_nop 0
	v_mov_b32_e32 v30, v27
	v_pk_add_f32 v[30:31], v[26:27], v[30:31]
	s_nop 0
	v_pk_add_f32 v[28:29], v[28:29], v[30:31]
	v_mov_b32_e32 v13, v30
	v_mov_b32_e32 v27, v28
	v_pk_add_f32 v[32:33], v[26:27], v[34:35] neg_lo:[0,1] neg_hi:[0,1]
	s_nop 0
	v_sub_f32_e32 v23, v26, v32
	v_pk_add_f32 v[12:13], v[12:13], v[32:33] neg_lo:[0,1] neg_hi:[0,1]
	v_sub_f32_e32 v23, v34, v23
	v_add_f32_e32 v12, v12, v23
	v_add_f32_e32 v12, v12, v13
	;; [unrolled: 1-line block ×3, first 2 shown]
	v_cndmask_b32_e32 v143, v12, v40, vcc
.LBB90_85:                              ;   in Loop: Header=BB90_13 Depth=1
	s_or_b64 exec, exec, s[4:5]
	v_cvt_f32_f16_sdwa v12, v14 dst_sel:DWORD dst_unused:UNUSED_PAD src0_sel:WORD_1
	v_readlane_b32 s2, v167, 2
	s_nop 1
	v_add_f32_e32 v144, s2, v12
	v_readlane_b32 s2, v167, 30
	v_cmp_ge_f32_e32 vcc, s6, v144
	v_readlane_b32 s3, v167, 31
	s_and_b64 s[2:3], s[2:3], vcc
	s_and_saveexec_b64 s[4:5], s[2:3]
	s_cbranch_execz .LBB90_87
; %bb.86:                               ;   in Loop: Header=BB90_13 Depth=1
	v_mul_f32_e32 v12, 0x3fb8aa3b, v144
	v_rndne_f32_e32 v13, v12
	v_sub_f32_e32 v14, v12, v13
	v_fma_f32 v12, v144, s10, -v12
	v_fmac_f32_e32 v12, 0x32a5705f, v144
	v_add_f32_e32 v12, v14, v12
	v_cvt_i32_f32_e32 v13, v13
	v_exp_f32_e32 v12, v12
	v_cmp_ngt_f32_e32 vcc, s11, v144
	v_ldexp_f32 v12, v12, v13
	s_nop 0
	v_cndmask_b32_e32 v12, 0, v12, vcc
	v_cmp_nlt_f32_e32 vcc, s12, v144
	s_nop 1
	v_cndmask_b32_e32 v38, v136, v12, vcc
	v_add_f32_e32 v14, 1.0, v38
	v_add_f32_e32 v12, -1.0, v14
	v_sub_f32_e32 v13, v12, v14
	v_add_f32_e32 v13, 1.0, v13
	v_sub_f32_e32 v12, v38, v12
	v_add_f32_e32 v23, v12, v13
	v_frexp_mant_f32_e32 v25, v14
	v_cvt_f64_f32_e32 v[12:13], v14
	v_frexp_exp_i32_f64_e32 v12, v[12:13]
	v_cmp_gt_f32_e32 vcc, s14, v25
	v_cmp_gt_f32_e64 s[60:61], s16, v38
	s_nop 0
	v_subbrev_co_u32_e32 v32, vcc, 0, v12, vcc
	v_sub_u32_e32 v12, 0, v32
	v_ldexp_f32 v13, v14, v12
	v_add_f32_e32 v14, -1.0, v13
	v_add_f32_e32 v25, 1.0, v13
	v_ldexp_f32 v12, v23, v12
	v_add_f32_e32 v23, 1.0, v14
	v_add_f32_e32 v26, -1.0, v25
	v_sub_f32_e32 v23, v13, v23
	v_sub_f32_e32 v13, v13, v26
	v_add_f32_e32 v23, v12, v23
	v_add_f32_e32 v12, v12, v13
	;; [unrolled: 1-line block ×3, first 2 shown]
	v_rcp_f32_e32 v34, v33
	v_sub_f32_e32 v13, v25, v33
	v_add_f32_e32 v25, v12, v13
	v_add_f32_e32 v13, v14, v23
	v_sub_f32_e32 v12, v14, v13
	v_add_f32_e32 v14, v23, v12
	v_mul_f32_e32 v23, v13, v34
	v_mul_f32_e32 v26, v33, v23
	v_fma_f32 v28, v23, v33, -v26
	v_fmac_f32_e32 v28, v23, v25
	v_add_f32_e32 v12, v26, v28
	v_sub_f32_e32 v27, v13, v12
	v_pk_add_f32 v[30:31], v[12:13], v[26:27] neg_lo:[0,1] neg_hi:[0,1]
	v_mov_b32_e32 v29, v12
	v_pk_add_f32 v[12:13], v[30:31], v[28:29] neg_lo:[0,1] neg_hi:[0,1]
	v_cmp_eq_f32_e32 vcc, s13, v38
	v_add_f32_e32 v13, v14, v13
	v_add_f32_e32 v12, v12, v13
	;; [unrolled: 1-line block ×3, first 2 shown]
	v_mul_f32_e32 v14, v34, v13
	v_mul_f32_e32 v26, v33, v14
	v_fma_f32 v28, v14, v33, -v26
	v_fmac_f32_e32 v28, v14, v25
	v_sub_f32_e32 v25, v27, v13
	v_add_f32_e32 v25, v12, v25
	v_add_f32_e32 v12, v26, v28
	v_sub_f32_e32 v27, v13, v12
	v_pk_add_f32 v[30:31], v[12:13], v[26:27] neg_lo:[0,1] neg_hi:[0,1]
	v_mov_b32_e32 v29, v12
	v_pk_add_f32 v[12:13], v[30:31], v[28:29] neg_lo:[0,1] neg_hi:[0,1]
	s_or_b64 vcc, s[60:61], vcc
	v_add_f32_e32 v13, v25, v13
	v_add_f32_e32 v12, v12, v13
	;; [unrolled: 1-line block ×4, first 2 shown]
	v_sub_f32_e32 v23, v13, v23
	v_mul_f32_e32 v12, v34, v12
	v_sub_f32_e32 v14, v14, v23
	v_add_f32_e32 v14, v14, v12
	v_add_f32_e32 v23, v13, v14
	v_mul_f32_e32 v26, v23, v23
	v_fmamk_f32 v12, v26, 0x3e9b6dac, v135
	v_fmaak_f32 v25, v26, v12, 0x3f2aaada
	v_cvt_f32_i32_e32 v12, v32
	v_sub_f32_e32 v13, v23, v13
	v_sub_f32_e32 v13, v14, v13
	v_ldexp_f32 v14, v13, 1
	v_mul_f32_e32 v13, v23, v26
	v_pk_mul_f32 v[28:29], v[12:13], v[24:25]
	v_ldexp_f32 v27, v23, 1
	v_fma_f32 v26, v12, s15, -v28
	v_fmac_f32_e32 v26, 0xb102e308, v12
	v_pk_add_f32 v[12:13], v[28:29], v[26:27]
	v_mov_b32_e32 v30, v28
	v_sub_f32_e32 v23, v13, v27
	v_sub_f32_e32 v23, v29, v23
	v_add_f32_e32 v31, v14, v23
	v_pk_add_f32 v[28:29], v[12:13], v[28:29] neg_lo:[0,1] neg_hi:[0,1]
	v_pk_add_f32 v[32:33], v[12:13], v[30:31]
	v_mov_b32_e32 v27, v12
	v_mov_b32_e32 v29, v33
	v_pk_add_f32 v[34:35], v[26:27], v[28:29] neg_lo:[0,1] neg_hi:[0,1]
	v_pk_add_f32 v[26:27], v[26:27], v[28:29]
	s_nop 0
	v_mov_b32_e32 v14, v27
	v_pk_add_f32 v[28:29], v[14:15], v[12:13] neg_lo:[0,1] neg_hi:[0,1]
	v_mov_b32_e32 v26, v33
	v_mov_b32_e32 v23, v28
	v_pk_add_f32 v[36:37], v[32:33], v[22:23] neg_lo:[0,1] neg_hi:[0,1]
	v_mov_b32_e32 v32, v13
	v_mov_b32_e32 v33, v28
	;; [unrolled: 1-line block ×3, first 2 shown]
	v_pk_add_f32 v[26:27], v[26:27], v[32:33] neg_lo:[0,1] neg_hi:[0,1]
	v_mov_b32_e32 v28, v31
	v_mov_b32_e32 v29, v12
	v_pk_add_f32 v[12:13], v[28:29], v[26:27] neg_lo:[0,1] neg_hi:[0,1]
	v_mov_b32_e32 v36, v34
	v_pk_add_f32 v[26:27], v[36:37], v[12:13]
	s_nop 0
	v_mov_b32_e32 v28, v27
	v_pk_add_f32 v[28:29], v[26:27], v[28:29]
	s_nop 0
	v_pk_add_f32 v[30:31], v[14:15], v[28:29]
	v_mov_b32_e32 v13, v28
	v_mov_b32_e32 v27, v30
	v_pk_add_f32 v[32:33], v[26:27], v[34:35] neg_lo:[0,1] neg_hi:[0,1]
	s_nop 0
	v_sub_f32_e32 v14, v26, v32
	v_pk_add_f32 v[12:13], v[12:13], v[32:33] neg_lo:[0,1] neg_hi:[0,1]
	v_sub_f32_e32 v14, v34, v14
	v_add_f32_e32 v12, v12, v14
	v_add_f32_e32 v12, v12, v13
	;; [unrolled: 1-line block ×3, first 2 shown]
	v_cndmask_b32_e32 v144, v12, v38, vcc
.LBB90_87:                              ;   in Loop: Header=BB90_13 Depth=1
	s_or_b64 exec, exec, s[4:5]
	v_cvt_f32_f16_e32 v12, v15
	v_readlane_b32 s2, v167, 2
	s_nop 1
	v_add_f32_e32 v145, s2, v12
	v_readlane_b32 s2, v167, 30
	v_cmp_ge_f32_e32 vcc, s6, v145
	v_readlane_b32 s3, v167, 31
	s_and_b64 s[2:3], s[2:3], vcc
	s_and_saveexec_b64 s[4:5], s[2:3]
	s_cbranch_execz .LBB90_89
; %bb.88:                               ;   in Loop: Header=BB90_13 Depth=1
	v_mul_f32_e32 v12, 0x3fb8aa3b, v145
	v_rndne_f32_e32 v13, v12
	v_sub_f32_e32 v14, v12, v13
	v_fma_f32 v12, v145, s10, -v12
	v_fmac_f32_e32 v12, 0x32a5705f, v145
	v_add_f32_e32 v12, v14, v12
	v_cvt_i32_f32_e32 v13, v13
	v_exp_f32_e32 v12, v12
	v_cmp_ngt_f32_e32 vcc, s11, v145
	v_ldexp_f32 v12, v12, v13
	s_nop 0
	v_cndmask_b32_e32 v12, 0, v12, vcc
	v_cmp_nlt_f32_e32 vcc, s12, v145
	s_nop 1
	v_cndmask_b32_e32 v38, v136, v12, vcc
	v_add_f32_e32 v14, 1.0, v38
	v_add_f32_e32 v12, -1.0, v14
	v_sub_f32_e32 v13, v12, v14
	v_add_f32_e32 v13, 1.0, v13
	v_sub_f32_e32 v12, v38, v12
	v_add_f32_e32 v23, v12, v13
	v_frexp_mant_f32_e32 v25, v14
	v_cvt_f64_f32_e32 v[12:13], v14
	v_frexp_exp_i32_f64_e32 v12, v[12:13]
	v_cmp_gt_f32_e32 vcc, s14, v25
	v_cmp_gt_f32_e64 s[60:61], s16, v38
	s_nop 0
	v_subbrev_co_u32_e32 v32, vcc, 0, v12, vcc
	v_sub_u32_e32 v12, 0, v32
	v_ldexp_f32 v13, v14, v12
	v_add_f32_e32 v14, -1.0, v13
	v_add_f32_e32 v25, 1.0, v13
	v_ldexp_f32 v12, v23, v12
	v_add_f32_e32 v23, 1.0, v14
	v_add_f32_e32 v26, -1.0, v25
	v_sub_f32_e32 v23, v13, v23
	v_sub_f32_e32 v13, v13, v26
	v_add_f32_e32 v23, v12, v23
	v_add_f32_e32 v12, v12, v13
	;; [unrolled: 1-line block ×3, first 2 shown]
	v_rcp_f32_e32 v34, v33
	v_sub_f32_e32 v13, v25, v33
	v_add_f32_e32 v25, v12, v13
	v_add_f32_e32 v13, v14, v23
	v_sub_f32_e32 v12, v14, v13
	v_add_f32_e32 v14, v23, v12
	v_mul_f32_e32 v23, v13, v34
	v_mul_f32_e32 v26, v33, v23
	v_fma_f32 v28, v23, v33, -v26
	v_fmac_f32_e32 v28, v23, v25
	v_add_f32_e32 v12, v26, v28
	v_sub_f32_e32 v27, v13, v12
	v_pk_add_f32 v[30:31], v[12:13], v[26:27] neg_lo:[0,1] neg_hi:[0,1]
	v_mov_b32_e32 v29, v12
	v_pk_add_f32 v[12:13], v[30:31], v[28:29] neg_lo:[0,1] neg_hi:[0,1]
	v_cmp_eq_f32_e32 vcc, s13, v38
	v_add_f32_e32 v13, v14, v13
	v_add_f32_e32 v12, v12, v13
	;; [unrolled: 1-line block ×3, first 2 shown]
	v_mul_f32_e32 v14, v34, v13
	v_mul_f32_e32 v26, v33, v14
	v_fma_f32 v28, v14, v33, -v26
	v_fmac_f32_e32 v28, v14, v25
	v_sub_f32_e32 v25, v27, v13
	v_add_f32_e32 v25, v12, v25
	v_add_f32_e32 v12, v26, v28
	v_sub_f32_e32 v27, v13, v12
	v_pk_add_f32 v[30:31], v[12:13], v[26:27] neg_lo:[0,1] neg_hi:[0,1]
	v_mov_b32_e32 v29, v12
	v_pk_add_f32 v[12:13], v[30:31], v[28:29] neg_lo:[0,1] neg_hi:[0,1]
	s_or_b64 vcc, s[60:61], vcc
	v_add_f32_e32 v13, v25, v13
	v_add_f32_e32 v12, v12, v13
	;; [unrolled: 1-line block ×4, first 2 shown]
	v_sub_f32_e32 v23, v13, v23
	v_mul_f32_e32 v12, v34, v12
	v_sub_f32_e32 v14, v14, v23
	v_add_f32_e32 v14, v14, v12
	v_add_f32_e32 v23, v13, v14
	v_mul_f32_e32 v26, v23, v23
	v_fmamk_f32 v12, v26, 0x3e9b6dac, v135
	v_fmaak_f32 v25, v26, v12, 0x3f2aaada
	v_cvt_f32_i32_e32 v12, v32
	v_sub_f32_e32 v13, v23, v13
	v_sub_f32_e32 v13, v14, v13
	v_ldexp_f32 v14, v13, 1
	v_mul_f32_e32 v13, v23, v26
	v_pk_mul_f32 v[28:29], v[12:13], v[24:25]
	v_ldexp_f32 v27, v23, 1
	v_fma_f32 v26, v12, s15, -v28
	v_fmac_f32_e32 v26, 0xb102e308, v12
	v_pk_add_f32 v[12:13], v[28:29], v[26:27]
	v_mov_b32_e32 v30, v28
	v_sub_f32_e32 v23, v13, v27
	v_sub_f32_e32 v23, v29, v23
	v_add_f32_e32 v31, v14, v23
	v_pk_add_f32 v[28:29], v[12:13], v[28:29] neg_lo:[0,1] neg_hi:[0,1]
	v_pk_add_f32 v[32:33], v[12:13], v[30:31]
	v_mov_b32_e32 v27, v12
	v_mov_b32_e32 v29, v33
	v_pk_add_f32 v[34:35], v[26:27], v[28:29] neg_lo:[0,1] neg_hi:[0,1]
	v_pk_add_f32 v[26:27], v[26:27], v[28:29]
	s_nop 0
	v_mov_b32_e32 v14, v27
	v_pk_add_f32 v[28:29], v[14:15], v[12:13] neg_lo:[0,1] neg_hi:[0,1]
	v_mov_b32_e32 v26, v33
	v_mov_b32_e32 v23, v28
	v_pk_add_f32 v[36:37], v[32:33], v[22:23] neg_lo:[0,1] neg_hi:[0,1]
	v_mov_b32_e32 v32, v13
	v_mov_b32_e32 v33, v28
	;; [unrolled: 1-line block ×3, first 2 shown]
	v_pk_add_f32 v[26:27], v[26:27], v[32:33] neg_lo:[0,1] neg_hi:[0,1]
	v_mov_b32_e32 v28, v31
	v_mov_b32_e32 v29, v12
	v_pk_add_f32 v[12:13], v[28:29], v[26:27] neg_lo:[0,1] neg_hi:[0,1]
	v_mov_b32_e32 v36, v34
	v_pk_add_f32 v[26:27], v[36:37], v[12:13]
	s_nop 0
	v_mov_b32_e32 v28, v27
	v_pk_add_f32 v[28:29], v[26:27], v[28:29]
	s_nop 0
	v_pk_add_f32 v[30:31], v[14:15], v[28:29]
	v_mov_b32_e32 v13, v28
	v_mov_b32_e32 v27, v30
	v_pk_add_f32 v[32:33], v[26:27], v[34:35] neg_lo:[0,1] neg_hi:[0,1]
	s_nop 0
	v_sub_f32_e32 v14, v26, v32
	v_pk_add_f32 v[12:13], v[12:13], v[32:33] neg_lo:[0,1] neg_hi:[0,1]
	v_sub_f32_e32 v14, v34, v14
	v_add_f32_e32 v12, v12, v14
	v_add_f32_e32 v12, v12, v13
	;; [unrolled: 1-line block ×3, first 2 shown]
	v_cndmask_b32_e32 v145, v12, v38, vcc
.LBB90_89:                              ;   in Loop: Header=BB90_13 Depth=1
	s_or_b64 exec, exec, s[4:5]
	v_cvt_f32_f16_sdwa v12, v15 dst_sel:DWORD dst_unused:UNUSED_PAD src0_sel:WORD_1
	v_readlane_b32 s2, v167, 2
	s_nop 1
	v_add_f32_e32 v146, s2, v12
	v_readlane_b32 s2, v167, 30
	v_cmp_ge_f32_e32 vcc, s6, v146
	v_readlane_b32 s3, v167, 31
	s_and_b64 s[2:3], s[2:3], vcc
	s_and_saveexec_b64 s[4:5], s[2:3]
	s_cbranch_execz .LBB90_91
; %bb.90:                               ;   in Loop: Header=BB90_13 Depth=1
	v_mul_f32_e32 v12, 0x3fb8aa3b, v146
	v_rndne_f32_e32 v13, v12
	v_sub_f32_e32 v14, v12, v13
	v_fma_f32 v12, v146, s10, -v12
	v_fmac_f32_e32 v12, 0x32a5705f, v146
	v_add_f32_e32 v12, v14, v12
	v_cvt_i32_f32_e32 v13, v13
	v_exp_f32_e32 v12, v12
	v_cmp_ngt_f32_e32 vcc, s11, v146
	v_ldexp_f32 v12, v12, v13
	s_nop 0
	v_cndmask_b32_e32 v12, 0, v12, vcc
	v_cmp_nlt_f32_e32 vcc, s12, v146
	s_nop 1
	v_cndmask_b32_e32 v38, v136, v12, vcc
	v_add_f32_e32 v14, 1.0, v38
	v_add_f32_e32 v12, -1.0, v14
	v_sub_f32_e32 v13, v12, v14
	v_add_f32_e32 v13, 1.0, v13
	v_sub_f32_e32 v12, v38, v12
	v_add_f32_e32 v15, v12, v13
	v_frexp_mant_f32_e32 v23, v14
	v_cvt_f64_f32_e32 v[12:13], v14
	v_frexp_exp_i32_f64_e32 v12, v[12:13]
	v_cmp_gt_f32_e32 vcc, s14, v23
	v_cmp_gt_f32_e64 s[60:61], s16, v38
	s_nop 0
	v_subbrev_co_u32_e32 v23, vcc, 0, v12, vcc
	v_sub_u32_e32 v12, 0, v23
	v_ldexp_f32 v13, v14, v12
	v_add_f32_e32 v14, -1.0, v13
	v_add_f32_e32 v25, 1.0, v13
	v_ldexp_f32 v12, v15, v12
	v_add_f32_e32 v15, 1.0, v14
	v_add_f32_e32 v26, -1.0, v25
	v_sub_f32_e32 v15, v13, v15
	v_sub_f32_e32 v13, v13, v26
	v_add_f32_e32 v15, v12, v15
	v_add_f32_e32 v12, v12, v13
	v_add_f32_e32 v30, v25, v12
	v_rcp_f32_e32 v31, v30
	v_sub_f32_e32 v13, v25, v30
	v_add_f32_e32 v25, v12, v13
	v_add_f32_e32 v13, v14, v15
	v_mul_f32_e32 v33, v13, v31
	v_sub_f32_e32 v12, v14, v13
	v_mul_f32_e32 v14, v30, v33
	v_fma_f32 v26, v33, v30, -v14
	v_fmac_f32_e32 v26, v33, v25
	v_add_f32_e32 v32, v15, v12
	v_add_f32_e32 v12, v14, v26
	v_sub_f32_e32 v15, v13, v12
	v_pk_add_f32 v[28:29], v[12:13], v[14:15] neg_lo:[0,1] neg_hi:[0,1]
	v_mov_b32_e32 v27, v12
	v_pk_add_f32 v[12:13], v[28:29], v[26:27] neg_lo:[0,1] neg_hi:[0,1]
	v_cmp_eq_f32_e32 vcc, s13, v38
	v_add_f32_e32 v13, v32, v13
	v_add_f32_e32 v12, v12, v13
	;; [unrolled: 1-line block ×3, first 2 shown]
	v_mul_f32_e32 v32, v31, v13
	v_mul_f32_e32 v14, v30, v32
	v_fma_f32 v26, v32, v30, -v14
	v_fmac_f32_e32 v26, v32, v25
	v_sub_f32_e32 v15, v15, v13
	v_add_f32_e32 v25, v12, v15
	v_add_f32_e32 v12, v14, v26
	v_sub_f32_e32 v15, v13, v12
	v_pk_add_f32 v[28:29], v[12:13], v[14:15] neg_lo:[0,1] neg_hi:[0,1]
	v_mov_b32_e32 v27, v12
	v_pk_add_f32 v[12:13], v[28:29], v[26:27] neg_lo:[0,1] neg_hi:[0,1]
	s_or_b64 vcc, s[60:61], vcc
	v_add_f32_e32 v13, v25, v13
	v_add_f32_e32 v12, v12, v13
	;; [unrolled: 1-line block ×4, first 2 shown]
	v_sub_f32_e32 v14, v13, v33
	v_mul_f32_e32 v12, v31, v12
	v_sub_f32_e32 v14, v32, v14
	v_add_f32_e32 v14, v14, v12
	v_add_f32_e32 v26, v13, v14
	v_mul_f32_e32 v27, v26, v26
	v_fmamk_f32 v12, v27, 0x3e9b6dac, v135
	v_fmaak_f32 v25, v27, v12, 0x3f2aaada
	v_cvt_f32_i32_e32 v12, v23
	v_sub_f32_e32 v13, v26, v13
	v_sub_f32_e32 v13, v14, v13
	v_ldexp_f32 v23, v13, 1
	v_mul_f32_e32 v13, v26, v27
	v_ldexp_f32 v15, v26, 1
	v_pk_mul_f32 v[26:27], v[12:13], v[24:25]
	s_nop 0
	v_fma_f32 v14, v12, s15, -v26
	v_fmac_f32_e32 v14, 0xb102e308, v12
	v_pk_add_f32 v[12:13], v[26:27], v[14:15]
	v_mov_b32_e32 v28, v26
	v_sub_f32_e32 v15, v13, v15
	v_sub_f32_e32 v15, v27, v15
	v_add_f32_e32 v29, v23, v15
	v_pk_add_f32 v[26:27], v[12:13], v[26:27] neg_lo:[0,1] neg_hi:[0,1]
	v_pk_add_f32 v[30:31], v[12:13], v[28:29]
	v_mov_b32_e32 v15, v12
	v_mov_b32_e32 v27, v31
	v_pk_add_f32 v[32:33], v[14:15], v[26:27] neg_lo:[0,1] neg_hi:[0,1]
	v_pk_add_f32 v[14:15], v[14:15], v[26:27]
	v_mov_b32_e32 v28, v29
	v_mov_b32_e32 v26, v15
	v_pk_add_f32 v[34:35], v[26:27], v[12:13] neg_lo:[0,1] neg_hi:[0,1]
	v_mov_b32_e32 v14, v31
	v_mov_b32_e32 v23, v34
	v_pk_add_f32 v[36:37], v[30:31], v[22:23] neg_lo:[0,1] neg_hi:[0,1]
	v_mov_b32_e32 v30, v13
	v_mov_b32_e32 v31, v34
	v_mov_b32_e32 v33, v15
	v_pk_add_f32 v[14:15], v[14:15], v[30:31] neg_lo:[0,1] neg_hi:[0,1]
	v_mov_b32_e32 v29, v12
	v_pk_add_f32 v[12:13], v[28:29], v[14:15] neg_lo:[0,1] neg_hi:[0,1]
	v_mov_b32_e32 v36, v32
	v_pk_add_f32 v[14:15], v[36:37], v[12:13]
	s_nop 0
	v_mov_b32_e32 v28, v15
	v_pk_add_f32 v[28:29], v[14:15], v[28:29]
	s_nop 0
	v_pk_add_f32 v[26:27], v[26:27], v[28:29]
	v_mov_b32_e32 v13, v28
	v_mov_b32_e32 v15, v26
	v_pk_add_f32 v[30:31], v[14:15], v[32:33] neg_lo:[0,1] neg_hi:[0,1]
	s_nop 0
	v_sub_f32_e32 v14, v14, v30
	v_pk_add_f32 v[12:13], v[12:13], v[30:31] neg_lo:[0,1] neg_hi:[0,1]
	v_sub_f32_e32 v14, v32, v14
	v_add_f32_e32 v12, v12, v14
	v_add_f32_e32 v12, v12, v13
	;; [unrolled: 1-line block ×3, first 2 shown]
	v_cndmask_b32_e32 v146, v12, v38, vcc
.LBB90_91:                              ;   in Loop: Header=BB90_13 Depth=1
	s_or_b64 exec, exec, s[4:5]
	s_waitcnt lgkmcnt(0)
	v_cvt_f32_f16_e32 v12, v8
	v_readlane_b32 s2, v167, 2
	s_nop 1
	v_add_f32_e32 v147, s2, v12
	v_readlane_b32 s2, v167, 30
	v_cmp_ge_f32_e32 vcc, s6, v147
	v_readlane_b32 s3, v167, 31
	s_and_b64 s[2:3], s[2:3], vcc
	s_and_saveexec_b64 s[4:5], s[2:3]
	s_cbranch_execz .LBB90_93
; %bb.92:                               ;   in Loop: Header=BB90_13 Depth=1
	v_mul_f32_e32 v12, 0x3fb8aa3b, v147
	v_rndne_f32_e32 v13, v12
	v_sub_f32_e32 v14, v12, v13
	v_fma_f32 v12, v147, s10, -v12
	v_fmac_f32_e32 v12, 0x32a5705f, v147
	v_add_f32_e32 v12, v14, v12
	v_cvt_i32_f32_e32 v13, v13
	v_exp_f32_e32 v12, v12
	v_cmp_ngt_f32_e32 vcc, s11, v147
	v_ldexp_f32 v12, v12, v13
	s_nop 0
	v_cndmask_b32_e32 v12, 0, v12, vcc
	v_cmp_nlt_f32_e32 vcc, s12, v147
	s_nop 1
	v_cndmask_b32_e32 v38, v136, v12, vcc
	v_add_f32_e32 v14, 1.0, v38
	v_add_f32_e32 v12, -1.0, v14
	v_sub_f32_e32 v13, v12, v14
	v_add_f32_e32 v13, 1.0, v13
	v_sub_f32_e32 v12, v38, v12
	v_add_f32_e32 v15, v12, v13
	v_frexp_mant_f32_e32 v23, v14
	v_cvt_f64_f32_e32 v[12:13], v14
	v_frexp_exp_i32_f64_e32 v12, v[12:13]
	v_cmp_gt_f32_e32 vcc, s14, v23
	v_cmp_gt_f32_e64 s[60:61], s16, v38
	s_nop 0
	v_subbrev_co_u32_e32 v23, vcc, 0, v12, vcc
	v_sub_u32_e32 v12, 0, v23
	v_ldexp_f32 v13, v14, v12
	v_add_f32_e32 v14, -1.0, v13
	v_add_f32_e32 v25, 1.0, v13
	v_ldexp_f32 v12, v15, v12
	v_add_f32_e32 v15, 1.0, v14
	v_add_f32_e32 v26, -1.0, v25
	v_sub_f32_e32 v15, v13, v15
	v_sub_f32_e32 v13, v13, v26
	v_add_f32_e32 v15, v12, v15
	v_add_f32_e32 v12, v12, v13
	;; [unrolled: 1-line block ×3, first 2 shown]
	v_rcp_f32_e32 v31, v30
	v_sub_f32_e32 v13, v25, v30
	v_add_f32_e32 v25, v12, v13
	v_add_f32_e32 v13, v14, v15
	v_mul_f32_e32 v33, v13, v31
	v_sub_f32_e32 v12, v14, v13
	v_mul_f32_e32 v14, v30, v33
	v_fma_f32 v26, v33, v30, -v14
	v_fmac_f32_e32 v26, v33, v25
	v_add_f32_e32 v32, v15, v12
	v_add_f32_e32 v12, v14, v26
	v_sub_f32_e32 v15, v13, v12
	v_pk_add_f32 v[28:29], v[12:13], v[14:15] neg_lo:[0,1] neg_hi:[0,1]
	v_mov_b32_e32 v27, v12
	v_pk_add_f32 v[12:13], v[28:29], v[26:27] neg_lo:[0,1] neg_hi:[0,1]
	v_cmp_eq_f32_e32 vcc, s13, v38
	v_add_f32_e32 v13, v32, v13
	v_add_f32_e32 v12, v12, v13
	;; [unrolled: 1-line block ×3, first 2 shown]
	v_mul_f32_e32 v32, v31, v13
	v_mul_f32_e32 v14, v30, v32
	v_fma_f32 v26, v32, v30, -v14
	v_fmac_f32_e32 v26, v32, v25
	v_sub_f32_e32 v15, v15, v13
	v_add_f32_e32 v25, v12, v15
	v_add_f32_e32 v12, v14, v26
	v_sub_f32_e32 v15, v13, v12
	v_pk_add_f32 v[28:29], v[12:13], v[14:15] neg_lo:[0,1] neg_hi:[0,1]
	v_mov_b32_e32 v27, v12
	v_pk_add_f32 v[12:13], v[28:29], v[26:27] neg_lo:[0,1] neg_hi:[0,1]
	s_or_b64 vcc, s[60:61], vcc
	v_add_f32_e32 v13, v25, v13
	v_add_f32_e32 v12, v12, v13
	;; [unrolled: 1-line block ×4, first 2 shown]
	v_sub_f32_e32 v14, v13, v33
	v_mul_f32_e32 v12, v31, v12
	v_sub_f32_e32 v14, v32, v14
	v_add_f32_e32 v14, v14, v12
	v_add_f32_e32 v26, v13, v14
	v_mul_f32_e32 v27, v26, v26
	v_fmamk_f32 v12, v27, 0x3e9b6dac, v135
	v_fmaak_f32 v25, v27, v12, 0x3f2aaada
	v_cvt_f32_i32_e32 v12, v23
	v_sub_f32_e32 v13, v26, v13
	v_sub_f32_e32 v13, v14, v13
	v_ldexp_f32 v23, v13, 1
	v_mul_f32_e32 v13, v26, v27
	v_ldexp_f32 v15, v26, 1
	v_pk_mul_f32 v[26:27], v[12:13], v[24:25]
	s_nop 0
	v_fma_f32 v14, v12, s15, -v26
	v_fmac_f32_e32 v14, 0xb102e308, v12
	v_pk_add_f32 v[12:13], v[26:27], v[14:15]
	v_mov_b32_e32 v28, v26
	v_sub_f32_e32 v15, v13, v15
	v_sub_f32_e32 v15, v27, v15
	v_add_f32_e32 v29, v23, v15
	v_pk_add_f32 v[26:27], v[12:13], v[26:27] neg_lo:[0,1] neg_hi:[0,1]
	v_pk_add_f32 v[30:31], v[12:13], v[28:29]
	v_mov_b32_e32 v15, v12
	v_mov_b32_e32 v27, v31
	v_pk_add_f32 v[32:33], v[14:15], v[26:27] neg_lo:[0,1] neg_hi:[0,1]
	v_pk_add_f32 v[14:15], v[14:15], v[26:27]
	v_mov_b32_e32 v28, v29
	v_mov_b32_e32 v26, v15
	v_pk_add_f32 v[34:35], v[26:27], v[12:13] neg_lo:[0,1] neg_hi:[0,1]
	v_mov_b32_e32 v14, v31
	v_mov_b32_e32 v23, v34
	v_pk_add_f32 v[36:37], v[30:31], v[22:23] neg_lo:[0,1] neg_hi:[0,1]
	v_mov_b32_e32 v30, v13
	v_mov_b32_e32 v31, v34
	v_mov_b32_e32 v33, v15
	v_pk_add_f32 v[14:15], v[14:15], v[30:31] neg_lo:[0,1] neg_hi:[0,1]
	v_mov_b32_e32 v29, v12
	v_pk_add_f32 v[12:13], v[28:29], v[14:15] neg_lo:[0,1] neg_hi:[0,1]
	v_mov_b32_e32 v36, v32
	v_pk_add_f32 v[14:15], v[36:37], v[12:13]
	s_nop 0
	v_mov_b32_e32 v28, v15
	v_pk_add_f32 v[28:29], v[14:15], v[28:29]
	s_nop 0
	v_pk_add_f32 v[26:27], v[26:27], v[28:29]
	v_mov_b32_e32 v13, v28
	v_mov_b32_e32 v15, v26
	v_pk_add_f32 v[30:31], v[14:15], v[32:33] neg_lo:[0,1] neg_hi:[0,1]
	s_nop 0
	v_sub_f32_e32 v14, v14, v30
	v_pk_add_f32 v[12:13], v[12:13], v[30:31] neg_lo:[0,1] neg_hi:[0,1]
	v_sub_f32_e32 v14, v32, v14
	v_add_f32_e32 v12, v12, v14
	v_add_f32_e32 v12, v12, v13
	;; [unrolled: 1-line block ×3, first 2 shown]
	v_cndmask_b32_e32 v147, v12, v38, vcc
.LBB90_93:                              ;   in Loop: Header=BB90_13 Depth=1
	s_or_b64 exec, exec, s[4:5]
	v_cvt_f32_f16_sdwa v8, v8 dst_sel:DWORD dst_unused:UNUSED_PAD src0_sel:WORD_1
	v_readlane_b32 s2, v167, 2
	s_nop 1
	v_add_f32_e32 v148, s2, v8
	v_readlane_b32 s2, v167, 30
	v_cmp_ge_f32_e32 vcc, s6, v148
	v_readlane_b32 s3, v167, 31
	s_and_b64 s[2:3], s[2:3], vcc
	s_and_saveexec_b64 s[4:5], s[2:3]
	s_cbranch_execz .LBB90_95
; %bb.94:                               ;   in Loop: Header=BB90_13 Depth=1
	v_mul_f32_e32 v8, 0x3fb8aa3b, v148
	v_rndne_f32_e32 v12, v8
	v_sub_f32_e32 v13, v8, v12
	v_fma_f32 v8, v148, s10, -v8
	v_fmac_f32_e32 v8, 0x32a5705f, v148
	v_add_f32_e32 v8, v13, v8
	v_cvt_i32_f32_e32 v12, v12
	v_exp_f32_e32 v8, v8
	v_cmp_ngt_f32_e32 vcc, s11, v148
	v_ldexp_f32 v8, v8, v12
	s_nop 0
	v_cndmask_b32_e32 v8, 0, v8, vcc
	v_cmp_nlt_f32_e32 vcc, s12, v148
	s_nop 1
	v_cndmask_b32_e32 v36, v136, v8, vcc
	v_add_f32_e32 v8, 1.0, v36
	v_add_f32_e32 v12, -1.0, v8
	v_sub_f32_e32 v13, v12, v8
	v_add_f32_e32 v13, 1.0, v13
	v_sub_f32_e32 v12, v36, v12
	v_add_f32_e32 v14, v12, v13
	v_frexp_mant_f32_e32 v15, v8
	v_cvt_f64_f32_e32 v[12:13], v8
	v_frexp_exp_i32_f64_e32 v12, v[12:13]
	v_cmp_gt_f32_e32 vcc, s14, v15
	v_cmp_gt_f32_e64 s[60:61], s16, v36
	s_nop 0
	v_subbrev_co_u32_e32 v23, vcc, 0, v12, vcc
	v_sub_u32_e32 v12, 0, v23
	v_ldexp_f32 v8, v8, v12
	v_ldexp_f32 v12, v14, v12
	v_add_f32_e32 v14, -1.0, v8
	v_add_f32_e32 v13, 1.0, v14
	v_sub_f32_e32 v13, v8, v13
	v_add_f32_e32 v15, v12, v13
	v_add_f32_e32 v13, 1.0, v8
	v_add_f32_e32 v25, -1.0, v13
	v_sub_f32_e32 v8, v8, v25
	v_add_f32_e32 v8, v12, v8
	v_add_f32_e32 v25, v13, v8
	v_rcp_f32_e32 v30, v25
	v_sub_f32_e32 v12, v13, v25
	v_add_f32_e32 v13, v14, v15
	v_add_f32_e32 v8, v8, v12
	v_mul_f32_e32 v32, v13, v30
	v_sub_f32_e32 v12, v14, v13
	v_mul_f32_e32 v14, v25, v32
	v_fma_f32 v26, v32, v25, -v14
	v_fmac_f32_e32 v26, v32, v8
	v_add_f32_e32 v31, v15, v12
	v_add_f32_e32 v12, v14, v26
	v_sub_f32_e32 v15, v13, v12
	v_pk_add_f32 v[28:29], v[12:13], v[14:15] neg_lo:[0,1] neg_hi:[0,1]
	v_mov_b32_e32 v27, v12
	v_pk_add_f32 v[12:13], v[28:29], v[26:27] neg_lo:[0,1] neg_hi:[0,1]
	v_cmp_eq_f32_e32 vcc, s13, v36
	v_add_f32_e32 v13, v31, v13
	v_add_f32_e32 v12, v12, v13
	;; [unrolled: 1-line block ×3, first 2 shown]
	v_mul_f32_e32 v31, v30, v13
	v_mul_f32_e32 v14, v25, v31
	v_fma_f32 v26, v31, v25, -v14
	v_fmac_f32_e32 v26, v31, v8
	v_sub_f32_e32 v8, v15, v13
	v_add_f32_e32 v8, v12, v8
	v_add_f32_e32 v12, v14, v26
	v_sub_f32_e32 v15, v13, v12
	v_pk_add_f32 v[28:29], v[12:13], v[14:15] neg_lo:[0,1] neg_hi:[0,1]
	v_mov_b32_e32 v27, v12
	v_pk_add_f32 v[12:13], v[28:29], v[26:27] neg_lo:[0,1] neg_hi:[0,1]
	s_or_b64 vcc, s[60:61], vcc
	v_add_f32_e32 v8, v8, v13
	v_add_f32_e32 v8, v12, v8
	;; [unrolled: 1-line block ×4, first 2 shown]
	v_sub_f32_e32 v12, v13, v32
	v_mul_f32_e32 v8, v30, v8
	v_sub_f32_e32 v12, v31, v12
	v_add_f32_e32 v8, v12, v8
	v_add_f32_e32 v14, v13, v8
	v_mul_f32_e32 v26, v14, v14
	v_fmamk_f32 v12, v26, 0x3e9b6dac, v135
	v_fmaak_f32 v25, v26, v12, 0x3f2aaada
	v_cvt_f32_i32_e32 v12, v23
	v_sub_f32_e32 v13, v14, v13
	v_sub_f32_e32 v8, v8, v13
	v_mul_f32_e32 v13, v14, v26
	v_pk_mul_f32 v[26:27], v[12:13], v[24:25]
	v_ldexp_f32 v15, v14, 1
	v_fma_f32 v14, v12, s15, -v26
	v_fmac_f32_e32 v14, 0xb102e308, v12
	v_pk_add_f32 v[12:13], v[26:27], v[14:15]
	v_ldexp_f32 v8, v8, 1
	v_sub_f32_e32 v15, v13, v15
	v_sub_f32_e32 v15, v27, v15
	v_add_f32_e32 v29, v8, v15
	v_mov_b32_e32 v28, v26
	v_pk_add_f32 v[26:27], v[12:13], v[26:27] neg_lo:[0,1] neg_hi:[0,1]
	v_pk_add_f32 v[30:31], v[12:13], v[28:29]
	v_mov_b32_e32 v15, v12
	v_mov_b32_e32 v27, v31
	v_pk_add_f32 v[32:33], v[14:15], v[26:27] neg_lo:[0,1] neg_hi:[0,1]
	v_pk_add_f32 v[14:15], v[14:15], v[26:27]
	s_nop 0
	v_mov_b32_e32 v8, v15
	v_pk_add_f32 v[26:27], v[8:9], v[12:13] neg_lo:[0,1] neg_hi:[0,1]
	v_mov_b32_e32 v14, v31
	v_mov_b32_e32 v23, v26
	v_pk_add_f32 v[34:35], v[30:31], v[22:23] neg_lo:[0,1] neg_hi:[0,1]
	v_mov_b32_e32 v30, v13
	v_mov_b32_e32 v31, v26
	;; [unrolled: 1-line block ×3, first 2 shown]
	v_pk_add_f32 v[14:15], v[14:15], v[30:31] neg_lo:[0,1] neg_hi:[0,1]
	v_mov_b32_e32 v26, v29
	v_mov_b32_e32 v27, v12
	v_pk_add_f32 v[12:13], v[26:27], v[14:15] neg_lo:[0,1] neg_hi:[0,1]
	v_mov_b32_e32 v34, v32
	v_pk_add_f32 v[14:15], v[34:35], v[12:13]
	s_nop 0
	v_mov_b32_e32 v26, v15
	v_pk_add_f32 v[26:27], v[14:15], v[26:27]
	s_nop 0
	v_pk_add_f32 v[28:29], v[8:9], v[26:27]
	v_mov_b32_e32 v13, v26
	v_mov_b32_e32 v15, v28
	v_pk_add_f32 v[30:31], v[14:15], v[32:33] neg_lo:[0,1] neg_hi:[0,1]
	s_nop 0
	v_sub_f32_e32 v8, v14, v30
	v_pk_add_f32 v[12:13], v[12:13], v[30:31] neg_lo:[0,1] neg_hi:[0,1]
	v_sub_f32_e32 v8, v32, v8
	v_add_f32_e32 v8, v12, v8
	v_add_f32_e32 v8, v8, v13
	;; [unrolled: 1-line block ×3, first 2 shown]
	v_cndmask_b32_e32 v148, v8, v36, vcc
.LBB90_95:                              ;   in Loop: Header=BB90_13 Depth=1
	s_or_b64 exec, exec, s[4:5]
	v_cvt_f32_f16_e32 v8, v9
	v_readlane_b32 s2, v167, 2
	s_nop 1
	v_add_f32_e32 v149, s2, v8
	v_readlane_b32 s2, v167, 30
	v_cmp_ge_f32_e32 vcc, s6, v149
	v_readlane_b32 s3, v167, 31
	s_and_b64 s[2:3], s[2:3], vcc
	s_and_saveexec_b64 s[4:5], s[2:3]
	s_cbranch_execz .LBB90_97
; %bb.96:                               ;   in Loop: Header=BB90_13 Depth=1
	v_mul_f32_e32 v8, 0x3fb8aa3b, v149
	v_rndne_f32_e32 v12, v8
	v_sub_f32_e32 v13, v8, v12
	v_fma_f32 v8, v149, s10, -v8
	v_fmac_f32_e32 v8, 0x32a5705f, v149
	v_add_f32_e32 v8, v13, v8
	v_cvt_i32_f32_e32 v12, v12
	v_exp_f32_e32 v8, v8
	v_cmp_ngt_f32_e32 vcc, s11, v149
	v_ldexp_f32 v8, v8, v12
	s_nop 0
	v_cndmask_b32_e32 v8, 0, v8, vcc
	v_cmp_nlt_f32_e32 vcc, s12, v149
	s_nop 1
	v_cndmask_b32_e32 v36, v136, v8, vcc
	v_add_f32_e32 v8, 1.0, v36
	v_add_f32_e32 v12, -1.0, v8
	v_sub_f32_e32 v13, v12, v8
	v_add_f32_e32 v13, 1.0, v13
	v_sub_f32_e32 v12, v36, v12
	v_add_f32_e32 v14, v12, v13
	v_frexp_mant_f32_e32 v15, v8
	v_cvt_f64_f32_e32 v[12:13], v8
	v_frexp_exp_i32_f64_e32 v12, v[12:13]
	v_cmp_gt_f32_e32 vcc, s14, v15
	v_cmp_gt_f32_e64 s[60:61], s16, v36
	s_nop 0
	v_subbrev_co_u32_e32 v23, vcc, 0, v12, vcc
	v_sub_u32_e32 v12, 0, v23
	v_ldexp_f32 v8, v8, v12
	v_ldexp_f32 v12, v14, v12
	v_add_f32_e32 v14, -1.0, v8
	v_add_f32_e32 v13, 1.0, v14
	v_sub_f32_e32 v13, v8, v13
	v_add_f32_e32 v15, v12, v13
	v_add_f32_e32 v13, 1.0, v8
	v_add_f32_e32 v25, -1.0, v13
	v_sub_f32_e32 v8, v8, v25
	v_add_f32_e32 v8, v12, v8
	v_add_f32_e32 v25, v13, v8
	v_rcp_f32_e32 v30, v25
	v_sub_f32_e32 v12, v13, v25
	v_add_f32_e32 v13, v14, v15
	v_add_f32_e32 v8, v8, v12
	v_mul_f32_e32 v32, v13, v30
	v_sub_f32_e32 v12, v14, v13
	v_mul_f32_e32 v14, v25, v32
	v_fma_f32 v26, v32, v25, -v14
	v_fmac_f32_e32 v26, v32, v8
	v_add_f32_e32 v31, v15, v12
	v_add_f32_e32 v12, v14, v26
	v_sub_f32_e32 v15, v13, v12
	v_pk_add_f32 v[28:29], v[12:13], v[14:15] neg_lo:[0,1] neg_hi:[0,1]
	v_mov_b32_e32 v27, v12
	v_pk_add_f32 v[12:13], v[28:29], v[26:27] neg_lo:[0,1] neg_hi:[0,1]
	v_cmp_eq_f32_e32 vcc, s13, v36
	v_add_f32_e32 v13, v31, v13
	v_add_f32_e32 v12, v12, v13
	;; [unrolled: 1-line block ×3, first 2 shown]
	v_mul_f32_e32 v31, v30, v13
	v_mul_f32_e32 v14, v25, v31
	v_fma_f32 v26, v31, v25, -v14
	v_fmac_f32_e32 v26, v31, v8
	v_sub_f32_e32 v8, v15, v13
	v_add_f32_e32 v8, v12, v8
	v_add_f32_e32 v12, v14, v26
	v_sub_f32_e32 v15, v13, v12
	v_pk_add_f32 v[28:29], v[12:13], v[14:15] neg_lo:[0,1] neg_hi:[0,1]
	v_mov_b32_e32 v27, v12
	v_pk_add_f32 v[12:13], v[28:29], v[26:27] neg_lo:[0,1] neg_hi:[0,1]
	s_or_b64 vcc, s[60:61], vcc
	v_add_f32_e32 v8, v8, v13
	v_add_f32_e32 v8, v12, v8
	;; [unrolled: 1-line block ×4, first 2 shown]
	v_sub_f32_e32 v12, v13, v32
	v_mul_f32_e32 v8, v30, v8
	v_sub_f32_e32 v12, v31, v12
	v_add_f32_e32 v8, v12, v8
	v_add_f32_e32 v14, v13, v8
	v_mul_f32_e32 v26, v14, v14
	v_fmamk_f32 v12, v26, 0x3e9b6dac, v135
	v_fmaak_f32 v25, v26, v12, 0x3f2aaada
	v_cvt_f32_i32_e32 v12, v23
	v_sub_f32_e32 v13, v14, v13
	v_sub_f32_e32 v8, v8, v13
	v_mul_f32_e32 v13, v14, v26
	v_pk_mul_f32 v[26:27], v[12:13], v[24:25]
	v_ldexp_f32 v15, v14, 1
	v_fma_f32 v14, v12, s15, -v26
	v_fmac_f32_e32 v14, 0xb102e308, v12
	v_pk_add_f32 v[12:13], v[26:27], v[14:15]
	v_ldexp_f32 v8, v8, 1
	v_sub_f32_e32 v15, v13, v15
	v_sub_f32_e32 v15, v27, v15
	v_add_f32_e32 v29, v8, v15
	v_mov_b32_e32 v28, v26
	v_pk_add_f32 v[26:27], v[12:13], v[26:27] neg_lo:[0,1] neg_hi:[0,1]
	v_pk_add_f32 v[30:31], v[12:13], v[28:29]
	v_mov_b32_e32 v15, v12
	v_mov_b32_e32 v27, v31
	v_pk_add_f32 v[32:33], v[14:15], v[26:27] neg_lo:[0,1] neg_hi:[0,1]
	v_pk_add_f32 v[14:15], v[14:15], v[26:27]
	s_nop 0
	v_mov_b32_e32 v8, v15
	v_pk_add_f32 v[26:27], v[8:9], v[12:13] neg_lo:[0,1] neg_hi:[0,1]
	v_mov_b32_e32 v14, v31
	v_mov_b32_e32 v23, v26
	v_pk_add_f32 v[34:35], v[30:31], v[22:23] neg_lo:[0,1] neg_hi:[0,1]
	v_mov_b32_e32 v30, v13
	v_mov_b32_e32 v31, v26
	;; [unrolled: 1-line block ×3, first 2 shown]
	v_pk_add_f32 v[14:15], v[14:15], v[30:31] neg_lo:[0,1] neg_hi:[0,1]
	v_mov_b32_e32 v26, v29
	v_mov_b32_e32 v27, v12
	v_pk_add_f32 v[12:13], v[26:27], v[14:15] neg_lo:[0,1] neg_hi:[0,1]
	v_mov_b32_e32 v34, v32
	v_pk_add_f32 v[14:15], v[34:35], v[12:13]
	s_nop 0
	v_mov_b32_e32 v26, v15
	v_pk_add_f32 v[26:27], v[14:15], v[26:27]
	s_nop 0
	v_pk_add_f32 v[28:29], v[8:9], v[26:27]
	v_mov_b32_e32 v13, v26
	v_mov_b32_e32 v15, v28
	v_pk_add_f32 v[30:31], v[14:15], v[32:33] neg_lo:[0,1] neg_hi:[0,1]
	s_nop 0
	v_sub_f32_e32 v8, v14, v30
	v_pk_add_f32 v[12:13], v[12:13], v[30:31] neg_lo:[0,1] neg_hi:[0,1]
	v_sub_f32_e32 v8, v32, v8
	v_add_f32_e32 v8, v12, v8
	v_add_f32_e32 v8, v8, v13
	;; [unrolled: 1-line block ×3, first 2 shown]
	v_cndmask_b32_e32 v149, v8, v36, vcc
.LBB90_97:                              ;   in Loop: Header=BB90_13 Depth=1
	s_or_b64 exec, exec, s[4:5]
	v_cvt_f32_f16_sdwa v8, v9 dst_sel:DWORD dst_unused:UNUSED_PAD src0_sel:WORD_1
	v_readlane_b32 s2, v167, 2
	s_nop 1
	v_add_f32_e32 v150, s2, v8
	v_readlane_b32 s2, v167, 30
	v_cmp_ge_f32_e32 vcc, s6, v150
	v_readlane_b32 s3, v167, 31
	s_and_b64 s[2:3], s[2:3], vcc
	s_and_saveexec_b64 s[4:5], s[2:3]
	s_cbranch_execz .LBB90_99
; %bb.98:                               ;   in Loop: Header=BB90_13 Depth=1
	v_mul_f32_e32 v8, 0x3fb8aa3b, v150
	v_rndne_f32_e32 v9, v8
	v_sub_f32_e32 v12, v8, v9
	v_fma_f32 v8, v150, s10, -v8
	v_fmac_f32_e32 v8, 0x32a5705f, v150
	v_add_f32_e32 v8, v12, v8
	v_cvt_i32_f32_e32 v9, v9
	v_exp_f32_e32 v8, v8
	v_cmp_ngt_f32_e32 vcc, s11, v150
	v_ldexp_f32 v8, v8, v9
	s_nop 0
	v_cndmask_b32_e32 v8, 0, v8, vcc
	v_cmp_nlt_f32_e32 vcc, s12, v150
	s_nop 1
	v_cndmask_b32_e32 v23, v136, v8, vcc
	v_add_f32_e32 v12, 1.0, v23
	v_add_f32_e32 v8, -1.0, v12
	v_sub_f32_e32 v9, v8, v12
	v_add_f32_e32 v9, 1.0, v9
	v_sub_f32_e32 v8, v23, v8
	v_add_f32_e32 v13, v8, v9
	v_frexp_mant_f32_e32 v14, v12
	v_cvt_f64_f32_e32 v[8:9], v12
	v_frexp_exp_i32_f64_e32 v8, v[8:9]
	v_cmp_gt_f32_e32 vcc, s14, v14
	v_cmp_gt_f32_e64 s[60:61], s16, v23
	s_nop 0
	v_subbrev_co_u32_e32 v28, vcc, 0, v8, vcc
	v_sub_u32_e32 v8, 0, v28
	v_ldexp_f32 v9, v12, v8
	v_add_f32_e32 v12, -1.0, v9
	v_add_f32_e32 v14, 1.0, v9
	v_ldexp_f32 v8, v13, v8
	v_add_f32_e32 v13, 1.0, v12
	v_add_f32_e32 v15, -1.0, v14
	v_sub_f32_e32 v13, v9, v13
	v_sub_f32_e32 v9, v9, v15
	v_add_f32_e32 v13, v8, v13
	v_add_f32_e32 v8, v8, v9
	;; [unrolled: 1-line block ×3, first 2 shown]
	v_rcp_f32_e32 v30, v25
	v_sub_f32_e32 v9, v14, v25
	v_add_f32_e32 v29, v8, v9
	v_add_f32_e32 v9, v12, v13
	v_mul_f32_e32 v32, v9, v30
	v_sub_f32_e32 v8, v12, v9
	v_mul_f32_e32 v12, v25, v32
	v_fma_f32 v14, v32, v25, -v12
	v_fmac_f32_e32 v14, v32, v29
	v_add_f32_e32 v31, v13, v8
	v_add_f32_e32 v8, v12, v14
	v_sub_f32_e32 v13, v9, v8
	v_pk_add_f32 v[26:27], v[8:9], v[12:13] neg_lo:[0,1] neg_hi:[0,1]
	v_mov_b32_e32 v15, v8
	v_pk_add_f32 v[8:9], v[26:27], v[14:15] neg_lo:[0,1] neg_hi:[0,1]
	v_cmp_eq_f32_e32 vcc, s13, v23
	v_add_f32_e32 v9, v31, v9
	v_add_f32_e32 v8, v8, v9
	;; [unrolled: 1-line block ×3, first 2 shown]
	v_mul_f32_e32 v31, v30, v9
	v_mul_f32_e32 v12, v25, v31
	v_fma_f32 v14, v31, v25, -v12
	v_fmac_f32_e32 v14, v31, v29
	v_sub_f32_e32 v13, v13, v9
	v_add_f32_e32 v25, v8, v13
	v_add_f32_e32 v8, v12, v14
	v_sub_f32_e32 v13, v9, v8
	v_pk_add_f32 v[26:27], v[8:9], v[12:13] neg_lo:[0,1] neg_hi:[0,1]
	v_mov_b32_e32 v15, v8
	v_pk_add_f32 v[8:9], v[26:27], v[14:15] neg_lo:[0,1] neg_hi:[0,1]
	s_or_b64 vcc, s[60:61], vcc
	v_add_f32_e32 v9, v25, v9
	v_add_f32_e32 v8, v8, v9
	;; [unrolled: 1-line block ×4, first 2 shown]
	v_sub_f32_e32 v12, v9, v32
	v_mul_f32_e32 v8, v30, v8
	v_sub_f32_e32 v12, v31, v12
	v_add_f32_e32 v12, v12, v8
	v_add_f32_e32 v14, v9, v12
	v_mul_f32_e32 v15, v14, v14
	v_fmamk_f32 v8, v15, 0x3e9b6dac, v135
	v_fmaak_f32 v25, v15, v8, 0x3f2aaada
	v_cvt_f32_i32_e32 v8, v28
	v_sub_f32_e32 v9, v14, v9
	v_sub_f32_e32 v9, v12, v9
	v_ldexp_f32 v26, v9, 1
	v_mul_f32_e32 v9, v14, v15
	v_ldexp_f32 v13, v14, 1
	v_pk_mul_f32 v[14:15], v[8:9], v[24:25]
	s_nop 0
	v_fma_f32 v12, v8, s15, -v14
	v_fmac_f32_e32 v12, 0xb102e308, v8
	v_pk_add_f32 v[8:9], v[14:15], v[12:13]
	s_nop 0
	v_sub_f32_e32 v13, v9, v13
	v_sub_f32_e32 v13, v15, v13
	v_add_f32_e32 v27, v26, v13
	v_mov_b32_e32 v26, v14
	v_pk_add_f32 v[14:15], v[8:9], v[14:15] neg_lo:[0,1] neg_hi:[0,1]
	v_pk_add_f32 v[28:29], v[8:9], v[26:27]
	v_mov_b32_e32 v13, v8
	v_mov_b32_e32 v15, v29
	v_pk_add_f32 v[30:31], v[12:13], v[14:15] neg_lo:[0,1] neg_hi:[0,1]
	v_pk_add_f32 v[12:13], v[12:13], v[14:15]
	v_mov_b32_e32 v26, v27
	v_mov_b32_e32 v14, v13
	v_pk_add_f32 v[32:33], v[14:15], v[8:9] neg_lo:[0,1] neg_hi:[0,1]
	v_mov_b32_e32 v12, v29
	v_mov_b32_e32 v15, v32
	v_pk_add_f32 v[34:35], v[28:29], v[14:15] neg_lo:[0,1] neg_hi:[0,1]
	v_mov_b32_e32 v28, v9
	v_mov_b32_e32 v29, v32
	;; [unrolled: 1-line block ×3, first 2 shown]
	v_pk_add_f32 v[12:13], v[12:13], v[28:29] neg_lo:[0,1] neg_hi:[0,1]
	v_mov_b32_e32 v27, v8
	v_pk_add_f32 v[8:9], v[26:27], v[12:13] neg_lo:[0,1] neg_hi:[0,1]
	v_mov_b32_e32 v34, v30
	v_pk_add_f32 v[12:13], v[34:35], v[8:9]
	s_nop 0
	v_mov_b32_e32 v26, v13
	v_pk_add_f32 v[26:27], v[12:13], v[26:27]
	s_nop 0
	v_pk_add_f32 v[14:15], v[14:15], v[26:27]
	v_mov_b32_e32 v9, v26
	v_mov_b32_e32 v13, v14
	v_pk_add_f32 v[28:29], v[12:13], v[30:31] neg_lo:[0,1] neg_hi:[0,1]
	s_nop 0
	v_sub_f32_e32 v12, v12, v28
	v_pk_add_f32 v[8:9], v[8:9], v[28:29] neg_lo:[0,1] neg_hi:[0,1]
	v_sub_f32_e32 v12, v30, v12
	v_add_f32_e32 v8, v8, v12
	v_add_f32_e32 v8, v8, v9
	;; [unrolled: 1-line block ×3, first 2 shown]
	v_cndmask_b32_e32 v150, v8, v23, vcc
.LBB90_99:                              ;   in Loop: Header=BB90_13 Depth=1
	s_or_b64 exec, exec, s[4:5]
	v_cvt_f32_f16_e32 v8, v10
	v_readlane_b32 s2, v167, 2
	s_nop 1
	v_add_f32_e32 v151, s2, v8
	v_readlane_b32 s2, v167, 30
	v_cmp_ge_f32_e32 vcc, s6, v151
	v_readlane_b32 s3, v167, 31
	s_and_b64 s[2:3], s[2:3], vcc
	s_and_saveexec_b64 s[4:5], s[2:3]
	s_cbranch_execz .LBB90_101
; %bb.100:                              ;   in Loop: Header=BB90_13 Depth=1
	v_mul_f32_e32 v8, 0x3fb8aa3b, v151
	v_rndne_f32_e32 v9, v8
	v_sub_f32_e32 v12, v8, v9
	v_fma_f32 v8, v151, s10, -v8
	v_fmac_f32_e32 v8, 0x32a5705f, v151
	v_add_f32_e32 v8, v12, v8
	v_cvt_i32_f32_e32 v9, v9
	v_exp_f32_e32 v8, v8
	v_cmp_ngt_f32_e32 vcc, s11, v151
	v_ldexp_f32 v8, v8, v9
	s_nop 0
	v_cndmask_b32_e32 v8, 0, v8, vcc
	v_cmp_nlt_f32_e32 vcc, s12, v151
	s_nop 1
	v_cndmask_b32_e32 v23, v136, v8, vcc
	v_add_f32_e32 v12, 1.0, v23
	v_add_f32_e32 v8, -1.0, v12
	v_sub_f32_e32 v9, v8, v12
	v_add_f32_e32 v9, 1.0, v9
	v_sub_f32_e32 v8, v23, v8
	v_add_f32_e32 v13, v8, v9
	v_frexp_mant_f32_e32 v14, v12
	v_cvt_f64_f32_e32 v[8:9], v12
	v_frexp_exp_i32_f64_e32 v8, v[8:9]
	v_cmp_gt_f32_e32 vcc, s14, v14
	v_cmp_gt_f32_e64 s[60:61], s16, v23
	s_nop 0
	v_subbrev_co_u32_e32 v28, vcc, 0, v8, vcc
	v_sub_u32_e32 v8, 0, v28
	v_ldexp_f32 v9, v12, v8
	v_add_f32_e32 v12, -1.0, v9
	v_add_f32_e32 v14, 1.0, v9
	v_ldexp_f32 v8, v13, v8
	v_add_f32_e32 v13, 1.0, v12
	v_add_f32_e32 v15, -1.0, v14
	v_sub_f32_e32 v13, v9, v13
	v_sub_f32_e32 v9, v9, v15
	v_add_f32_e32 v13, v8, v13
	v_add_f32_e32 v8, v8, v9
	;; [unrolled: 1-line block ×3, first 2 shown]
	v_rcp_f32_e32 v30, v25
	v_sub_f32_e32 v9, v14, v25
	v_add_f32_e32 v29, v8, v9
	v_add_f32_e32 v9, v12, v13
	v_mul_f32_e32 v32, v9, v30
	v_sub_f32_e32 v8, v12, v9
	v_mul_f32_e32 v12, v25, v32
	v_fma_f32 v14, v32, v25, -v12
	v_fmac_f32_e32 v14, v32, v29
	v_add_f32_e32 v31, v13, v8
	v_add_f32_e32 v8, v12, v14
	v_sub_f32_e32 v13, v9, v8
	v_pk_add_f32 v[26:27], v[8:9], v[12:13] neg_lo:[0,1] neg_hi:[0,1]
	v_mov_b32_e32 v15, v8
	v_pk_add_f32 v[8:9], v[26:27], v[14:15] neg_lo:[0,1] neg_hi:[0,1]
	v_cmp_eq_f32_e32 vcc, s13, v23
	v_add_f32_e32 v9, v31, v9
	v_add_f32_e32 v8, v8, v9
	;; [unrolled: 1-line block ×3, first 2 shown]
	v_mul_f32_e32 v31, v30, v9
	v_mul_f32_e32 v12, v25, v31
	v_fma_f32 v14, v31, v25, -v12
	v_fmac_f32_e32 v14, v31, v29
	v_sub_f32_e32 v13, v13, v9
	v_add_f32_e32 v25, v8, v13
	v_add_f32_e32 v8, v12, v14
	v_sub_f32_e32 v13, v9, v8
	v_pk_add_f32 v[26:27], v[8:9], v[12:13] neg_lo:[0,1] neg_hi:[0,1]
	v_mov_b32_e32 v15, v8
	v_pk_add_f32 v[8:9], v[26:27], v[14:15] neg_lo:[0,1] neg_hi:[0,1]
	s_or_b64 vcc, s[60:61], vcc
	v_add_f32_e32 v9, v25, v9
	v_add_f32_e32 v8, v8, v9
	;; [unrolled: 1-line block ×4, first 2 shown]
	v_sub_f32_e32 v12, v9, v32
	v_mul_f32_e32 v8, v30, v8
	v_sub_f32_e32 v12, v31, v12
	v_add_f32_e32 v12, v12, v8
	v_add_f32_e32 v14, v9, v12
	v_mul_f32_e32 v15, v14, v14
	v_fmamk_f32 v8, v15, 0x3e9b6dac, v135
	v_fmaak_f32 v25, v15, v8, 0x3f2aaada
	v_cvt_f32_i32_e32 v8, v28
	v_sub_f32_e32 v9, v14, v9
	v_sub_f32_e32 v9, v12, v9
	v_ldexp_f32 v26, v9, 1
	v_mul_f32_e32 v9, v14, v15
	v_ldexp_f32 v13, v14, 1
	v_pk_mul_f32 v[14:15], v[8:9], v[24:25]
	s_nop 0
	v_fma_f32 v12, v8, s15, -v14
	v_fmac_f32_e32 v12, 0xb102e308, v8
	v_pk_add_f32 v[8:9], v[14:15], v[12:13]
	s_nop 0
	v_sub_f32_e32 v13, v9, v13
	v_sub_f32_e32 v13, v15, v13
	v_add_f32_e32 v27, v26, v13
	v_mov_b32_e32 v26, v14
	v_pk_add_f32 v[14:15], v[8:9], v[14:15] neg_lo:[0,1] neg_hi:[0,1]
	v_pk_add_f32 v[28:29], v[8:9], v[26:27]
	v_mov_b32_e32 v13, v8
	v_mov_b32_e32 v15, v29
	v_pk_add_f32 v[30:31], v[12:13], v[14:15] neg_lo:[0,1] neg_hi:[0,1]
	v_pk_add_f32 v[12:13], v[12:13], v[14:15]
	v_mov_b32_e32 v26, v27
	v_mov_b32_e32 v14, v13
	v_pk_add_f32 v[32:33], v[14:15], v[8:9] neg_lo:[0,1] neg_hi:[0,1]
	v_mov_b32_e32 v12, v29
	v_mov_b32_e32 v15, v32
	v_pk_add_f32 v[34:35], v[28:29], v[14:15] neg_lo:[0,1] neg_hi:[0,1]
	v_mov_b32_e32 v28, v9
	v_mov_b32_e32 v29, v32
	v_mov_b32_e32 v31, v13
	v_pk_add_f32 v[12:13], v[12:13], v[28:29] neg_lo:[0,1] neg_hi:[0,1]
	v_mov_b32_e32 v27, v8
	v_pk_add_f32 v[8:9], v[26:27], v[12:13] neg_lo:[0,1] neg_hi:[0,1]
	v_mov_b32_e32 v34, v30
	v_pk_add_f32 v[12:13], v[34:35], v[8:9]
	s_nop 0
	v_mov_b32_e32 v26, v13
	v_pk_add_f32 v[26:27], v[12:13], v[26:27]
	s_nop 0
	v_pk_add_f32 v[14:15], v[14:15], v[26:27]
	v_mov_b32_e32 v9, v26
	v_mov_b32_e32 v13, v14
	v_pk_add_f32 v[28:29], v[12:13], v[30:31] neg_lo:[0,1] neg_hi:[0,1]
	s_nop 0
	v_sub_f32_e32 v12, v12, v28
	v_pk_add_f32 v[8:9], v[8:9], v[28:29] neg_lo:[0,1] neg_hi:[0,1]
	v_sub_f32_e32 v12, v30, v12
	v_add_f32_e32 v8, v8, v12
	v_add_f32_e32 v8, v8, v9
	;; [unrolled: 1-line block ×3, first 2 shown]
	v_cndmask_b32_e32 v151, v8, v23, vcc
.LBB90_101:                             ;   in Loop: Header=BB90_13 Depth=1
	s_or_b64 exec, exec, s[4:5]
	v_cvt_f32_f16_sdwa v8, v10 dst_sel:DWORD dst_unused:UNUSED_PAD src0_sel:WORD_1
	v_readlane_b32 s2, v167, 2
	s_nop 1
	v_add_f32_e32 v152, s2, v8
	v_readlane_b32 s2, v167, 30
	v_cmp_ge_f32_e32 vcc, s6, v152
	v_readlane_b32 s3, v167, 31
	s_and_b64 s[2:3], s[2:3], vcc
	s_and_saveexec_b64 s[4:5], s[2:3]
	s_cbranch_execz .LBB90_103
; %bb.102:                              ;   in Loop: Header=BB90_13 Depth=1
	v_mul_f32_e32 v8, 0x3fb8aa3b, v152
	v_rndne_f32_e32 v9, v8
	v_sub_f32_e32 v10, v8, v9
	v_fma_f32 v8, v152, s10, -v8
	v_fmac_f32_e32 v8, 0x32a5705f, v152
	v_add_f32_e32 v8, v10, v8
	v_cvt_i32_f32_e32 v9, v9
	v_exp_f32_e32 v8, v8
	v_cmp_ngt_f32_e32 vcc, s11, v152
	v_ldexp_f32 v8, v8, v9
	s_nop 0
	v_cndmask_b32_e32 v8, 0, v8, vcc
	v_cmp_nlt_f32_e32 vcc, s12, v152
	s_nop 1
	v_cndmask_b32_e32 v23, v136, v8, vcc
	v_add_f32_e32 v10, 1.0, v23
	v_add_f32_e32 v8, -1.0, v10
	v_sub_f32_e32 v9, v8, v10
	v_add_f32_e32 v9, 1.0, v9
	v_sub_f32_e32 v8, v23, v8
	v_add_f32_e32 v12, v8, v9
	v_frexp_mant_f32_e32 v13, v10
	v_cvt_f64_f32_e32 v[8:9], v10
	v_frexp_exp_i32_f64_e32 v8, v[8:9]
	v_cmp_gt_f32_e32 vcc, s14, v13
	v_cmp_gt_f32_e64 s[60:61], s16, v23
	s_nop 0
	v_subbrev_co_u32_e32 v28, vcc, 0, v8, vcc
	v_sub_u32_e32 v8, 0, v28
	v_ldexp_f32 v9, v10, v8
	v_add_f32_e32 v10, -1.0, v9
	v_add_f32_e32 v13, 1.0, v9
	v_ldexp_f32 v8, v12, v8
	v_add_f32_e32 v12, 1.0, v10
	v_add_f32_e32 v14, -1.0, v13
	v_sub_f32_e32 v12, v9, v12
	v_sub_f32_e32 v9, v9, v14
	v_add_f32_e32 v12, v8, v12
	v_add_f32_e32 v8, v8, v9
	;; [unrolled: 1-line block ×3, first 2 shown]
	v_rcp_f32_e32 v30, v25
	v_sub_f32_e32 v9, v13, v25
	v_add_f32_e32 v29, v8, v9
	v_add_f32_e32 v9, v10, v12
	v_sub_f32_e32 v8, v10, v9
	v_mul_f32_e32 v31, v9, v30
	v_add_f32_e32 v10, v12, v8
	v_mul_f32_e32 v12, v25, v31
	v_fma_f32 v14, v31, v25, -v12
	v_fmac_f32_e32 v14, v31, v29
	v_add_f32_e32 v8, v12, v14
	v_sub_f32_e32 v13, v9, v8
	v_pk_add_f32 v[26:27], v[8:9], v[12:13] neg_lo:[0,1] neg_hi:[0,1]
	v_mov_b32_e32 v15, v8
	v_pk_add_f32 v[8:9], v[26:27], v[14:15] neg_lo:[0,1] neg_hi:[0,1]
	v_cmp_eq_f32_e32 vcc, s13, v23
	v_add_f32_e32 v9, v10, v9
	v_add_f32_e32 v8, v8, v9
	;; [unrolled: 1-line block ×3, first 2 shown]
	v_mul_f32_e32 v10, v30, v9
	v_mul_f32_e32 v12, v25, v10
	v_fma_f32 v14, v10, v25, -v12
	v_fmac_f32_e32 v14, v10, v29
	v_sub_f32_e32 v13, v13, v9
	v_add_f32_e32 v25, v8, v13
	v_add_f32_e32 v8, v12, v14
	v_sub_f32_e32 v13, v9, v8
	v_pk_add_f32 v[26:27], v[8:9], v[12:13] neg_lo:[0,1] neg_hi:[0,1]
	v_mov_b32_e32 v15, v8
	v_pk_add_f32 v[8:9], v[26:27], v[14:15] neg_lo:[0,1] neg_hi:[0,1]
	s_or_b64 vcc, s[60:61], vcc
	v_add_f32_e32 v9, v25, v9
	v_add_f32_e32 v8, v8, v9
	;; [unrolled: 1-line block ×4, first 2 shown]
	v_sub_f32_e32 v12, v9, v31
	v_mul_f32_e32 v8, v30, v8
	v_sub_f32_e32 v10, v10, v12
	v_add_f32_e32 v10, v10, v8
	v_add_f32_e32 v12, v9, v10
	v_mul_f32_e32 v14, v12, v12
	v_fmamk_f32 v8, v14, 0x3e9b6dac, v135
	v_fmaak_f32 v25, v14, v8, 0x3f2aaada
	v_cvt_f32_i32_e32 v8, v28
	v_sub_f32_e32 v9, v12, v9
	v_sub_f32_e32 v9, v10, v9
	v_ldexp_f32 v10, v9, 1
	v_mul_f32_e32 v9, v12, v14
	v_pk_mul_f32 v[14:15], v[8:9], v[24:25]
	v_ldexp_f32 v13, v12, 1
	v_fma_f32 v12, v8, s15, -v14
	v_fmac_f32_e32 v12, 0xb102e308, v8
	v_pk_add_f32 v[8:9], v[14:15], v[12:13]
	v_mov_b32_e32 v26, v14
	v_sub_f32_e32 v13, v9, v13
	v_sub_f32_e32 v13, v15, v13
	v_add_f32_e32 v27, v10, v13
	v_pk_add_f32 v[14:15], v[8:9], v[14:15] neg_lo:[0,1] neg_hi:[0,1]
	v_pk_add_f32 v[28:29], v[8:9], v[26:27]
	v_mov_b32_e32 v13, v8
	v_mov_b32_e32 v15, v29
	v_pk_add_f32 v[30:31], v[12:13], v[14:15] neg_lo:[0,1] neg_hi:[0,1]
	v_pk_add_f32 v[12:13], v[12:13], v[14:15]
	s_nop 0
	v_mov_b32_e32 v10, v13
	v_pk_add_f32 v[14:15], v[10:11], v[8:9] neg_lo:[0,1] neg_hi:[0,1]
	v_mov_b32_e32 v12, v29
	v_mov_b32_e32 v15, v14
	v_pk_add_f32 v[32:33], v[28:29], v[14:15] neg_lo:[0,1] neg_hi:[0,1]
	v_mov_b32_e32 v28, v9
	v_mov_b32_e32 v29, v14
	;; [unrolled: 1-line block ×3, first 2 shown]
	v_pk_add_f32 v[12:13], v[12:13], v[28:29] neg_lo:[0,1] neg_hi:[0,1]
	v_mov_b32_e32 v14, v27
	v_mov_b32_e32 v15, v8
	v_pk_add_f32 v[8:9], v[14:15], v[12:13] neg_lo:[0,1] neg_hi:[0,1]
	v_mov_b32_e32 v32, v30
	v_pk_add_f32 v[12:13], v[32:33], v[8:9]
	s_nop 0
	v_mov_b32_e32 v14, v13
	v_pk_add_f32 v[14:15], v[12:13], v[14:15]
	s_nop 0
	v_pk_add_f32 v[26:27], v[10:11], v[14:15]
	v_mov_b32_e32 v9, v14
	v_mov_b32_e32 v13, v26
	v_pk_add_f32 v[28:29], v[12:13], v[30:31] neg_lo:[0,1] neg_hi:[0,1]
	s_nop 0
	v_sub_f32_e32 v10, v12, v28
	v_pk_add_f32 v[8:9], v[8:9], v[28:29] neg_lo:[0,1] neg_hi:[0,1]
	v_sub_f32_e32 v10, v30, v10
	v_add_f32_e32 v8, v8, v10
	v_add_f32_e32 v8, v8, v9
	;; [unrolled: 1-line block ×3, first 2 shown]
	v_cndmask_b32_e32 v152, v8, v23, vcc
.LBB90_103:                             ;   in Loop: Header=BB90_13 Depth=1
	s_or_b64 exec, exec, s[4:5]
	v_cvt_f32_f16_e32 v8, v11
	v_readlane_b32 s2, v167, 2
	s_nop 1
	v_add_f32_e32 v26, s2, v8
	v_readlane_b32 s2, v167, 30
	v_cmp_ge_f32_e32 vcc, s6, v26
	v_readlane_b32 s3, v167, 31
	s_and_b64 s[2:3], s[2:3], vcc
	s_and_saveexec_b64 s[4:5], s[2:3]
	s_cbranch_execz .LBB90_105
; %bb.104:                              ;   in Loop: Header=BB90_13 Depth=1
	v_mul_f32_e32 v8, 0x3fb8aa3b, v26
	v_rndne_f32_e32 v9, v8
	v_sub_f32_e32 v10, v8, v9
	v_fma_f32 v8, v26, s10, -v8
	v_fmac_f32_e32 v8, 0x32a5705f, v26
	v_add_f32_e32 v8, v10, v8
	v_cvt_i32_f32_e32 v9, v9
	v_exp_f32_e32 v8, v8
	v_cmp_ngt_f32_e32 vcc, s11, v26
	v_ldexp_f32 v8, v8, v9
	s_nop 0
	v_cndmask_b32_e32 v8, 0, v8, vcc
	v_cmp_nlt_f32_e32 vcc, s12, v26
	s_nop 1
	v_cndmask_b32_e32 v23, v136, v8, vcc
	v_add_f32_e32 v10, 1.0, v23
	v_add_f32_e32 v8, -1.0, v10
	v_sub_f32_e32 v9, v8, v10
	v_add_f32_e32 v9, 1.0, v9
	v_sub_f32_e32 v8, v23, v8
	v_add_f32_e32 v12, v8, v9
	v_frexp_mant_f32_e32 v13, v10
	v_cvt_f64_f32_e32 v[8:9], v10
	v_frexp_exp_i32_f64_e32 v8, v[8:9]
	v_cmp_gt_f32_e32 vcc, s14, v13
	v_cmp_gt_f32_e64 s[60:61], s16, v23
	s_nop 0
	v_subbrev_co_u32_e32 v28, vcc, 0, v8, vcc
	v_sub_u32_e32 v8, 0, v28
	v_ldexp_f32 v9, v10, v8
	v_add_f32_e32 v10, -1.0, v9
	v_add_f32_e32 v13, 1.0, v9
	v_ldexp_f32 v8, v12, v8
	v_add_f32_e32 v12, 1.0, v10
	v_add_f32_e32 v14, -1.0, v13
	v_sub_f32_e32 v12, v9, v12
	v_sub_f32_e32 v9, v9, v14
	v_add_f32_e32 v12, v8, v12
	v_add_f32_e32 v8, v8, v9
	;; [unrolled: 1-line block ×3, first 2 shown]
	v_rcp_f32_e32 v30, v25
	v_sub_f32_e32 v9, v13, v25
	v_add_f32_e32 v29, v8, v9
	v_add_f32_e32 v9, v10, v12
	v_sub_f32_e32 v8, v10, v9
	v_mul_f32_e32 v31, v9, v30
	v_add_f32_e32 v10, v12, v8
	v_mul_f32_e32 v12, v25, v31
	v_fma_f32 v14, v31, v25, -v12
	v_fmac_f32_e32 v14, v31, v29
	v_add_f32_e32 v8, v12, v14
	v_sub_f32_e32 v13, v9, v8
	v_pk_add_f32 v[26:27], v[8:9], v[12:13] neg_lo:[0,1] neg_hi:[0,1]
	v_mov_b32_e32 v15, v8
	v_pk_add_f32 v[8:9], v[26:27], v[14:15] neg_lo:[0,1] neg_hi:[0,1]
	v_cmp_eq_f32_e32 vcc, s13, v23
	v_add_f32_e32 v9, v10, v9
	v_add_f32_e32 v8, v8, v9
	;; [unrolled: 1-line block ×3, first 2 shown]
	v_mul_f32_e32 v10, v30, v9
	v_mul_f32_e32 v12, v25, v10
	v_fma_f32 v14, v10, v25, -v12
	v_fmac_f32_e32 v14, v10, v29
	v_sub_f32_e32 v13, v13, v9
	v_add_f32_e32 v25, v8, v13
	v_add_f32_e32 v8, v12, v14
	v_sub_f32_e32 v13, v9, v8
	v_pk_add_f32 v[26:27], v[8:9], v[12:13] neg_lo:[0,1] neg_hi:[0,1]
	v_mov_b32_e32 v15, v8
	v_pk_add_f32 v[8:9], v[26:27], v[14:15] neg_lo:[0,1] neg_hi:[0,1]
	s_or_b64 vcc, s[60:61], vcc
	v_add_f32_e32 v9, v25, v9
	v_add_f32_e32 v8, v8, v9
	v_add_f32_e32 v9, v31, v10
	v_add_f32_e32 v8, v13, v8
	v_sub_f32_e32 v12, v9, v31
	v_mul_f32_e32 v8, v30, v8
	v_sub_f32_e32 v10, v10, v12
	v_add_f32_e32 v10, v10, v8
	v_add_f32_e32 v12, v9, v10
	v_mul_f32_e32 v14, v12, v12
	v_fmamk_f32 v8, v14, 0x3e9b6dac, v135
	v_fmaak_f32 v25, v14, v8, 0x3f2aaada
	v_cvt_f32_i32_e32 v8, v28
	v_sub_f32_e32 v9, v12, v9
	v_sub_f32_e32 v9, v10, v9
	v_ldexp_f32 v10, v9, 1
	v_mul_f32_e32 v9, v12, v14
	v_pk_mul_f32 v[14:15], v[8:9], v[24:25]
	v_ldexp_f32 v13, v12, 1
	v_fma_f32 v12, v8, s15, -v14
	v_fmac_f32_e32 v12, 0xb102e308, v8
	v_pk_add_f32 v[8:9], v[14:15], v[12:13]
	v_mov_b32_e32 v26, v14
	v_sub_f32_e32 v13, v9, v13
	v_sub_f32_e32 v13, v15, v13
	v_add_f32_e32 v27, v10, v13
	v_pk_add_f32 v[14:15], v[8:9], v[14:15] neg_lo:[0,1] neg_hi:[0,1]
	v_pk_add_f32 v[28:29], v[8:9], v[26:27]
	v_mov_b32_e32 v13, v8
	v_mov_b32_e32 v15, v29
	v_pk_add_f32 v[30:31], v[12:13], v[14:15] neg_lo:[0,1] neg_hi:[0,1]
	v_pk_add_f32 v[12:13], v[12:13], v[14:15]
	s_nop 0
	v_mov_b32_e32 v10, v13
	v_pk_add_f32 v[14:15], v[10:11], v[8:9] neg_lo:[0,1] neg_hi:[0,1]
	v_mov_b32_e32 v12, v29
	v_mov_b32_e32 v15, v14
	v_pk_add_f32 v[32:33], v[28:29], v[14:15] neg_lo:[0,1] neg_hi:[0,1]
	v_mov_b32_e32 v28, v9
	v_mov_b32_e32 v29, v14
	;; [unrolled: 1-line block ×3, first 2 shown]
	v_pk_add_f32 v[12:13], v[12:13], v[28:29] neg_lo:[0,1] neg_hi:[0,1]
	v_mov_b32_e32 v14, v27
	v_mov_b32_e32 v15, v8
	v_pk_add_f32 v[8:9], v[14:15], v[12:13] neg_lo:[0,1] neg_hi:[0,1]
	v_mov_b32_e32 v32, v30
	v_pk_add_f32 v[12:13], v[32:33], v[8:9]
	s_nop 0
	v_mov_b32_e32 v14, v13
	v_pk_add_f32 v[14:15], v[12:13], v[14:15]
	s_nop 0
	v_pk_add_f32 v[26:27], v[10:11], v[14:15]
	v_mov_b32_e32 v9, v14
	v_mov_b32_e32 v13, v26
	v_pk_add_f32 v[28:29], v[12:13], v[30:31] neg_lo:[0,1] neg_hi:[0,1]
	s_nop 0
	v_sub_f32_e32 v10, v12, v28
	v_pk_add_f32 v[8:9], v[8:9], v[28:29] neg_lo:[0,1] neg_hi:[0,1]
	v_sub_f32_e32 v10, v30, v10
	v_add_f32_e32 v8, v8, v10
	v_add_f32_e32 v8, v8, v9
	;; [unrolled: 1-line block ×3, first 2 shown]
	v_cndmask_b32_e32 v26, v8, v23, vcc
.LBB90_105:                             ;   in Loop: Header=BB90_13 Depth=1
	s_or_b64 exec, exec, s[4:5]
	v_cvt_f32_f16_sdwa v8, v11 dst_sel:DWORD dst_unused:UNUSED_PAD src0_sel:WORD_1
	v_readlane_b32 s2, v167, 2
	s_nop 1
	v_add_f32_e32 v27, s2, v8
	v_readlane_b32 s2, v167, 30
	v_cmp_ge_f32_e32 vcc, s6, v27
	v_readlane_b32 s3, v167, 31
	s_and_b64 s[2:3], s[2:3], vcc
	s_and_saveexec_b64 s[4:5], s[2:3]
	s_cbranch_execz .LBB90_107
; %bb.106:                              ;   in Loop: Header=BB90_13 Depth=1
	v_mul_f32_e32 v8, 0x3fb8aa3b, v27
	v_rndne_f32_e32 v9, v8
	v_sub_f32_e32 v10, v8, v9
	v_fma_f32 v8, v27, s10, -v8
	v_fmac_f32_e32 v8, 0x32a5705f, v27
	v_add_f32_e32 v8, v10, v8
	v_cvt_i32_f32_e32 v9, v9
	v_exp_f32_e32 v8, v8
	v_cmp_ngt_f32_e32 vcc, s11, v27
	v_ldexp_f32 v8, v8, v9
	s_nop 0
	v_cndmask_b32_e32 v8, 0, v8, vcc
	v_cmp_nlt_f32_e32 vcc, s12, v27
	s_nop 1
	v_cndmask_b32_e32 v23, v136, v8, vcc
	v_add_f32_e32 v10, 1.0, v23
	v_add_f32_e32 v8, -1.0, v10
	v_sub_f32_e32 v9, v8, v10
	v_add_f32_e32 v9, 1.0, v9
	v_sub_f32_e32 v8, v23, v8
	v_add_f32_e32 v11, v8, v9
	v_frexp_mant_f32_e32 v12, v10
	v_cvt_f64_f32_e32 v[8:9], v10
	v_frexp_exp_i32_f64_e32 v8, v[8:9]
	v_cmp_gt_f32_e32 vcc, s14, v12
	v_cmp_gt_f32_e64 s[60:61], s16, v23
	s_nop 0
	v_subbrev_co_u32_e32 v27, vcc, 0, v8, vcc
	v_sub_u32_e32 v8, 0, v27
	v_ldexp_f32 v9, v10, v8
	v_add_f32_e32 v10, -1.0, v9
	v_add_f32_e32 v12, 1.0, v9
	v_ldexp_f32 v8, v11, v8
	v_add_f32_e32 v11, 1.0, v10
	v_add_f32_e32 v13, -1.0, v12
	v_sub_f32_e32 v11, v9, v11
	v_sub_f32_e32 v9, v9, v13
	v_add_f32_e32 v11, v8, v11
	v_add_f32_e32 v8, v8, v9
	;; [unrolled: 1-line block ×3, first 2 shown]
	v_rcp_f32_e32 v29, v25
	v_sub_f32_e32 v9, v12, v25
	v_add_f32_e32 v28, v8, v9
	v_add_f32_e32 v9, v10, v11
	v_mul_f32_e32 v31, v9, v29
	v_sub_f32_e32 v8, v10, v9
	v_mul_f32_e32 v10, v25, v31
	v_fma_f32 v12, v31, v25, -v10
	v_fmac_f32_e32 v12, v31, v28
	v_add_f32_e32 v30, v11, v8
	v_add_f32_e32 v8, v10, v12
	v_sub_f32_e32 v11, v9, v8
	v_pk_add_f32 v[14:15], v[8:9], v[10:11] neg_lo:[0,1] neg_hi:[0,1]
	v_mov_b32_e32 v13, v8
	v_pk_add_f32 v[8:9], v[14:15], v[12:13] neg_lo:[0,1] neg_hi:[0,1]
	v_cmp_eq_f32_e32 vcc, s13, v23
	v_add_f32_e32 v9, v30, v9
	v_add_f32_e32 v8, v8, v9
	;; [unrolled: 1-line block ×3, first 2 shown]
	v_mul_f32_e32 v30, v29, v9
	v_mul_f32_e32 v10, v25, v30
	v_fma_f32 v12, v30, v25, -v10
	v_fmac_f32_e32 v12, v30, v28
	v_sub_f32_e32 v11, v11, v9
	v_add_f32_e32 v25, v8, v11
	v_add_f32_e32 v8, v10, v12
	v_sub_f32_e32 v11, v9, v8
	v_pk_add_f32 v[14:15], v[8:9], v[10:11] neg_lo:[0,1] neg_hi:[0,1]
	v_mov_b32_e32 v13, v8
	v_pk_add_f32 v[8:9], v[14:15], v[12:13] neg_lo:[0,1] neg_hi:[0,1]
	s_or_b64 vcc, s[60:61], vcc
	v_add_f32_e32 v9, v25, v9
	v_add_f32_e32 v8, v8, v9
	;; [unrolled: 1-line block ×4, first 2 shown]
	v_sub_f32_e32 v10, v9, v31
	v_mul_f32_e32 v8, v29, v8
	v_sub_f32_e32 v10, v30, v10
	v_add_f32_e32 v10, v10, v8
	v_add_f32_e32 v12, v9, v10
	v_mul_f32_e32 v13, v12, v12
	v_fmamk_f32 v8, v13, 0x3e9b6dac, v135
	v_fmaak_f32 v25, v13, v8, 0x3f2aaada
	v_cvt_f32_i32_e32 v8, v27
	v_sub_f32_e32 v9, v12, v9
	v_sub_f32_e32 v9, v10, v9
	v_ldexp_f32 v14, v9, 1
	v_mul_f32_e32 v9, v12, v13
	v_ldexp_f32 v11, v12, 1
	v_pk_mul_f32 v[12:13], v[8:9], v[24:25]
	s_nop 0
	v_fma_f32 v10, v8, s15, -v12
	v_fmac_f32_e32 v10, 0xb102e308, v8
	v_pk_add_f32 v[8:9], v[12:13], v[10:11]
	s_nop 0
	v_sub_f32_e32 v11, v9, v11
	v_sub_f32_e32 v11, v13, v11
	v_add_f32_e32 v15, v14, v11
	v_mov_b32_e32 v14, v12
	v_pk_add_f32 v[12:13], v[8:9], v[12:13] neg_lo:[0,1] neg_hi:[0,1]
	v_pk_add_f32 v[28:29], v[8:9], v[14:15]
	v_mov_b32_e32 v11, v8
	v_mov_b32_e32 v13, v29
	v_pk_add_f32 v[30:31], v[10:11], v[12:13] neg_lo:[0,1] neg_hi:[0,1]
	v_pk_add_f32 v[10:11], v[10:11], v[12:13]
	v_mov_b32_e32 v14, v15
	v_mov_b32_e32 v12, v11
	v_pk_add_f32 v[32:33], v[12:13], v[8:9] neg_lo:[0,1] neg_hi:[0,1]
	v_mov_b32_e32 v10, v29
	v_mov_b32_e32 v13, v32
	v_pk_add_f32 v[34:35], v[28:29], v[12:13] neg_lo:[0,1] neg_hi:[0,1]
	v_mov_b32_e32 v28, v9
	v_mov_b32_e32 v29, v32
	;; [unrolled: 1-line block ×3, first 2 shown]
	v_pk_add_f32 v[10:11], v[10:11], v[28:29] neg_lo:[0,1] neg_hi:[0,1]
	v_mov_b32_e32 v15, v8
	v_pk_add_f32 v[8:9], v[14:15], v[10:11] neg_lo:[0,1] neg_hi:[0,1]
	v_mov_b32_e32 v34, v30
	v_pk_add_f32 v[10:11], v[34:35], v[8:9]
	s_nop 0
	v_mov_b32_e32 v14, v11
	v_pk_add_f32 v[14:15], v[10:11], v[14:15]
	s_nop 0
	v_pk_add_f32 v[12:13], v[12:13], v[14:15]
	v_mov_b32_e32 v9, v14
	v_mov_b32_e32 v11, v12
	v_pk_add_f32 v[28:29], v[10:11], v[30:31] neg_lo:[0,1] neg_hi:[0,1]
	s_nop 0
	v_sub_f32_e32 v10, v10, v28
	v_pk_add_f32 v[8:9], v[8:9], v[28:29] neg_lo:[0,1] neg_hi:[0,1]
	v_sub_f32_e32 v10, v30, v10
	v_add_f32_e32 v8, v8, v10
	v_add_f32_e32 v8, v8, v9
	v_add_f32_e32 v8, v12, v8
	v_cndmask_b32_e32 v27, v8, v23, vcc
.LBB90_107:                             ;   in Loop: Header=BB90_13 Depth=1
	s_or_b64 exec, exec, s[4:5]
	v_cvt_f32_f16_e32 v8, v7
	v_cvt_f32_f16_sdwa v9, v6 dst_sel:DWORD dst_unused:UNUSED_PAD src0_sel:WORD_1
	v_cvt_f32_f16_e32 v6, v6
	v_cvt_f32_f16_sdwa v13, v7 dst_sel:DWORD dst_unused:UNUSED_PAD src0_sel:WORD_1
	v_cvt_f32_f16_sdwa v7, v5 dst_sel:DWORD dst_unused:UNUSED_PAD src0_sel:WORD_1
	v_cvt_f32_f16_e32 v5, v5
	v_cvt_f32_f16_sdwa v10, v4 dst_sel:DWORD dst_unused:UNUSED_PAD src0_sel:WORD_1
	v_cvt_f32_f16_e32 v4, v4
	;; [unrolled: 2-line block ×6, first 2 shown]
	v_readlane_b32 s2, v167, 3
	s_barrier
	s_nop 0
	v_mul_f32_e32 v28, s2, v8
	v_mul_f32_e32 v31, s2, v9
	;; [unrolled: 1-line block ×16, first 2 shown]
	v_readlane_b32 s2, v167, 33
	v_readlane_b32 s3, v167, 34
	s_and_b64 vcc, exec, s[2:3]
	s_cbranch_vccz .LBB90_204
; %bb.108:                              ;   in Loop: Header=BB90_13 Depth=1
	v_readlane_b32 s2, v167, 8
	v_readlane_b32 s3, v167, 9
	v_mul_f32_e32 v165, v139, v0
	v_cmp_gt_u32_e32 vcc, s88, v19
	v_lshl_add_u64 v[44:45], s[2:3], 0, v[16:17]
	v_readlane_b32 s2, v167, 22
	v_readlane_b32 s3, v167, 23
	v_or_b32_e32 v0, 1, v19
	v_mov_b32_e32 v23, v17
	v_lshl_add_u64 v[46:47], s[2:3], 0, v[16:17]
	v_readlane_b32 s3, v167, 59
	s_cmp_lg_u32 s3, 0
	v_readlane_b32 s2, v167, 37
	s_cselect_b64 s[94:95], -1, 0
	s_cmp_eq_u32 s3, s2
	v_readlane_b32 s2, v167, 38
	v_readlane_b32 s3, v167, 39
	s_cselect_b64 s[96:97], -1, 0
	s_or_b64 s[60:61], s[2:3], vcc
	v_cmp_gt_u32_e32 vcc, s88, v0
	v_or_b32_e32 v0, 2, v19
	s_or_b64 s[62:63], s[2:3], vcc
	v_cmp_gt_u32_e32 vcc, s88, v0
	v_or_b32_e32 v0, 3, v19
	;; [unrolled: 3-line block ×13, first 2 shown]
	s_mov_b32 s6, 0
	s_or_b64 s[86:87], s[2:3], vcc
	v_cmp_gt_u32_e32 vcc, s88, v0
	v_cmp_gt_u32_e64 s[88:89], s88, v134
	v_mul_f32_e32 v25, v27, v13
	v_lshl_add_u64 v[44:45], v[44:45], 0, v[22:23]
	v_lshl_add_u64 v[46:47], v[46:47], 0, v[22:23]
	v_mul_f32_e32 v16, v26, v8
	v_mul_f32_e32 v23, v152, v9
	;; [unrolled: 1-line block ×14, first 2 shown]
	s_or_b64 s[88:89], s[2:3], s[88:89]
	s_or_b64 s[90:91], s[2:3], vcc
	s_mov_b32 s92, s6
	s_mov_b32 s98, s6
	;; [unrolled: 1-line block ×3, first 2 shown]
	v_readlane_b32 s8, v167, 32
	v_readlane_b32 s9, v167, 58
	s_branch .LBB90_110
.LBB90_109:                             ;   in Loop: Header=BB90_110 Depth=2
	s_or_b64 exec, exec, s[2:3]
	v_cndmask_b32_e64 v8, v8, v67, s[24:25]
	v_cndmask_b32_e64 v48, v58, v66, s[24:25]
	v_mul_f32_e32 v48, v48, v120
	v_fma_f32 v8, v8, v120, v166
	v_cndmask_b32_e64 v8, v8, v166, s[22:23]
	v_cndmask_b32_e64 v48, v48, v120, s[22:23]
	s_waitcnt lgkmcnt(0)
	v_fmac_f32_e32 v8, v61, v48
	v_fmac_f32_e32 v9, v8, v121
	v_fmac_f32_e32 v10, v9, v122
	v_fmac_f32_e32 v11, v10, v123
	v_fmac_f32_e32 v12, v11, v124
	v_fmac_f32_e32 v13, v12, v125
	v_fmac_f32_e32 v14, v13, v126
	v_fmac_f32_e32 v15, v14, v127
	v_fmac_f32_e32 v50, v15, v128
	v_fmac_f32_e32 v51, v50, v129
	v_fmac_f32_e32 v54, v51, v130
	v_fmac_f32_e32 v55, v54, v131
	v_fmac_f32_e32 v52, v55, v60
	v_readlane_b32 s12, v167, 24
	v_fmac_f32_e32 v53, v52, v56
	v_readlane_b32 s13, v167, 25
	v_readlane_b32 s14, v167, 26
	;; [unrolled: 1-line block ×3, first 2 shown]
	v_fmac_f32_e32 v57, v53, v62
	s_add_i32 s4, s4, s14
	v_readlane_b32 s12, v167, 18
	v_fmac_f32_e32 v59, v57, v63
	v_cvt_f32_f16_sdwa v49, v4 dst_sel:DWORD dst_unused:UNUSED_PAD src0_sel:WORD_1
	v_cvt_f32_f16_sdwa v61, v5 dst_sel:DWORD dst_unused:UNUSED_PAD src0_sel:WORD_1
	v_cvt_f32_f16_e32 v48, v4
	v_cvt_f32_f16_e32 v60, v5
	v_cvt_f32_f16_sdwa v5, v6 dst_sel:DWORD dst_unused:UNUSED_PAD src0_sel:WORD_1
	v_cvt_f32_f16_sdwa v63, v7 dst_sel:DWORD dst_unused:UNUSED_PAD src0_sel:WORD_1
	v_cvt_f32_f16_e32 v4, v6
	v_cvt_f32_f16_e32 v62, v7
	;; [unrolled: 4-line block ×4, first 2 shown]
	v_readlane_b32 s13, v167, 19
	v_readlane_b32 s14, v167, 20
	;; [unrolled: 1-line block ×3, first 2 shown]
	s_add_i32 s98, s98, s12
	v_readlane_b32 s12, v167, 10
	v_readlane_b32 s13, v167, 11
	v_readlane_b32 s16, v167, 14
	v_mov_b32_e32 v58, v57
	s_add_i32 s9, s9, 8
	s_add_i32 s8, s8, -1
	s_add_i32 s92, s92, s16
	s_add_i32 s6, s6, s13
	v_pk_fma_f32 v[40:41], v[10:11], v[60:61], v[40:41]
	v_pk_fma_f32 v[42:43], v[8:9], v[48:49], v[42:43]
	;; [unrolled: 1-line block ×7, first 2 shown]
	s_cmp_eq_u32 s8, 0
	v_pk_fma_f32 v[30:31], v[52:53], v[0:1], v[30:31]
	v_readlane_b32 s14, v167, 12
	v_readlane_b32 s15, v167, 13
	v_readlane_b32 s17, v167, 15
	v_readlane_b32 s18, v167, 16
	v_readlane_b32 s19, v167, 17
	s_cbranch_scc1 .LBB90_203
.LBB90_110:                             ;   Parent Loop BB90_13 Depth=1
                                        ; =>  This Inner Loop Header: Depth=2
	s_lshl_b64 s[2:3], s[6:7], 2
	v_readlane_b32 s5, v167, 6
	s_add_u32 s2, s5, s2
	v_readlane_b32 s5, v167, 7
	s_addc_u32 s3, s5, s3
	global_load_dword v50, v17, s[2:3]
	s_mov_b32 s93, s7
	v_lshl_add_u64 v[0:1], s[92:93], 1, v[44:45]
	v_mov_b32_e32 v2, 0
	v_mov_b32_e32 v3, 0
	s_and_saveexec_b64 s[2:3], s[26:27]
	s_cbranch_execnz .LBB90_146
; %bb.111:                              ;   in Loop: Header=BB90_110 Depth=2
	s_or_b64 exec, exec, s[2:3]
	s_and_saveexec_b64 s[2:3], s[28:29]
	s_cbranch_execnz .LBB90_147
.LBB90_112:                             ;   in Loop: Header=BB90_110 Depth=2
	s_or_b64 exec, exec, s[2:3]
	v_mov_b32_e32 v4, 0
	s_and_saveexec_b64 s[2:3], s[30:31]
	s_cbranch_execnz .LBB90_148
.LBB90_113:                             ;   in Loop: Header=BB90_110 Depth=2
	s_or_b64 exec, exec, s[2:3]
	s_and_saveexec_b64 s[2:3], s[34:35]
	s_cbranch_execnz .LBB90_149
.LBB90_114:                             ;   in Loop: Header=BB90_110 Depth=2
	s_or_b64 exec, exec, s[2:3]
	v_mov_b32_e32 v5, 0
	s_and_saveexec_b64 s[2:3], s[36:37]
	s_cbranch_execnz .LBB90_150
.LBB90_115:                             ;   in Loop: Header=BB90_110 Depth=2
	s_or_b64 exec, exec, s[2:3]
	s_and_saveexec_b64 s[2:3], s[38:39]
	s_cbranch_execnz .LBB90_151
.LBB90_116:                             ;   in Loop: Header=BB90_110 Depth=2
	s_or_b64 exec, exec, s[2:3]
	v_mov_b32_e32 v6, 0
	s_and_saveexec_b64 s[2:3], s[40:41]
	s_cbranch_execnz .LBB90_152
.LBB90_117:                             ;   in Loop: Header=BB90_110 Depth=2
	s_or_b64 exec, exec, s[2:3]
	s_and_saveexec_b64 s[2:3], s[42:43]
	s_cbranch_execnz .LBB90_153
.LBB90_118:                             ;   in Loop: Header=BB90_110 Depth=2
	s_or_b64 exec, exec, s[2:3]
	v_mov_b32_e32 v7, 0
	s_and_saveexec_b64 s[2:3], s[44:45]
	s_cbranch_execnz .LBB90_154
.LBB90_119:                             ;   in Loop: Header=BB90_110 Depth=2
	s_or_b64 exec, exec, s[2:3]
	s_and_saveexec_b64 s[2:3], s[46:47]
	s_cbranch_execnz .LBB90_155
.LBB90_120:                             ;   in Loop: Header=BB90_110 Depth=2
	s_or_b64 exec, exec, s[2:3]
	v_mov_b32_e32 v8, 0
	s_and_saveexec_b64 s[2:3], s[48:49]
	s_cbranch_execnz .LBB90_156
.LBB90_121:                             ;   in Loop: Header=BB90_110 Depth=2
	s_or_b64 exec, exec, s[2:3]
	s_and_saveexec_b64 s[2:3], s[50:51]
	s_cbranch_execnz .LBB90_157
.LBB90_122:                             ;   in Loop: Header=BB90_110 Depth=2
	s_or_b64 exec, exec, s[2:3]
	v_mov_b32_e32 v9, 0
	s_and_saveexec_b64 s[2:3], s[52:53]
	s_cbranch_execnz .LBB90_158
.LBB90_123:                             ;   in Loop: Header=BB90_110 Depth=2
	s_or_b64 exec, exec, s[2:3]
	s_and_saveexec_b64 s[2:3], s[54:55]
	s_cbranch_execnz .LBB90_159
.LBB90_124:                             ;   in Loop: Header=BB90_110 Depth=2
	s_or_b64 exec, exec, s[2:3]
	v_mov_b32_e32 v10, 0
	s_and_saveexec_b64 s[2:3], s[56:57]
	s_cbranch_execnz .LBB90_160
.LBB90_125:                             ;   in Loop: Header=BB90_110 Depth=2
	s_or_b64 exec, exec, s[2:3]
	s_and_saveexec_b64 s[2:3], s[58:59]
	s_cbranch_execz .LBB90_127
.LBB90_126:                             ;   in Loop: Header=BB90_110 Depth=2
	global_load_ushort v0, v[0:1], off offset:1920
	s_waitcnt vmcnt(0)
	v_lshl_or_b32 v10, v0, 16, v10
.LBB90_127:                             ;   in Loop: Header=BB90_110 Depth=2
	s_or_b64 exec, exec, s[2:3]
	s_waitcnt vmcnt(0)
	ds_write_b16 v84, v3
	ds_write_b16 v85, v2 offset:128
	ds_write_b16 v86, v4 offset:256
	ds_write_b16_d16_hi v87, v4 offset:384
	ds_write_b16 v88, v5 offset:512
	ds_write_b16_d16_hi v89, v5 offset:640
	;; [unrolled: 2-line block ×7, first 2 shown]
	; wave barrier
	ds_read_b128 v[12:15], v100
	ds_read_b128 v[8:11], v100 offset:16
	s_mov_b32 s99, s7
	v_lshl_add_u64 v[0:1], s[98:99], 1, v[46:47]
	v_mov_b32_e32 v2, 0
	v_mov_b32_e32 v3, 0
	s_and_saveexec_b64 s[2:3], s[26:27]
	s_cbranch_execnz .LBB90_161
; %bb.128:                              ;   in Loop: Header=BB90_110 Depth=2
	s_or_b64 exec, exec, s[2:3]
	s_and_saveexec_b64 s[2:3], s[28:29]
	s_cbranch_execnz .LBB90_162
.LBB90_129:                             ;   in Loop: Header=BB90_110 Depth=2
	s_or_b64 exec, exec, s[2:3]
	v_mov_b32_e32 v4, 0
	s_and_saveexec_b64 s[2:3], s[30:31]
	s_cbranch_execnz .LBB90_163
.LBB90_130:                             ;   in Loop: Header=BB90_110 Depth=2
	s_or_b64 exec, exec, s[2:3]
	s_and_saveexec_b64 s[2:3], s[34:35]
	s_cbranch_execnz .LBB90_164
.LBB90_131:                             ;   in Loop: Header=BB90_110 Depth=2
	s_or_b64 exec, exec, s[2:3]
	v_mov_b32_e32 v5, 0
	s_and_saveexec_b64 s[2:3], s[36:37]
	s_cbranch_execnz .LBB90_165
.LBB90_132:                             ;   in Loop: Header=BB90_110 Depth=2
	s_or_b64 exec, exec, s[2:3]
	s_and_saveexec_b64 s[2:3], s[38:39]
	s_cbranch_execnz .LBB90_166
.LBB90_133:                             ;   in Loop: Header=BB90_110 Depth=2
	s_or_b64 exec, exec, s[2:3]
	v_mov_b32_e32 v6, 0
	s_and_saveexec_b64 s[2:3], s[40:41]
	s_cbranch_execnz .LBB90_167
.LBB90_134:                             ;   in Loop: Header=BB90_110 Depth=2
	s_or_b64 exec, exec, s[2:3]
	s_and_saveexec_b64 s[2:3], s[42:43]
	s_cbranch_execnz .LBB90_168
.LBB90_135:                             ;   in Loop: Header=BB90_110 Depth=2
	s_or_b64 exec, exec, s[2:3]
	v_mov_b32_e32 v7, 0
	s_and_saveexec_b64 s[2:3], s[44:45]
	s_cbranch_execnz .LBB90_169
.LBB90_136:                             ;   in Loop: Header=BB90_110 Depth=2
	s_or_b64 exec, exec, s[2:3]
	s_and_saveexec_b64 s[2:3], s[46:47]
	s_cbranch_execnz .LBB90_170
.LBB90_137:                             ;   in Loop: Header=BB90_110 Depth=2
	s_or_b64 exec, exec, s[2:3]
	v_mov_b32_e32 v48, 0
	s_and_saveexec_b64 s[2:3], s[48:49]
	s_cbranch_execnz .LBB90_171
.LBB90_138:                             ;   in Loop: Header=BB90_110 Depth=2
	s_or_b64 exec, exec, s[2:3]
	s_and_saveexec_b64 s[2:3], s[50:51]
	s_cbranch_execnz .LBB90_172
.LBB90_139:                             ;   in Loop: Header=BB90_110 Depth=2
	s_or_b64 exec, exec, s[2:3]
	v_mov_b32_e32 v49, 0
	s_and_saveexec_b64 s[2:3], s[52:53]
	s_cbranch_execnz .LBB90_173
.LBB90_140:                             ;   in Loop: Header=BB90_110 Depth=2
	s_or_b64 exec, exec, s[2:3]
	s_and_saveexec_b64 s[2:3], s[54:55]
	s_cbranch_execnz .LBB90_174
.LBB90_141:                             ;   in Loop: Header=BB90_110 Depth=2
	s_or_b64 exec, exec, s[2:3]
	v_mov_b32_e32 v51, 0
	s_and_saveexec_b64 s[2:3], s[56:57]
	s_cbranch_execnz .LBB90_175
.LBB90_142:                             ;   in Loop: Header=BB90_110 Depth=2
	s_or_b64 exec, exec, s[2:3]
	s_and_saveexec_b64 s[2:3], s[58:59]
	s_cbranch_execz .LBB90_144
.LBB90_143:                             ;   in Loop: Header=BB90_110 Depth=2
	global_load_ushort v0, v[0:1], off offset:1920
	s_waitcnt vmcnt(0)
	v_lshl_or_b32 v51, v0, 16, v51
.LBB90_144:                             ;   in Loop: Header=BB90_110 Depth=2
	s_or_b64 exec, exec, s[2:3]
	s_waitcnt vmcnt(0)
	ds_write_b16 v84, v3 offset:4224
	ds_write_b16 v101, v2 offset:128
	;; [unrolled: 1-line block ×3, first 2 shown]
	ds_write_b16_d16_hi v103, v4 offset:384
	ds_write_b16 v104, v5 offset:512
	ds_write_b16_d16_hi v105, v5 offset:640
	ds_write_b16 v106, v6 offset:768
	;; [unrolled: 2-line block ×6, first 2 shown]
	ds_write_b16_d16_hi v115, v51 offset:1920
	; wave barrier
	ds_read_b128 v[4:7], v100 offset:4224
	ds_read_b128 v[0:3], v116 offset:16
	s_andn2_b64 vcc, exec, s[94:95]
	s_cbranch_vccnz .LBB90_176
; %bb.145:                              ;   in Loop: Header=BB90_110 Depth=2
	v_mov_b32_e32 v48, s9
	ds_read_b64 v[48:49], v48
	s_cbranch_execz .LBB90_177
	s_branch .LBB90_180
.LBB90_146:                             ;   in Loop: Header=BB90_110 Depth=2
	global_load_ushort v3, v[0:1], off
	s_or_b64 exec, exec, s[2:3]
	s_and_saveexec_b64 s[2:3], s[28:29]
	s_cbranch_execz .LBB90_112
.LBB90_147:                             ;   in Loop: Header=BB90_110 Depth=2
	global_load_ushort v2, v[0:1], off offset:128
	s_or_b64 exec, exec, s[2:3]
	v_mov_b32_e32 v4, 0
	s_and_saveexec_b64 s[2:3], s[30:31]
	s_cbranch_execz .LBB90_113
.LBB90_148:                             ;   in Loop: Header=BB90_110 Depth=2
	global_load_ushort v4, v[0:1], off offset:256
	s_or_b64 exec, exec, s[2:3]
	s_and_saveexec_b64 s[2:3], s[34:35]
	s_cbranch_execz .LBB90_114
.LBB90_149:                             ;   in Loop: Header=BB90_110 Depth=2
	global_load_ushort v5, v[0:1], off offset:384
	s_waitcnt vmcnt(0)
	v_lshl_or_b32 v4, v5, 16, v4
	s_or_b64 exec, exec, s[2:3]
	v_mov_b32_e32 v5, 0
	s_and_saveexec_b64 s[2:3], s[36:37]
	s_cbranch_execz .LBB90_115
.LBB90_150:                             ;   in Loop: Header=BB90_110 Depth=2
	global_load_ushort v5, v[0:1], off offset:512
	s_or_b64 exec, exec, s[2:3]
	s_and_saveexec_b64 s[2:3], s[38:39]
	s_cbranch_execz .LBB90_116
.LBB90_151:                             ;   in Loop: Header=BB90_110 Depth=2
	global_load_ushort v6, v[0:1], off offset:640
	s_waitcnt vmcnt(0)
	v_lshl_or_b32 v5, v6, 16, v5
	s_or_b64 exec, exec, s[2:3]
	v_mov_b32_e32 v6, 0
	s_and_saveexec_b64 s[2:3], s[40:41]
	s_cbranch_execz .LBB90_117
.LBB90_152:                             ;   in Loop: Header=BB90_110 Depth=2
	global_load_ushort v6, v[0:1], off offset:768
	s_or_b64 exec, exec, s[2:3]
	s_and_saveexec_b64 s[2:3], s[42:43]
	s_cbranch_execz .LBB90_118
.LBB90_153:                             ;   in Loop: Header=BB90_110 Depth=2
	global_load_ushort v7, v[0:1], off offset:896
	s_waitcnt vmcnt(0)
	v_lshl_or_b32 v6, v7, 16, v6
	s_or_b64 exec, exec, s[2:3]
	v_mov_b32_e32 v7, 0
	s_and_saveexec_b64 s[2:3], s[44:45]
	s_cbranch_execz .LBB90_119
.LBB90_154:                             ;   in Loop: Header=BB90_110 Depth=2
	global_load_ushort v7, v[0:1], off offset:1024
	s_or_b64 exec, exec, s[2:3]
	s_and_saveexec_b64 s[2:3], s[46:47]
	s_cbranch_execz .LBB90_120
.LBB90_155:                             ;   in Loop: Header=BB90_110 Depth=2
	global_load_ushort v8, v[0:1], off offset:1152
	s_waitcnt vmcnt(0)
	v_lshl_or_b32 v7, v8, 16, v7
	s_or_b64 exec, exec, s[2:3]
	v_mov_b32_e32 v8, 0
	s_and_saveexec_b64 s[2:3], s[48:49]
	s_cbranch_execz .LBB90_121
.LBB90_156:                             ;   in Loop: Header=BB90_110 Depth=2
	global_load_ushort v8, v[0:1], off offset:1280
	s_or_b64 exec, exec, s[2:3]
	s_and_saveexec_b64 s[2:3], s[50:51]
	s_cbranch_execz .LBB90_122
.LBB90_157:                             ;   in Loop: Header=BB90_110 Depth=2
	global_load_ushort v9, v[0:1], off offset:1408
	s_waitcnt vmcnt(0)
	v_lshl_or_b32 v8, v9, 16, v8
	s_or_b64 exec, exec, s[2:3]
	v_mov_b32_e32 v9, 0
	s_and_saveexec_b64 s[2:3], s[52:53]
	s_cbranch_execz .LBB90_123
.LBB90_158:                             ;   in Loop: Header=BB90_110 Depth=2
	global_load_ushort v9, v[0:1], off offset:1536
	s_or_b64 exec, exec, s[2:3]
	s_and_saveexec_b64 s[2:3], s[54:55]
	s_cbranch_execz .LBB90_124
.LBB90_159:                             ;   in Loop: Header=BB90_110 Depth=2
	global_load_ushort v10, v[0:1], off offset:1664
	s_waitcnt vmcnt(0)
	v_lshl_or_b32 v9, v10, 16, v9
	s_or_b64 exec, exec, s[2:3]
	v_mov_b32_e32 v10, 0
	s_and_saveexec_b64 s[2:3], s[56:57]
	s_cbranch_execz .LBB90_125
.LBB90_160:                             ;   in Loop: Header=BB90_110 Depth=2
	global_load_ushort v10, v[0:1], off offset:1792
	s_or_b64 exec, exec, s[2:3]
	s_and_saveexec_b64 s[2:3], s[58:59]
	s_cbranch_execnz .LBB90_126
	s_branch .LBB90_127
.LBB90_161:                             ;   in Loop: Header=BB90_110 Depth=2
	global_load_ushort v3, v[0:1], off
	s_or_b64 exec, exec, s[2:3]
	s_and_saveexec_b64 s[2:3], s[28:29]
	s_cbranch_execz .LBB90_129
.LBB90_162:                             ;   in Loop: Header=BB90_110 Depth=2
	global_load_ushort v2, v[0:1], off offset:128
	s_or_b64 exec, exec, s[2:3]
	v_mov_b32_e32 v4, 0
	s_and_saveexec_b64 s[2:3], s[30:31]
	s_cbranch_execz .LBB90_130
.LBB90_163:                             ;   in Loop: Header=BB90_110 Depth=2
	global_load_ushort v4, v[0:1], off offset:256
	s_or_b64 exec, exec, s[2:3]
	s_and_saveexec_b64 s[2:3], s[34:35]
	s_cbranch_execz .LBB90_131
.LBB90_164:                             ;   in Loop: Header=BB90_110 Depth=2
	global_load_ushort v5, v[0:1], off offset:384
	s_waitcnt vmcnt(0)
	v_lshl_or_b32 v4, v5, 16, v4
	s_or_b64 exec, exec, s[2:3]
	v_mov_b32_e32 v5, 0
	s_and_saveexec_b64 s[2:3], s[36:37]
	s_cbranch_execz .LBB90_132
.LBB90_165:                             ;   in Loop: Header=BB90_110 Depth=2
	global_load_ushort v5, v[0:1], off offset:512
	s_or_b64 exec, exec, s[2:3]
	s_and_saveexec_b64 s[2:3], s[38:39]
	s_cbranch_execz .LBB90_133
.LBB90_166:                             ;   in Loop: Header=BB90_110 Depth=2
	global_load_ushort v6, v[0:1], off offset:640
	s_waitcnt vmcnt(0)
	v_lshl_or_b32 v5, v6, 16, v5
	s_or_b64 exec, exec, s[2:3]
	v_mov_b32_e32 v6, 0
	s_and_saveexec_b64 s[2:3], s[40:41]
	s_cbranch_execz .LBB90_134
.LBB90_167:                             ;   in Loop: Header=BB90_110 Depth=2
	global_load_ushort v6, v[0:1], off offset:768
	s_or_b64 exec, exec, s[2:3]
	s_and_saveexec_b64 s[2:3], s[42:43]
	s_cbranch_execz .LBB90_135
.LBB90_168:                             ;   in Loop: Header=BB90_110 Depth=2
	global_load_ushort v7, v[0:1], off offset:896
	s_waitcnt vmcnt(0)
	v_lshl_or_b32 v6, v7, 16, v6
	s_or_b64 exec, exec, s[2:3]
	v_mov_b32_e32 v7, 0
	s_and_saveexec_b64 s[2:3], s[44:45]
	s_cbranch_execz .LBB90_136
.LBB90_169:                             ;   in Loop: Header=BB90_110 Depth=2
	global_load_ushort v7, v[0:1], off offset:1024
	s_or_b64 exec, exec, s[2:3]
	s_and_saveexec_b64 s[2:3], s[46:47]
	s_cbranch_execz .LBB90_137
.LBB90_170:                             ;   in Loop: Header=BB90_110 Depth=2
	global_load_ushort v48, v[0:1], off offset:1152
	s_waitcnt vmcnt(0)
	v_lshl_or_b32 v7, v48, 16, v7
	s_or_b64 exec, exec, s[2:3]
	v_mov_b32_e32 v48, 0
	s_and_saveexec_b64 s[2:3], s[48:49]
	s_cbranch_execz .LBB90_138
.LBB90_171:                             ;   in Loop: Header=BB90_110 Depth=2
	global_load_ushort v48, v[0:1], off offset:1280
	s_or_b64 exec, exec, s[2:3]
	s_and_saveexec_b64 s[2:3], s[50:51]
	s_cbranch_execz .LBB90_139
.LBB90_172:                             ;   in Loop: Header=BB90_110 Depth=2
	global_load_ushort v49, v[0:1], off offset:1408
	s_waitcnt vmcnt(0)
	v_lshl_or_b32 v48, v49, 16, v48
	s_or_b64 exec, exec, s[2:3]
	v_mov_b32_e32 v49, 0
	s_and_saveexec_b64 s[2:3], s[52:53]
	s_cbranch_execz .LBB90_140
.LBB90_173:                             ;   in Loop: Header=BB90_110 Depth=2
	global_load_ushort v49, v[0:1], off offset:1536
	s_or_b64 exec, exec, s[2:3]
	s_and_saveexec_b64 s[2:3], s[54:55]
	s_cbranch_execz .LBB90_141
.LBB90_174:                             ;   in Loop: Header=BB90_110 Depth=2
	global_load_ushort v51, v[0:1], off offset:1664
	s_waitcnt vmcnt(0)
	v_lshl_or_b32 v49, v51, 16, v49
	s_or_b64 exec, exec, s[2:3]
	v_mov_b32_e32 v51, 0
	s_and_saveexec_b64 s[2:3], s[56:57]
	s_cbranch_execz .LBB90_142
.LBB90_175:                             ;   in Loop: Header=BB90_110 Depth=2
	global_load_ushort v51, v[0:1], off offset:1792
	s_or_b64 exec, exec, s[2:3]
	s_and_saveexec_b64 s[2:3], s[58:59]
	s_cbranch_execnz .LBB90_143
	s_branch .LBB90_144
.LBB90_176:                             ;   in Loop: Header=BB90_110 Depth=2
                                        ; implicit-def: $vgpr49
.LBB90_177:                             ;   in Loop: Header=BB90_110 Depth=2
	v_readlane_b32 s2, v167, 0
	v_readlane_b32 s3, v167, 1
	s_andn2_b64 vcc, exec, s[2:3]
	s_waitcnt lgkmcnt(0)
	v_mov_b32_e32 v49, 0
	s_cbranch_vccnz .LBB90_179
; %bb.178:                              ;   in Loop: Header=BB90_110 Depth=2
	s_mov_b32 s5, s7
	s_lshl_b64 s[2:3], s[4:5], 1
	v_readlane_b32 s5, v167, 28
	s_add_u32 s2, s5, s2
	v_readlane_b32 s5, v167, 29
	s_addc_u32 s3, s5, s3
	global_load_ushort v48, v17, s[2:3]
	s_waitcnt vmcnt(0)
	v_cvt_f32_f16_e32 v49, v48
.LBB90_179:                             ;   in Loop: Header=BB90_110 Depth=2
	v_mov_b32_e32 v48, 1.0
.LBB90_180:                             ;   in Loop: Header=BB90_110 Depth=2
	s_waitcnt lgkmcnt(14)
	v_cvt_f32_f16_e32 v55, v8
	v_cvt_f32_f16_sdwa v56, v8 dst_sel:DWORD dst_unused:UNUSED_PAD src0_sel:WORD_1
	v_mul_f32_e32 v8, 0x3fb8aa3b, v50
	v_cvt_f32_f16_e32 v57, v9
	v_cvt_f32_f16_sdwa v59, v9 dst_sel:DWORD dst_unused:UNUSED_PAD src0_sel:WORD_1
	v_mul_f32_e32 v9, v8, v139
	v_cmp_gt_f32_e32 vcc, s33, v9
	v_cvt_f32_f16_e32 v60, v10
	v_cvt_f32_f16_sdwa v61, v10 dst_sel:DWORD dst_unused:UNUSED_PAD src0_sel:WORD_1
	v_cndmask_b32_e32 v9, 0, v137, vcc
	v_fmac_f32_e32 v9, v8, v139
	v_exp_f32_e32 v9, v9
	v_cndmask_b32_e32 v10, 1.0, v138, vcc
	v_cvt_f32_f16_e32 v51, v12
	v_cvt_f32_f16_e32 v64, v11
	v_mul_f32_e32 v9, v9, v10
	v_cndmask_b32_e64 v120, 1.0, v9, s[60:61]
	v_mul_f32_e32 v9, v8, v140
	v_cmp_gt_f32_e32 vcc, s33, v9
	v_mul_f32_e32 v10, v165, v51
	v_cndmask_b32_e64 v166, 0, v10, s[60:61]
	v_cndmask_b32_e32 v9, 0, v137, vcc
	v_fmac_f32_e32 v9, v8, v140
	v_exp_f32_e32 v9, v9
	v_cndmask_b32_e32 v10, 1.0, v138, vcc
	v_cvt_f32_f16_sdwa v58, v11 dst_sel:DWORD dst_unused:UNUSED_PAD src0_sel:WORD_1
	v_cvt_f32_f16_sdwa v12, v12 dst_sel:DWORD dst_unused:UNUSED_PAD src0_sel:WORD_1
	v_mul_f32_e32 v10, v9, v10
	v_cndmask_b32_e64 v121, 1.0, v10, s[62:63]
	v_mul_f32_e32 v10, v8, v141
	v_cmp_gt_f32_e32 vcc, s33, v10
	v_mul_f32_e32 v9, v164, v12
	v_cvt_f32_f16_e32 v52, v13
	v_cndmask_b32_e32 v10, 0, v137, vcc
	v_fmac_f32_e32 v10, v8, v141
	v_exp_f32_e32 v10, v10
	v_cndmask_b32_e32 v11, 1.0, v138, vcc
	v_cvt_f32_f16_sdwa v13, v13 dst_sel:DWORD dst_unused:UNUSED_PAD src0_sel:WORD_1
	v_cvt_f32_f16_e32 v53, v14
	v_mul_f32_e32 v11, v10, v11
	v_cndmask_b32_e64 v122, 1.0, v11, s[64:65]
	v_mul_f32_e32 v11, v8, v142
	v_cmp_gt_f32_e32 vcc, s33, v11
	v_cvt_f32_f16_sdwa v14, v14 dst_sel:DWORD dst_unused:UNUSED_PAD src0_sel:WORD_1
	v_mul_f32_e32 v10, v163, v52
	v_cndmask_b32_e32 v11, 0, v137, vcc
	v_fmac_f32_e32 v11, v8, v142
	v_exp_f32_e32 v11, v11
	v_cndmask_b32_e32 v12, 1.0, v138, vcc
	v_cvt_f32_f16_e32 v54, v15
	v_cndmask_b32_e64 v9, 0, v9, s[62:63]
	v_mul_f32_e32 v12, v11, v12
	v_cndmask_b32_e64 v123, 1.0, v12, s[66:67]
	v_mul_f32_e32 v12, v8, v143
	v_cmp_gt_f32_e32 vcc, s33, v12
	v_mul_f32_e32 v11, v162, v13
	v_pk_mul_f32 v[62:63], v[8:9], v[26:27] op_sel_hi:[0,1]
	v_cndmask_b32_e32 v12, 0, v137, vcc
	v_fmac_f32_e32 v12, v8, v143
	v_exp_f32_e32 v12, v12
	v_cndmask_b32_e32 v13, 1.0, v138, vcc
	v_mul_f32_e32 v58, v25, v58
	v_cvt_f32_f16_sdwa v15, v15 dst_sel:DWORD dst_unused:UNUSED_PAD src0_sel:WORD_1
	v_mul_f32_e32 v13, v12, v13
	v_cndmask_b32_e64 v124, 1.0, v13, s[68:69]
	v_mul_f32_e32 v13, v8, v144
	v_cmp_gt_f32_e32 vcc, s33, v13
	v_mul_f32_e32 v12, v161, v53
	v_cndmask_b32_e64 v10, 0, v10, s[64:65]
	v_cndmask_b32_e32 v13, 0, v137, vcc
	v_fmac_f32_e32 v13, v8, v144
	v_exp_f32_e32 v13, v13
	v_cndmask_b32_e32 v50, 1.0, v138, vcc
	v_cndmask_b32_e64 v11, 0, v11, s[66:67]
	v_cndmask_b32_e64 v12, 0, v12, s[68:69]
	v_mul_f32_e32 v50, v13, v50
	v_mul_f32_e32 v13, v160, v14
	;; [unrolled: 1-line block ×3, first 2 shown]
	v_cmp_gt_f32_e32 vcc, s33, v14
	v_cndmask_b32_e64 v125, 1.0, v50, s[70:71]
	v_cndmask_b32_e64 v13, 0, v13, s[70:71]
	v_cndmask_b32_e32 v14, 0, v137, vcc
	v_fmac_f32_e32 v14, v8, v145
	v_exp_f32_e32 v14, v14
	v_cndmask_b32_e32 v50, 1.0, v138, vcc
	v_mul_f32_e32 v15, v158, v15
	v_cndmask_b32_e64 v15, 0, v15, s[74:75]
	v_mul_f32_e32 v50, v14, v50
	v_cndmask_b32_e64 v126, 1.0, v50, s[72:73]
	v_mul_f32_e32 v50, v8, v146
	v_cmp_gt_f32_e32 vcc, s33, v50
	v_mul_f32_e32 v14, v159, v54
	v_cndmask_b32_e64 v14, 0, v14, s[72:73]
	v_cndmask_b32_e32 v50, 0, v137, vcc
	v_fmac_f32_e32 v50, v8, v146
	v_exp_f32_e32 v50, v50
	v_cndmask_b32_e32 v51, 1.0, v138, vcc
	v_readlane_b32 s10, v167, 40
	v_readlane_b32 s11, v167, 41
	v_mul_f32_e32 v50, v50, v51
	v_cndmask_b32_e64 v127, 1.0, v50, s[74:75]
	v_mul_f32_e32 v50, v8, v147
	v_cmp_gt_f32_e32 vcc, s33, v50
	s_nop 1
	v_cndmask_b32_e32 v50, 0, v137, vcc
	v_fmac_f32_e32 v50, v8, v147
	v_exp_f32_e32 v50, v50
	v_cndmask_b32_e32 v51, 1.0, v138, vcc
	v_mul_f32_e32 v51, v50, v51
	v_cndmask_b32_e64 v128, 1.0, v51, s[76:77]
	v_mul_f32_e32 v51, v8, v148
	v_cmp_gt_f32_e32 vcc, s33, v51
	v_mul_f32_e32 v50, v157, v55
	v_cndmask_b32_e64 v50, 0, v50, s[76:77]
	v_cndmask_b32_e32 v51, 0, v137, vcc
	v_fmac_f32_e32 v51, v8, v148
	v_exp_f32_e32 v51, v51
	v_cndmask_b32_e32 v52, 1.0, v138, vcc
	v_mul_f32_e32 v52, v51, v52
	v_cndmask_b32_e64 v129, 1.0, v52, s[78:79]
	v_mul_f32_e32 v52, v8, v149
	v_cmp_gt_f32_e32 vcc, s33, v52
	v_mul_f32_e32 v51, v156, v56
	v_cndmask_b32_e64 v51, 0, v51, s[78:79]
	;; [unrolled: 10-line block ×4, first 2 shown]
	v_cndmask_b32_e32 v52, 0, v137, vcc
	v_fmac_f32_e32 v52, v8, v151
	v_exp_f32_e32 v52, v52
	v_cndmask_b32_e32 v53, 1.0, v138, vcc
	v_mul_f32_e32 v53, v52, v53
	v_mul_f32_e32 v52, v153, v60
	v_cndmask_b32_e64 v60, 1.0, v53, s[84:85]
	v_mul_f32_e32 v53, v8, v152
	v_cmp_gt_f32_e32 vcc, s33, v53
	v_cndmask_b32_e64 v52, 0, v52, s[84:85]
	s_nop 0
	v_cndmask_b32_e32 v53, 0, v137, vcc
	v_fmac_f32_e32 v53, v8, v152
	v_cndmask_b32_e32 v56, 1.0, v138, vcc
	v_mul_f32_e32 v8, v16, v64
	v_cmp_gt_f32_e32 vcc, s33, v62
	v_cndmask_b32_e64 v57, 0, v8, s[90:91]
	v_exp_f32_e32 v53, v53
	v_cndmask_b32_e32 v8, 0, v137, vcc
	v_add_f32_e32 v8, v62, v8
	v_exp_f32_e32 v8, v8
	v_cndmask_b32_e32 v59, 1.0, v138, vcc
	v_cmp_gt_f32_e32 vcc, s33, v63
	v_mul_f32_e32 v56, v53, v56
	v_mul_f32_e32 v8, v8, v59
	v_cndmask_b32_e32 v59, 0, v137, vcc
	v_add_f32_e32 v59, v63, v59
	v_exp_f32_e32 v59, v59
	v_mul_f32_e32 v53, v23, v61
	v_cndmask_b32_e32 v61, 1.0, v138, vcc
	v_cndmask_b32_e64 v62, 1.0, v8, s[90:91]
	v_mul_f32_e32 v61, v59, v61
	v_cndmask_b32_e64 v59, 0, v58, s[88:89]
	v_mul_f32_e32 v8, v121, v120
	v_fma_f32 v58, v121, v166, v9
	v_mul_f32_e32 v8, v8, v122
	v_fma_f32 v58, v58, v122, v10
	;; [unrolled: 2-line block ×11, first 2 shown]
	v_cndmask_b32_e64 v53, 0, v53, s[86:87]
	v_cndmask_b32_e64 v56, 1.0, v56, s[86:87]
	v_fma_f32 v8, v8, v60, v52
	v_cndmask_b32_e64 v63, 1.0, v61, s[88:89]
	v_fma_f32 v65, v8, v56, v53
	v_mov_b32_e32 v61, v62
	v_pk_mul_f32 v[132:133], v[64:65], v[60:61]
	v_pk_fma_f32 v[64:65], v[64:65], v[60:61], v[56:57]
	v_pk_mul_f32 v[132:133], v[132:133], v[56:57]
	v_mov_b32_e32 v66, v63
	v_mov_b32_e32 v133, v65
	;; [unrolled: 1-line block ×3, first 2 shown]
	v_pk_mul_f32 v[64:65], v[132:133], v[62:63]
	v_mov_b32_e32 v58, v63
	v_pk_mul_f32 v[66:67], v[64:65], v[66:67]
	v_pk_fma_f32 v[64:65], v[132:133], v[62:63], v[58:59]
	s_nop 0
	v_mov_b32_dpp v8, v66 row_shr:1 row_mask:0xf bank_mask:0xf
	v_mov_b32_dpp v58, v65 row_shr:1 row_mask:0xf bank_mask:0xf
	v_mul_f32_e32 v61, v66, v8
	v_fma_f32 v58, v66, v58, v65
	v_cndmask_b32_e64 v64, v61, v66, s[0:1]
	v_cndmask_b32_e64 v67, v58, v65, s[0:1]
	;; [unrolled: 1-line block ×4, first 2 shown]
	v_mov_b32_dpp v61, v67 row_shr:2 row_mask:0xf bank_mask:0xf
	v_mov_b32_dpp v58, v66 row_shr:2 row_mask:0xf bank_mask:0xf
	s_and_saveexec_b64 s[2:3], s[10:11]
; %bb.181:                              ;   in Loop: Header=BB90_110 Depth=2
	v_fmac_f32_e32 v67, v66, v61
	v_mul_f32_e32 v66, v66, v58
	v_mov_b32_e32 v64, v66
	v_mov_b32_e32 v8, v67
; %bb.182:                              ;   in Loop: Header=BB90_110 Depth=2
	s_or_b64 exec, exec, s[2:3]
	v_readlane_b32 s10, v167, 42
	v_mov_b32_dpp v58, v66 row_shr:4 row_mask:0xf bank_mask:0xf
	v_mov_b32_dpp v61, v67 row_shr:4 row_mask:0xf bank_mask:0xf
	v_readlane_b32 s11, v167, 43
	s_and_saveexec_b64 s[2:3], s[10:11]
; %bb.183:                              ;   in Loop: Header=BB90_110 Depth=2
	v_fmac_f32_e32 v67, v66, v61
	v_mul_f32_e32 v66, v66, v58
	v_mov_b32_e32 v64, v66
	v_mov_b32_e32 v8, v67
; %bb.184:                              ;   in Loop: Header=BB90_110 Depth=2
	s_or_b64 exec, exec, s[2:3]
	v_readlane_b32 s10, v167, 44
	v_mov_b32_dpp v58, v66 row_shr:8 row_mask:0xf bank_mask:0xf
	v_mov_b32_dpp v61, v67 row_shr:8 row_mask:0xf bank_mask:0xf
	v_readlane_b32 s11, v167, 45
	s_and_saveexec_b64 s[2:3], s[10:11]
; %bb.185:                              ;   in Loop: Header=BB90_110 Depth=2
	v_fmac_f32_e32 v67, v66, v61
	v_mul_f32_e32 v66, v66, v58
	v_mov_b32_e32 v64, v66
	v_mov_b32_e32 v8, v67
; %bb.186:                              ;   in Loop: Header=BB90_110 Depth=2
	s_or_b64 exec, exec, s[2:3]
	v_readlane_b32 s10, v167, 46
	v_mov_b32_dpp v58, v66 row_bcast:15 row_mask:0xf bank_mask:0xf
	v_mov_b32_dpp v61, v67 row_bcast:15 row_mask:0xf bank_mask:0xf
	v_readlane_b32 s11, v167, 47
	s_and_saveexec_b64 s[2:3], s[10:11]
; %bb.187:                              ;   in Loop: Header=BB90_110 Depth=2
	v_fmac_f32_e32 v67, v66, v61
	v_mul_f32_e32 v66, v66, v58
	v_mov_b32_e32 v64, v66
	v_mov_b32_e32 v8, v67
; %bb.188:                              ;   in Loop: Header=BB90_110 Depth=2
	s_or_b64 exec, exec, s[2:3]
	v_readlane_b32 s10, v167, 48
	v_mov_b32_dpp v61, v66 row_bcast:31 row_mask:0xf bank_mask:0xf
	v_mov_b32_dpp v58, v67 row_bcast:31 row_mask:0xf bank_mask:0xf
	v_readlane_b32 s11, v167, 49
	s_and_saveexec_b64 s[2:3], s[10:11]
; %bb.189:                              ;   in Loop: Header=BB90_110 Depth=2
	v_fmac_f32_e32 v67, v66, v58
	v_mul_f32_e32 v64, v66, v61
	v_mov_b32_e32 v65, v67
	v_mov_b32_e32 v8, v67
	v_mov_b64_e32 v[66:67], v[64:65]
; %bb.190:                              ;   in Loop: Header=BB90_110 Depth=2
	s_or_b64 exec, exec, s[2:3]
	v_readlane_b32 s10, v167, 50
	v_readlane_b32 s11, v167, 51
	s_and_saveexec_b64 s[2:3], s[10:11]
	s_cbranch_execz .LBB90_192
; %bb.191:                              ;   in Loop: Header=BB90_110 Depth=2
	ds_write_b64 v117, v[66:67] offset:8448
.LBB90_192:                             ;   in Loop: Header=BB90_110 Depth=2
	s_or_b64 exec, exec, s[2:3]
	v_readlane_b32 s10, v167, 52
	v_readlane_b32 s11, v167, 53
	s_waitcnt lgkmcnt(0)
	s_barrier
	s_and_saveexec_b64 s[2:3], s[10:11]
	s_cbranch_execz .LBB90_194
; %bb.193:                              ;   in Loop: Header=BB90_110 Depth=2
	ds_read_b64 v[66:67], v118 offset:8448
	v_readlane_b32 s10, v167, 54
	v_readlane_b32 s11, v167, 55
	s_waitcnt lgkmcnt(0)
	v_mov_b32_dpp v58, v66 row_shr:1 row_mask:0xf bank_mask:0xf
	v_mov_b32_dpp v61, v67 row_shr:1 row_mask:0xf bank_mask:0xf
	v_fma_f32 v61, v66, v61, v67
	v_mul_f32_e32 v58, v66, v58
	v_cndmask_b32_e64 v66, v58, v66, s[10:11]
	v_cndmask_b32_e64 v67, v61, v67, s[10:11]
	ds_write_b64 v118, v[66:67] offset:8448
.LBB90_194:                             ;   in Loop: Header=BB90_110 Depth=2
	s_or_b64 exec, exec, s[2:3]
	s_waitcnt lgkmcnt(0)
	s_barrier
	s_waitcnt lgkmcnt(0)
                                        ; implicit-def: $vgpr66
	s_and_saveexec_b64 s[2:3], s[20:21]
	s_cbranch_execz .LBB90_196
; %bb.195:                              ;   in Loop: Header=BB90_110 Depth=2
	ds_read_b64 v[66:67], v117 offset:8440
	s_waitcnt lgkmcnt(0)
	v_mul_f32_e32 v58, v64, v66
	v_fmac_f32_e32 v8, v64, v67
	v_mov_b32_e32 v64, v58
.LBB90_196:                             ;   in Loop: Header=BB90_110 Depth=2
	s_or_b64 exec, exec, s[2:3]
	ds_bpermute_b32 v58, v119, v64
	ds_bpermute_b32 v8, v119, v8
	v_readlane_b32 s10, v167, 56
	v_mov_b32_e32 v65, v49
	v_readlane_b32 s11, v167, 57
	s_and_saveexec_b64 s[2:3], s[10:11]
	s_cbranch_execz .LBB90_200
; %bb.197:                              ;   in Loop: Header=BB90_110 Depth=2
	ds_read_b64 v[64:65], v17 offset:8456
	s_and_saveexec_b64 vcc, s[22:23]
	s_cbranch_execz .LBB90_199
; %bb.198:                              ;   in Loop: Header=BB90_110 Depth=2
	ds_write_b64 v17, v[48:49] offset:8456
.LBB90_199:                             ;   in Loop: Header=BB90_110 Depth=2
	s_or_b64 exec, exec, vcc
	s_waitcnt lgkmcnt(0)
	v_fmac_f32_e32 v65, v49, v64
	v_mul_f32_e32 v48, v48, v64
	v_mov_b32_e32 v49, v65
.LBB90_200:                             ;   in Loop: Header=BB90_110 Depth=2
	s_or_b64 exec, exec, s[2:3]
	s_waitcnt lgkmcnt(0)
	s_barrier
	ds_read_b32 v61, v17 offset:8460
	s_and_saveexec_b64 s[2:3], s[22:23]
	s_cbranch_execz .LBB90_109
; %bb.201:                              ;   in Loop: Header=BB90_110 Depth=2
	v_mov_b32_e32 v64, s9
	s_andn2_b64 vcc, exec, s[96:97]
	ds_write_b64 v64, v[48:49]
	s_cbranch_vccnz .LBB90_109
; %bb.202:                              ;   in Loop: Header=BB90_110 Depth=2
	s_mov_b32 s5, s7
	v_cvt_f16_f32_e32 v48, v65
	s_lshl_b64 s[10:11], s[4:5], 1
	v_readlane_b32 s5, v167, 28
	s_add_u32 s10, s5, s10
	v_readlane_b32 s5, v167, 29
	s_addc_u32 s11, s5, s11
	global_store_short v17, v48, s[10:11]
	s_branch .LBB90_109
.LBB90_203:                             ;   in Loop: Header=BB90_13 Depth=1
	s_mov_b32 s6, 0x41a00000
	s_mov_b32 s10, 0x3fb8aa3b
	;; [unrolled: 1-line block ×8, first 2 shown]
.LBB90_204:                             ;   in Loop: Header=BB90_13 Depth=1
	v_cvt_f16_f32_e32 v0, v43
	v_cvt_f16_f32_e32 v4, v42
	;; [unrolled: 1-line block ×16, first 2 shown]
	v_pack_b32_f16 v3, v7, v3
	v_pack_b32_f16 v2, v6, v2
	;; [unrolled: 1-line block ×4, first 2 shown]
	s_barrier
	ds_write_b128 v100, v[0:3]
	v_pack_b32_f16 v3, v15, v14
	v_pack_b32_f16 v2, v13, v12
	;; [unrolled: 1-line block ×4, first 2 shown]
	ds_write_b128 v100, v[0:3] offset:16
	; wave barrier
	ds_read_u16 v16, v85 offset:128
	ds_read_u16 v15, v86 offset:256
	;; [unrolled: 1-line block ×15, first 2 shown]
	v_readlane_b32 s2, v167, 60
	v_readlane_b32 s3, v167, 61
	s_mov_b32 s3, s7
	s_nop 0
	v_lshl_add_u64 v[0:1], s[2:3], 1, v[20:21]
	s_and_saveexec_b64 s[2:3], s[26:27]
	s_cbranch_execz .LBB90_206
; %bb.205:                              ;   in Loop: Header=BB90_13 Depth=1
	ds_read_u16 v23, v84
	s_waitcnt lgkmcnt(0)
	global_store_short v[0:1], v23, off
.LBB90_206:                             ;   in Loop: Header=BB90_13 Depth=1
	s_or_b64 exec, exec, s[2:3]
	s_and_saveexec_b64 s[2:3], s[28:29]
	v_readlane_b32 s8, v167, 62
	v_readlane_b32 s9, v167, 63
	s_cbranch_execnz .LBB90_223
; %bb.207:                              ;   in Loop: Header=BB90_13 Depth=1
	s_or_b64 exec, exec, s[2:3]
	s_and_saveexec_b64 s[2:3], s[30:31]
	s_cbranch_execnz .LBB90_224
.LBB90_208:                             ;   in Loop: Header=BB90_13 Depth=1
	s_or_b64 exec, exec, s[2:3]
	s_and_saveexec_b64 s[2:3], s[34:35]
	s_cbranch_execnz .LBB90_225
.LBB90_209:                             ;   in Loop: Header=BB90_13 Depth=1
	s_or_b64 exec, exec, s[2:3]
	s_and_saveexec_b64 s[2:3], s[36:37]
	s_cbranch_execnz .LBB90_226
.LBB90_210:                             ;   in Loop: Header=BB90_13 Depth=1
	s_or_b64 exec, exec, s[2:3]
	s_and_saveexec_b64 s[2:3], s[38:39]
	s_cbranch_execnz .LBB90_227
.LBB90_211:                             ;   in Loop: Header=BB90_13 Depth=1
	s_or_b64 exec, exec, s[2:3]
	s_and_saveexec_b64 s[2:3], s[40:41]
	s_cbranch_execnz .LBB90_228
.LBB90_212:                             ;   in Loop: Header=BB90_13 Depth=1
	s_or_b64 exec, exec, s[2:3]
	s_and_saveexec_b64 s[2:3], s[42:43]
	s_cbranch_execnz .LBB90_229
.LBB90_213:                             ;   in Loop: Header=BB90_13 Depth=1
	s_or_b64 exec, exec, s[2:3]
	s_and_saveexec_b64 s[2:3], s[44:45]
	s_cbranch_execnz .LBB90_230
.LBB90_214:                             ;   in Loop: Header=BB90_13 Depth=1
	s_or_b64 exec, exec, s[2:3]
	s_and_saveexec_b64 s[2:3], s[46:47]
	s_cbranch_execnz .LBB90_231
.LBB90_215:                             ;   in Loop: Header=BB90_13 Depth=1
	s_or_b64 exec, exec, s[2:3]
	s_and_saveexec_b64 s[2:3], s[48:49]
	s_cbranch_execnz .LBB90_232
.LBB90_216:                             ;   in Loop: Header=BB90_13 Depth=1
	s_or_b64 exec, exec, s[2:3]
	s_and_saveexec_b64 s[2:3], s[50:51]
	s_cbranch_execnz .LBB90_233
.LBB90_217:                             ;   in Loop: Header=BB90_13 Depth=1
	s_or_b64 exec, exec, s[2:3]
	s_and_saveexec_b64 s[2:3], s[52:53]
	s_cbranch_execnz .LBB90_234
.LBB90_218:                             ;   in Loop: Header=BB90_13 Depth=1
	s_or_b64 exec, exec, s[2:3]
	s_and_saveexec_b64 s[2:3], s[54:55]
	s_cbranch_execnz .LBB90_235
.LBB90_219:                             ;   in Loop: Header=BB90_13 Depth=1
	s_or_b64 exec, exec, s[2:3]
	s_and_saveexec_b64 s[2:3], s[56:57]
	s_cbranch_execnz .LBB90_236
.LBB90_220:                             ;   in Loop: Header=BB90_13 Depth=1
	s_or_b64 exec, exec, s[2:3]
	s_and_saveexec_b64 s[2:3], s[58:59]
	s_cbranch_execz .LBB90_12
	s_branch .LBB90_237
.LBB90_221:                             ;   in Loop: Header=BB90_13 Depth=1
	global_load_ushort v32, v[8:9], off offset:1664
	s_or_b64 exec, exec, s[2:3]
	s_and_saveexec_b64 s[2:3], s[56:57]
	s_cbranch_execz .LBB90_73
.LBB90_222:                             ;   in Loop: Header=BB90_13 Depth=1
	global_load_ushort v31, v[8:9], off offset:1792
	s_or_b64 exec, exec, s[2:3]
	v_mov_b32_e32 v33, 0
	s_and_saveexec_b64 s[2:3], s[58:59]
	s_cbranch_execnz .LBB90_74
	s_branch .LBB90_75
.LBB90_223:                             ;   in Loop: Header=BB90_13 Depth=1
	s_waitcnt lgkmcnt(14)
	global_store_short v[0:1], v16, off offset:128
	s_or_b64 exec, exec, s[2:3]
	s_and_saveexec_b64 s[2:3], s[30:31]
	s_cbranch_execz .LBB90_208
.LBB90_224:                             ;   in Loop: Header=BB90_13 Depth=1
	s_waitcnt lgkmcnt(13)
	global_store_short v[0:1], v15, off offset:256
	s_or_b64 exec, exec, s[2:3]
	s_and_saveexec_b64 s[2:3], s[34:35]
	s_cbranch_execz .LBB90_209
.LBB90_225:                             ;   in Loop: Header=BB90_13 Depth=1
	s_waitcnt lgkmcnt(12)
	global_store_short v[0:1], v14, off offset:384
	s_or_b64 exec, exec, s[2:3]
	s_and_saveexec_b64 s[2:3], s[36:37]
	s_cbranch_execz .LBB90_210
.LBB90_226:                             ;   in Loop: Header=BB90_13 Depth=1
	s_waitcnt lgkmcnt(11)
	global_store_short v[0:1], v13, off offset:512
	s_or_b64 exec, exec, s[2:3]
	s_and_saveexec_b64 s[2:3], s[38:39]
	s_cbranch_execz .LBB90_211
.LBB90_227:                             ;   in Loop: Header=BB90_13 Depth=1
	s_waitcnt lgkmcnt(10)
	global_store_short v[0:1], v12, off offset:640
	s_or_b64 exec, exec, s[2:3]
	s_and_saveexec_b64 s[2:3], s[40:41]
	s_cbranch_execz .LBB90_212
.LBB90_228:                             ;   in Loop: Header=BB90_13 Depth=1
	s_waitcnt lgkmcnt(9)
	global_store_short v[0:1], v11, off offset:768
	s_or_b64 exec, exec, s[2:3]
	s_and_saveexec_b64 s[2:3], s[42:43]
	s_cbranch_execz .LBB90_213
.LBB90_229:                             ;   in Loop: Header=BB90_13 Depth=1
	s_waitcnt lgkmcnt(8)
	global_store_short v[0:1], v10, off offset:896
	s_or_b64 exec, exec, s[2:3]
	s_and_saveexec_b64 s[2:3], s[44:45]
	s_cbranch_execz .LBB90_214
.LBB90_230:                             ;   in Loop: Header=BB90_13 Depth=1
	s_waitcnt lgkmcnt(7)
	global_store_short v[0:1], v9, off offset:1024
	s_or_b64 exec, exec, s[2:3]
	s_and_saveexec_b64 s[2:3], s[46:47]
	s_cbranch_execz .LBB90_215
.LBB90_231:                             ;   in Loop: Header=BB90_13 Depth=1
	s_waitcnt lgkmcnt(6)
	global_store_short v[0:1], v8, off offset:1152
	s_or_b64 exec, exec, s[2:3]
	s_and_saveexec_b64 s[2:3], s[48:49]
	s_cbranch_execz .LBB90_216
.LBB90_232:                             ;   in Loop: Header=BB90_13 Depth=1
	s_waitcnt lgkmcnt(5)
	global_store_short v[0:1], v7, off offset:1280
	s_or_b64 exec, exec, s[2:3]
	s_and_saveexec_b64 s[2:3], s[50:51]
	s_cbranch_execz .LBB90_217
.LBB90_233:                             ;   in Loop: Header=BB90_13 Depth=1
	s_waitcnt lgkmcnt(4)
	global_store_short v[0:1], v6, off offset:1408
	s_or_b64 exec, exec, s[2:3]
	s_and_saveexec_b64 s[2:3], s[52:53]
	s_cbranch_execz .LBB90_218
.LBB90_234:                             ;   in Loop: Header=BB90_13 Depth=1
	s_waitcnt lgkmcnt(3)
	global_store_short v[0:1], v5, off offset:1536
	s_or_b64 exec, exec, s[2:3]
	s_and_saveexec_b64 s[2:3], s[54:55]
	s_cbranch_execz .LBB90_219
.LBB90_235:                             ;   in Loop: Header=BB90_13 Depth=1
	s_waitcnt lgkmcnt(2)
	global_store_short v[0:1], v4, off offset:1664
	s_or_b64 exec, exec, s[2:3]
	s_and_saveexec_b64 s[2:3], s[56:57]
	s_cbranch_execz .LBB90_220
.LBB90_236:                             ;   in Loop: Header=BB90_13 Depth=1
	s_waitcnt lgkmcnt(1)
	global_store_short v[0:1], v3, off offset:1792
	s_or_b64 exec, exec, s[2:3]
	s_and_saveexec_b64 s[2:3], s[58:59]
	s_cbranch_execz .LBB90_12
.LBB90_237:                             ;   in Loop: Header=BB90_13 Depth=1
	s_waitcnt lgkmcnt(0)
	global_store_short v[0:1], v2, off offset:1920
	s_branch .LBB90_12
.LBB90_238:
	s_endpgm
	.section	.rodata,"a",@progbits
	.p2align	6, 0x0
	.amdhsa_kernel _Z25selective_scan_fwd_kernelI32Selective_Scan_fwd_kernel_traitsILi128ELi16ELi1ELb1ELb1ELb1ELb0ELb1EN3c104HalfEfS2_EEv13SSMParamsBase
		.amdhsa_group_segment_fixed_size 0
		.amdhsa_private_segment_fixed_size 0
		.amdhsa_kernarg_size 248
		.amdhsa_user_sgpr_count 2
		.amdhsa_user_sgpr_dispatch_ptr 0
		.amdhsa_user_sgpr_queue_ptr 0
		.amdhsa_user_sgpr_kernarg_segment_ptr 1
		.amdhsa_user_sgpr_dispatch_id 0
		.amdhsa_user_sgpr_kernarg_preload_length 0
		.amdhsa_user_sgpr_kernarg_preload_offset 0
		.amdhsa_user_sgpr_private_segment_size 0
		.amdhsa_uses_dynamic_stack 0
		.amdhsa_enable_private_segment 0
		.amdhsa_system_sgpr_workgroup_id_x 1
		.amdhsa_system_sgpr_workgroup_id_y 1
		.amdhsa_system_sgpr_workgroup_id_z 0
		.amdhsa_system_sgpr_workgroup_info 0
		.amdhsa_system_vgpr_workitem_id 0
		.amdhsa_next_free_vgpr 168
		.amdhsa_next_free_sgpr 100
		.amdhsa_accum_offset 168
		.amdhsa_reserve_vcc 1
		.amdhsa_float_round_mode_32 0
		.amdhsa_float_round_mode_16_64 0
		.amdhsa_float_denorm_mode_32 3
		.amdhsa_float_denorm_mode_16_64 3
		.amdhsa_dx10_clamp 1
		.amdhsa_ieee_mode 1
		.amdhsa_fp16_overflow 0
		.amdhsa_tg_split 0
		.amdhsa_exception_fp_ieee_invalid_op 0
		.amdhsa_exception_fp_denorm_src 0
		.amdhsa_exception_fp_ieee_div_zero 0
		.amdhsa_exception_fp_ieee_overflow 0
		.amdhsa_exception_fp_ieee_underflow 0
		.amdhsa_exception_fp_ieee_inexact 0
		.amdhsa_exception_int_div_zero 0
	.end_amdhsa_kernel
	.section	.text._Z25selective_scan_fwd_kernelI32Selective_Scan_fwd_kernel_traitsILi128ELi16ELi1ELb1ELb1ELb1ELb0ELb1EN3c104HalfEfS2_EEv13SSMParamsBase,"axG",@progbits,_Z25selective_scan_fwd_kernelI32Selective_Scan_fwd_kernel_traitsILi128ELi16ELi1ELb1ELb1ELb1ELb0ELb1EN3c104HalfEfS2_EEv13SSMParamsBase,comdat
.Lfunc_end90:
	.size	_Z25selective_scan_fwd_kernelI32Selective_Scan_fwd_kernel_traitsILi128ELi16ELi1ELb1ELb1ELb1ELb0ELb1EN3c104HalfEfS2_EEv13SSMParamsBase, .Lfunc_end90-_Z25selective_scan_fwd_kernelI32Selective_Scan_fwd_kernel_traitsILi128ELi16ELi1ELb1ELb1ELb1ELb0ELb1EN3c104HalfEfS2_EEv13SSMParamsBase
                                        ; -- End function
	.section	.AMDGPU.csdata,"",@progbits
; Kernel info:
; codeLenInByte = 20948
; NumSgprs: 106
; NumVgprs: 168
; NumAgprs: 0
; TotalNumVgprs: 168
; ScratchSize: 0
; MemoryBound: 0
; FloatMode: 240
; IeeeMode: 1
; LDSByteSize: 0 bytes/workgroup (compile time only)
; SGPRBlocks: 13
; VGPRBlocks: 20
; NumSGPRsForWavesPerEU: 106
; NumVGPRsForWavesPerEU: 168
; AccumOffset: 168
; Occupancy: 3
; WaveLimiterHint : 1
; COMPUTE_PGM_RSRC2:SCRATCH_EN: 0
; COMPUTE_PGM_RSRC2:USER_SGPR: 2
; COMPUTE_PGM_RSRC2:TRAP_HANDLER: 0
; COMPUTE_PGM_RSRC2:TGID_X_EN: 1
; COMPUTE_PGM_RSRC2:TGID_Y_EN: 1
; COMPUTE_PGM_RSRC2:TGID_Z_EN: 0
; COMPUTE_PGM_RSRC2:TIDIG_COMP_CNT: 0
; COMPUTE_PGM_RSRC3_GFX90A:ACCUM_OFFSET: 41
; COMPUTE_PGM_RSRC3_GFX90A:TG_SPLIT: 0
	.section	.text._Z25selective_scan_fwd_kernelI32Selective_Scan_fwd_kernel_traitsILi128ELi16ELi1ELb1ELb1ELb1ELb0ELb0EN3c104HalfEfS2_EEv13SSMParamsBase,"axG",@progbits,_Z25selective_scan_fwd_kernelI32Selective_Scan_fwd_kernel_traitsILi128ELi16ELi1ELb1ELb1ELb1ELb0ELb0EN3c104HalfEfS2_EEv13SSMParamsBase,comdat
	.protected	_Z25selective_scan_fwd_kernelI32Selective_Scan_fwd_kernel_traitsILi128ELi16ELi1ELb1ELb1ELb1ELb0ELb0EN3c104HalfEfS2_EEv13SSMParamsBase ; -- Begin function _Z25selective_scan_fwd_kernelI32Selective_Scan_fwd_kernel_traitsILi128ELi16ELi1ELb1ELb1ELb1ELb0ELb0EN3c104HalfEfS2_EEv13SSMParamsBase
	.globl	_Z25selective_scan_fwd_kernelI32Selective_Scan_fwd_kernel_traitsILi128ELi16ELi1ELb1ELb1ELb1ELb0ELb0EN3c104HalfEfS2_EEv13SSMParamsBase
	.p2align	8
	.type	_Z25selective_scan_fwd_kernelI32Selective_Scan_fwd_kernel_traitsILi128ELi16ELi1ELb1ELb1ELb1ELb0ELb0EN3c104HalfEfS2_EEv13SSMParamsBase,@function
_Z25selective_scan_fwd_kernelI32Selective_Scan_fwd_kernel_traitsILi128ELi16ELi1ELb1ELb1ELb1ELb0ELb0EN3c104HalfEfS2_EEv13SSMParamsBase: ; @_Z25selective_scan_fwd_kernelI32Selective_Scan_fwd_kernel_traitsILi128ELi16ELi1ELb1ELb1ELb1ELb0ELb0EN3c104HalfEfS2_EEv13SSMParamsBase
; %bb.0:
	s_load_dword s25, s[0:1], 0x18
	s_load_dwordx4 s[4:7], s[0:1], 0xe8
	s_mov_b32 s20, s3
                                        ; implicit-def: $vgpr154 : SGPR spill to VGPR lane
	s_waitcnt lgkmcnt(0)
	s_abs_i32 s24, s25
	v_cvt_f32_u32_e32 v1, s24
	s_cmp_eq_u64 s[6:7], 0
	v_rcp_iflag_f32_e32 v1, v1
	s_nop 0
	v_mul_f32_e32 v1, 0x4f7ffffe, v1
	v_cvt_u32_f32_e32 v1, v1
	s_nop 0
	v_readfirstlane_b32 s26, v1
	s_cbranch_scc1 .LBB91_2
; %bb.1:
	s_ashr_i32 s3, s2, 31
	s_add_u32 s6, s6, s2
	s_addc_u32 s7, s7, s3
	v_mov_b32_e32 v1, 0
	global_load_ubyte v1, v1, s[6:7]
	s_waitcnt vmcnt(0)
	v_and_b32_e32 v1, 1, v1
	v_cmp_eq_u32_e64 s[6:7], 1, v1
	s_branch .LBB91_3
.LBB91_2:
	s_mov_b64 s[6:7], 0
.LBB91_3:
	s_nop 0
	v_writelane_b32 v154, s6, 0
	s_cmp_eq_u64 s[4:5], 0
	s_nop 0
	v_writelane_b32 v154, s7, 1
	s_load_dwordx2 s[6:7], s[0:1], 0x20
	s_cbranch_scc1 .LBB91_5
; %bb.4:
	s_ashr_i32 s3, s2, 31
	s_lshl_b64 s[8:9], s[2:3], 2
	s_add_u32 s4, s4, s8
	s_addc_u32 s5, s5, s9
	s_load_dword s22, s[4:5], 0x0
	s_waitcnt lgkmcnt(0)
	s_ashr_i32 s23, s22, 31
	s_cmp_eq_u64 s[6:7], s[22:23]
	s_cbranch_scc0 .LBB91_6
	s_branch .LBB91_86
.LBB91_5:
	s_mov_b32 s22, s2
	s_ashr_i32 s23, s22, 31
	s_waitcnt lgkmcnt(0)
	s_cmp_eq_u64 s[6:7], s[22:23]
	s_cbranch_scc1 .LBB91_86
.LBB91_6:
	s_load_dwordx16 s[36:51], s[0:1], 0x88
	s_load_dwordx2 s[30:31], s[0:1], 0x8
	s_mov_b32 s33, 0
	s_mov_b32 s80, 0
	s_waitcnt lgkmcnt(0)
	s_cmp_eq_u64 s[42:43], 0
	s_cbranch_scc1 .LBB91_8
; %bb.7:
	s_ashr_i32 s21, s20, 31
	s_lshl_b64 s[28:29], s[20:21], 2
	s_add_u32 s10, s42, s28
	s_addc_u32 s11, s43, s29
	s_load_dword s80, s[10:11], 0x0
.LBB91_8:
	s_cmp_eq_u64 s[48:49], 0
	s_cbranch_scc1 .LBB91_10
; %bb.9:
	s_ashr_i32 s21, s20, 31
	s_lshl_b64 s[10:11], s[20:21], 2
	s_add_u32 s10, s48, s10
	s_addc_u32 s11, s49, s11
	s_load_dword s33, s[10:11], 0x0
.LBB91_10:
	s_cmp_lt_i32 s30, 1
	s_cbranch_scc1 .LBB91_86
; %bb.11:
	s_sub_i32 s3, 0, s24
	s_mul_i32 s3, s3, s26
	s_mul_hi_u32 s3, s26, s3
	s_abs_i32 s21, s20
	s_add_i32 s3, s26, s3
	s_load_dwordx8 s[52:59], s[0:1], 0x2c
	s_load_dwordx2 s[16:17], s[0:1], 0x5c
	s_load_dwordx4 s[72:75], s[0:1], 0x4c
	s_load_dwordx4 s[64:67], s[0:1], 0x7c
	s_load_dwordx2 s[6:7], s[0:1], 0x6c
	s_load_dwordx2 s[26:27], s[0:1], 0xc8
	s_mul_hi_u32 s3, s21, s3
	s_load_dword s23, s[0:1], 0x28
	s_ashr_i32 s0, s20, 31
	s_ashr_i32 s1, s25, 31
	s_xor_b32 s0, s0, s1
	s_mul_i32 s1, s3, s24
	s_sub_i32 s1, s21, s1
	s_add_i32 s21, s3, 1
	s_sub_i32 s25, s1, s24
	s_cmp_ge_u32 s1, s24
	s_cselect_b32 s3, s21, s3
	s_cselect_b32 s1, s25, s1
	s_add_i32 s21, s3, 1
	s_cmp_ge_u32 s1, s24
	s_cselect_b32 s1, s21, s3
	s_xor_b32 s1, s1, s0
	s_waitcnt lgkmcnt(0)
	s_mul_i32 s82, s74, s2
	s_mov_b32 s83, 0
	s_sub_i32 s3, s1, s0
	s_lshl_b64 s[0:1], s[82:83], 1
	s_add_u32 s12, s44, s0
	s_mul_i32 s82, s75, s20
	s_addc_u32 s13, s45, s1
	s_lshl_b64 s[0:1], s[82:83], 1
	s_add_u32 s78, s12, s0
	s_mul_i32 s82, s16, s2
	s_addc_u32 s79, s13, s1
	;; [unrolled: 4-line block ×6, first 2 shown]
	s_lshl_b64 s[0:1], s[82:83], 1
	s_add_u32 s0, s4, s0
	s_addc_u32 s1, s5, s1
	v_writelane_b32 v154, s0, 2
	s_mul_i32 s82, s58, s2
	v_mbcnt_lo_u32_b32 v1, -1, 0
	v_writelane_b32 v154, s1, 3
	s_lshl_b64 s[0:1], s[82:83], 1
	s_add_u32 s4, s40, s0
	s_mul_i32 s82, s3, s73
	s_addc_u32 s5, s41, s1
	s_lshl_b64 s[0:1], s[82:83], 1
	s_add_u32 s74, s4, s0
	s_mul_i32 s82, s22, s64
	s_addc_u32 s75, s5, s1
	;; [unrolled: 4-line block ×3, first 2 shown]
	s_lshl_b64 s[0:1], s[82:83], 1
	s_add_u32 s69, s3, s0
	v_mbcnt_hi_u32_b32 v4, -1, v1
	v_lshlrev_b32_e32 v1, 1, v0
	s_addc_u32 s64, s4, s1
	s_add_i32 s0, s30, 0x7ff
	v_and_b32_e32 v2, 0x80, v1
	s_lshr_b32 s8, s0, 11
	v_or_b32_e32 v1, v4, v2
	s_movk_i32 s0, 0x100
	v_cmp_gt_u32_e64 s[4:5], s0, v1
	v_add_u32_e32 v3, 64, v1
	v_cmp_gt_u32_e64 s[0:1], s0, v3
	v_writelane_b32 v154, s4, 4
	s_bitcmp1_b32 s23, 0
	v_lshrrev_b32_e32 v5, 5, v1
	v_writelane_b32 v154, s5, 5
	v_writelane_b32 v154, s0, 6
	v_lshrrev_b32_e32 v3, 5, v3
	s_cselect_b64 s[88:89], -1, 0
	s_cmp_gt_i32 s31, 0
	v_writelane_b32 v154, s1, 7
	v_add_u32_e32 v5, v5, v1
	v_add_lshl_u32 v1, v3, v1, 4
	v_and_b32_e32 v3, 64, v0
	s_cselect_b64 s[0:1], -1, 0
	v_lshl_add_u32 v84, v5, 4, 0
	v_add_u32_e32 v5, v4, v3
	v_writelane_b32 v154, s0, 8
	v_lshlrev_b32_e32 v6, 1, v5
	v_bfe_u32 v5, v5, 4, 27
	v_writelane_b32 v154, s1, 9
	v_add_lshl_u32 v5, v5, v6, 4
	s_add_i32 s0, 0, 0x1080
	v_writelane_b32 v154, s30, 10
	v_add_u32_e32 v87, s0, v1
	v_add_u32_e32 v88, s0, v5
	v_writelane_b32 v154, s31, 11
	s_add_i32 s0, s8, -1
	s_mul_i32 s82, s6, s2
	s_and_b32 s3, s30, 0x7ff
	v_writelane_b32 v154, s0, 12
	s_lshl_b64 s[0:1], s[82:83], 1
	s_add_u32 s2, s50, s0
	s_mul_i32 s82, s7, s20
	s_addc_u32 s4, s51, s1
	s_lshl_b64 s[0:1], s[82:83], 1
	v_add_u32_e32 v85, 0, v1
	s_add_u32 s0, s2, s0
	v_and_b32_e32 v1, 15, v4
	s_addc_u32 s1, s4, s1
	v_cmp_eq_u32_e64 s[4:5], 0, v1
	v_cmp_lt_u32_e64 s[6:7], 1, v1
	v_cmp_lt_u32_e64 s[10:11], 3, v1
	v_cmp_lt_u32_e64 s[14:15], 7, v1
	v_and_b32_e32 v1, 16, v4
	v_cmp_ne_u32_e64 s[92:93], 0, v1
	v_or_b32_e32 v1, 63, v3
	v_cmp_eq_u32_e64 s[16:17], v1, v0
	v_lshrrev_b32_e32 v1, 3, v0
	v_and_b32_e32 v1, 8, v1
	v_add_u32_e32 v90, 0, v1
	v_and_b32_e32 v1, 1, v4
	s_cmp_eq_u32 s3, 0
	v_cmp_eq_u32_e64 s[20:21], 0, v1
	v_add_u32_e32 v1, -1, v4
	v_and_b32_e32 v3, 64, v4
	v_mov_b32_e32 v35, 0
	s_cselect_b64 s[2:3], -1, 0
	v_cmp_lt_i32_e32 vcc, v1, v3
	v_lshlrev_b32_e32 v34, 4, v4
	v_writelane_b32 v154, s2, 13
	v_lshlrev_b32_e32 v89, 4, v0
	v_cndmask_b32_e32 v1, v1, v4, vcc
	v_lshl_add_u64 v[6:7], s[0:1], 0, v[34:35]
	v_lshlrev_b32_e32 v34, 4, v2
	v_lshlrev_b32_e32 v38, 4, v2
	s_mov_b32 s9, s53
	s_mov_b32 s12, s56
	v_add_u32_e32 v86, 0, v5
	v_writelane_b32 v154, s3, 14
	v_cmp_lt_u32_e64 s[70:71], 31, v4
	v_cmp_gt_u32_e64 s[18:19], 2, v0
	v_lshl_add_u32 v91, v0, 3, 0
	v_cmp_gt_u32_e64 s[22:23], 64, v0
	v_cmp_lt_u32_e64 s[24:25], 63, v0
	v_lshlrev_b32_e32 v92, 2, v1
	v_lshl_add_u64 v[36:37], v[6:7], 0, v[34:35]
	v_or_b32_e32 v93, 1, v89
	v_or_b32_e32 v94, 2, v89
	;; [unrolled: 1-line block ×15, first 2 shown]
	v_lshlrev_b32_e32 v34, 4, v4
	v_mov_b32_e32 v108, 0x3ecc95a3
	s_add_i32 s0, 0, 0x2110
	s_mov_b32 s65, 0xc2fc0000
	v_mov_b32_e32 v40, v38
	v_mov_b32_e32 v41, v35
	;; [unrolled: 1-line block ×6, first 2 shown]
	s_mov_b32 s13, 0
	v_cmp_eq_u32_e64 s[26:27], 0, v0
	v_cmp_eq_u32_e64 s[28:29], 0, v4
                                        ; implicit-def: $vgpr1
	v_writelane_b32 v154, s0, 15
                                        ; implicit-def: $vgpr10_vgpr11
                                        ; implicit-def: $vgpr2_vgpr3
                                        ; implicit-def: $vgpr14_vgpr15
                                        ; implicit-def: $vgpr6_vgpr7
	s_branch .LBB91_14
.LBB91_12:                              ;   in Loop: Header=BB91_14 Depth=1
	s_mov_b32 s13, s34
.LBB91_13:                              ;   in Loop: Header=BB91_14 Depth=1
	v_cvt_f16_f32_e32 v0, v59
	v_cvt_f16_f32_e32 v1, v58
	;; [unrolled: 1-line block ×16, first 2 shown]
	s_add_u32 s86, s86, 0x1000
	s_addc_u32 s87, s87, 0
	v_pack_b32_f16 v21, v23, v21
	v_pack_b32_f16 v20, v22, v20
	;; [unrolled: 1-line block ×4, first 2 shown]
	s_barrier
	ds_write_b128 v86, v[18:21]
	v_pack_b32_f16 v21, v31, v30
	v_pack_b32_f16 v20, v29, v28
	;; [unrolled: 1-line block ×4, first 2 shown]
	s_add_u32 s78, s78, 0x1000
	ds_write_b128 v86, v[18:21] offset:16
	; wave barrier
	ds_read_b128 v[18:21], v84
	ds_read_b128 v[22:25], v85 offset:1024
	s_addc_u32 s79, s79, 0
	v_readlane_b32 s0, v154, 2
	v_readlane_b32 s1, v154, 3
	s_add_u32 s0, s0, 0x1000
	s_addc_u32 s1, s1, 0
	s_add_u32 s74, s74, 0x1000
	s_mov_b32 s91, s83
	s_addc_u32 s75, s75, 0
	s_add_i32 s13, s13, 1
	s_waitcnt lgkmcnt(1)
	v_lshrrev_b32_e32 v28, 16, v21
	v_lshl_add_u64 v[0:1], s[90:91], 1, v[36:37]
	v_writelane_b32 v154, s0, 2
	s_cmp_eq_u32 s13, s8
	global_store_short v[0:1], v18, off
	v_alignbit_b32 v27, v20, v19, 16
	v_alignbit_b32 v26, v19, v18, 16
	;; [unrolled: 1-line block ×3, first 2 shown]
	global_store_short v[0:1], v28, off offset:14
	global_store_dword v[0:1], v18, off offset:10
	global_store_dwordx2 v[0:1], v[26:27], off offset:2
	v_writelane_b32 v154, s1, 3
	s_waitcnt lgkmcnt(0)
	global_store_dwordx4 v[0:1], v[22:25], off offset:1024
	s_cbranch_scc1 .LBB91_86
.LBB91_14:                              ; =>This Loop Header: Depth=1
                                        ;     Child Loop BB91_57 Depth 2
	v_lshl_add_u64 v[0:1], s[78:79], 0, v[34:35]
	v_lshl_add_u64 v[0:1], v[0:1], 0, v[40:41]
	s_barrier
	s_mov_b64 s[0:1], exec
	v_readlane_b32 s2, v154, 4
	v_readlane_b32 s3, v154, 5
	s_and_b64 s[2:3], s[0:1], s[2:3]
	s_mov_b64 exec, s[2:3]
	s_cbranch_execz .LBB91_16
; %bb.15:                               ;   in Loop: Header=BB91_14 Depth=1
	global_load_dwordx4 v[14:17], v[0:1], off
.LBB91_16:                              ;   in Loop: Header=BB91_14 Depth=1
	s_or_b64 exec, exec, s[0:1]
	s_mov_b64 s[0:1], exec
	v_readlane_b32 s2, v154, 6
	v_readlane_b32 s3, v154, 7
	s_and_b64 s[2:3], s[0:1], s[2:3]
	s_mov_b64 exec, s[2:3]
	s_cbranch_execz .LBB91_18
; %bb.17:                               ;   in Loop: Header=BB91_14 Depth=1
	global_load_dwordx4 v[6:9], v[0:1], off offset:1024
.LBB91_18:                              ;   in Loop: Header=BB91_14 Depth=1
	s_or_b64 exec, exec, s[0:1]
	s_waitcnt vmcnt(0)
	ds_write_b128 v84, v[14:17]
	ds_write_b128 v85, v[6:9] offset:1024
	; wave barrier
	ds_read_b128 v[14:17], v86
	ds_read_b128 v[6:9], v86 offset:16
	v_lshl_add_u64 v[0:1], s[86:87], 0, v[34:35]
	v_mov_b32_e32 v39, v35
	v_lshl_add_u64 v[0:1], v[0:1], 0, v[38:39]
	s_waitcnt lgkmcnt(0)
	s_barrier
	s_mov_b64 s[0:1], exec
	v_readlane_b32 s2, v154, 4
	v_readlane_b32 s3, v154, 5
	s_and_b64 s[2:3], s[0:1], s[2:3]
	s_mov_b64 exec, s[2:3]
	s_cbranch_execz .LBB91_20
; %bb.19:                               ;   in Loop: Header=BB91_14 Depth=1
	global_load_dwordx4 v[10:13], v[0:1], off
.LBB91_20:                              ;   in Loop: Header=BB91_14 Depth=1
	s_or_b64 exec, exec, s[0:1]
	s_mov_b64 s[0:1], exec
	v_readlane_b32 s2, v154, 6
	v_readlane_b32 s3, v154, 7
	s_and_b64 s[2:3], s[0:1], s[2:3]
	s_mov_b64 exec, s[2:3]
	s_cbranch_execz .LBB91_22
; %bb.21:                               ;   in Loop: Header=BB91_14 Depth=1
	global_load_dwordx4 v[2:5], v[0:1], off offset:1024
.LBB91_22:                              ;   in Loop: Header=BB91_14 Depth=1
	s_or_b64 exec, exec, s[0:1]
	s_waitcnt vmcnt(0)
	ds_write_b128 v84, v[10:13]
	ds_write_b128 v85, v[2:5] offset:1024
	; wave barrier
	ds_read_b128 v[10:13], v86
	ds_read_b128 v[2:5], v86 offset:16
	s_mov_b32 s0, 0x41a00000
	s_waitcnt lgkmcnt(1)
	v_cvt_f32_f16_e32 v0, v10
	v_add_f32_e32 v112, s33, v0
	v_cmp_ge_f32_e32 vcc, s0, v112
	s_and_b64 s[0:1], s[88:89], vcc
	s_and_saveexec_b64 s[30:31], s[0:1]
	s_cbranch_execz .LBB91_24
; %bb.23:                               ;   in Loop: Header=BB91_14 Depth=1
	v_mul_f32_e32 v0, 0x3fb8aa3b, v112
	v_rndne_f32_e32 v1, v0
	s_mov_b32 s0, 0x3fb8aa3b
	v_sub_f32_e32 v18, v0, v1
	v_fma_f32 v0, v112, s0, -v0
	v_fmac_f32_e32 v0, 0x32a5705f, v112
	v_add_f32_e32 v0, v18, v0
	v_cvt_i32_f32_e32 v1, v1
	v_exp_f32_e32 v0, v0
	s_mov_b32 s0, 0xc2ce8ed0
	v_cmp_ngt_f32_e32 vcc, s0, v112
	s_mov_b32 s0, 0x42b17218
	v_ldexp_f32 v0, v0, v1
	v_cndmask_b32_e32 v0, 0, v0, vcc
	v_cmp_nlt_f32_e32 vcc, s0, v112
	s_mov_b32 s0, 0x3f2aaaab
	s_nop 0
	v_cndmask_b32_e32 v32, v109, v0, vcc
	v_add_f32_e32 v18, 1.0, v32
	v_add_f32_e32 v0, -1.0, v18
	v_sub_f32_e32 v1, v0, v18
	v_add_f32_e32 v1, 1.0, v1
	v_sub_f32_e32 v0, v32, v0
	v_add_f32_e32 v19, v0, v1
	v_frexp_mant_f32_e32 v20, v18
	v_cvt_f64_f32_e32 v[0:1], v18
	v_frexp_exp_i32_f64_e32 v0, v[0:1]
	v_cmp_gt_f32_e32 vcc, s0, v20
	s_mov_b32 s0, 0x3f317218
	s_nop 0
	v_subbrev_co_u32_e32 v24, vcc, 0, v0, vcc
	v_sub_u32_e32 v0, 0, v24
	v_ldexp_f32 v1, v18, v0
	v_add_f32_e32 v18, -1.0, v1
	v_add_f32_e32 v20, 1.0, v1
	v_ldexp_f32 v0, v19, v0
	v_add_f32_e32 v19, 1.0, v18
	v_add_f32_e32 v21, -1.0, v20
	v_sub_f32_e32 v19, v1, v19
	v_sub_f32_e32 v1, v1, v21
	v_add_f32_e32 v19, v0, v19
	v_add_f32_e32 v0, v0, v1
	;; [unrolled: 1-line block ×3, first 2 shown]
	v_rcp_f32_e32 v27, v25
	v_sub_f32_e32 v1, v20, v25
	v_add_f32_e32 v26, v0, v1
	v_add_f32_e32 v1, v18, v19
	v_mul_f32_e32 v29, v1, v27
	v_sub_f32_e32 v0, v18, v1
	v_mul_f32_e32 v18, v25, v29
	v_fma_f32 v20, v29, v25, -v18
	v_fmac_f32_e32 v20, v29, v26
	v_add_f32_e32 v28, v19, v0
	v_add_f32_e32 v0, v18, v20
	v_sub_f32_e32 v19, v1, v0
	v_pk_add_f32 v[22:23], v[0:1], v[18:19] neg_lo:[0,1] neg_hi:[0,1]
	v_mov_b32_e32 v21, v0
	v_pk_add_f32 v[0:1], v[22:23], v[20:21] neg_lo:[0,1] neg_hi:[0,1]
	s_nop 0
	v_add_f32_e32 v1, v28, v1
	v_add_f32_e32 v0, v0, v1
	;; [unrolled: 1-line block ×3, first 2 shown]
	v_mul_f32_e32 v28, v27, v1
	v_mul_f32_e32 v18, v25, v28
	v_fma_f32 v20, v28, v25, -v18
	v_fmac_f32_e32 v20, v28, v26
	v_sub_f32_e32 v19, v19, v1
	v_add_f32_e32 v25, v0, v19
	v_add_f32_e32 v0, v18, v20
	v_sub_f32_e32 v19, v1, v0
	v_pk_add_f32 v[22:23], v[0:1], v[18:19] neg_lo:[0,1] neg_hi:[0,1]
	v_mov_b32_e32 v21, v0
	v_pk_add_f32 v[0:1], v[22:23], v[20:21] neg_lo:[0,1] neg_hi:[0,1]
	s_nop 0
	v_add_f32_e32 v1, v25, v1
	v_add_f32_e32 v0, v0, v1
	;; [unrolled: 1-line block ×4, first 2 shown]
	v_sub_f32_e32 v18, v1, v29
	v_mul_f32_e32 v0, v27, v0
	v_sub_f32_e32 v18, v28, v18
	v_add_f32_e32 v18, v18, v0
	v_add_f32_e32 v20, v1, v18
	v_mul_f32_e32 v21, v20, v20
	v_fmamk_f32 v0, v21, 0x3e9b6dac, v108
	v_fmaak_f32 v43, v21, v0, 0x3f2aaada
	v_cvt_f32_i32_e32 v0, v24
	v_sub_f32_e32 v1, v20, v1
	v_sub_f32_e32 v1, v18, v1
	v_ldexp_f32 v22, v1, 1
	v_mul_f32_e32 v1, v20, v21
	v_ldexp_f32 v19, v20, 1
	v_pk_mul_f32 v[20:21], v[0:1], v[42:43]
	s_nop 0
	v_fma_f32 v18, v0, s0, -v20
	v_fmac_f32_e32 v18, 0xb102e308, v0
	v_pk_add_f32 v[0:1], v[20:21], v[18:19]
	s_mov_b32 s0, 0x7f800000
	v_sub_f32_e32 v19, v1, v19
	v_sub_f32_e32 v19, v21, v19
	v_add_f32_e32 v23, v22, v19
	v_mov_b32_e32 v22, v20
	v_pk_add_f32 v[20:21], v[0:1], v[20:21] neg_lo:[0,1] neg_hi:[0,1]
	v_pk_add_f32 v[24:25], v[0:1], v[22:23]
	v_mov_b32_e32 v19, v0
	v_mov_b32_e32 v21, v25
	v_pk_add_f32 v[26:27], v[18:19], v[20:21] neg_lo:[0,1] neg_hi:[0,1]
	v_pk_add_f32 v[18:19], v[18:19], v[20:21]
	v_mov_b32_e32 v22, v23
	v_mov_b32_e32 v20, v19
	v_pk_add_f32 v[28:29], v[20:21], v[0:1] neg_lo:[0,1] neg_hi:[0,1]
	v_mov_b32_e32 v18, v25
	v_mov_b32_e32 v21, v28
	v_pk_add_f32 v[30:31], v[24:25], v[20:21] neg_lo:[0,1] neg_hi:[0,1]
	v_mov_b32_e32 v24, v1
	v_mov_b32_e32 v25, v28
	;; [unrolled: 1-line block ×3, first 2 shown]
	v_pk_add_f32 v[18:19], v[18:19], v[24:25] neg_lo:[0,1] neg_hi:[0,1]
	v_mov_b32_e32 v23, v0
	v_pk_add_f32 v[0:1], v[22:23], v[18:19] neg_lo:[0,1] neg_hi:[0,1]
	v_mov_b32_e32 v30, v26
	v_pk_add_f32 v[18:19], v[30:31], v[0:1]
	v_cmp_eq_f32_e32 vcc, s0, v32
	v_mov_b32_e32 v22, v19
	v_pk_add_f32 v[22:23], v[18:19], v[22:23]
	s_mov_b32 s0, 0x33800000
	v_pk_add_f32 v[20:21], v[20:21], v[22:23]
	v_mov_b32_e32 v1, v22
	v_mov_b32_e32 v19, v20
	v_pk_add_f32 v[24:25], v[18:19], v[26:27] neg_lo:[0,1] neg_hi:[0,1]
	v_cmp_gt_f32_e64 s[2:3], s0, v32
	v_sub_f32_e32 v18, v18, v24
	v_pk_add_f32 v[0:1], v[0:1], v[24:25] neg_lo:[0,1] neg_hi:[0,1]
	v_sub_f32_e32 v18, v26, v18
	v_add_f32_e32 v0, v0, v18
	v_add_f32_e32 v0, v0, v1
	;; [unrolled: 1-line block ×3, first 2 shown]
	s_or_b64 vcc, s[2:3], vcc
	v_cndmask_b32_e32 v112, v0, v32, vcc
.LBB91_24:                              ;   in Loop: Header=BB91_14 Depth=1
	s_or_b64 exec, exec, s[30:31]
	v_cvt_f32_f16_sdwa v0, v10 dst_sel:DWORD dst_unused:UNUSED_PAD src0_sel:WORD_1
	s_mov_b32 s0, 0x41a00000
	v_add_f32_e32 v113, s33, v0
	v_cmp_ge_f32_e32 vcc, s0, v113
	s_and_b64 s[0:1], s[88:89], vcc
	s_and_saveexec_b64 s[30:31], s[0:1]
	s_cbranch_execz .LBB91_26
; %bb.25:                               ;   in Loop: Header=BB91_14 Depth=1
	v_mul_f32_e32 v0, 0x3fb8aa3b, v113
	v_rndne_f32_e32 v1, v0
	s_mov_b32 s0, 0x3fb8aa3b
	v_sub_f32_e32 v18, v0, v1
	v_fma_f32 v0, v113, s0, -v0
	v_fmac_f32_e32 v0, 0x32a5705f, v113
	v_add_f32_e32 v0, v18, v0
	v_cvt_i32_f32_e32 v1, v1
	v_exp_f32_e32 v0, v0
	s_mov_b32 s0, 0xc2ce8ed0
	v_cmp_ngt_f32_e32 vcc, s0, v113
	s_mov_b32 s0, 0x42b17218
	v_ldexp_f32 v0, v0, v1
	v_cndmask_b32_e32 v0, 0, v0, vcc
	v_cmp_nlt_f32_e32 vcc, s0, v113
	s_mov_b32 s0, 0x3f2aaaab
	s_nop 0
	v_cndmask_b32_e32 v32, v109, v0, vcc
	v_add_f32_e32 v18, 1.0, v32
	v_add_f32_e32 v0, -1.0, v18
	v_sub_f32_e32 v1, v0, v18
	v_add_f32_e32 v1, 1.0, v1
	v_sub_f32_e32 v0, v32, v0
	v_add_f32_e32 v19, v0, v1
	v_frexp_mant_f32_e32 v20, v18
	v_cvt_f64_f32_e32 v[0:1], v18
	v_frexp_exp_i32_f64_e32 v0, v[0:1]
	v_cmp_gt_f32_e32 vcc, s0, v20
	s_mov_b32 s0, 0x3f317218
	s_nop 0
	v_subbrev_co_u32_e32 v24, vcc, 0, v0, vcc
	v_sub_u32_e32 v0, 0, v24
	v_ldexp_f32 v1, v18, v0
	v_add_f32_e32 v18, -1.0, v1
	v_add_f32_e32 v20, 1.0, v1
	v_ldexp_f32 v0, v19, v0
	v_add_f32_e32 v19, 1.0, v18
	v_add_f32_e32 v21, -1.0, v20
	v_sub_f32_e32 v19, v1, v19
	v_sub_f32_e32 v1, v1, v21
	v_add_f32_e32 v19, v0, v19
	v_add_f32_e32 v0, v0, v1
	;; [unrolled: 1-line block ×3, first 2 shown]
	v_rcp_f32_e32 v27, v25
	v_sub_f32_e32 v1, v20, v25
	v_add_f32_e32 v26, v0, v1
	v_add_f32_e32 v1, v18, v19
	v_mul_f32_e32 v29, v1, v27
	v_sub_f32_e32 v0, v18, v1
	v_mul_f32_e32 v18, v25, v29
	v_fma_f32 v20, v29, v25, -v18
	v_fmac_f32_e32 v20, v29, v26
	v_add_f32_e32 v28, v19, v0
	v_add_f32_e32 v0, v18, v20
	v_sub_f32_e32 v19, v1, v0
	v_pk_add_f32 v[22:23], v[0:1], v[18:19] neg_lo:[0,1] neg_hi:[0,1]
	v_mov_b32_e32 v21, v0
	v_pk_add_f32 v[0:1], v[22:23], v[20:21] neg_lo:[0,1] neg_hi:[0,1]
	s_nop 0
	v_add_f32_e32 v1, v28, v1
	v_add_f32_e32 v0, v0, v1
	;; [unrolled: 1-line block ×3, first 2 shown]
	v_mul_f32_e32 v28, v27, v1
	v_mul_f32_e32 v18, v25, v28
	v_fma_f32 v20, v28, v25, -v18
	v_fmac_f32_e32 v20, v28, v26
	v_sub_f32_e32 v19, v19, v1
	v_add_f32_e32 v25, v0, v19
	v_add_f32_e32 v0, v18, v20
	v_sub_f32_e32 v19, v1, v0
	v_pk_add_f32 v[22:23], v[0:1], v[18:19] neg_lo:[0,1] neg_hi:[0,1]
	v_mov_b32_e32 v21, v0
	v_pk_add_f32 v[0:1], v[22:23], v[20:21] neg_lo:[0,1] neg_hi:[0,1]
	s_nop 0
	v_add_f32_e32 v1, v25, v1
	v_add_f32_e32 v0, v0, v1
	;; [unrolled: 1-line block ×4, first 2 shown]
	v_sub_f32_e32 v18, v1, v29
	v_mul_f32_e32 v0, v27, v0
	v_sub_f32_e32 v18, v28, v18
	v_add_f32_e32 v18, v18, v0
	v_add_f32_e32 v20, v1, v18
	v_mul_f32_e32 v21, v20, v20
	v_fmamk_f32 v0, v21, 0x3e9b6dac, v108
	v_fmaak_f32 v43, v21, v0, 0x3f2aaada
	v_cvt_f32_i32_e32 v0, v24
	v_sub_f32_e32 v1, v20, v1
	v_sub_f32_e32 v1, v18, v1
	v_ldexp_f32 v22, v1, 1
	v_mul_f32_e32 v1, v20, v21
	v_ldexp_f32 v19, v20, 1
	v_pk_mul_f32 v[20:21], v[0:1], v[42:43]
	s_nop 0
	v_fma_f32 v18, v0, s0, -v20
	v_fmac_f32_e32 v18, 0xb102e308, v0
	v_pk_add_f32 v[0:1], v[20:21], v[18:19]
	s_mov_b32 s0, 0x7f800000
	v_sub_f32_e32 v19, v1, v19
	v_sub_f32_e32 v19, v21, v19
	v_add_f32_e32 v23, v22, v19
	v_mov_b32_e32 v22, v20
	v_pk_add_f32 v[20:21], v[0:1], v[20:21] neg_lo:[0,1] neg_hi:[0,1]
	v_pk_add_f32 v[24:25], v[0:1], v[22:23]
	v_mov_b32_e32 v19, v0
	v_mov_b32_e32 v21, v25
	v_pk_add_f32 v[26:27], v[18:19], v[20:21] neg_lo:[0,1] neg_hi:[0,1]
	v_pk_add_f32 v[18:19], v[18:19], v[20:21]
	v_mov_b32_e32 v22, v23
	v_mov_b32_e32 v20, v19
	v_pk_add_f32 v[28:29], v[20:21], v[0:1] neg_lo:[0,1] neg_hi:[0,1]
	v_mov_b32_e32 v18, v25
	v_mov_b32_e32 v21, v28
	v_pk_add_f32 v[30:31], v[24:25], v[20:21] neg_lo:[0,1] neg_hi:[0,1]
	v_mov_b32_e32 v24, v1
	v_mov_b32_e32 v25, v28
	;; [unrolled: 1-line block ×3, first 2 shown]
	v_pk_add_f32 v[18:19], v[18:19], v[24:25] neg_lo:[0,1] neg_hi:[0,1]
	v_mov_b32_e32 v23, v0
	v_pk_add_f32 v[0:1], v[22:23], v[18:19] neg_lo:[0,1] neg_hi:[0,1]
	v_mov_b32_e32 v30, v26
	v_pk_add_f32 v[18:19], v[30:31], v[0:1]
	v_cmp_eq_f32_e32 vcc, s0, v32
	v_mov_b32_e32 v22, v19
	v_pk_add_f32 v[22:23], v[18:19], v[22:23]
	s_mov_b32 s0, 0x33800000
	v_pk_add_f32 v[20:21], v[20:21], v[22:23]
	v_mov_b32_e32 v1, v22
	v_mov_b32_e32 v19, v20
	v_pk_add_f32 v[24:25], v[18:19], v[26:27] neg_lo:[0,1] neg_hi:[0,1]
	v_cmp_gt_f32_e64 s[2:3], s0, v32
	v_sub_f32_e32 v18, v18, v24
	v_pk_add_f32 v[0:1], v[0:1], v[24:25] neg_lo:[0,1] neg_hi:[0,1]
	v_sub_f32_e32 v18, v26, v18
	v_add_f32_e32 v0, v0, v18
	v_add_f32_e32 v0, v0, v1
	;; [unrolled: 1-line block ×3, first 2 shown]
	s_or_b64 vcc, s[2:3], vcc
	v_cndmask_b32_e32 v113, v0, v32, vcc
.LBB91_26:                              ;   in Loop: Header=BB91_14 Depth=1
	s_or_b64 exec, exec, s[30:31]
	v_cvt_f32_f16_e32 v0, v11
	s_mov_b32 s0, 0x41a00000
	v_add_f32_e32 v114, s33, v0
	v_cmp_ge_f32_e32 vcc, s0, v114
	s_and_b64 s[0:1], s[88:89], vcc
	s_and_saveexec_b64 s[30:31], s[0:1]
	s_cbranch_execz .LBB91_28
; %bb.27:                               ;   in Loop: Header=BB91_14 Depth=1
	v_mul_f32_e32 v0, 0x3fb8aa3b, v114
	v_rndne_f32_e32 v1, v0
	s_mov_b32 s0, 0x3fb8aa3b
	v_sub_f32_e32 v18, v0, v1
	v_fma_f32 v0, v114, s0, -v0
	v_fmac_f32_e32 v0, 0x32a5705f, v114
	v_add_f32_e32 v0, v18, v0
	v_cvt_i32_f32_e32 v1, v1
	v_exp_f32_e32 v0, v0
	s_mov_b32 s0, 0xc2ce8ed0
	v_cmp_ngt_f32_e32 vcc, s0, v114
	s_mov_b32 s0, 0x42b17218
	v_ldexp_f32 v0, v0, v1
	v_cndmask_b32_e32 v0, 0, v0, vcc
	v_cmp_nlt_f32_e32 vcc, s0, v114
	s_mov_b32 s0, 0x3f2aaaab
	s_nop 0
	v_cndmask_b32_e32 v32, v109, v0, vcc
	v_add_f32_e32 v18, 1.0, v32
	v_add_f32_e32 v0, -1.0, v18
	v_sub_f32_e32 v1, v0, v18
	v_add_f32_e32 v1, 1.0, v1
	v_sub_f32_e32 v0, v32, v0
	v_add_f32_e32 v19, v0, v1
	v_frexp_mant_f32_e32 v20, v18
	v_cvt_f64_f32_e32 v[0:1], v18
	v_frexp_exp_i32_f64_e32 v0, v[0:1]
	v_cmp_gt_f32_e32 vcc, s0, v20
	s_mov_b32 s0, 0x3f317218
	s_nop 0
	v_subbrev_co_u32_e32 v24, vcc, 0, v0, vcc
	v_sub_u32_e32 v0, 0, v24
	v_ldexp_f32 v1, v18, v0
	v_add_f32_e32 v18, -1.0, v1
	v_add_f32_e32 v20, 1.0, v1
	v_ldexp_f32 v0, v19, v0
	v_add_f32_e32 v19, 1.0, v18
	v_add_f32_e32 v21, -1.0, v20
	v_sub_f32_e32 v19, v1, v19
	v_sub_f32_e32 v1, v1, v21
	v_add_f32_e32 v19, v0, v19
	v_add_f32_e32 v0, v0, v1
	;; [unrolled: 1-line block ×3, first 2 shown]
	v_rcp_f32_e32 v27, v25
	v_sub_f32_e32 v1, v20, v25
	v_add_f32_e32 v26, v0, v1
	v_add_f32_e32 v1, v18, v19
	v_mul_f32_e32 v29, v1, v27
	v_sub_f32_e32 v0, v18, v1
	v_mul_f32_e32 v18, v25, v29
	v_fma_f32 v20, v29, v25, -v18
	v_fmac_f32_e32 v20, v29, v26
	v_add_f32_e32 v28, v19, v0
	v_add_f32_e32 v0, v18, v20
	v_sub_f32_e32 v19, v1, v0
	v_pk_add_f32 v[22:23], v[0:1], v[18:19] neg_lo:[0,1] neg_hi:[0,1]
	v_mov_b32_e32 v21, v0
	v_pk_add_f32 v[0:1], v[22:23], v[20:21] neg_lo:[0,1] neg_hi:[0,1]
	s_nop 0
	v_add_f32_e32 v1, v28, v1
	v_add_f32_e32 v0, v0, v1
	;; [unrolled: 1-line block ×3, first 2 shown]
	v_mul_f32_e32 v28, v27, v1
	v_mul_f32_e32 v18, v25, v28
	v_fma_f32 v20, v28, v25, -v18
	v_fmac_f32_e32 v20, v28, v26
	v_sub_f32_e32 v19, v19, v1
	v_add_f32_e32 v25, v0, v19
	v_add_f32_e32 v0, v18, v20
	v_sub_f32_e32 v19, v1, v0
	v_pk_add_f32 v[22:23], v[0:1], v[18:19] neg_lo:[0,1] neg_hi:[0,1]
	v_mov_b32_e32 v21, v0
	v_pk_add_f32 v[0:1], v[22:23], v[20:21] neg_lo:[0,1] neg_hi:[0,1]
	s_nop 0
	v_add_f32_e32 v1, v25, v1
	v_add_f32_e32 v0, v0, v1
	;; [unrolled: 1-line block ×4, first 2 shown]
	v_sub_f32_e32 v18, v1, v29
	v_mul_f32_e32 v0, v27, v0
	v_sub_f32_e32 v18, v28, v18
	v_add_f32_e32 v18, v18, v0
	v_add_f32_e32 v20, v1, v18
	v_mul_f32_e32 v21, v20, v20
	v_fmamk_f32 v0, v21, 0x3e9b6dac, v108
	v_fmaak_f32 v43, v21, v0, 0x3f2aaada
	v_cvt_f32_i32_e32 v0, v24
	v_sub_f32_e32 v1, v20, v1
	v_sub_f32_e32 v1, v18, v1
	v_ldexp_f32 v22, v1, 1
	v_mul_f32_e32 v1, v20, v21
	v_ldexp_f32 v19, v20, 1
	v_pk_mul_f32 v[20:21], v[0:1], v[42:43]
	s_nop 0
	v_fma_f32 v18, v0, s0, -v20
	v_fmac_f32_e32 v18, 0xb102e308, v0
	v_pk_add_f32 v[0:1], v[20:21], v[18:19]
	s_mov_b32 s0, 0x7f800000
	v_sub_f32_e32 v19, v1, v19
	v_sub_f32_e32 v19, v21, v19
	v_add_f32_e32 v23, v22, v19
	v_mov_b32_e32 v22, v20
	v_pk_add_f32 v[20:21], v[0:1], v[20:21] neg_lo:[0,1] neg_hi:[0,1]
	v_pk_add_f32 v[24:25], v[0:1], v[22:23]
	v_mov_b32_e32 v19, v0
	v_mov_b32_e32 v21, v25
	v_pk_add_f32 v[26:27], v[18:19], v[20:21] neg_lo:[0,1] neg_hi:[0,1]
	v_pk_add_f32 v[18:19], v[18:19], v[20:21]
	v_mov_b32_e32 v22, v23
	v_mov_b32_e32 v20, v19
	v_pk_add_f32 v[28:29], v[20:21], v[0:1] neg_lo:[0,1] neg_hi:[0,1]
	v_mov_b32_e32 v18, v25
	v_mov_b32_e32 v21, v28
	v_pk_add_f32 v[30:31], v[24:25], v[20:21] neg_lo:[0,1] neg_hi:[0,1]
	v_mov_b32_e32 v24, v1
	v_mov_b32_e32 v25, v28
	;; [unrolled: 1-line block ×3, first 2 shown]
	v_pk_add_f32 v[18:19], v[18:19], v[24:25] neg_lo:[0,1] neg_hi:[0,1]
	v_mov_b32_e32 v23, v0
	v_pk_add_f32 v[0:1], v[22:23], v[18:19] neg_lo:[0,1] neg_hi:[0,1]
	v_mov_b32_e32 v30, v26
	v_pk_add_f32 v[18:19], v[30:31], v[0:1]
	v_cmp_eq_f32_e32 vcc, s0, v32
	v_mov_b32_e32 v22, v19
	v_pk_add_f32 v[22:23], v[18:19], v[22:23]
	s_mov_b32 s0, 0x33800000
	v_pk_add_f32 v[20:21], v[20:21], v[22:23]
	v_mov_b32_e32 v1, v22
	v_mov_b32_e32 v19, v20
	v_pk_add_f32 v[24:25], v[18:19], v[26:27] neg_lo:[0,1] neg_hi:[0,1]
	v_cmp_gt_f32_e64 s[2:3], s0, v32
	v_sub_f32_e32 v18, v18, v24
	v_pk_add_f32 v[0:1], v[0:1], v[24:25] neg_lo:[0,1] neg_hi:[0,1]
	v_sub_f32_e32 v18, v26, v18
	v_add_f32_e32 v0, v0, v18
	v_add_f32_e32 v0, v0, v1
	;; [unrolled: 1-line block ×3, first 2 shown]
	s_or_b64 vcc, s[2:3], vcc
	v_cndmask_b32_e32 v114, v0, v32, vcc
.LBB91_28:                              ;   in Loop: Header=BB91_14 Depth=1
	s_or_b64 exec, exec, s[30:31]
	v_cvt_f32_f16_sdwa v0, v11 dst_sel:DWORD dst_unused:UNUSED_PAD src0_sel:WORD_1
	s_mov_b32 s0, 0x41a00000
	v_add_f32_e32 v115, s33, v0
	v_cmp_ge_f32_e32 vcc, s0, v115
	s_and_b64 s[0:1], s[88:89], vcc
	s_and_saveexec_b64 s[30:31], s[0:1]
	s_cbranch_execz .LBB91_30
; %bb.29:                               ;   in Loop: Header=BB91_14 Depth=1
	v_mul_f32_e32 v0, 0x3fb8aa3b, v115
	v_rndne_f32_e32 v1, v0
	s_mov_b32 s0, 0x3fb8aa3b
	v_sub_f32_e32 v18, v0, v1
	v_fma_f32 v0, v115, s0, -v0
	v_fmac_f32_e32 v0, 0x32a5705f, v115
	v_add_f32_e32 v0, v18, v0
	v_cvt_i32_f32_e32 v1, v1
	v_exp_f32_e32 v0, v0
	s_mov_b32 s0, 0xc2ce8ed0
	v_cmp_ngt_f32_e32 vcc, s0, v115
	s_mov_b32 s0, 0x42b17218
	v_ldexp_f32 v0, v0, v1
	v_cndmask_b32_e32 v0, 0, v0, vcc
	v_cmp_nlt_f32_e32 vcc, s0, v115
	s_mov_b32 s0, 0x3f2aaaab
	s_nop 0
	v_cndmask_b32_e32 v32, v109, v0, vcc
	v_add_f32_e32 v18, 1.0, v32
	v_add_f32_e32 v0, -1.0, v18
	v_sub_f32_e32 v1, v0, v18
	v_add_f32_e32 v1, 1.0, v1
	v_sub_f32_e32 v0, v32, v0
	v_add_f32_e32 v19, v0, v1
	v_frexp_mant_f32_e32 v20, v18
	v_cvt_f64_f32_e32 v[0:1], v18
	v_frexp_exp_i32_f64_e32 v0, v[0:1]
	v_cmp_gt_f32_e32 vcc, s0, v20
	s_mov_b32 s0, 0x3f317218
	s_nop 0
	v_subbrev_co_u32_e32 v24, vcc, 0, v0, vcc
	v_sub_u32_e32 v0, 0, v24
	v_ldexp_f32 v1, v18, v0
	v_add_f32_e32 v18, -1.0, v1
	v_add_f32_e32 v20, 1.0, v1
	v_ldexp_f32 v0, v19, v0
	v_add_f32_e32 v19, 1.0, v18
	v_add_f32_e32 v21, -1.0, v20
	v_sub_f32_e32 v19, v1, v19
	v_sub_f32_e32 v1, v1, v21
	v_add_f32_e32 v19, v0, v19
	v_add_f32_e32 v0, v0, v1
	;; [unrolled: 1-line block ×3, first 2 shown]
	v_rcp_f32_e32 v27, v25
	v_sub_f32_e32 v1, v20, v25
	v_add_f32_e32 v26, v0, v1
	v_add_f32_e32 v1, v18, v19
	v_mul_f32_e32 v29, v1, v27
	v_sub_f32_e32 v0, v18, v1
	v_mul_f32_e32 v18, v25, v29
	v_fma_f32 v20, v29, v25, -v18
	v_fmac_f32_e32 v20, v29, v26
	v_add_f32_e32 v28, v19, v0
	v_add_f32_e32 v0, v18, v20
	v_sub_f32_e32 v19, v1, v0
	v_pk_add_f32 v[22:23], v[0:1], v[18:19] neg_lo:[0,1] neg_hi:[0,1]
	v_mov_b32_e32 v21, v0
	v_pk_add_f32 v[0:1], v[22:23], v[20:21] neg_lo:[0,1] neg_hi:[0,1]
	s_nop 0
	v_add_f32_e32 v1, v28, v1
	v_add_f32_e32 v0, v0, v1
	;; [unrolled: 1-line block ×3, first 2 shown]
	v_mul_f32_e32 v28, v27, v1
	v_mul_f32_e32 v18, v25, v28
	v_fma_f32 v20, v28, v25, -v18
	v_fmac_f32_e32 v20, v28, v26
	v_sub_f32_e32 v19, v19, v1
	v_add_f32_e32 v25, v0, v19
	v_add_f32_e32 v0, v18, v20
	v_sub_f32_e32 v19, v1, v0
	v_pk_add_f32 v[22:23], v[0:1], v[18:19] neg_lo:[0,1] neg_hi:[0,1]
	v_mov_b32_e32 v21, v0
	v_pk_add_f32 v[0:1], v[22:23], v[20:21] neg_lo:[0,1] neg_hi:[0,1]
	s_nop 0
	v_add_f32_e32 v1, v25, v1
	v_add_f32_e32 v0, v0, v1
	;; [unrolled: 1-line block ×4, first 2 shown]
	v_sub_f32_e32 v18, v1, v29
	v_mul_f32_e32 v0, v27, v0
	v_sub_f32_e32 v18, v28, v18
	v_add_f32_e32 v18, v18, v0
	v_add_f32_e32 v20, v1, v18
	v_mul_f32_e32 v21, v20, v20
	v_fmamk_f32 v0, v21, 0x3e9b6dac, v108
	v_fmaak_f32 v43, v21, v0, 0x3f2aaada
	v_cvt_f32_i32_e32 v0, v24
	v_sub_f32_e32 v1, v20, v1
	v_sub_f32_e32 v1, v18, v1
	v_ldexp_f32 v22, v1, 1
	v_mul_f32_e32 v1, v20, v21
	v_ldexp_f32 v19, v20, 1
	v_pk_mul_f32 v[20:21], v[0:1], v[42:43]
	s_nop 0
	v_fma_f32 v18, v0, s0, -v20
	v_fmac_f32_e32 v18, 0xb102e308, v0
	v_pk_add_f32 v[0:1], v[20:21], v[18:19]
	s_mov_b32 s0, 0x7f800000
	v_sub_f32_e32 v19, v1, v19
	v_sub_f32_e32 v19, v21, v19
	v_add_f32_e32 v23, v22, v19
	v_mov_b32_e32 v22, v20
	v_pk_add_f32 v[20:21], v[0:1], v[20:21] neg_lo:[0,1] neg_hi:[0,1]
	v_pk_add_f32 v[24:25], v[0:1], v[22:23]
	v_mov_b32_e32 v19, v0
	v_mov_b32_e32 v21, v25
	v_pk_add_f32 v[26:27], v[18:19], v[20:21] neg_lo:[0,1] neg_hi:[0,1]
	v_pk_add_f32 v[18:19], v[18:19], v[20:21]
	v_mov_b32_e32 v22, v23
	v_mov_b32_e32 v20, v19
	v_pk_add_f32 v[28:29], v[20:21], v[0:1] neg_lo:[0,1] neg_hi:[0,1]
	v_mov_b32_e32 v18, v25
	v_mov_b32_e32 v21, v28
	v_pk_add_f32 v[30:31], v[24:25], v[20:21] neg_lo:[0,1] neg_hi:[0,1]
	v_mov_b32_e32 v24, v1
	v_mov_b32_e32 v25, v28
	;; [unrolled: 1-line block ×3, first 2 shown]
	v_pk_add_f32 v[18:19], v[18:19], v[24:25] neg_lo:[0,1] neg_hi:[0,1]
	v_mov_b32_e32 v23, v0
	v_pk_add_f32 v[0:1], v[22:23], v[18:19] neg_lo:[0,1] neg_hi:[0,1]
	v_mov_b32_e32 v30, v26
	v_pk_add_f32 v[18:19], v[30:31], v[0:1]
	v_cmp_eq_f32_e32 vcc, s0, v32
	v_mov_b32_e32 v22, v19
	v_pk_add_f32 v[22:23], v[18:19], v[22:23]
	s_mov_b32 s0, 0x33800000
	v_pk_add_f32 v[20:21], v[20:21], v[22:23]
	v_mov_b32_e32 v1, v22
	v_mov_b32_e32 v19, v20
	v_pk_add_f32 v[24:25], v[18:19], v[26:27] neg_lo:[0,1] neg_hi:[0,1]
	v_cmp_gt_f32_e64 s[2:3], s0, v32
	v_sub_f32_e32 v18, v18, v24
	v_pk_add_f32 v[0:1], v[0:1], v[24:25] neg_lo:[0,1] neg_hi:[0,1]
	v_sub_f32_e32 v18, v26, v18
	v_add_f32_e32 v0, v0, v18
	v_add_f32_e32 v0, v0, v1
	;; [unrolled: 1-line block ×3, first 2 shown]
	s_or_b64 vcc, s[2:3], vcc
	v_cndmask_b32_e32 v115, v0, v32, vcc
.LBB91_30:                              ;   in Loop: Header=BB91_14 Depth=1
	s_or_b64 exec, exec, s[30:31]
	v_cvt_f32_f16_e32 v0, v12
	s_mov_b32 s0, 0x41a00000
	v_add_f32_e32 v116, s33, v0
	v_cmp_ge_f32_e32 vcc, s0, v116
	s_and_b64 s[0:1], s[88:89], vcc
	s_and_saveexec_b64 s[30:31], s[0:1]
	s_cbranch_execz .LBB91_32
; %bb.31:                               ;   in Loop: Header=BB91_14 Depth=1
	v_mul_f32_e32 v0, 0x3fb8aa3b, v116
	v_rndne_f32_e32 v1, v0
	s_mov_b32 s0, 0x3fb8aa3b
	v_sub_f32_e32 v18, v0, v1
	v_fma_f32 v0, v116, s0, -v0
	v_fmac_f32_e32 v0, 0x32a5705f, v116
	v_add_f32_e32 v0, v18, v0
	v_cvt_i32_f32_e32 v1, v1
	v_exp_f32_e32 v0, v0
	s_mov_b32 s0, 0xc2ce8ed0
	v_cmp_ngt_f32_e32 vcc, s0, v116
	s_mov_b32 s0, 0x42b17218
	v_ldexp_f32 v0, v0, v1
	v_cndmask_b32_e32 v0, 0, v0, vcc
	v_cmp_nlt_f32_e32 vcc, s0, v116
	s_mov_b32 s0, 0x3f2aaaab
	s_nop 0
	v_cndmask_b32_e32 v32, v109, v0, vcc
	v_add_f32_e32 v18, 1.0, v32
	v_add_f32_e32 v0, -1.0, v18
	v_sub_f32_e32 v1, v0, v18
	v_add_f32_e32 v1, 1.0, v1
	v_sub_f32_e32 v0, v32, v0
	v_add_f32_e32 v19, v0, v1
	v_frexp_mant_f32_e32 v20, v18
	v_cvt_f64_f32_e32 v[0:1], v18
	v_frexp_exp_i32_f64_e32 v0, v[0:1]
	v_cmp_gt_f32_e32 vcc, s0, v20
	s_mov_b32 s0, 0x3f317218
	s_nop 0
	v_subbrev_co_u32_e32 v24, vcc, 0, v0, vcc
	v_sub_u32_e32 v0, 0, v24
	v_ldexp_f32 v1, v18, v0
	v_add_f32_e32 v18, -1.0, v1
	v_add_f32_e32 v20, 1.0, v1
	v_ldexp_f32 v0, v19, v0
	v_add_f32_e32 v19, 1.0, v18
	v_add_f32_e32 v21, -1.0, v20
	v_sub_f32_e32 v19, v1, v19
	v_sub_f32_e32 v1, v1, v21
	v_add_f32_e32 v19, v0, v19
	v_add_f32_e32 v0, v0, v1
	;; [unrolled: 1-line block ×3, first 2 shown]
	v_rcp_f32_e32 v27, v25
	v_sub_f32_e32 v1, v20, v25
	v_add_f32_e32 v26, v0, v1
	v_add_f32_e32 v1, v18, v19
	v_mul_f32_e32 v29, v1, v27
	v_sub_f32_e32 v0, v18, v1
	v_mul_f32_e32 v18, v25, v29
	v_fma_f32 v20, v29, v25, -v18
	v_fmac_f32_e32 v20, v29, v26
	v_add_f32_e32 v28, v19, v0
	v_add_f32_e32 v0, v18, v20
	v_sub_f32_e32 v19, v1, v0
	v_pk_add_f32 v[22:23], v[0:1], v[18:19] neg_lo:[0,1] neg_hi:[0,1]
	v_mov_b32_e32 v21, v0
	v_pk_add_f32 v[0:1], v[22:23], v[20:21] neg_lo:[0,1] neg_hi:[0,1]
	s_nop 0
	v_add_f32_e32 v1, v28, v1
	v_add_f32_e32 v0, v0, v1
	;; [unrolled: 1-line block ×3, first 2 shown]
	v_mul_f32_e32 v28, v27, v1
	v_mul_f32_e32 v18, v25, v28
	v_fma_f32 v20, v28, v25, -v18
	v_fmac_f32_e32 v20, v28, v26
	v_sub_f32_e32 v19, v19, v1
	v_add_f32_e32 v25, v0, v19
	v_add_f32_e32 v0, v18, v20
	v_sub_f32_e32 v19, v1, v0
	v_pk_add_f32 v[22:23], v[0:1], v[18:19] neg_lo:[0,1] neg_hi:[0,1]
	v_mov_b32_e32 v21, v0
	v_pk_add_f32 v[0:1], v[22:23], v[20:21] neg_lo:[0,1] neg_hi:[0,1]
	s_nop 0
	v_add_f32_e32 v1, v25, v1
	v_add_f32_e32 v0, v0, v1
	;; [unrolled: 1-line block ×4, first 2 shown]
	v_sub_f32_e32 v18, v1, v29
	v_mul_f32_e32 v0, v27, v0
	v_sub_f32_e32 v18, v28, v18
	v_add_f32_e32 v18, v18, v0
	v_add_f32_e32 v20, v1, v18
	v_mul_f32_e32 v21, v20, v20
	v_fmamk_f32 v0, v21, 0x3e9b6dac, v108
	v_fmaak_f32 v43, v21, v0, 0x3f2aaada
	v_cvt_f32_i32_e32 v0, v24
	v_sub_f32_e32 v1, v20, v1
	v_sub_f32_e32 v1, v18, v1
	v_ldexp_f32 v22, v1, 1
	v_mul_f32_e32 v1, v20, v21
	v_ldexp_f32 v19, v20, 1
	v_pk_mul_f32 v[20:21], v[0:1], v[42:43]
	s_nop 0
	v_fma_f32 v18, v0, s0, -v20
	v_fmac_f32_e32 v18, 0xb102e308, v0
	v_pk_add_f32 v[0:1], v[20:21], v[18:19]
	s_mov_b32 s0, 0x7f800000
	v_sub_f32_e32 v19, v1, v19
	v_sub_f32_e32 v19, v21, v19
	v_add_f32_e32 v23, v22, v19
	v_mov_b32_e32 v22, v20
	v_pk_add_f32 v[20:21], v[0:1], v[20:21] neg_lo:[0,1] neg_hi:[0,1]
	v_pk_add_f32 v[24:25], v[0:1], v[22:23]
	v_mov_b32_e32 v19, v0
	v_mov_b32_e32 v21, v25
	v_pk_add_f32 v[26:27], v[18:19], v[20:21] neg_lo:[0,1] neg_hi:[0,1]
	v_pk_add_f32 v[18:19], v[18:19], v[20:21]
	v_mov_b32_e32 v22, v23
	v_mov_b32_e32 v20, v19
	v_pk_add_f32 v[28:29], v[20:21], v[0:1] neg_lo:[0,1] neg_hi:[0,1]
	v_mov_b32_e32 v18, v25
	v_mov_b32_e32 v21, v28
	v_pk_add_f32 v[30:31], v[24:25], v[20:21] neg_lo:[0,1] neg_hi:[0,1]
	v_mov_b32_e32 v24, v1
	v_mov_b32_e32 v25, v28
	;; [unrolled: 1-line block ×3, first 2 shown]
	v_pk_add_f32 v[18:19], v[18:19], v[24:25] neg_lo:[0,1] neg_hi:[0,1]
	v_mov_b32_e32 v23, v0
	v_pk_add_f32 v[0:1], v[22:23], v[18:19] neg_lo:[0,1] neg_hi:[0,1]
	v_mov_b32_e32 v30, v26
	v_pk_add_f32 v[18:19], v[30:31], v[0:1]
	v_cmp_eq_f32_e32 vcc, s0, v32
	v_mov_b32_e32 v22, v19
	v_pk_add_f32 v[22:23], v[18:19], v[22:23]
	s_mov_b32 s0, 0x33800000
	v_pk_add_f32 v[20:21], v[20:21], v[22:23]
	v_mov_b32_e32 v1, v22
	v_mov_b32_e32 v19, v20
	v_pk_add_f32 v[24:25], v[18:19], v[26:27] neg_lo:[0,1] neg_hi:[0,1]
	v_cmp_gt_f32_e64 s[2:3], s0, v32
	v_sub_f32_e32 v18, v18, v24
	v_pk_add_f32 v[0:1], v[0:1], v[24:25] neg_lo:[0,1] neg_hi:[0,1]
	v_sub_f32_e32 v18, v26, v18
	v_add_f32_e32 v0, v0, v18
	v_add_f32_e32 v0, v0, v1
	;; [unrolled: 1-line block ×3, first 2 shown]
	s_or_b64 vcc, s[2:3], vcc
	v_cndmask_b32_e32 v116, v0, v32, vcc
.LBB91_32:                              ;   in Loop: Header=BB91_14 Depth=1
	s_or_b64 exec, exec, s[30:31]
	v_cvt_f32_f16_sdwa v0, v12 dst_sel:DWORD dst_unused:UNUSED_PAD src0_sel:WORD_1
	s_mov_b32 s0, 0x41a00000
	v_add_f32_e32 v117, s33, v0
	v_cmp_ge_f32_e32 vcc, s0, v117
	s_and_b64 s[0:1], s[88:89], vcc
	s_and_saveexec_b64 s[30:31], s[0:1]
	s_cbranch_execz .LBB91_34
; %bb.33:                               ;   in Loop: Header=BB91_14 Depth=1
	v_mul_f32_e32 v0, 0x3fb8aa3b, v117
	v_rndne_f32_e32 v1, v0
	s_mov_b32 s0, 0x3fb8aa3b
	v_sub_f32_e32 v18, v0, v1
	v_fma_f32 v0, v117, s0, -v0
	v_fmac_f32_e32 v0, 0x32a5705f, v117
	v_add_f32_e32 v0, v18, v0
	v_cvt_i32_f32_e32 v1, v1
	v_exp_f32_e32 v0, v0
	s_mov_b32 s0, 0xc2ce8ed0
	v_cmp_ngt_f32_e32 vcc, s0, v117
	s_mov_b32 s0, 0x42b17218
	v_ldexp_f32 v0, v0, v1
	v_cndmask_b32_e32 v0, 0, v0, vcc
	v_cmp_nlt_f32_e32 vcc, s0, v117
	s_mov_b32 s0, 0x3f2aaaab
	s_nop 0
	v_cndmask_b32_e32 v32, v109, v0, vcc
	v_add_f32_e32 v18, 1.0, v32
	v_add_f32_e32 v0, -1.0, v18
	v_sub_f32_e32 v1, v0, v18
	v_add_f32_e32 v1, 1.0, v1
	v_sub_f32_e32 v0, v32, v0
	v_add_f32_e32 v19, v0, v1
	v_frexp_mant_f32_e32 v20, v18
	v_cvt_f64_f32_e32 v[0:1], v18
	v_frexp_exp_i32_f64_e32 v0, v[0:1]
	v_cmp_gt_f32_e32 vcc, s0, v20
	s_mov_b32 s0, 0x3f317218
	s_nop 0
	v_subbrev_co_u32_e32 v24, vcc, 0, v0, vcc
	v_sub_u32_e32 v0, 0, v24
	v_ldexp_f32 v1, v18, v0
	v_add_f32_e32 v18, -1.0, v1
	v_add_f32_e32 v20, 1.0, v1
	v_ldexp_f32 v0, v19, v0
	v_add_f32_e32 v19, 1.0, v18
	v_add_f32_e32 v21, -1.0, v20
	v_sub_f32_e32 v19, v1, v19
	v_sub_f32_e32 v1, v1, v21
	v_add_f32_e32 v19, v0, v19
	v_add_f32_e32 v0, v0, v1
	;; [unrolled: 1-line block ×3, first 2 shown]
	v_rcp_f32_e32 v27, v25
	v_sub_f32_e32 v1, v20, v25
	v_add_f32_e32 v26, v0, v1
	v_add_f32_e32 v1, v18, v19
	v_mul_f32_e32 v29, v1, v27
	v_sub_f32_e32 v0, v18, v1
	v_mul_f32_e32 v18, v25, v29
	v_fma_f32 v20, v29, v25, -v18
	v_fmac_f32_e32 v20, v29, v26
	v_add_f32_e32 v28, v19, v0
	v_add_f32_e32 v0, v18, v20
	v_sub_f32_e32 v19, v1, v0
	v_pk_add_f32 v[22:23], v[0:1], v[18:19] neg_lo:[0,1] neg_hi:[0,1]
	v_mov_b32_e32 v21, v0
	v_pk_add_f32 v[0:1], v[22:23], v[20:21] neg_lo:[0,1] neg_hi:[0,1]
	s_nop 0
	v_add_f32_e32 v1, v28, v1
	v_add_f32_e32 v0, v0, v1
	;; [unrolled: 1-line block ×3, first 2 shown]
	v_mul_f32_e32 v28, v27, v1
	v_mul_f32_e32 v18, v25, v28
	v_fma_f32 v20, v28, v25, -v18
	v_fmac_f32_e32 v20, v28, v26
	v_sub_f32_e32 v19, v19, v1
	v_add_f32_e32 v25, v0, v19
	v_add_f32_e32 v0, v18, v20
	v_sub_f32_e32 v19, v1, v0
	v_pk_add_f32 v[22:23], v[0:1], v[18:19] neg_lo:[0,1] neg_hi:[0,1]
	v_mov_b32_e32 v21, v0
	v_pk_add_f32 v[0:1], v[22:23], v[20:21] neg_lo:[0,1] neg_hi:[0,1]
	s_nop 0
	v_add_f32_e32 v1, v25, v1
	v_add_f32_e32 v0, v0, v1
	;; [unrolled: 1-line block ×4, first 2 shown]
	v_sub_f32_e32 v18, v1, v29
	v_mul_f32_e32 v0, v27, v0
	v_sub_f32_e32 v18, v28, v18
	v_add_f32_e32 v18, v18, v0
	v_add_f32_e32 v20, v1, v18
	v_mul_f32_e32 v21, v20, v20
	v_fmamk_f32 v0, v21, 0x3e9b6dac, v108
	v_fmaak_f32 v43, v21, v0, 0x3f2aaada
	v_cvt_f32_i32_e32 v0, v24
	v_sub_f32_e32 v1, v20, v1
	v_sub_f32_e32 v1, v18, v1
	v_ldexp_f32 v22, v1, 1
	v_mul_f32_e32 v1, v20, v21
	v_ldexp_f32 v19, v20, 1
	v_pk_mul_f32 v[20:21], v[0:1], v[42:43]
	s_nop 0
	v_fma_f32 v18, v0, s0, -v20
	v_fmac_f32_e32 v18, 0xb102e308, v0
	v_pk_add_f32 v[0:1], v[20:21], v[18:19]
	s_mov_b32 s0, 0x7f800000
	v_sub_f32_e32 v19, v1, v19
	v_sub_f32_e32 v19, v21, v19
	v_add_f32_e32 v23, v22, v19
	v_mov_b32_e32 v22, v20
	v_pk_add_f32 v[20:21], v[0:1], v[20:21] neg_lo:[0,1] neg_hi:[0,1]
	v_pk_add_f32 v[24:25], v[0:1], v[22:23]
	v_mov_b32_e32 v19, v0
	v_mov_b32_e32 v21, v25
	v_pk_add_f32 v[26:27], v[18:19], v[20:21] neg_lo:[0,1] neg_hi:[0,1]
	v_pk_add_f32 v[18:19], v[18:19], v[20:21]
	v_mov_b32_e32 v22, v23
	v_mov_b32_e32 v20, v19
	v_pk_add_f32 v[28:29], v[20:21], v[0:1] neg_lo:[0,1] neg_hi:[0,1]
	v_mov_b32_e32 v18, v25
	v_mov_b32_e32 v21, v28
	v_pk_add_f32 v[30:31], v[24:25], v[20:21] neg_lo:[0,1] neg_hi:[0,1]
	v_mov_b32_e32 v24, v1
	v_mov_b32_e32 v25, v28
	;; [unrolled: 1-line block ×3, first 2 shown]
	v_pk_add_f32 v[18:19], v[18:19], v[24:25] neg_lo:[0,1] neg_hi:[0,1]
	v_mov_b32_e32 v23, v0
	v_pk_add_f32 v[0:1], v[22:23], v[18:19] neg_lo:[0,1] neg_hi:[0,1]
	v_mov_b32_e32 v30, v26
	v_pk_add_f32 v[18:19], v[30:31], v[0:1]
	v_cmp_eq_f32_e32 vcc, s0, v32
	v_mov_b32_e32 v22, v19
	v_pk_add_f32 v[22:23], v[18:19], v[22:23]
	s_mov_b32 s0, 0x33800000
	v_pk_add_f32 v[20:21], v[20:21], v[22:23]
	v_mov_b32_e32 v1, v22
	v_mov_b32_e32 v19, v20
	v_pk_add_f32 v[24:25], v[18:19], v[26:27] neg_lo:[0,1] neg_hi:[0,1]
	v_cmp_gt_f32_e64 s[2:3], s0, v32
	v_sub_f32_e32 v18, v18, v24
	v_pk_add_f32 v[0:1], v[0:1], v[24:25] neg_lo:[0,1] neg_hi:[0,1]
	v_sub_f32_e32 v18, v26, v18
	v_add_f32_e32 v0, v0, v18
	v_add_f32_e32 v0, v0, v1
	;; [unrolled: 1-line block ×3, first 2 shown]
	s_or_b64 vcc, s[2:3], vcc
	v_cndmask_b32_e32 v117, v0, v32, vcc
.LBB91_34:                              ;   in Loop: Header=BB91_14 Depth=1
	s_or_b64 exec, exec, s[30:31]
	v_cvt_f32_f16_e32 v0, v13
	s_mov_b32 s0, 0x41a00000
	v_add_f32_e32 v118, s33, v0
	v_cmp_ge_f32_e32 vcc, s0, v118
	s_and_b64 s[0:1], s[88:89], vcc
	s_and_saveexec_b64 s[30:31], s[0:1]
	s_cbranch_execz .LBB91_36
; %bb.35:                               ;   in Loop: Header=BB91_14 Depth=1
	v_mul_f32_e32 v0, 0x3fb8aa3b, v118
	v_rndne_f32_e32 v1, v0
	s_mov_b32 s0, 0x3fb8aa3b
	v_sub_f32_e32 v18, v0, v1
	v_fma_f32 v0, v118, s0, -v0
	v_fmac_f32_e32 v0, 0x32a5705f, v118
	v_add_f32_e32 v0, v18, v0
	v_cvt_i32_f32_e32 v1, v1
	v_exp_f32_e32 v0, v0
	s_mov_b32 s0, 0xc2ce8ed0
	v_cmp_ngt_f32_e32 vcc, s0, v118
	s_mov_b32 s0, 0x42b17218
	v_ldexp_f32 v0, v0, v1
	v_cndmask_b32_e32 v0, 0, v0, vcc
	v_cmp_nlt_f32_e32 vcc, s0, v118
	s_mov_b32 s0, 0x3f2aaaab
	s_nop 0
	v_cndmask_b32_e32 v32, v109, v0, vcc
	v_add_f32_e32 v18, 1.0, v32
	v_add_f32_e32 v0, -1.0, v18
	v_sub_f32_e32 v1, v0, v18
	v_add_f32_e32 v1, 1.0, v1
	v_sub_f32_e32 v0, v32, v0
	v_add_f32_e32 v19, v0, v1
	v_frexp_mant_f32_e32 v20, v18
	v_cvt_f64_f32_e32 v[0:1], v18
	v_frexp_exp_i32_f64_e32 v0, v[0:1]
	v_cmp_gt_f32_e32 vcc, s0, v20
	s_mov_b32 s0, 0x3f317218
	s_nop 0
	v_subbrev_co_u32_e32 v24, vcc, 0, v0, vcc
	v_sub_u32_e32 v0, 0, v24
	v_ldexp_f32 v1, v18, v0
	v_add_f32_e32 v18, -1.0, v1
	v_add_f32_e32 v20, 1.0, v1
	v_ldexp_f32 v0, v19, v0
	v_add_f32_e32 v19, 1.0, v18
	v_add_f32_e32 v21, -1.0, v20
	v_sub_f32_e32 v19, v1, v19
	v_sub_f32_e32 v1, v1, v21
	v_add_f32_e32 v19, v0, v19
	v_add_f32_e32 v0, v0, v1
	;; [unrolled: 1-line block ×3, first 2 shown]
	v_rcp_f32_e32 v27, v25
	v_sub_f32_e32 v1, v20, v25
	v_add_f32_e32 v26, v0, v1
	v_add_f32_e32 v1, v18, v19
	v_mul_f32_e32 v29, v1, v27
	v_sub_f32_e32 v0, v18, v1
	v_mul_f32_e32 v18, v25, v29
	v_fma_f32 v20, v29, v25, -v18
	v_fmac_f32_e32 v20, v29, v26
	v_add_f32_e32 v28, v19, v0
	v_add_f32_e32 v0, v18, v20
	v_sub_f32_e32 v19, v1, v0
	v_pk_add_f32 v[22:23], v[0:1], v[18:19] neg_lo:[0,1] neg_hi:[0,1]
	v_mov_b32_e32 v21, v0
	v_pk_add_f32 v[0:1], v[22:23], v[20:21] neg_lo:[0,1] neg_hi:[0,1]
	s_nop 0
	v_add_f32_e32 v1, v28, v1
	v_add_f32_e32 v0, v0, v1
	;; [unrolled: 1-line block ×3, first 2 shown]
	v_mul_f32_e32 v28, v27, v1
	v_mul_f32_e32 v18, v25, v28
	v_fma_f32 v20, v28, v25, -v18
	v_fmac_f32_e32 v20, v28, v26
	v_sub_f32_e32 v19, v19, v1
	v_add_f32_e32 v25, v0, v19
	v_add_f32_e32 v0, v18, v20
	v_sub_f32_e32 v19, v1, v0
	v_pk_add_f32 v[22:23], v[0:1], v[18:19] neg_lo:[0,1] neg_hi:[0,1]
	v_mov_b32_e32 v21, v0
	v_pk_add_f32 v[0:1], v[22:23], v[20:21] neg_lo:[0,1] neg_hi:[0,1]
	s_nop 0
	v_add_f32_e32 v1, v25, v1
	v_add_f32_e32 v0, v0, v1
	;; [unrolled: 1-line block ×4, first 2 shown]
	v_sub_f32_e32 v18, v1, v29
	v_mul_f32_e32 v0, v27, v0
	v_sub_f32_e32 v18, v28, v18
	v_add_f32_e32 v18, v18, v0
	v_add_f32_e32 v20, v1, v18
	v_mul_f32_e32 v21, v20, v20
	v_fmamk_f32 v0, v21, 0x3e9b6dac, v108
	v_fmaak_f32 v43, v21, v0, 0x3f2aaada
	v_cvt_f32_i32_e32 v0, v24
	v_sub_f32_e32 v1, v20, v1
	v_sub_f32_e32 v1, v18, v1
	v_ldexp_f32 v22, v1, 1
	v_mul_f32_e32 v1, v20, v21
	v_ldexp_f32 v19, v20, 1
	v_pk_mul_f32 v[20:21], v[0:1], v[42:43]
	s_nop 0
	v_fma_f32 v18, v0, s0, -v20
	v_fmac_f32_e32 v18, 0xb102e308, v0
	v_pk_add_f32 v[0:1], v[20:21], v[18:19]
	s_mov_b32 s0, 0x7f800000
	v_sub_f32_e32 v19, v1, v19
	v_sub_f32_e32 v19, v21, v19
	v_add_f32_e32 v23, v22, v19
	v_mov_b32_e32 v22, v20
	v_pk_add_f32 v[20:21], v[0:1], v[20:21] neg_lo:[0,1] neg_hi:[0,1]
	v_pk_add_f32 v[24:25], v[0:1], v[22:23]
	v_mov_b32_e32 v19, v0
	v_mov_b32_e32 v21, v25
	v_pk_add_f32 v[26:27], v[18:19], v[20:21] neg_lo:[0,1] neg_hi:[0,1]
	v_pk_add_f32 v[18:19], v[18:19], v[20:21]
	v_mov_b32_e32 v22, v23
	v_mov_b32_e32 v20, v19
	v_pk_add_f32 v[28:29], v[20:21], v[0:1] neg_lo:[0,1] neg_hi:[0,1]
	v_mov_b32_e32 v18, v25
	v_mov_b32_e32 v21, v28
	v_pk_add_f32 v[30:31], v[24:25], v[20:21] neg_lo:[0,1] neg_hi:[0,1]
	v_mov_b32_e32 v24, v1
	v_mov_b32_e32 v25, v28
	;; [unrolled: 1-line block ×3, first 2 shown]
	v_pk_add_f32 v[18:19], v[18:19], v[24:25] neg_lo:[0,1] neg_hi:[0,1]
	v_mov_b32_e32 v23, v0
	v_pk_add_f32 v[0:1], v[22:23], v[18:19] neg_lo:[0,1] neg_hi:[0,1]
	v_mov_b32_e32 v30, v26
	v_pk_add_f32 v[18:19], v[30:31], v[0:1]
	v_cmp_eq_f32_e32 vcc, s0, v32
	v_mov_b32_e32 v22, v19
	v_pk_add_f32 v[22:23], v[18:19], v[22:23]
	s_mov_b32 s0, 0x33800000
	v_pk_add_f32 v[20:21], v[20:21], v[22:23]
	v_mov_b32_e32 v1, v22
	v_mov_b32_e32 v19, v20
	v_pk_add_f32 v[24:25], v[18:19], v[26:27] neg_lo:[0,1] neg_hi:[0,1]
	v_cmp_gt_f32_e64 s[2:3], s0, v32
	v_sub_f32_e32 v18, v18, v24
	v_pk_add_f32 v[0:1], v[0:1], v[24:25] neg_lo:[0,1] neg_hi:[0,1]
	v_sub_f32_e32 v18, v26, v18
	v_add_f32_e32 v0, v0, v18
	v_add_f32_e32 v0, v0, v1
	;; [unrolled: 1-line block ×3, first 2 shown]
	s_or_b64 vcc, s[2:3], vcc
	v_cndmask_b32_e32 v118, v0, v32, vcc
.LBB91_36:                              ;   in Loop: Header=BB91_14 Depth=1
	s_or_b64 exec, exec, s[30:31]
	v_cvt_f32_f16_sdwa v0, v13 dst_sel:DWORD dst_unused:UNUSED_PAD src0_sel:WORD_1
	s_mov_b32 s0, 0x41a00000
	v_add_f32_e32 v119, s33, v0
	v_cmp_ge_f32_e32 vcc, s0, v119
	s_and_b64 s[0:1], s[88:89], vcc
	s_and_saveexec_b64 s[30:31], s[0:1]
	s_cbranch_execz .LBB91_38
; %bb.37:                               ;   in Loop: Header=BB91_14 Depth=1
	v_mul_f32_e32 v0, 0x3fb8aa3b, v119
	v_rndne_f32_e32 v1, v0
	s_mov_b32 s0, 0x3fb8aa3b
	v_sub_f32_e32 v18, v0, v1
	v_fma_f32 v0, v119, s0, -v0
	v_fmac_f32_e32 v0, 0x32a5705f, v119
	v_add_f32_e32 v0, v18, v0
	v_cvt_i32_f32_e32 v1, v1
	v_exp_f32_e32 v0, v0
	s_mov_b32 s0, 0xc2ce8ed0
	v_cmp_ngt_f32_e32 vcc, s0, v119
	s_mov_b32 s0, 0x42b17218
	v_ldexp_f32 v0, v0, v1
	v_cndmask_b32_e32 v0, 0, v0, vcc
	v_cmp_nlt_f32_e32 vcc, s0, v119
	s_mov_b32 s0, 0x3f2aaaab
	s_nop 0
	v_cndmask_b32_e32 v32, v109, v0, vcc
	v_add_f32_e32 v18, 1.0, v32
	v_add_f32_e32 v0, -1.0, v18
	v_sub_f32_e32 v1, v0, v18
	v_add_f32_e32 v1, 1.0, v1
	v_sub_f32_e32 v0, v32, v0
	v_add_f32_e32 v19, v0, v1
	v_frexp_mant_f32_e32 v20, v18
	v_cvt_f64_f32_e32 v[0:1], v18
	v_frexp_exp_i32_f64_e32 v0, v[0:1]
	v_cmp_gt_f32_e32 vcc, s0, v20
	s_mov_b32 s0, 0x3f317218
	s_nop 0
	v_subbrev_co_u32_e32 v24, vcc, 0, v0, vcc
	v_sub_u32_e32 v0, 0, v24
	v_ldexp_f32 v1, v18, v0
	v_add_f32_e32 v18, -1.0, v1
	v_add_f32_e32 v20, 1.0, v1
	v_ldexp_f32 v0, v19, v0
	v_add_f32_e32 v19, 1.0, v18
	v_add_f32_e32 v21, -1.0, v20
	v_sub_f32_e32 v19, v1, v19
	v_sub_f32_e32 v1, v1, v21
	v_add_f32_e32 v19, v0, v19
	v_add_f32_e32 v0, v0, v1
	;; [unrolled: 1-line block ×3, first 2 shown]
	v_rcp_f32_e32 v27, v25
	v_sub_f32_e32 v1, v20, v25
	v_add_f32_e32 v26, v0, v1
	v_add_f32_e32 v1, v18, v19
	v_mul_f32_e32 v29, v1, v27
	v_sub_f32_e32 v0, v18, v1
	v_mul_f32_e32 v18, v25, v29
	v_fma_f32 v20, v29, v25, -v18
	v_fmac_f32_e32 v20, v29, v26
	v_add_f32_e32 v28, v19, v0
	v_add_f32_e32 v0, v18, v20
	v_sub_f32_e32 v19, v1, v0
	v_pk_add_f32 v[22:23], v[0:1], v[18:19] neg_lo:[0,1] neg_hi:[0,1]
	v_mov_b32_e32 v21, v0
	v_pk_add_f32 v[0:1], v[22:23], v[20:21] neg_lo:[0,1] neg_hi:[0,1]
	s_nop 0
	v_add_f32_e32 v1, v28, v1
	v_add_f32_e32 v0, v0, v1
	;; [unrolled: 1-line block ×3, first 2 shown]
	v_mul_f32_e32 v28, v27, v1
	v_mul_f32_e32 v18, v25, v28
	v_fma_f32 v20, v28, v25, -v18
	v_fmac_f32_e32 v20, v28, v26
	v_sub_f32_e32 v19, v19, v1
	v_add_f32_e32 v25, v0, v19
	v_add_f32_e32 v0, v18, v20
	v_sub_f32_e32 v19, v1, v0
	v_pk_add_f32 v[22:23], v[0:1], v[18:19] neg_lo:[0,1] neg_hi:[0,1]
	v_mov_b32_e32 v21, v0
	v_pk_add_f32 v[0:1], v[22:23], v[20:21] neg_lo:[0,1] neg_hi:[0,1]
	s_nop 0
	v_add_f32_e32 v1, v25, v1
	v_add_f32_e32 v0, v0, v1
	;; [unrolled: 1-line block ×4, first 2 shown]
	v_sub_f32_e32 v18, v1, v29
	v_mul_f32_e32 v0, v27, v0
	v_sub_f32_e32 v18, v28, v18
	v_add_f32_e32 v18, v18, v0
	v_add_f32_e32 v20, v1, v18
	v_mul_f32_e32 v21, v20, v20
	v_fmamk_f32 v0, v21, 0x3e9b6dac, v108
	v_fmaak_f32 v43, v21, v0, 0x3f2aaada
	v_cvt_f32_i32_e32 v0, v24
	v_sub_f32_e32 v1, v20, v1
	v_sub_f32_e32 v1, v18, v1
	v_ldexp_f32 v22, v1, 1
	v_mul_f32_e32 v1, v20, v21
	v_ldexp_f32 v19, v20, 1
	v_pk_mul_f32 v[20:21], v[0:1], v[42:43]
	s_nop 0
	v_fma_f32 v18, v0, s0, -v20
	v_fmac_f32_e32 v18, 0xb102e308, v0
	v_pk_add_f32 v[0:1], v[20:21], v[18:19]
	s_mov_b32 s0, 0x7f800000
	v_sub_f32_e32 v19, v1, v19
	v_sub_f32_e32 v19, v21, v19
	v_add_f32_e32 v23, v22, v19
	v_mov_b32_e32 v22, v20
	v_pk_add_f32 v[20:21], v[0:1], v[20:21] neg_lo:[0,1] neg_hi:[0,1]
	v_pk_add_f32 v[24:25], v[0:1], v[22:23]
	v_mov_b32_e32 v19, v0
	v_mov_b32_e32 v21, v25
	v_pk_add_f32 v[26:27], v[18:19], v[20:21] neg_lo:[0,1] neg_hi:[0,1]
	v_pk_add_f32 v[18:19], v[18:19], v[20:21]
	v_mov_b32_e32 v22, v23
	v_mov_b32_e32 v20, v19
	v_pk_add_f32 v[28:29], v[20:21], v[0:1] neg_lo:[0,1] neg_hi:[0,1]
	v_mov_b32_e32 v18, v25
	v_mov_b32_e32 v21, v28
	v_pk_add_f32 v[30:31], v[24:25], v[20:21] neg_lo:[0,1] neg_hi:[0,1]
	v_mov_b32_e32 v24, v1
	v_mov_b32_e32 v25, v28
	v_mov_b32_e32 v27, v19
	v_pk_add_f32 v[18:19], v[18:19], v[24:25] neg_lo:[0,1] neg_hi:[0,1]
	v_mov_b32_e32 v23, v0
	v_pk_add_f32 v[0:1], v[22:23], v[18:19] neg_lo:[0,1] neg_hi:[0,1]
	v_mov_b32_e32 v30, v26
	v_pk_add_f32 v[18:19], v[30:31], v[0:1]
	v_cmp_eq_f32_e32 vcc, s0, v32
	v_mov_b32_e32 v22, v19
	v_pk_add_f32 v[22:23], v[18:19], v[22:23]
	s_mov_b32 s0, 0x33800000
	v_pk_add_f32 v[20:21], v[20:21], v[22:23]
	v_mov_b32_e32 v1, v22
	v_mov_b32_e32 v19, v20
	v_pk_add_f32 v[24:25], v[18:19], v[26:27] neg_lo:[0,1] neg_hi:[0,1]
	v_cmp_gt_f32_e64 s[2:3], s0, v32
	v_sub_f32_e32 v18, v18, v24
	v_pk_add_f32 v[0:1], v[0:1], v[24:25] neg_lo:[0,1] neg_hi:[0,1]
	v_sub_f32_e32 v18, v26, v18
	v_add_f32_e32 v0, v0, v18
	v_add_f32_e32 v0, v0, v1
	;; [unrolled: 1-line block ×3, first 2 shown]
	s_or_b64 vcc, s[2:3], vcc
	v_cndmask_b32_e32 v119, v0, v32, vcc
.LBB91_38:                              ;   in Loop: Header=BB91_14 Depth=1
	s_or_b64 exec, exec, s[30:31]
	s_waitcnt lgkmcnt(0)
	v_cvt_f32_f16_e32 v0, v2
	s_mov_b32 s0, 0x41a00000
	v_add_f32_e32 v120, s33, v0
	v_cmp_ge_f32_e32 vcc, s0, v120
	s_and_b64 s[0:1], s[88:89], vcc
	s_and_saveexec_b64 s[30:31], s[0:1]
	s_cbranch_execz .LBB91_40
; %bb.39:                               ;   in Loop: Header=BB91_14 Depth=1
	v_mul_f32_e32 v0, 0x3fb8aa3b, v120
	v_rndne_f32_e32 v1, v0
	s_mov_b32 s0, 0x3fb8aa3b
	v_sub_f32_e32 v18, v0, v1
	v_fma_f32 v0, v120, s0, -v0
	v_fmac_f32_e32 v0, 0x32a5705f, v120
	v_add_f32_e32 v0, v18, v0
	v_cvt_i32_f32_e32 v1, v1
	v_exp_f32_e32 v0, v0
	s_mov_b32 s0, 0xc2ce8ed0
	v_cmp_ngt_f32_e32 vcc, s0, v120
	s_mov_b32 s0, 0x42b17218
	v_ldexp_f32 v0, v0, v1
	v_cndmask_b32_e32 v0, 0, v0, vcc
	v_cmp_nlt_f32_e32 vcc, s0, v120
	s_mov_b32 s0, 0x3f2aaaab
	s_nop 0
	v_cndmask_b32_e32 v32, v109, v0, vcc
	v_add_f32_e32 v18, 1.0, v32
	v_add_f32_e32 v0, -1.0, v18
	v_sub_f32_e32 v1, v0, v18
	v_add_f32_e32 v1, 1.0, v1
	v_sub_f32_e32 v0, v32, v0
	v_add_f32_e32 v19, v0, v1
	v_frexp_mant_f32_e32 v20, v18
	v_cvt_f64_f32_e32 v[0:1], v18
	v_frexp_exp_i32_f64_e32 v0, v[0:1]
	v_cmp_gt_f32_e32 vcc, s0, v20
	s_mov_b32 s0, 0x3f317218
	s_nop 0
	v_subbrev_co_u32_e32 v24, vcc, 0, v0, vcc
	v_sub_u32_e32 v0, 0, v24
	v_ldexp_f32 v1, v18, v0
	v_add_f32_e32 v18, -1.0, v1
	v_add_f32_e32 v20, 1.0, v1
	v_ldexp_f32 v0, v19, v0
	v_add_f32_e32 v19, 1.0, v18
	v_add_f32_e32 v21, -1.0, v20
	v_sub_f32_e32 v19, v1, v19
	v_sub_f32_e32 v1, v1, v21
	v_add_f32_e32 v19, v0, v19
	v_add_f32_e32 v0, v0, v1
	;; [unrolled: 1-line block ×3, first 2 shown]
	v_rcp_f32_e32 v27, v25
	v_sub_f32_e32 v1, v20, v25
	v_add_f32_e32 v26, v0, v1
	v_add_f32_e32 v1, v18, v19
	v_mul_f32_e32 v29, v1, v27
	v_sub_f32_e32 v0, v18, v1
	v_mul_f32_e32 v18, v25, v29
	v_fma_f32 v20, v29, v25, -v18
	v_fmac_f32_e32 v20, v29, v26
	v_add_f32_e32 v28, v19, v0
	v_add_f32_e32 v0, v18, v20
	v_sub_f32_e32 v19, v1, v0
	v_pk_add_f32 v[22:23], v[0:1], v[18:19] neg_lo:[0,1] neg_hi:[0,1]
	v_mov_b32_e32 v21, v0
	v_pk_add_f32 v[0:1], v[22:23], v[20:21] neg_lo:[0,1] neg_hi:[0,1]
	s_nop 0
	v_add_f32_e32 v1, v28, v1
	v_add_f32_e32 v0, v0, v1
	;; [unrolled: 1-line block ×3, first 2 shown]
	v_mul_f32_e32 v28, v27, v1
	v_mul_f32_e32 v18, v25, v28
	v_fma_f32 v20, v28, v25, -v18
	v_fmac_f32_e32 v20, v28, v26
	v_sub_f32_e32 v19, v19, v1
	v_add_f32_e32 v25, v0, v19
	v_add_f32_e32 v0, v18, v20
	v_sub_f32_e32 v19, v1, v0
	v_pk_add_f32 v[22:23], v[0:1], v[18:19] neg_lo:[0,1] neg_hi:[0,1]
	v_mov_b32_e32 v21, v0
	v_pk_add_f32 v[0:1], v[22:23], v[20:21] neg_lo:[0,1] neg_hi:[0,1]
	s_nop 0
	v_add_f32_e32 v1, v25, v1
	v_add_f32_e32 v0, v0, v1
	v_add_f32_e32 v1, v29, v28
	v_add_f32_e32 v0, v19, v0
	v_sub_f32_e32 v18, v1, v29
	v_mul_f32_e32 v0, v27, v0
	v_sub_f32_e32 v18, v28, v18
	v_add_f32_e32 v18, v18, v0
	v_add_f32_e32 v20, v1, v18
	v_mul_f32_e32 v21, v20, v20
	v_fmamk_f32 v0, v21, 0x3e9b6dac, v108
	v_fmaak_f32 v43, v21, v0, 0x3f2aaada
	v_cvt_f32_i32_e32 v0, v24
	v_sub_f32_e32 v1, v20, v1
	v_sub_f32_e32 v1, v18, v1
	v_ldexp_f32 v22, v1, 1
	v_mul_f32_e32 v1, v20, v21
	v_ldexp_f32 v19, v20, 1
	v_pk_mul_f32 v[20:21], v[0:1], v[42:43]
	s_nop 0
	v_fma_f32 v18, v0, s0, -v20
	v_fmac_f32_e32 v18, 0xb102e308, v0
	v_pk_add_f32 v[0:1], v[20:21], v[18:19]
	s_mov_b32 s0, 0x7f800000
	v_sub_f32_e32 v19, v1, v19
	v_sub_f32_e32 v19, v21, v19
	v_add_f32_e32 v23, v22, v19
	v_mov_b32_e32 v22, v20
	v_pk_add_f32 v[20:21], v[0:1], v[20:21] neg_lo:[0,1] neg_hi:[0,1]
	v_pk_add_f32 v[24:25], v[0:1], v[22:23]
	v_mov_b32_e32 v19, v0
	v_mov_b32_e32 v21, v25
	v_pk_add_f32 v[26:27], v[18:19], v[20:21] neg_lo:[0,1] neg_hi:[0,1]
	v_pk_add_f32 v[18:19], v[18:19], v[20:21]
	v_mov_b32_e32 v22, v23
	v_mov_b32_e32 v20, v19
	v_pk_add_f32 v[28:29], v[20:21], v[0:1] neg_lo:[0,1] neg_hi:[0,1]
	v_mov_b32_e32 v18, v25
	v_mov_b32_e32 v21, v28
	v_pk_add_f32 v[30:31], v[24:25], v[20:21] neg_lo:[0,1] neg_hi:[0,1]
	v_mov_b32_e32 v24, v1
	v_mov_b32_e32 v25, v28
	;; [unrolled: 1-line block ×3, first 2 shown]
	v_pk_add_f32 v[18:19], v[18:19], v[24:25] neg_lo:[0,1] neg_hi:[0,1]
	v_mov_b32_e32 v23, v0
	v_pk_add_f32 v[0:1], v[22:23], v[18:19] neg_lo:[0,1] neg_hi:[0,1]
	v_mov_b32_e32 v30, v26
	v_pk_add_f32 v[18:19], v[30:31], v[0:1]
	v_cmp_eq_f32_e32 vcc, s0, v32
	v_mov_b32_e32 v22, v19
	v_pk_add_f32 v[22:23], v[18:19], v[22:23]
	s_mov_b32 s0, 0x33800000
	v_pk_add_f32 v[20:21], v[20:21], v[22:23]
	v_mov_b32_e32 v1, v22
	v_mov_b32_e32 v19, v20
	v_pk_add_f32 v[24:25], v[18:19], v[26:27] neg_lo:[0,1] neg_hi:[0,1]
	v_cmp_gt_f32_e64 s[2:3], s0, v32
	v_sub_f32_e32 v18, v18, v24
	v_pk_add_f32 v[0:1], v[0:1], v[24:25] neg_lo:[0,1] neg_hi:[0,1]
	v_sub_f32_e32 v18, v26, v18
	v_add_f32_e32 v0, v0, v18
	v_add_f32_e32 v0, v0, v1
	;; [unrolled: 1-line block ×3, first 2 shown]
	s_or_b64 vcc, s[2:3], vcc
	v_cndmask_b32_e32 v120, v0, v32, vcc
.LBB91_40:                              ;   in Loop: Header=BB91_14 Depth=1
	s_or_b64 exec, exec, s[30:31]
	v_cvt_f32_f16_sdwa v0, v2 dst_sel:DWORD dst_unused:UNUSED_PAD src0_sel:WORD_1
	s_mov_b32 s0, 0x41a00000
	v_add_f32_e32 v121, s33, v0
	v_cmp_ge_f32_e32 vcc, s0, v121
	s_and_b64 s[0:1], s[88:89], vcc
	s_and_saveexec_b64 s[30:31], s[0:1]
	s_cbranch_execz .LBB91_42
; %bb.41:                               ;   in Loop: Header=BB91_14 Depth=1
	v_mul_f32_e32 v0, 0x3fb8aa3b, v121
	v_rndne_f32_e32 v1, v0
	s_mov_b32 s0, 0x3fb8aa3b
	v_sub_f32_e32 v18, v0, v1
	v_fma_f32 v0, v121, s0, -v0
	v_fmac_f32_e32 v0, 0x32a5705f, v121
	v_add_f32_e32 v0, v18, v0
	v_cvt_i32_f32_e32 v1, v1
	v_exp_f32_e32 v0, v0
	s_mov_b32 s0, 0xc2ce8ed0
	v_cmp_ngt_f32_e32 vcc, s0, v121
	s_mov_b32 s0, 0x42b17218
	v_ldexp_f32 v0, v0, v1
	v_cndmask_b32_e32 v0, 0, v0, vcc
	v_cmp_nlt_f32_e32 vcc, s0, v121
	s_mov_b32 s0, 0x3f2aaaab
	s_nop 0
	v_cndmask_b32_e32 v32, v109, v0, vcc
	v_add_f32_e32 v18, 1.0, v32
	v_add_f32_e32 v0, -1.0, v18
	v_sub_f32_e32 v1, v0, v18
	v_add_f32_e32 v1, 1.0, v1
	v_sub_f32_e32 v0, v32, v0
	v_add_f32_e32 v19, v0, v1
	v_frexp_mant_f32_e32 v20, v18
	v_cvt_f64_f32_e32 v[0:1], v18
	v_frexp_exp_i32_f64_e32 v0, v[0:1]
	v_cmp_gt_f32_e32 vcc, s0, v20
	s_mov_b32 s0, 0x3f317218
	s_nop 0
	v_subbrev_co_u32_e32 v24, vcc, 0, v0, vcc
	v_sub_u32_e32 v0, 0, v24
	v_ldexp_f32 v1, v18, v0
	v_add_f32_e32 v18, -1.0, v1
	v_add_f32_e32 v20, 1.0, v1
	v_ldexp_f32 v0, v19, v0
	v_add_f32_e32 v19, 1.0, v18
	v_add_f32_e32 v21, -1.0, v20
	v_sub_f32_e32 v19, v1, v19
	v_sub_f32_e32 v1, v1, v21
	v_add_f32_e32 v19, v0, v19
	v_add_f32_e32 v0, v0, v1
	;; [unrolled: 1-line block ×3, first 2 shown]
	v_rcp_f32_e32 v27, v25
	v_sub_f32_e32 v1, v20, v25
	v_add_f32_e32 v26, v0, v1
	v_add_f32_e32 v1, v18, v19
	v_mul_f32_e32 v29, v1, v27
	v_sub_f32_e32 v0, v18, v1
	v_mul_f32_e32 v18, v25, v29
	v_fma_f32 v20, v29, v25, -v18
	v_fmac_f32_e32 v20, v29, v26
	v_add_f32_e32 v28, v19, v0
	v_add_f32_e32 v0, v18, v20
	v_sub_f32_e32 v19, v1, v0
	v_pk_add_f32 v[22:23], v[0:1], v[18:19] neg_lo:[0,1] neg_hi:[0,1]
	v_mov_b32_e32 v21, v0
	v_pk_add_f32 v[0:1], v[22:23], v[20:21] neg_lo:[0,1] neg_hi:[0,1]
	s_nop 0
	v_add_f32_e32 v1, v28, v1
	v_add_f32_e32 v0, v0, v1
	;; [unrolled: 1-line block ×3, first 2 shown]
	v_mul_f32_e32 v28, v27, v1
	v_mul_f32_e32 v18, v25, v28
	v_fma_f32 v20, v28, v25, -v18
	v_fmac_f32_e32 v20, v28, v26
	v_sub_f32_e32 v19, v19, v1
	v_add_f32_e32 v25, v0, v19
	v_add_f32_e32 v0, v18, v20
	v_sub_f32_e32 v19, v1, v0
	v_pk_add_f32 v[22:23], v[0:1], v[18:19] neg_lo:[0,1] neg_hi:[0,1]
	v_mov_b32_e32 v21, v0
	v_pk_add_f32 v[0:1], v[22:23], v[20:21] neg_lo:[0,1] neg_hi:[0,1]
	s_nop 0
	v_add_f32_e32 v1, v25, v1
	v_add_f32_e32 v0, v0, v1
	;; [unrolled: 1-line block ×4, first 2 shown]
	v_sub_f32_e32 v18, v1, v29
	v_mul_f32_e32 v0, v27, v0
	v_sub_f32_e32 v18, v28, v18
	v_add_f32_e32 v18, v18, v0
	v_add_f32_e32 v20, v1, v18
	v_mul_f32_e32 v21, v20, v20
	v_fmamk_f32 v0, v21, 0x3e9b6dac, v108
	v_fmaak_f32 v43, v21, v0, 0x3f2aaada
	v_cvt_f32_i32_e32 v0, v24
	v_sub_f32_e32 v1, v20, v1
	v_sub_f32_e32 v1, v18, v1
	v_ldexp_f32 v22, v1, 1
	v_mul_f32_e32 v1, v20, v21
	v_ldexp_f32 v19, v20, 1
	v_pk_mul_f32 v[20:21], v[0:1], v[42:43]
	s_nop 0
	v_fma_f32 v18, v0, s0, -v20
	v_fmac_f32_e32 v18, 0xb102e308, v0
	v_pk_add_f32 v[0:1], v[20:21], v[18:19]
	s_mov_b32 s0, 0x7f800000
	v_sub_f32_e32 v19, v1, v19
	v_sub_f32_e32 v19, v21, v19
	v_add_f32_e32 v23, v22, v19
	v_mov_b32_e32 v22, v20
	v_pk_add_f32 v[20:21], v[0:1], v[20:21] neg_lo:[0,1] neg_hi:[0,1]
	v_pk_add_f32 v[24:25], v[0:1], v[22:23]
	v_mov_b32_e32 v19, v0
	v_mov_b32_e32 v21, v25
	v_pk_add_f32 v[26:27], v[18:19], v[20:21] neg_lo:[0,1] neg_hi:[0,1]
	v_pk_add_f32 v[18:19], v[18:19], v[20:21]
	v_mov_b32_e32 v22, v23
	v_mov_b32_e32 v20, v19
	v_pk_add_f32 v[28:29], v[20:21], v[0:1] neg_lo:[0,1] neg_hi:[0,1]
	v_mov_b32_e32 v18, v25
	v_mov_b32_e32 v21, v28
	v_pk_add_f32 v[30:31], v[24:25], v[20:21] neg_lo:[0,1] neg_hi:[0,1]
	v_mov_b32_e32 v24, v1
	v_mov_b32_e32 v25, v28
	;; [unrolled: 1-line block ×3, first 2 shown]
	v_pk_add_f32 v[18:19], v[18:19], v[24:25] neg_lo:[0,1] neg_hi:[0,1]
	v_mov_b32_e32 v23, v0
	v_pk_add_f32 v[0:1], v[22:23], v[18:19] neg_lo:[0,1] neg_hi:[0,1]
	v_mov_b32_e32 v30, v26
	v_pk_add_f32 v[18:19], v[30:31], v[0:1]
	v_cmp_eq_f32_e32 vcc, s0, v32
	v_mov_b32_e32 v22, v19
	v_pk_add_f32 v[22:23], v[18:19], v[22:23]
	s_mov_b32 s0, 0x33800000
	v_pk_add_f32 v[20:21], v[20:21], v[22:23]
	v_mov_b32_e32 v1, v22
	v_mov_b32_e32 v19, v20
	v_pk_add_f32 v[24:25], v[18:19], v[26:27] neg_lo:[0,1] neg_hi:[0,1]
	v_cmp_gt_f32_e64 s[2:3], s0, v32
	v_sub_f32_e32 v18, v18, v24
	v_pk_add_f32 v[0:1], v[0:1], v[24:25] neg_lo:[0,1] neg_hi:[0,1]
	v_sub_f32_e32 v18, v26, v18
	v_add_f32_e32 v0, v0, v18
	v_add_f32_e32 v0, v0, v1
	;; [unrolled: 1-line block ×3, first 2 shown]
	s_or_b64 vcc, s[2:3], vcc
	v_cndmask_b32_e32 v121, v0, v32, vcc
.LBB91_42:                              ;   in Loop: Header=BB91_14 Depth=1
	s_or_b64 exec, exec, s[30:31]
	v_cvt_f32_f16_e32 v0, v3
	s_mov_b32 s0, 0x41a00000
	v_add_f32_e32 v122, s33, v0
	v_cmp_ge_f32_e32 vcc, s0, v122
	s_and_b64 s[0:1], s[88:89], vcc
	s_and_saveexec_b64 s[30:31], s[0:1]
	s_cbranch_execz .LBB91_44
; %bb.43:                               ;   in Loop: Header=BB91_14 Depth=1
	v_mul_f32_e32 v0, 0x3fb8aa3b, v122
	v_rndne_f32_e32 v1, v0
	s_mov_b32 s0, 0x3fb8aa3b
	v_sub_f32_e32 v18, v0, v1
	v_fma_f32 v0, v122, s0, -v0
	v_fmac_f32_e32 v0, 0x32a5705f, v122
	v_add_f32_e32 v0, v18, v0
	v_cvt_i32_f32_e32 v1, v1
	v_exp_f32_e32 v0, v0
	s_mov_b32 s0, 0xc2ce8ed0
	v_cmp_ngt_f32_e32 vcc, s0, v122
	s_mov_b32 s0, 0x42b17218
	v_ldexp_f32 v0, v0, v1
	v_cndmask_b32_e32 v0, 0, v0, vcc
	v_cmp_nlt_f32_e32 vcc, s0, v122
	s_mov_b32 s0, 0x3f2aaaab
	s_nop 0
	v_cndmask_b32_e32 v32, v109, v0, vcc
	v_add_f32_e32 v18, 1.0, v32
	v_add_f32_e32 v0, -1.0, v18
	v_sub_f32_e32 v1, v0, v18
	v_add_f32_e32 v1, 1.0, v1
	v_sub_f32_e32 v0, v32, v0
	v_add_f32_e32 v19, v0, v1
	v_frexp_mant_f32_e32 v20, v18
	v_cvt_f64_f32_e32 v[0:1], v18
	v_frexp_exp_i32_f64_e32 v0, v[0:1]
	v_cmp_gt_f32_e32 vcc, s0, v20
	s_mov_b32 s0, 0x3f317218
	s_nop 0
	v_subbrev_co_u32_e32 v24, vcc, 0, v0, vcc
	v_sub_u32_e32 v0, 0, v24
	v_ldexp_f32 v1, v18, v0
	v_add_f32_e32 v18, -1.0, v1
	v_add_f32_e32 v20, 1.0, v1
	v_ldexp_f32 v0, v19, v0
	v_add_f32_e32 v19, 1.0, v18
	v_add_f32_e32 v21, -1.0, v20
	v_sub_f32_e32 v19, v1, v19
	v_sub_f32_e32 v1, v1, v21
	v_add_f32_e32 v19, v0, v19
	v_add_f32_e32 v0, v0, v1
	;; [unrolled: 1-line block ×3, first 2 shown]
	v_rcp_f32_e32 v27, v25
	v_sub_f32_e32 v1, v20, v25
	v_add_f32_e32 v26, v0, v1
	v_add_f32_e32 v1, v18, v19
	v_mul_f32_e32 v29, v1, v27
	v_sub_f32_e32 v0, v18, v1
	v_mul_f32_e32 v18, v25, v29
	v_fma_f32 v20, v29, v25, -v18
	v_fmac_f32_e32 v20, v29, v26
	v_add_f32_e32 v28, v19, v0
	v_add_f32_e32 v0, v18, v20
	v_sub_f32_e32 v19, v1, v0
	v_pk_add_f32 v[22:23], v[0:1], v[18:19] neg_lo:[0,1] neg_hi:[0,1]
	v_mov_b32_e32 v21, v0
	v_pk_add_f32 v[0:1], v[22:23], v[20:21] neg_lo:[0,1] neg_hi:[0,1]
	s_nop 0
	v_add_f32_e32 v1, v28, v1
	v_add_f32_e32 v0, v0, v1
	;; [unrolled: 1-line block ×3, first 2 shown]
	v_mul_f32_e32 v28, v27, v1
	v_mul_f32_e32 v18, v25, v28
	v_fma_f32 v20, v28, v25, -v18
	v_fmac_f32_e32 v20, v28, v26
	v_sub_f32_e32 v19, v19, v1
	v_add_f32_e32 v25, v0, v19
	v_add_f32_e32 v0, v18, v20
	v_sub_f32_e32 v19, v1, v0
	v_pk_add_f32 v[22:23], v[0:1], v[18:19] neg_lo:[0,1] neg_hi:[0,1]
	v_mov_b32_e32 v21, v0
	v_pk_add_f32 v[0:1], v[22:23], v[20:21] neg_lo:[0,1] neg_hi:[0,1]
	s_nop 0
	v_add_f32_e32 v1, v25, v1
	v_add_f32_e32 v0, v0, v1
	;; [unrolled: 1-line block ×4, first 2 shown]
	v_sub_f32_e32 v18, v1, v29
	v_mul_f32_e32 v0, v27, v0
	v_sub_f32_e32 v18, v28, v18
	v_add_f32_e32 v18, v18, v0
	v_add_f32_e32 v20, v1, v18
	v_mul_f32_e32 v21, v20, v20
	v_fmamk_f32 v0, v21, 0x3e9b6dac, v108
	v_fmaak_f32 v43, v21, v0, 0x3f2aaada
	v_cvt_f32_i32_e32 v0, v24
	v_sub_f32_e32 v1, v20, v1
	v_sub_f32_e32 v1, v18, v1
	v_ldexp_f32 v22, v1, 1
	v_mul_f32_e32 v1, v20, v21
	v_ldexp_f32 v19, v20, 1
	v_pk_mul_f32 v[20:21], v[0:1], v[42:43]
	s_nop 0
	v_fma_f32 v18, v0, s0, -v20
	v_fmac_f32_e32 v18, 0xb102e308, v0
	v_pk_add_f32 v[0:1], v[20:21], v[18:19]
	s_mov_b32 s0, 0x7f800000
	v_sub_f32_e32 v19, v1, v19
	v_sub_f32_e32 v19, v21, v19
	v_add_f32_e32 v23, v22, v19
	v_mov_b32_e32 v22, v20
	v_pk_add_f32 v[20:21], v[0:1], v[20:21] neg_lo:[0,1] neg_hi:[0,1]
	v_pk_add_f32 v[24:25], v[0:1], v[22:23]
	v_mov_b32_e32 v19, v0
	v_mov_b32_e32 v21, v25
	v_pk_add_f32 v[26:27], v[18:19], v[20:21] neg_lo:[0,1] neg_hi:[0,1]
	v_pk_add_f32 v[18:19], v[18:19], v[20:21]
	v_mov_b32_e32 v22, v23
	v_mov_b32_e32 v20, v19
	v_pk_add_f32 v[28:29], v[20:21], v[0:1] neg_lo:[0,1] neg_hi:[0,1]
	v_mov_b32_e32 v18, v25
	v_mov_b32_e32 v21, v28
	v_pk_add_f32 v[30:31], v[24:25], v[20:21] neg_lo:[0,1] neg_hi:[0,1]
	v_mov_b32_e32 v24, v1
	v_mov_b32_e32 v25, v28
	;; [unrolled: 1-line block ×3, first 2 shown]
	v_pk_add_f32 v[18:19], v[18:19], v[24:25] neg_lo:[0,1] neg_hi:[0,1]
	v_mov_b32_e32 v23, v0
	v_pk_add_f32 v[0:1], v[22:23], v[18:19] neg_lo:[0,1] neg_hi:[0,1]
	v_mov_b32_e32 v30, v26
	v_pk_add_f32 v[18:19], v[30:31], v[0:1]
	v_cmp_eq_f32_e32 vcc, s0, v32
	v_mov_b32_e32 v22, v19
	v_pk_add_f32 v[22:23], v[18:19], v[22:23]
	s_mov_b32 s0, 0x33800000
	v_pk_add_f32 v[20:21], v[20:21], v[22:23]
	v_mov_b32_e32 v1, v22
	v_mov_b32_e32 v19, v20
	v_pk_add_f32 v[24:25], v[18:19], v[26:27] neg_lo:[0,1] neg_hi:[0,1]
	v_cmp_gt_f32_e64 s[2:3], s0, v32
	v_sub_f32_e32 v18, v18, v24
	v_pk_add_f32 v[0:1], v[0:1], v[24:25] neg_lo:[0,1] neg_hi:[0,1]
	v_sub_f32_e32 v18, v26, v18
	v_add_f32_e32 v0, v0, v18
	v_add_f32_e32 v0, v0, v1
	;; [unrolled: 1-line block ×3, first 2 shown]
	s_or_b64 vcc, s[2:3], vcc
	v_cndmask_b32_e32 v122, v0, v32, vcc
.LBB91_44:                              ;   in Loop: Header=BB91_14 Depth=1
	s_or_b64 exec, exec, s[30:31]
	v_cvt_f32_f16_sdwa v0, v3 dst_sel:DWORD dst_unused:UNUSED_PAD src0_sel:WORD_1
	s_mov_b32 s0, 0x41a00000
	v_add_f32_e32 v123, s33, v0
	v_cmp_ge_f32_e32 vcc, s0, v123
	s_and_b64 s[0:1], s[88:89], vcc
	s_and_saveexec_b64 s[30:31], s[0:1]
	s_cbranch_execz .LBB91_46
; %bb.45:                               ;   in Loop: Header=BB91_14 Depth=1
	v_mul_f32_e32 v0, 0x3fb8aa3b, v123
	v_rndne_f32_e32 v1, v0
	s_mov_b32 s0, 0x3fb8aa3b
	v_sub_f32_e32 v18, v0, v1
	v_fma_f32 v0, v123, s0, -v0
	v_fmac_f32_e32 v0, 0x32a5705f, v123
	v_add_f32_e32 v0, v18, v0
	v_cvt_i32_f32_e32 v1, v1
	v_exp_f32_e32 v0, v0
	s_mov_b32 s0, 0xc2ce8ed0
	v_cmp_ngt_f32_e32 vcc, s0, v123
	s_mov_b32 s0, 0x42b17218
	v_ldexp_f32 v0, v0, v1
	v_cndmask_b32_e32 v0, 0, v0, vcc
	v_cmp_nlt_f32_e32 vcc, s0, v123
	s_mov_b32 s0, 0x3f2aaaab
	s_nop 0
	v_cndmask_b32_e32 v32, v109, v0, vcc
	v_add_f32_e32 v18, 1.0, v32
	v_add_f32_e32 v0, -1.0, v18
	v_sub_f32_e32 v1, v0, v18
	v_add_f32_e32 v1, 1.0, v1
	v_sub_f32_e32 v0, v32, v0
	v_add_f32_e32 v19, v0, v1
	v_frexp_mant_f32_e32 v20, v18
	v_cvt_f64_f32_e32 v[0:1], v18
	v_frexp_exp_i32_f64_e32 v0, v[0:1]
	v_cmp_gt_f32_e32 vcc, s0, v20
	s_mov_b32 s0, 0x3f317218
	s_nop 0
	v_subbrev_co_u32_e32 v24, vcc, 0, v0, vcc
	v_sub_u32_e32 v0, 0, v24
	v_ldexp_f32 v1, v18, v0
	v_add_f32_e32 v18, -1.0, v1
	v_add_f32_e32 v20, 1.0, v1
	v_ldexp_f32 v0, v19, v0
	v_add_f32_e32 v19, 1.0, v18
	v_add_f32_e32 v21, -1.0, v20
	v_sub_f32_e32 v19, v1, v19
	v_sub_f32_e32 v1, v1, v21
	v_add_f32_e32 v19, v0, v19
	v_add_f32_e32 v0, v0, v1
	;; [unrolled: 1-line block ×3, first 2 shown]
	v_rcp_f32_e32 v27, v25
	v_sub_f32_e32 v1, v20, v25
	v_add_f32_e32 v26, v0, v1
	v_add_f32_e32 v1, v18, v19
	v_mul_f32_e32 v29, v1, v27
	v_sub_f32_e32 v0, v18, v1
	v_mul_f32_e32 v18, v25, v29
	v_fma_f32 v20, v29, v25, -v18
	v_fmac_f32_e32 v20, v29, v26
	v_add_f32_e32 v28, v19, v0
	v_add_f32_e32 v0, v18, v20
	v_sub_f32_e32 v19, v1, v0
	v_pk_add_f32 v[22:23], v[0:1], v[18:19] neg_lo:[0,1] neg_hi:[0,1]
	v_mov_b32_e32 v21, v0
	v_pk_add_f32 v[0:1], v[22:23], v[20:21] neg_lo:[0,1] neg_hi:[0,1]
	s_nop 0
	v_add_f32_e32 v1, v28, v1
	v_add_f32_e32 v0, v0, v1
	;; [unrolled: 1-line block ×3, first 2 shown]
	v_mul_f32_e32 v28, v27, v1
	v_mul_f32_e32 v18, v25, v28
	v_fma_f32 v20, v28, v25, -v18
	v_fmac_f32_e32 v20, v28, v26
	v_sub_f32_e32 v19, v19, v1
	v_add_f32_e32 v25, v0, v19
	v_add_f32_e32 v0, v18, v20
	v_sub_f32_e32 v19, v1, v0
	v_pk_add_f32 v[22:23], v[0:1], v[18:19] neg_lo:[0,1] neg_hi:[0,1]
	v_mov_b32_e32 v21, v0
	v_pk_add_f32 v[0:1], v[22:23], v[20:21] neg_lo:[0,1] neg_hi:[0,1]
	s_nop 0
	v_add_f32_e32 v1, v25, v1
	v_add_f32_e32 v0, v0, v1
	v_add_f32_e32 v1, v29, v28
	v_add_f32_e32 v0, v19, v0
	v_sub_f32_e32 v18, v1, v29
	v_mul_f32_e32 v0, v27, v0
	v_sub_f32_e32 v18, v28, v18
	v_add_f32_e32 v18, v18, v0
	v_add_f32_e32 v20, v1, v18
	v_mul_f32_e32 v21, v20, v20
	v_fmamk_f32 v0, v21, 0x3e9b6dac, v108
	v_fmaak_f32 v43, v21, v0, 0x3f2aaada
	v_cvt_f32_i32_e32 v0, v24
	v_sub_f32_e32 v1, v20, v1
	v_sub_f32_e32 v1, v18, v1
	v_ldexp_f32 v22, v1, 1
	v_mul_f32_e32 v1, v20, v21
	v_ldexp_f32 v19, v20, 1
	v_pk_mul_f32 v[20:21], v[0:1], v[42:43]
	s_nop 0
	v_fma_f32 v18, v0, s0, -v20
	v_fmac_f32_e32 v18, 0xb102e308, v0
	v_pk_add_f32 v[0:1], v[20:21], v[18:19]
	s_mov_b32 s0, 0x7f800000
	v_sub_f32_e32 v19, v1, v19
	v_sub_f32_e32 v19, v21, v19
	v_add_f32_e32 v23, v22, v19
	v_mov_b32_e32 v22, v20
	v_pk_add_f32 v[20:21], v[0:1], v[20:21] neg_lo:[0,1] neg_hi:[0,1]
	v_pk_add_f32 v[24:25], v[0:1], v[22:23]
	v_mov_b32_e32 v19, v0
	v_mov_b32_e32 v21, v25
	v_pk_add_f32 v[26:27], v[18:19], v[20:21] neg_lo:[0,1] neg_hi:[0,1]
	v_pk_add_f32 v[18:19], v[18:19], v[20:21]
	v_mov_b32_e32 v22, v23
	v_mov_b32_e32 v20, v19
	v_pk_add_f32 v[28:29], v[20:21], v[0:1] neg_lo:[0,1] neg_hi:[0,1]
	v_mov_b32_e32 v18, v25
	v_mov_b32_e32 v21, v28
	v_pk_add_f32 v[30:31], v[24:25], v[20:21] neg_lo:[0,1] neg_hi:[0,1]
	v_mov_b32_e32 v24, v1
	v_mov_b32_e32 v25, v28
	;; [unrolled: 1-line block ×3, first 2 shown]
	v_pk_add_f32 v[18:19], v[18:19], v[24:25] neg_lo:[0,1] neg_hi:[0,1]
	v_mov_b32_e32 v23, v0
	v_pk_add_f32 v[0:1], v[22:23], v[18:19] neg_lo:[0,1] neg_hi:[0,1]
	v_mov_b32_e32 v30, v26
	v_pk_add_f32 v[18:19], v[30:31], v[0:1]
	v_cmp_eq_f32_e32 vcc, s0, v32
	v_mov_b32_e32 v22, v19
	v_pk_add_f32 v[22:23], v[18:19], v[22:23]
	s_mov_b32 s0, 0x33800000
	v_pk_add_f32 v[20:21], v[20:21], v[22:23]
	v_mov_b32_e32 v1, v22
	v_mov_b32_e32 v19, v20
	v_pk_add_f32 v[24:25], v[18:19], v[26:27] neg_lo:[0,1] neg_hi:[0,1]
	v_cmp_gt_f32_e64 s[2:3], s0, v32
	v_sub_f32_e32 v18, v18, v24
	v_pk_add_f32 v[0:1], v[0:1], v[24:25] neg_lo:[0,1] neg_hi:[0,1]
	v_sub_f32_e32 v18, v26, v18
	v_add_f32_e32 v0, v0, v18
	v_add_f32_e32 v0, v0, v1
	;; [unrolled: 1-line block ×3, first 2 shown]
	s_or_b64 vcc, s[2:3], vcc
	v_cndmask_b32_e32 v123, v0, v32, vcc
.LBB91_46:                              ;   in Loop: Header=BB91_14 Depth=1
	s_or_b64 exec, exec, s[30:31]
	v_cvt_f32_f16_e32 v0, v4
	s_mov_b32 s0, 0x41a00000
	v_add_f32_e32 v124, s33, v0
	v_cmp_ge_f32_e32 vcc, s0, v124
	s_and_b64 s[0:1], s[88:89], vcc
	s_and_saveexec_b64 s[30:31], s[0:1]
	s_cbranch_execz .LBB91_48
; %bb.47:                               ;   in Loop: Header=BB91_14 Depth=1
	v_mul_f32_e32 v0, 0x3fb8aa3b, v124
	v_rndne_f32_e32 v1, v0
	s_mov_b32 s0, 0x3fb8aa3b
	v_sub_f32_e32 v18, v0, v1
	v_fma_f32 v0, v124, s0, -v0
	v_fmac_f32_e32 v0, 0x32a5705f, v124
	v_add_f32_e32 v0, v18, v0
	v_cvt_i32_f32_e32 v1, v1
	v_exp_f32_e32 v0, v0
	s_mov_b32 s0, 0xc2ce8ed0
	v_cmp_ngt_f32_e32 vcc, s0, v124
	s_mov_b32 s0, 0x42b17218
	v_ldexp_f32 v0, v0, v1
	v_cndmask_b32_e32 v0, 0, v0, vcc
	v_cmp_nlt_f32_e32 vcc, s0, v124
	s_mov_b32 s0, 0x3f2aaaab
	s_nop 0
	v_cndmask_b32_e32 v32, v109, v0, vcc
	v_add_f32_e32 v18, 1.0, v32
	v_add_f32_e32 v0, -1.0, v18
	v_sub_f32_e32 v1, v0, v18
	v_add_f32_e32 v1, 1.0, v1
	v_sub_f32_e32 v0, v32, v0
	v_add_f32_e32 v19, v0, v1
	v_frexp_mant_f32_e32 v20, v18
	v_cvt_f64_f32_e32 v[0:1], v18
	v_frexp_exp_i32_f64_e32 v0, v[0:1]
	v_cmp_gt_f32_e32 vcc, s0, v20
	s_mov_b32 s0, 0x3f317218
	s_nop 0
	v_subbrev_co_u32_e32 v24, vcc, 0, v0, vcc
	v_sub_u32_e32 v0, 0, v24
	v_ldexp_f32 v1, v18, v0
	v_add_f32_e32 v18, -1.0, v1
	v_add_f32_e32 v20, 1.0, v1
	v_ldexp_f32 v0, v19, v0
	v_add_f32_e32 v19, 1.0, v18
	v_add_f32_e32 v21, -1.0, v20
	v_sub_f32_e32 v19, v1, v19
	v_sub_f32_e32 v1, v1, v21
	v_add_f32_e32 v19, v0, v19
	v_add_f32_e32 v0, v0, v1
	;; [unrolled: 1-line block ×3, first 2 shown]
	v_rcp_f32_e32 v27, v25
	v_sub_f32_e32 v1, v20, v25
	v_add_f32_e32 v26, v0, v1
	v_add_f32_e32 v1, v18, v19
	v_mul_f32_e32 v29, v1, v27
	v_sub_f32_e32 v0, v18, v1
	v_mul_f32_e32 v18, v25, v29
	v_fma_f32 v20, v29, v25, -v18
	v_fmac_f32_e32 v20, v29, v26
	v_add_f32_e32 v28, v19, v0
	v_add_f32_e32 v0, v18, v20
	v_sub_f32_e32 v19, v1, v0
	v_pk_add_f32 v[22:23], v[0:1], v[18:19] neg_lo:[0,1] neg_hi:[0,1]
	v_mov_b32_e32 v21, v0
	v_pk_add_f32 v[0:1], v[22:23], v[20:21] neg_lo:[0,1] neg_hi:[0,1]
	s_nop 0
	v_add_f32_e32 v1, v28, v1
	v_add_f32_e32 v0, v0, v1
	v_add_f32_e32 v1, v19, v0
	v_mul_f32_e32 v28, v27, v1
	v_mul_f32_e32 v18, v25, v28
	v_fma_f32 v20, v28, v25, -v18
	v_fmac_f32_e32 v20, v28, v26
	v_sub_f32_e32 v19, v19, v1
	v_add_f32_e32 v25, v0, v19
	v_add_f32_e32 v0, v18, v20
	v_sub_f32_e32 v19, v1, v0
	v_pk_add_f32 v[22:23], v[0:1], v[18:19] neg_lo:[0,1] neg_hi:[0,1]
	v_mov_b32_e32 v21, v0
	v_pk_add_f32 v[0:1], v[22:23], v[20:21] neg_lo:[0,1] neg_hi:[0,1]
	s_nop 0
	v_add_f32_e32 v1, v25, v1
	v_add_f32_e32 v0, v0, v1
	;; [unrolled: 1-line block ×4, first 2 shown]
	v_sub_f32_e32 v18, v1, v29
	v_mul_f32_e32 v0, v27, v0
	v_sub_f32_e32 v18, v28, v18
	v_add_f32_e32 v18, v18, v0
	v_add_f32_e32 v20, v1, v18
	v_mul_f32_e32 v21, v20, v20
	v_fmamk_f32 v0, v21, 0x3e9b6dac, v108
	v_fmaak_f32 v43, v21, v0, 0x3f2aaada
	v_cvt_f32_i32_e32 v0, v24
	v_sub_f32_e32 v1, v20, v1
	v_sub_f32_e32 v1, v18, v1
	v_ldexp_f32 v22, v1, 1
	v_mul_f32_e32 v1, v20, v21
	v_ldexp_f32 v19, v20, 1
	v_pk_mul_f32 v[20:21], v[0:1], v[42:43]
	s_nop 0
	v_fma_f32 v18, v0, s0, -v20
	v_fmac_f32_e32 v18, 0xb102e308, v0
	v_pk_add_f32 v[0:1], v[20:21], v[18:19]
	s_mov_b32 s0, 0x7f800000
	v_sub_f32_e32 v19, v1, v19
	v_sub_f32_e32 v19, v21, v19
	v_add_f32_e32 v23, v22, v19
	v_mov_b32_e32 v22, v20
	v_pk_add_f32 v[20:21], v[0:1], v[20:21] neg_lo:[0,1] neg_hi:[0,1]
	v_pk_add_f32 v[24:25], v[0:1], v[22:23]
	v_mov_b32_e32 v19, v0
	v_mov_b32_e32 v21, v25
	v_pk_add_f32 v[26:27], v[18:19], v[20:21] neg_lo:[0,1] neg_hi:[0,1]
	v_pk_add_f32 v[18:19], v[18:19], v[20:21]
	v_mov_b32_e32 v22, v23
	v_mov_b32_e32 v20, v19
	v_pk_add_f32 v[28:29], v[20:21], v[0:1] neg_lo:[0,1] neg_hi:[0,1]
	v_mov_b32_e32 v18, v25
	v_mov_b32_e32 v21, v28
	v_pk_add_f32 v[30:31], v[24:25], v[20:21] neg_lo:[0,1] neg_hi:[0,1]
	v_mov_b32_e32 v24, v1
	v_mov_b32_e32 v25, v28
	;; [unrolled: 1-line block ×3, first 2 shown]
	v_pk_add_f32 v[18:19], v[18:19], v[24:25] neg_lo:[0,1] neg_hi:[0,1]
	v_mov_b32_e32 v23, v0
	v_pk_add_f32 v[0:1], v[22:23], v[18:19] neg_lo:[0,1] neg_hi:[0,1]
	v_mov_b32_e32 v30, v26
	v_pk_add_f32 v[18:19], v[30:31], v[0:1]
	v_cmp_eq_f32_e32 vcc, s0, v32
	v_mov_b32_e32 v22, v19
	v_pk_add_f32 v[22:23], v[18:19], v[22:23]
	s_mov_b32 s0, 0x33800000
	v_pk_add_f32 v[20:21], v[20:21], v[22:23]
	v_mov_b32_e32 v1, v22
	v_mov_b32_e32 v19, v20
	v_pk_add_f32 v[24:25], v[18:19], v[26:27] neg_lo:[0,1] neg_hi:[0,1]
	v_cmp_gt_f32_e64 s[2:3], s0, v32
	v_sub_f32_e32 v18, v18, v24
	v_pk_add_f32 v[0:1], v[0:1], v[24:25] neg_lo:[0,1] neg_hi:[0,1]
	v_sub_f32_e32 v18, v26, v18
	v_add_f32_e32 v0, v0, v18
	v_add_f32_e32 v0, v0, v1
	;; [unrolled: 1-line block ×3, first 2 shown]
	s_or_b64 vcc, s[2:3], vcc
	v_cndmask_b32_e32 v124, v0, v32, vcc
.LBB91_48:                              ;   in Loop: Header=BB91_14 Depth=1
	s_or_b64 exec, exec, s[30:31]
	v_cvt_f32_f16_sdwa v0, v4 dst_sel:DWORD dst_unused:UNUSED_PAD src0_sel:WORD_1
	s_mov_b32 s0, 0x41a00000
	v_add_f32_e32 v125, s33, v0
	v_cmp_ge_f32_e32 vcc, s0, v125
	s_and_b64 s[0:1], s[88:89], vcc
	s_and_saveexec_b64 s[30:31], s[0:1]
	s_cbranch_execz .LBB91_50
; %bb.49:                               ;   in Loop: Header=BB91_14 Depth=1
	v_mul_f32_e32 v0, 0x3fb8aa3b, v125
	v_rndne_f32_e32 v1, v0
	s_mov_b32 s0, 0x3fb8aa3b
	v_sub_f32_e32 v18, v0, v1
	v_fma_f32 v0, v125, s0, -v0
	v_fmac_f32_e32 v0, 0x32a5705f, v125
	v_add_f32_e32 v0, v18, v0
	v_cvt_i32_f32_e32 v1, v1
	v_exp_f32_e32 v0, v0
	s_mov_b32 s0, 0xc2ce8ed0
	v_cmp_ngt_f32_e32 vcc, s0, v125
	s_mov_b32 s0, 0x42b17218
	v_ldexp_f32 v0, v0, v1
	v_cndmask_b32_e32 v0, 0, v0, vcc
	v_cmp_nlt_f32_e32 vcc, s0, v125
	s_mov_b32 s0, 0x3f2aaaab
	s_nop 0
	v_cndmask_b32_e32 v32, v109, v0, vcc
	v_add_f32_e32 v18, 1.0, v32
	v_add_f32_e32 v0, -1.0, v18
	v_sub_f32_e32 v1, v0, v18
	v_add_f32_e32 v1, 1.0, v1
	v_sub_f32_e32 v0, v32, v0
	v_add_f32_e32 v19, v0, v1
	v_frexp_mant_f32_e32 v20, v18
	v_cvt_f64_f32_e32 v[0:1], v18
	v_frexp_exp_i32_f64_e32 v0, v[0:1]
	v_cmp_gt_f32_e32 vcc, s0, v20
	s_mov_b32 s0, 0x3f317218
	s_nop 0
	v_subbrev_co_u32_e32 v24, vcc, 0, v0, vcc
	v_sub_u32_e32 v0, 0, v24
	v_ldexp_f32 v1, v18, v0
	v_add_f32_e32 v18, -1.0, v1
	v_add_f32_e32 v20, 1.0, v1
	v_ldexp_f32 v0, v19, v0
	v_add_f32_e32 v19, 1.0, v18
	v_add_f32_e32 v21, -1.0, v20
	v_sub_f32_e32 v19, v1, v19
	v_sub_f32_e32 v1, v1, v21
	v_add_f32_e32 v19, v0, v19
	v_add_f32_e32 v0, v0, v1
	;; [unrolled: 1-line block ×3, first 2 shown]
	v_rcp_f32_e32 v27, v25
	v_sub_f32_e32 v1, v20, v25
	v_add_f32_e32 v26, v0, v1
	v_add_f32_e32 v1, v18, v19
	v_mul_f32_e32 v29, v1, v27
	v_sub_f32_e32 v0, v18, v1
	v_mul_f32_e32 v18, v25, v29
	v_fma_f32 v20, v29, v25, -v18
	v_fmac_f32_e32 v20, v29, v26
	v_add_f32_e32 v28, v19, v0
	v_add_f32_e32 v0, v18, v20
	v_sub_f32_e32 v19, v1, v0
	v_pk_add_f32 v[22:23], v[0:1], v[18:19] neg_lo:[0,1] neg_hi:[0,1]
	v_mov_b32_e32 v21, v0
	v_pk_add_f32 v[0:1], v[22:23], v[20:21] neg_lo:[0,1] neg_hi:[0,1]
	s_nop 0
	v_add_f32_e32 v1, v28, v1
	v_add_f32_e32 v0, v0, v1
	;; [unrolled: 1-line block ×3, first 2 shown]
	v_mul_f32_e32 v28, v27, v1
	v_mul_f32_e32 v18, v25, v28
	v_fma_f32 v20, v28, v25, -v18
	v_fmac_f32_e32 v20, v28, v26
	v_sub_f32_e32 v19, v19, v1
	v_add_f32_e32 v25, v0, v19
	v_add_f32_e32 v0, v18, v20
	v_sub_f32_e32 v19, v1, v0
	v_pk_add_f32 v[22:23], v[0:1], v[18:19] neg_lo:[0,1] neg_hi:[0,1]
	v_mov_b32_e32 v21, v0
	v_pk_add_f32 v[0:1], v[22:23], v[20:21] neg_lo:[0,1] neg_hi:[0,1]
	s_nop 0
	v_add_f32_e32 v1, v25, v1
	v_add_f32_e32 v0, v0, v1
	;; [unrolled: 1-line block ×4, first 2 shown]
	v_sub_f32_e32 v18, v1, v29
	v_mul_f32_e32 v0, v27, v0
	v_sub_f32_e32 v18, v28, v18
	v_add_f32_e32 v18, v18, v0
	v_add_f32_e32 v20, v1, v18
	v_mul_f32_e32 v21, v20, v20
	v_fmamk_f32 v0, v21, 0x3e9b6dac, v108
	v_fmaak_f32 v43, v21, v0, 0x3f2aaada
	v_cvt_f32_i32_e32 v0, v24
	v_sub_f32_e32 v1, v20, v1
	v_sub_f32_e32 v1, v18, v1
	v_ldexp_f32 v22, v1, 1
	v_mul_f32_e32 v1, v20, v21
	v_ldexp_f32 v19, v20, 1
	v_pk_mul_f32 v[20:21], v[0:1], v[42:43]
	s_nop 0
	v_fma_f32 v18, v0, s0, -v20
	v_fmac_f32_e32 v18, 0xb102e308, v0
	v_pk_add_f32 v[0:1], v[20:21], v[18:19]
	s_mov_b32 s0, 0x7f800000
	v_sub_f32_e32 v19, v1, v19
	v_sub_f32_e32 v19, v21, v19
	v_add_f32_e32 v23, v22, v19
	v_mov_b32_e32 v22, v20
	v_pk_add_f32 v[20:21], v[0:1], v[20:21] neg_lo:[0,1] neg_hi:[0,1]
	v_pk_add_f32 v[24:25], v[0:1], v[22:23]
	v_mov_b32_e32 v19, v0
	v_mov_b32_e32 v21, v25
	v_pk_add_f32 v[26:27], v[18:19], v[20:21] neg_lo:[0,1] neg_hi:[0,1]
	v_pk_add_f32 v[18:19], v[18:19], v[20:21]
	v_mov_b32_e32 v22, v23
	v_mov_b32_e32 v20, v19
	v_pk_add_f32 v[28:29], v[20:21], v[0:1] neg_lo:[0,1] neg_hi:[0,1]
	v_mov_b32_e32 v18, v25
	v_mov_b32_e32 v21, v28
	v_pk_add_f32 v[30:31], v[24:25], v[20:21] neg_lo:[0,1] neg_hi:[0,1]
	v_mov_b32_e32 v24, v1
	v_mov_b32_e32 v25, v28
	;; [unrolled: 1-line block ×3, first 2 shown]
	v_pk_add_f32 v[18:19], v[18:19], v[24:25] neg_lo:[0,1] neg_hi:[0,1]
	v_mov_b32_e32 v23, v0
	v_pk_add_f32 v[0:1], v[22:23], v[18:19] neg_lo:[0,1] neg_hi:[0,1]
	v_mov_b32_e32 v30, v26
	v_pk_add_f32 v[18:19], v[30:31], v[0:1]
	v_cmp_eq_f32_e32 vcc, s0, v32
	v_mov_b32_e32 v22, v19
	v_pk_add_f32 v[22:23], v[18:19], v[22:23]
	s_mov_b32 s0, 0x33800000
	v_pk_add_f32 v[20:21], v[20:21], v[22:23]
	v_mov_b32_e32 v1, v22
	v_mov_b32_e32 v19, v20
	v_pk_add_f32 v[24:25], v[18:19], v[26:27] neg_lo:[0,1] neg_hi:[0,1]
	v_cmp_gt_f32_e64 s[2:3], s0, v32
	v_sub_f32_e32 v18, v18, v24
	v_pk_add_f32 v[0:1], v[0:1], v[24:25] neg_lo:[0,1] neg_hi:[0,1]
	v_sub_f32_e32 v18, v26, v18
	v_add_f32_e32 v0, v0, v18
	v_add_f32_e32 v0, v0, v1
	;; [unrolled: 1-line block ×3, first 2 shown]
	s_or_b64 vcc, s[2:3], vcc
	v_cndmask_b32_e32 v125, v0, v32, vcc
.LBB91_50:                              ;   in Loop: Header=BB91_14 Depth=1
	s_or_b64 exec, exec, s[30:31]
	v_cvt_f32_f16_e32 v0, v5
	s_mov_b32 s0, 0x41a00000
	v_add_f32_e32 v0, s33, v0
	v_cmp_ge_f32_e32 vcc, s0, v0
	s_and_b64 s[0:1], s[88:89], vcc
	s_and_saveexec_b64 s[30:31], s[0:1]
	s_cbranch_execz .LBB91_52
; %bb.51:                               ;   in Loop: Header=BB91_14 Depth=1
	v_mul_f32_e32 v1, 0x3fb8aa3b, v0
	v_rndne_f32_e32 v18, v1
	s_mov_b32 s0, 0x3fb8aa3b
	v_sub_f32_e32 v19, v1, v18
	v_fma_f32 v1, v0, s0, -v1
	v_fmac_f32_e32 v1, 0x32a5705f, v0
	v_add_f32_e32 v1, v19, v1
	v_cvt_i32_f32_e32 v18, v18
	v_exp_f32_e32 v1, v1
	s_mov_b32 s0, 0xc2ce8ed0
	v_cmp_ngt_f32_e32 vcc, s0, v0
	s_mov_b32 s0, 0x42b17218
	v_ldexp_f32 v1, v1, v18
	v_cndmask_b32_e32 v1, 0, v1, vcc
	v_cmp_nlt_f32_e32 vcc, s0, v0
	s_mov_b32 s0, 0x3f2aaaab
	s_nop 0
	v_cndmask_b32_e32 v32, v109, v1, vcc
	v_add_f32_e32 v18, 1.0, v32
	v_add_f32_e32 v0, -1.0, v18
	v_sub_f32_e32 v1, v0, v18
	v_add_f32_e32 v1, 1.0, v1
	v_sub_f32_e32 v0, v32, v0
	v_add_f32_e32 v19, v0, v1
	v_frexp_mant_f32_e32 v20, v18
	v_cvt_f64_f32_e32 v[0:1], v18
	v_frexp_exp_i32_f64_e32 v0, v[0:1]
	v_cmp_gt_f32_e32 vcc, s0, v20
	s_mov_b32 s0, 0x3f317218
	s_nop 0
	v_subbrev_co_u32_e32 v24, vcc, 0, v0, vcc
	v_sub_u32_e32 v0, 0, v24
	v_ldexp_f32 v1, v18, v0
	v_add_f32_e32 v18, -1.0, v1
	v_add_f32_e32 v20, 1.0, v1
	v_ldexp_f32 v0, v19, v0
	v_add_f32_e32 v19, 1.0, v18
	v_add_f32_e32 v21, -1.0, v20
	v_sub_f32_e32 v19, v1, v19
	v_sub_f32_e32 v1, v1, v21
	v_add_f32_e32 v19, v0, v19
	v_add_f32_e32 v0, v0, v1
	;; [unrolled: 1-line block ×3, first 2 shown]
	v_rcp_f32_e32 v27, v25
	v_sub_f32_e32 v1, v20, v25
	v_add_f32_e32 v26, v0, v1
	v_add_f32_e32 v1, v18, v19
	v_mul_f32_e32 v29, v1, v27
	v_sub_f32_e32 v0, v18, v1
	v_mul_f32_e32 v18, v25, v29
	v_fma_f32 v20, v29, v25, -v18
	v_fmac_f32_e32 v20, v29, v26
	v_add_f32_e32 v28, v19, v0
	v_add_f32_e32 v0, v18, v20
	v_sub_f32_e32 v19, v1, v0
	v_pk_add_f32 v[22:23], v[0:1], v[18:19] neg_lo:[0,1] neg_hi:[0,1]
	v_mov_b32_e32 v21, v0
	v_pk_add_f32 v[0:1], v[22:23], v[20:21] neg_lo:[0,1] neg_hi:[0,1]
	s_nop 0
	v_add_f32_e32 v1, v28, v1
	v_add_f32_e32 v0, v0, v1
	;; [unrolled: 1-line block ×3, first 2 shown]
	v_mul_f32_e32 v28, v27, v1
	v_mul_f32_e32 v18, v25, v28
	v_fma_f32 v20, v28, v25, -v18
	v_fmac_f32_e32 v20, v28, v26
	v_sub_f32_e32 v19, v19, v1
	v_add_f32_e32 v25, v0, v19
	v_add_f32_e32 v0, v18, v20
	v_sub_f32_e32 v19, v1, v0
	v_pk_add_f32 v[22:23], v[0:1], v[18:19] neg_lo:[0,1] neg_hi:[0,1]
	v_mov_b32_e32 v21, v0
	v_pk_add_f32 v[0:1], v[22:23], v[20:21] neg_lo:[0,1] neg_hi:[0,1]
	s_nop 0
	v_add_f32_e32 v1, v25, v1
	v_add_f32_e32 v0, v0, v1
	;; [unrolled: 1-line block ×4, first 2 shown]
	v_sub_f32_e32 v18, v1, v29
	v_mul_f32_e32 v0, v27, v0
	v_sub_f32_e32 v18, v28, v18
	v_add_f32_e32 v18, v18, v0
	v_add_f32_e32 v20, v1, v18
	v_mul_f32_e32 v21, v20, v20
	v_fmamk_f32 v0, v21, 0x3e9b6dac, v108
	v_fmaak_f32 v43, v21, v0, 0x3f2aaada
	v_cvt_f32_i32_e32 v0, v24
	v_sub_f32_e32 v1, v20, v1
	v_sub_f32_e32 v1, v18, v1
	v_ldexp_f32 v22, v1, 1
	v_mul_f32_e32 v1, v20, v21
	v_ldexp_f32 v19, v20, 1
	v_pk_mul_f32 v[20:21], v[0:1], v[42:43]
	s_nop 0
	v_fma_f32 v18, v0, s0, -v20
	v_fmac_f32_e32 v18, 0xb102e308, v0
	v_pk_add_f32 v[0:1], v[20:21], v[18:19]
	s_mov_b32 s0, 0x7f800000
	v_sub_f32_e32 v19, v1, v19
	v_sub_f32_e32 v19, v21, v19
	v_add_f32_e32 v23, v22, v19
	v_mov_b32_e32 v22, v20
	v_pk_add_f32 v[20:21], v[0:1], v[20:21] neg_lo:[0,1] neg_hi:[0,1]
	v_pk_add_f32 v[24:25], v[0:1], v[22:23]
	v_mov_b32_e32 v19, v0
	v_mov_b32_e32 v21, v25
	v_pk_add_f32 v[26:27], v[18:19], v[20:21] neg_lo:[0,1] neg_hi:[0,1]
	v_pk_add_f32 v[18:19], v[18:19], v[20:21]
	v_mov_b32_e32 v22, v23
	v_mov_b32_e32 v20, v19
	v_pk_add_f32 v[28:29], v[20:21], v[0:1] neg_lo:[0,1] neg_hi:[0,1]
	v_mov_b32_e32 v18, v25
	v_mov_b32_e32 v21, v28
	v_pk_add_f32 v[30:31], v[24:25], v[20:21] neg_lo:[0,1] neg_hi:[0,1]
	v_mov_b32_e32 v24, v1
	v_mov_b32_e32 v25, v28
	;; [unrolled: 1-line block ×3, first 2 shown]
	v_pk_add_f32 v[18:19], v[18:19], v[24:25] neg_lo:[0,1] neg_hi:[0,1]
	v_mov_b32_e32 v23, v0
	v_pk_add_f32 v[0:1], v[22:23], v[18:19] neg_lo:[0,1] neg_hi:[0,1]
	v_mov_b32_e32 v30, v26
	v_pk_add_f32 v[18:19], v[30:31], v[0:1]
	v_cmp_eq_f32_e32 vcc, s0, v32
	v_mov_b32_e32 v22, v19
	v_pk_add_f32 v[22:23], v[18:19], v[22:23]
	s_mov_b32 s0, 0x33800000
	v_pk_add_f32 v[20:21], v[20:21], v[22:23]
	v_mov_b32_e32 v1, v22
	v_mov_b32_e32 v19, v20
	v_pk_add_f32 v[24:25], v[18:19], v[26:27] neg_lo:[0,1] neg_hi:[0,1]
	v_cmp_gt_f32_e64 s[2:3], s0, v32
	v_sub_f32_e32 v18, v18, v24
	v_pk_add_f32 v[0:1], v[0:1], v[24:25] neg_lo:[0,1] neg_hi:[0,1]
	v_sub_f32_e32 v18, v26, v18
	v_add_f32_e32 v0, v0, v18
	v_add_f32_e32 v0, v0, v1
	;; [unrolled: 1-line block ×3, first 2 shown]
	s_or_b64 vcc, s[2:3], vcc
	v_cndmask_b32_e32 v0, v0, v32, vcc
.LBB91_52:                              ;   in Loop: Header=BB91_14 Depth=1
	s_or_b64 exec, exec, s[30:31]
	v_cvt_f32_f16_sdwa v1, v5 dst_sel:DWORD dst_unused:UNUSED_PAD src0_sel:WORD_1
	s_mov_b32 s0, 0x41a00000
	v_add_f32_e32 v1, s33, v1
	v_cmp_ge_f32_e32 vcc, s0, v1
	s_and_b64 s[0:1], s[88:89], vcc
	s_and_saveexec_b64 s[30:31], s[0:1]
	s_cbranch_execz .LBB91_54
; %bb.53:                               ;   in Loop: Header=BB91_14 Depth=1
	v_mul_f32_e32 v18, 0x3fb8aa3b, v1
	v_rndne_f32_e32 v19, v18
	s_mov_b32 s0, 0x3fb8aa3b
	v_sub_f32_e32 v20, v18, v19
	v_fma_f32 v18, v1, s0, -v18
	v_fmac_f32_e32 v18, 0x32a5705f, v1
	v_add_f32_e32 v18, v20, v18
	v_cvt_i32_f32_e32 v19, v19
	v_exp_f32_e32 v18, v18
	s_mov_b32 s0, 0xc2ce8ed0
	v_cmp_ngt_f32_e32 vcc, s0, v1
	s_mov_b32 s0, 0x42b17218
	v_ldexp_f32 v18, v18, v19
	v_cndmask_b32_e32 v18, 0, v18, vcc
	v_cmp_nlt_f32_e32 vcc, s0, v1
	s_mov_b32 s0, 0x3f2aaaab
	s_nop 0
	v_cndmask_b32_e32 v39, v109, v18, vcc
	v_add_f32_e32 v1, 1.0, v39
	v_add_f32_e32 v18, -1.0, v1
	v_sub_f32_e32 v19, v18, v1
	v_add_f32_e32 v19, 1.0, v19
	v_sub_f32_e32 v18, v39, v18
	v_add_f32_e32 v20, v18, v19
	v_frexp_mant_f32_e32 v21, v1
	v_cvt_f64_f32_e32 v[18:19], v1
	v_frexp_exp_i32_f64_e32 v18, v[18:19]
	v_cmp_gt_f32_e32 vcc, s0, v21
	s_mov_b32 s0, 0x3f317218
	s_nop 0
	v_subbrev_co_u32_e32 v26, vcc, 0, v18, vcc
	v_sub_u32_e32 v18, 0, v26
	v_ldexp_f32 v1, v1, v18
	v_ldexp_f32 v18, v20, v18
	v_add_f32_e32 v20, -1.0, v1
	v_add_f32_e32 v19, 1.0, v20
	v_sub_f32_e32 v19, v1, v19
	v_add_f32_e32 v21, v18, v19
	v_add_f32_e32 v19, 1.0, v1
	v_add_f32_e32 v22, -1.0, v19
	v_sub_f32_e32 v1, v1, v22
	v_add_f32_e32 v1, v18, v1
	v_add_f32_e32 v27, v19, v1
	v_rcp_f32_e32 v28, v27
	v_sub_f32_e32 v18, v19, v27
	v_add_f32_e32 v19, v20, v21
	v_add_f32_e32 v1, v1, v18
	v_mul_f32_e32 v30, v19, v28
	v_sub_f32_e32 v18, v20, v19
	v_mul_f32_e32 v20, v27, v30
	v_fma_f32 v22, v30, v27, -v20
	v_fmac_f32_e32 v22, v30, v1
	v_add_f32_e32 v29, v21, v18
	v_add_f32_e32 v18, v20, v22
	v_sub_f32_e32 v21, v19, v18
	v_pk_add_f32 v[24:25], v[18:19], v[20:21] neg_lo:[0,1] neg_hi:[0,1]
	v_mov_b32_e32 v23, v18
	v_pk_add_f32 v[18:19], v[24:25], v[22:23] neg_lo:[0,1] neg_hi:[0,1]
	s_nop 0
	v_add_f32_e32 v19, v29, v19
	v_add_f32_e32 v18, v18, v19
	;; [unrolled: 1-line block ×3, first 2 shown]
	v_mul_f32_e32 v29, v28, v19
	v_mul_f32_e32 v20, v27, v29
	v_fma_f32 v22, v29, v27, -v20
	v_fmac_f32_e32 v22, v29, v1
	v_sub_f32_e32 v1, v21, v19
	v_add_f32_e32 v1, v18, v1
	v_add_f32_e32 v18, v20, v22
	v_sub_f32_e32 v21, v19, v18
	v_pk_add_f32 v[24:25], v[18:19], v[20:21] neg_lo:[0,1] neg_hi:[0,1]
	v_mov_b32_e32 v23, v18
	v_pk_add_f32 v[18:19], v[24:25], v[22:23] neg_lo:[0,1] neg_hi:[0,1]
	s_nop 0
	v_add_f32_e32 v1, v1, v19
	v_add_f32_e32 v1, v18, v1
	;; [unrolled: 1-line block ×4, first 2 shown]
	v_sub_f32_e32 v18, v19, v30
	v_mul_f32_e32 v1, v28, v1
	v_sub_f32_e32 v18, v29, v18
	v_add_f32_e32 v1, v18, v1
	v_add_f32_e32 v20, v19, v1
	v_mul_f32_e32 v22, v20, v20
	v_fmamk_f32 v18, v22, 0x3e9b6dac, v108
	v_fmaak_f32 v43, v22, v18, 0x3f2aaada
	v_cvt_f32_i32_e32 v18, v26
	v_sub_f32_e32 v19, v20, v19
	v_sub_f32_e32 v1, v1, v19
	v_mul_f32_e32 v19, v20, v22
	v_pk_mul_f32 v[22:23], v[18:19], v[42:43]
	v_ldexp_f32 v21, v20, 1
	v_fma_f32 v20, v18, s0, -v22
	v_fmac_f32_e32 v20, 0xb102e308, v18
	v_pk_add_f32 v[18:19], v[22:23], v[20:21]
	v_ldexp_f32 v1, v1, 1
	v_sub_f32_e32 v21, v19, v21
	v_sub_f32_e32 v21, v23, v21
	v_add_f32_e32 v25, v1, v21
	v_mov_b32_e32 v24, v22
	v_pk_add_f32 v[22:23], v[18:19], v[22:23] neg_lo:[0,1] neg_hi:[0,1]
	v_pk_add_f32 v[26:27], v[18:19], v[24:25]
	v_mov_b32_e32 v21, v18
	v_mov_b32_e32 v23, v27
	v_pk_add_f32 v[28:29], v[20:21], v[22:23] neg_lo:[0,1] neg_hi:[0,1]
	v_pk_add_f32 v[20:21], v[20:21], v[22:23]
	v_mov_b32_e32 v24, v25
	v_mov_b32_e32 v22, v21
	v_pk_add_f32 v[30:31], v[22:23], v[18:19] neg_lo:[0,1] neg_hi:[0,1]
	v_mov_b32_e32 v20, v27
	v_mov_b32_e32 v1, v30
	v_pk_add_f32 v[32:33], v[26:27], v[0:1] neg_lo:[0,1] neg_hi:[0,1]
	v_mov_b32_e32 v26, v19
	v_mov_b32_e32 v27, v30
	;; [unrolled: 1-line block ×3, first 2 shown]
	v_pk_add_f32 v[20:21], v[20:21], v[26:27] neg_lo:[0,1] neg_hi:[0,1]
	v_mov_b32_e32 v25, v18
	v_pk_add_f32 v[18:19], v[24:25], v[20:21] neg_lo:[0,1] neg_hi:[0,1]
	v_mov_b32_e32 v32, v28
	v_pk_add_f32 v[20:21], v[32:33], v[18:19]
	s_mov_b32 s0, 0x7f800000
	v_mov_b32_e32 v24, v21
	v_pk_add_f32 v[24:25], v[20:21], v[24:25]
	v_cmp_eq_f32_e32 vcc, s0, v39
	v_pk_add_f32 v[22:23], v[22:23], v[24:25]
	v_mov_b32_e32 v19, v24
	v_mov_b32_e32 v21, v22
	v_pk_add_f32 v[26:27], v[20:21], v[28:29] neg_lo:[0,1] neg_hi:[0,1]
	s_mov_b32 s0, 0x33800000
	v_sub_f32_e32 v1, v20, v26
	v_pk_add_f32 v[18:19], v[18:19], v[26:27] neg_lo:[0,1] neg_hi:[0,1]
	v_sub_f32_e32 v1, v28, v1
	v_add_f32_e32 v1, v18, v1
	v_add_f32_e32 v1, v1, v19
	v_cmp_gt_f32_e64 s[2:3], s0, v39
	v_add_f32_e32 v1, v22, v1
	s_or_b64 vcc, s[2:3], vcc
	v_cndmask_b32_e32 v1, v1, v39, vcc
.LBB91_54:                              ;   in Loop: Header=BB91_14 Depth=1
	s_or_b64 exec, exec, s[30:31]
	v_cvt_f32_f16_e32 v18, v9
	v_cvt_f32_f16_sdwa v19, v8 dst_sel:DWORD dst_unused:UNUSED_PAD src0_sel:WORD_1
	v_cvt_f32_f16_e32 v20, v8
	v_cvt_f32_f16_sdwa v25, v9 dst_sel:DWORD dst_unused:UNUSED_PAD src0_sel:WORD_1
	v_cvt_f32_f16_sdwa v21, v7 dst_sel:DWORD dst_unused:UNUSED_PAD src0_sel:WORD_1
	v_cvt_f32_f16_e32 v22, v7
	v_cvt_f32_f16_sdwa v23, v6 dst_sel:DWORD dst_unused:UNUSED_PAD src0_sel:WORD_1
	v_cvt_f32_f16_e32 v24, v6
	;; [unrolled: 2-line block ×6, first 2 shown]
	v_readlane_b32 s0, v154, 8
	v_readlane_b32 s1, v154, 9
	v_mul_f32_e32 v44, s80, v18
	v_mul_f32_e32 v47, s80, v19
	;; [unrolled: 1-line block ×15, first 2 shown]
	s_mov_b32 s34, s13
	s_lshl_b32 s90, s13, 11
	v_mul_f32_e32 v45, s80, v25
	s_and_b64 vcc, exec, s[0:1]
	s_barrier
	s_cbranch_vccz .LBB91_12
; %bb.55:                               ;   in Loop: Header=BB91_14 Depth=1
	v_readlane_b32 s0, v154, 2
	v_readlane_b32 s1, v154, 3
	;; [unrolled: 1-line block ×4, first 2 shown]
	v_lshl_add_u64 v[60:61], s[0:1], 0, v[34:35]
	v_readlane_b32 s0, v154, 10
	s_sub_i32 s0, s0, s90
	s_cmp_lg_u32 s34, 0
	s_cselect_b64 s[96:97], -1, 0
	s_cmp_eq_u32 s34, s2
	v_cmp_gt_u32_e32 vcc, s0, v89
	v_readlane_b32 s63, v154, 14
	s_cselect_b64 s[98:99], -1, 0
	s_or_b64 s[30:31], s[62:63], vcc
	v_cmp_gt_u32_e32 vcc, s0, v93
	s_mov_b32 s13, s34
	s_or_b64 s[34:35], s[62:63], vcc
	v_cmp_gt_u32_e32 vcc, s0, v94
	s_or_b64 s[36:37], s[62:63], vcc
	v_cmp_gt_u32_e32 vcc, s0, v95
	;; [unrolled: 2-line block ×12, first 2 shown]
	v_mov_b32_e32 v39, v35
	v_lshl_add_u64 v[62:63], s[74:75], 0, v[34:35]
	v_readlane_b32 s1, v154, 11
	s_mov_b32 s82, 0
	s_or_b64 s[58:59], s[62:63], vcc
	v_cmp_gt_u32_e32 vcc, s0, v106
	v_cmp_gt_u32_e64 s[2:3], s0, v107
	v_mul_f32_e32 v43, v1, v25
	v_lshl_add_u64 v[60:61], v[60:61], 0, v[38:39]
	v_lshl_add_u64 v[62:63], v[62:63], 0, v[38:39]
	v_mul_f32_e32 v39, v0, v18
	v_mul_f32_e32 v126, v125, v19
	;; [unrolled: 1-line block ×15, first 2 shown]
	s_or_b64 s[60:61], s[62:63], s[2:3]
	s_or_b64 s[62:63], s[62:63], vcc
	s_mov_b32 s2, s82
	s_mov_b32 s84, s82
	;; [unrolled: 1-line block ×4, first 2 shown]
	v_readlane_b32 s81, v154, 15
	s_branch .LBB91_57
.LBB91_56:                              ;   in Loop: Header=BB91_57 Depth=2
	s_or_b64 exec, exec, s[0:1]
	v_cndmask_b32_e64 v64, v74, v83, s[28:29]
	v_cndmask_b32_e64 v65, v77, v82, s[28:29]
	v_mul_f32_e32 v65, v65, v140
	v_fma_f32 v64, v64, v140, v26
	v_cndmask_b32_e64 v26, v64, v26, s[26:27]
	v_cndmask_b32_e64 v64, v65, v140, s[26:27]
	s_waitcnt lgkmcnt(0)
	v_fmac_f32_e32 v26, v80, v64
	v_fmac_f32_e32 v27, v26, v141
	;; [unrolled: 1-line block ×16, first 2 shown]
	v_cvt_f32_f16_sdwa v65, v22 dst_sel:DWORD dst_unused:UNUSED_PAD src0_sel:WORD_1
	v_cvt_f32_f16_sdwa v77, v23 dst_sel:DWORD dst_unused:UNUSED_PAD src0_sel:WORD_1
	v_cvt_f32_f16_e32 v64, v22
	v_cvt_f32_f16_e32 v76, v23
	v_cvt_f32_f16_sdwa v23, v24 dst_sel:DWORD dst_unused:UNUSED_PAD src0_sel:WORD_1
	v_cvt_f32_f16_sdwa v79, v25 dst_sel:DWORD dst_unused:UNUSED_PAD src0_sel:WORD_1
	v_cvt_f32_f16_e32 v22, v24
	v_cvt_f32_f16_e32 v78, v25
	;; [unrolled: 4-line block ×4, first 2 shown]
	v_mov_b32_e32 v74, v73
	s_add_i32 s81, s81, 8
	s_add_i32 s91, s91, -1
	s_add_i32 s94, s94, s66
	s_add_i32 s84, s84, s72
	;; [unrolled: 1-line block ×4, first 2 shown]
	v_pk_fma_f32 v[56:57], v[28:29], v[76:77], v[56:57]
	v_pk_fma_f32 v[58:59], v[26:27], v[64:65], v[58:59]
	;; [unrolled: 1-line block ×7, first 2 shown]
	s_cmp_eq_u32 s91, 0
	v_pk_fma_f32 v[46:47], v[68:69], v[18:19], v[46:47]
	s_mov_b32 s73, s9
	s_cbranch_scc1 .LBB91_13
.LBB91_57:                              ;   Parent Loop BB91_14 Depth=1
                                        ; =>  This Inner Loop Header: Depth=2
	s_mov_b32 s3, s83
	v_lshl_add_u64 v[22:23], s[2:3], 1, v[60:61]
	global_load_dwordx4 v[18:21], v[22:23], off
	s_nop 0
	global_load_dwordx4 v[22:25], v[22:23], off offset:1024
	s_lshl_b64 s[0:1], s[82:83], 2
	s_mov_b32 s85, s83
	s_add_u32 s0, s67, s0
	v_lshl_add_u64 v[26:27], s[84:85], 1, v[62:63]
	s_addc_u32 s1, s68, s1
	global_load_dword v66, v35, s[0:1]
	s_andn2_b64 vcc, exec, s[96:97]
	s_waitcnt vmcnt(2)
	ds_write_b128 v84, v[18:21]
	s_waitcnt vmcnt(1)
	ds_write_b128 v85, v[22:25] offset:1024
	; wave barrier
	global_load_dwordx4 v[18:21], v[26:27], off
	global_load_dwordx4 v[22:25], v[26:27], off offset:1024
	ds_read_b128 v[30:33], v86
	ds_read_b128 v[26:29], v86 offset:16
	s_waitcnt vmcnt(1)
	ds_write_b128 v84, v[18:21] offset:4224
	s_waitcnt vmcnt(0)
	ds_write_b128 v87, v[22:25] offset:1024
	; wave barrier
	ds_read_b128 v[22:25], v86 offset:4224
	ds_read_b128 v[18:21], v88 offset:16
	s_cbranch_vccnz .LBB91_59
; %bb.58:                               ;   in Loop: Header=BB91_57 Depth=2
	v_mov_b32_e32 v64, s81
	ds_read_b64 v[64:65], v64
	s_cbranch_execz .LBB91_60
	s_branch .LBB91_63
.LBB91_59:                              ;   in Loop: Header=BB91_57 Depth=2
                                        ; implicit-def: $vgpr65
.LBB91_60:                              ;   in Loop: Header=BB91_57 Depth=2
	v_readlane_b32 s0, v154, 0
	v_readlane_b32 s1, v154, 1
	s_andn2_b64 vcc, exec, s[0:1]
	s_waitcnt lgkmcnt(0)
	v_mov_b32_e32 v65, 0
	s_cbranch_vccnz .LBB91_62
; %bb.61:                               ;   in Loop: Header=BB91_57 Depth=2
	s_mov_b32 s95, s83
	s_lshl_b64 s[0:1], s[94:95], 1
	s_add_u32 s0, s69, s0
	s_addc_u32 s1, s64, s1
	global_load_ushort v64, v35, s[0:1]
	s_waitcnt vmcnt(0)
	v_cvt_f32_f16_e32 v65, v64
.LBB91_62:                              ;   in Loop: Header=BB91_57 Depth=2
	v_mov_b32_e32 v64, 1.0
.LBB91_63:                              ;   in Loop: Header=BB91_57 Depth=2
	v_mul_f32_e32 v74, 0x3fb8aa3b, v66
	s_waitcnt lgkmcnt(4)
	v_cvt_f32_f16_e32 v70, v26
	v_cvt_f32_f16_sdwa v71, v26 dst_sel:DWORD dst_unused:UNUSED_PAD src0_sel:WORD_1
	v_mul_f32_e32 v26, v74, v112
	v_cmp_gt_f32_e32 vcc, s65, v26
	v_cvt_f32_f16_e32 v72, v27
	v_cvt_f32_f16_sdwa v73, v27 dst_sel:DWORD dst_unused:UNUSED_PAD src0_sel:WORD_1
	v_cndmask_b32_e32 v26, 0, v110, vcc
	v_fmac_f32_e32 v26, v74, v112
	v_exp_f32_e32 v26, v26
	v_cndmask_b32_e32 v27, 1.0, v111, vcc
	v_cvt_f32_f16_e32 v76, v28
	v_cvt_f32_f16_sdwa v77, v28 dst_sel:DWORD dst_unused:UNUSED_PAD src0_sel:WORD_1
	v_mul_f32_e32 v27, v26, v27
	v_cndmask_b32_e64 v140, 1.0, v27, s[30:31]
	v_mul_f32_e32 v27, v74, v113
	v_cmp_gt_f32_e32 vcc, s65, v27
	v_cvt_f32_f16_e32 v78, v29
	v_cvt_f32_f16_sdwa v75, v29 dst_sel:DWORD dst_unused:UNUSED_PAD src0_sel:WORD_1
	v_cndmask_b32_e32 v27, 0, v110, vcc
	v_fmac_f32_e32 v27, v74, v113
	v_exp_f32_e32 v27, v27
	v_cndmask_b32_e32 v28, 1.0, v111, vcc
	v_cvt_f32_f16_e32 v66, v30
	v_cvt_f32_f16_sdwa v30, v30 dst_sel:DWORD dst_unused:UNUSED_PAD src0_sel:WORD_1
	v_mul_f32_e32 v28, v27, v28
	v_cndmask_b32_e64 v141, 1.0, v28, s[34:35]
	v_mul_f32_e32 v28, v74, v114
	v_cmp_gt_f32_e32 vcc, s65, v28
	v_mul_f32_e32 v27, v138, v30
	v_cvt_f32_f16_e32 v67, v31
	v_cndmask_b32_e32 v28, 0, v110, vcc
	v_fmac_f32_e32 v28, v74, v114
	v_exp_f32_e32 v28, v28
	v_cndmask_b32_e32 v29, 1.0, v111, vcc
	v_cvt_f32_f16_sdwa v31, v31 dst_sel:DWORD dst_unused:UNUSED_PAD src0_sel:WORD_1
	v_cvt_f32_f16_e32 v68, v32
	v_mul_f32_e32 v29, v28, v29
	v_cndmask_b32_e64 v142, 1.0, v29, s[36:37]
	v_mul_f32_e32 v29, v74, v115
	v_cmp_gt_f32_e32 vcc, s65, v29
	v_cvt_f32_f16_sdwa v32, v32 dst_sel:DWORD dst_unused:UNUSED_PAD src0_sel:WORD_1
	v_mul_f32_e32 v26, v139, v66
	v_cndmask_b32_e32 v29, 0, v110, vcc
	v_fmac_f32_e32 v29, v74, v115
	v_exp_f32_e32 v29, v29
	v_cndmask_b32_e32 v30, 1.0, v111, vcc
	v_mul_f32_e32 v28, v137, v67
	v_cvt_f32_f16_e32 v69, v33
	v_mul_f32_e32 v30, v29, v30
	v_cndmask_b32_e64 v143, 1.0, v30, s[38:39]
	v_mul_f32_e32 v30, v74, v116
	v_cmp_gt_f32_e32 vcc, s65, v30
	v_mul_f32_e32 v29, v136, v31
	v_cndmask_b32_e64 v26, 0, v26, s[30:31]
	v_cndmask_b32_e32 v30, 0, v110, vcc
	v_fmac_f32_e32 v30, v74, v116
	v_exp_f32_e32 v30, v30
	v_cndmask_b32_e32 v31, 1.0, v111, vcc
	v_cndmask_b32_e64 v27, 0, v27, s[34:35]
	v_cvt_f32_f16_sdwa v33, v33 dst_sel:DWORD dst_unused:UNUSED_PAD src0_sel:WORD_1
	v_mul_f32_e32 v31, v30, v31
	v_cndmask_b32_e64 v144, 1.0, v31, s[40:41]
	v_mul_f32_e32 v31, v74, v117
	v_cmp_gt_f32_e32 vcc, s65, v31
	v_mul_f32_e32 v30, v135, v68
	v_cndmask_b32_e64 v28, 0, v28, s[36:37]
	v_cndmask_b32_e32 v31, 0, v110, vcc
	v_fmac_f32_e32 v31, v74, v117
	v_exp_f32_e32 v31, v31
	v_cndmask_b32_e32 v66, 1.0, v111, vcc
	v_cndmask_b32_e64 v29, 0, v29, s[38:39]
	v_cndmask_b32_e64 v30, 0, v30, s[40:41]
	v_mul_f32_e32 v66, v31, v66
	v_mul_f32_e32 v31, v134, v32
	;; [unrolled: 1-line block ×3, first 2 shown]
	v_cmp_gt_f32_e32 vcc, s65, v32
	v_cndmask_b32_e64 v145, 1.0, v66, s[42:43]
	v_cndmask_b32_e64 v31, 0, v31, s[42:43]
	v_cndmask_b32_e32 v32, 0, v110, vcc
	v_fmac_f32_e32 v32, v74, v118
	v_exp_f32_e32 v32, v32
	v_cndmask_b32_e32 v66, 1.0, v111, vcc
	v_mul_f32_e32 v33, v132, v33
	v_cndmask_b32_e64 v33, 0, v33, s[46:47]
	v_mul_f32_e32 v66, v32, v66
	v_cndmask_b32_e64 v146, 1.0, v66, s[44:45]
	v_mul_f32_e32 v66, v74, v119
	v_cmp_gt_f32_e32 vcc, s65, v66
	v_mul_f32_e32 v32, v133, v69
	v_cndmask_b32_e64 v32, 0, v32, s[44:45]
	v_cndmask_b32_e32 v66, 0, v110, vcc
	v_fmac_f32_e32 v66, v74, v119
	v_exp_f32_e32 v66, v66
	v_cndmask_b32_e32 v67, 1.0, v111, vcc
	v_mul_f32_e32 v66, v66, v67
	v_cndmask_b32_e64 v147, 1.0, v66, s[46:47]
	v_mul_f32_e32 v66, v74, v120
	v_cmp_gt_f32_e32 vcc, s65, v66
	s_nop 1
	v_cndmask_b32_e32 v66, 0, v110, vcc
	v_fmac_f32_e32 v66, v74, v120
	v_exp_f32_e32 v66, v66
	v_cndmask_b32_e32 v67, 1.0, v111, vcc
	v_mul_f32_e32 v67, v66, v67
	v_cndmask_b32_e64 v148, 1.0, v67, s[48:49]
	v_mul_f32_e32 v67, v74, v121
	v_cmp_gt_f32_e32 vcc, s65, v67
	v_mul_f32_e32 v66, v131, v70
	v_cndmask_b32_e64 v66, 0, v66, s[48:49]
	v_cndmask_b32_e32 v67, 0, v110, vcc
	v_fmac_f32_e32 v67, v74, v121
	v_exp_f32_e32 v67, v67
	v_cndmask_b32_e32 v68, 1.0, v111, vcc
	v_mul_f32_e32 v68, v67, v68
	v_cndmask_b32_e64 v149, 1.0, v68, s[50:51]
	v_mul_f32_e32 v68, v74, v122
	v_cmp_gt_f32_e32 vcc, s65, v68
	v_mul_f32_e32 v67, v130, v71
	v_cndmask_b32_e64 v67, 0, v67, s[50:51]
	;; [unrolled: 10-line block ×4, first 2 shown]
	v_cndmask_b32_e32 v68, 0, v110, vcc
	v_fmac_f32_e32 v68, v74, v124
	v_exp_f32_e32 v68, v68
	v_cndmask_b32_e32 v69, 1.0, v111, vcc
	v_mul_f32_e32 v73, v39, v78
	v_pk_mul_f32 v[78:79], v[74:75], v[0:1] op_sel_hi:[0,1]
	v_mul_f32_e32 v69, v68, v69
	v_mul_f32_e32 v68, v127, v76
	v_cndmask_b32_e64 v76, 1.0, v69, s[56:57]
	v_mul_f32_e32 v69, v74, v125
	v_cmp_gt_f32_e32 vcc, s65, v69
	v_cndmask_b32_e64 v68, 0, v68, s[56:57]
	v_cndmask_b32_e64 v73, 0, v73, s[62:63]
	v_cndmask_b32_e32 v69, 0, v110, vcc
	v_cndmask_b32_e32 v72, 1.0, v111, vcc
	v_cmp_gt_f32_e32 vcc, s65, v78
	v_fmac_f32_e32 v69, v74, v125
	v_exp_f32_e32 v69, v69
	v_cndmask_b32_e32 v74, 0, v110, vcc
	v_add_f32_e32 v74, v78, v74
	v_exp_f32_e32 v74, v74
	v_mul_f32_e32 v72, v69, v72
	v_mul_f32_e32 v69, v126, v77
	v_cndmask_b32_e32 v77, 1.0, v111, vcc
	v_cmp_gt_f32_e32 vcc, s65, v79
	v_mul_f32_e32 v74, v74, v77
	v_cndmask_b32_e64 v69, 0, v69, s[58:59]
	v_cndmask_b32_e32 v77, 0, v110, vcc
	v_add_f32_e32 v77, v79, v77
	v_exp_f32_e32 v77, v77
	v_cndmask_b32_e32 v78, 1.0, v111, vcc
	v_cndmask_b32_e64 v72, 1.0, v72, s[58:59]
	v_mul_f32_e32 v75, v43, v75
	v_mul_f32_e32 v77, v77, v78
	v_cndmask_b32_e64 v79, 1.0, v77, s[60:61]
	v_cndmask_b32_e64 v78, 1.0, v74, s[62:63]
	v_mul_f32_e32 v74, v141, v140
	v_fma_f32 v77, v141, v26, v27
	v_mul_f32_e32 v74, v74, v142
	v_fma_f32 v77, v77, v142, v28
	;; [unrolled: 2-line block ×11, first 2 shown]
	v_fma_f32 v74, v74, v76, v68
	v_fma_f32 v81, v74, v72, v69
	v_mov_b32_e32 v77, v78
	v_pk_mul_f32 v[152:153], v[80:81], v[76:77]
	v_pk_fma_f32 v[80:81], v[80:81], v[76:77], v[72:73]
	v_pk_mul_f32 v[152:153], v[152:153], v[72:73]
	v_cndmask_b32_e64 v75, 0, v75, s[60:61]
	v_mov_b32_e32 v153, v81
	v_mov_b32_e32 v82, v79
	;; [unrolled: 1-line block ×3, first 2 shown]
	v_pk_mul_f32 v[80:81], v[152:153], v[78:79]
	v_mov_b32_e32 v74, v79
	v_pk_mul_f32 v[82:83], v[80:81], v[82:83]
	v_pk_fma_f32 v[80:81], v[152:153], v[78:79], v[74:75]
	s_nop 0
	v_mov_b32_dpp v74, v82 row_shr:1 row_mask:0xf bank_mask:0xf
	v_mov_b32_dpp v77, v81 row_shr:1 row_mask:0xf bank_mask:0xf
	v_mul_f32_e32 v152, v82, v74
	v_fma_f32 v77, v82, v77, v81
	v_cndmask_b32_e64 v80, v152, v82, s[4:5]
	v_cndmask_b32_e64 v83, v77, v81, s[4:5]
	;; [unrolled: 1-line block ×4, first 2 shown]
	v_mov_b32_dpp v81, v83 row_shr:2 row_mask:0xf bank_mask:0xf
	v_mov_b32_dpp v77, v82 row_shr:2 row_mask:0xf bank_mask:0xf
	s_and_saveexec_b64 s[0:1], s[6:7]
; %bb.64:                               ;   in Loop: Header=BB91_57 Depth=2
	v_fmac_f32_e32 v83, v82, v81
	v_mul_f32_e32 v82, v82, v77
	v_mov_b32_e32 v80, v82
	v_mov_b32_e32 v74, v83
; %bb.65:                               ;   in Loop: Header=BB91_57 Depth=2
	s_or_b64 exec, exec, s[0:1]
	v_mov_b32_dpp v77, v82 row_shr:4 row_mask:0xf bank_mask:0xf
	v_mov_b32_dpp v81, v83 row_shr:4 row_mask:0xf bank_mask:0xf
	s_and_saveexec_b64 s[0:1], s[10:11]
; %bb.66:                               ;   in Loop: Header=BB91_57 Depth=2
	v_fmac_f32_e32 v83, v82, v81
	v_mul_f32_e32 v82, v82, v77
	v_mov_b32_e32 v80, v82
	v_mov_b32_e32 v74, v83
; %bb.67:                               ;   in Loop: Header=BB91_57 Depth=2
	s_or_b64 exec, exec, s[0:1]
	;; [unrolled: 10-line block ×3, first 2 shown]
	v_mov_b32_dpp v77, v82 row_bcast:15 row_mask:0xf bank_mask:0xf
	v_mov_b32_dpp v81, v83 row_bcast:15 row_mask:0xf bank_mask:0xf
	s_and_saveexec_b64 s[0:1], s[92:93]
; %bb.70:                               ;   in Loop: Header=BB91_57 Depth=2
	v_fmac_f32_e32 v83, v82, v81
	v_mul_f32_e32 v82, v82, v77
	v_mov_b32_e32 v80, v82
	v_mov_b32_e32 v74, v83
; %bb.71:                               ;   in Loop: Header=BB91_57 Depth=2
	s_or_b64 exec, exec, s[0:1]
	v_mov_b32_dpp v81, v82 row_bcast:31 row_mask:0xf bank_mask:0xf
	v_mov_b32_dpp v77, v83 row_bcast:31 row_mask:0xf bank_mask:0xf
	s_and_saveexec_b64 s[0:1], s[70:71]
; %bb.72:                               ;   in Loop: Header=BB91_57 Depth=2
	v_fmac_f32_e32 v83, v82, v77
	v_mul_f32_e32 v80, v82, v81
	v_mov_b32_e32 v81, v83
	v_mov_b32_e32 v74, v83
	v_mov_b64_e32 v[82:83], v[80:81]
; %bb.73:                               ;   in Loop: Header=BB91_57 Depth=2
	s_or_b64 exec, exec, s[0:1]
	s_and_saveexec_b64 s[0:1], s[16:17]
	s_cbranch_execz .LBB91_75
; %bb.74:                               ;   in Loop: Header=BB91_57 Depth=2
	ds_write_b64 v90, v[82:83] offset:8448
.LBB91_75:                              ;   in Loop: Header=BB91_57 Depth=2
	s_or_b64 exec, exec, s[0:1]
	s_waitcnt lgkmcnt(0)
	s_barrier
	s_and_saveexec_b64 s[0:1], s[18:19]
	s_cbranch_execz .LBB91_77
; %bb.76:                               ;   in Loop: Header=BB91_57 Depth=2
	ds_read_b64 v[82:83], v91 offset:8448
	s_waitcnt lgkmcnt(0)
	s_nop 0
	v_mov_b32_dpp v77, v82 row_shr:1 row_mask:0xf bank_mask:0xf
	v_mov_b32_dpp v81, v83 row_shr:1 row_mask:0xf bank_mask:0xf
	v_fma_f32 v81, v82, v81, v83
	v_mul_f32_e32 v77, v82, v77
	v_cndmask_b32_e64 v82, v77, v82, s[20:21]
	v_cndmask_b32_e64 v83, v81, v83, s[20:21]
	ds_write_b64 v91, v[82:83] offset:8448
.LBB91_77:                              ;   in Loop: Header=BB91_57 Depth=2
	s_or_b64 exec, exec, s[0:1]
	s_waitcnt lgkmcnt(0)
	s_barrier
	s_waitcnt lgkmcnt(0)
                                        ; implicit-def: $vgpr82
	s_and_saveexec_b64 s[0:1], s[24:25]
	s_cbranch_execz .LBB91_79
; %bb.78:                               ;   in Loop: Header=BB91_57 Depth=2
	ds_read_b64 v[82:83], v90 offset:8440
	s_waitcnt lgkmcnt(0)
	v_mul_f32_e32 v77, v80, v82
	v_fmac_f32_e32 v74, v80, v83
	v_mov_b32_e32 v80, v77
.LBB91_79:                              ;   in Loop: Header=BB91_57 Depth=2
	s_or_b64 exec, exec, s[0:1]
	ds_bpermute_b32 v77, v92, v80
	ds_bpermute_b32 v74, v92, v74
	v_mov_b32_e32 v81, v65
	s_and_saveexec_b64 s[0:1], s[22:23]
	s_cbranch_execz .LBB91_83
; %bb.80:                               ;   in Loop: Header=BB91_57 Depth=2
	ds_read_b64 v[80:81], v35 offset:8456
	s_and_saveexec_b64 vcc, s[26:27]
	s_cbranch_execz .LBB91_82
; %bb.81:                               ;   in Loop: Header=BB91_57 Depth=2
	ds_write_b64 v35, v[64:65] offset:8456
.LBB91_82:                              ;   in Loop: Header=BB91_57 Depth=2
	s_or_b64 exec, exec, vcc
	s_waitcnt lgkmcnt(0)
	v_fmac_f32_e32 v81, v65, v80
	v_mul_f32_e32 v64, v64, v80
	v_mov_b32_e32 v65, v81
.LBB91_83:                              ;   in Loop: Header=BB91_57 Depth=2
	s_or_b64 exec, exec, s[0:1]
	s_waitcnt lgkmcnt(0)
	s_barrier
	ds_read_b32 v80, v35 offset:8460
	s_and_saveexec_b64 s[0:1], s[26:27]
	s_cbranch_execz .LBB91_56
; %bb.84:                               ;   in Loop: Header=BB91_57 Depth=2
	v_mov_b32_e32 v152, s81
	s_andn2_b64 vcc, exec, s[98:99]
	ds_write_b64 v152, v[64:65]
	s_cbranch_vccnz .LBB91_56
; %bb.85:                               ;   in Loop: Header=BB91_57 Depth=2
	s_mov_b32 s95, s83
	v_cvt_f16_f32_e32 v64, v81
	s_lshl_b64 s[76:77], s[94:95], 1
	s_add_u32 s76, s69, s76
	s_addc_u32 s77, s64, s77
	global_store_short v35, v64, s[76:77]
	s_branch .LBB91_56
.LBB91_86:
	s_endpgm
	.section	.rodata,"a",@progbits
	.p2align	6, 0x0
	.amdhsa_kernel _Z25selective_scan_fwd_kernelI32Selective_Scan_fwd_kernel_traitsILi128ELi16ELi1ELb1ELb1ELb1ELb0ELb0EN3c104HalfEfS2_EEv13SSMParamsBase
		.amdhsa_group_segment_fixed_size 0
		.amdhsa_private_segment_fixed_size 0
		.amdhsa_kernarg_size 248
		.amdhsa_user_sgpr_count 2
		.amdhsa_user_sgpr_dispatch_ptr 0
		.amdhsa_user_sgpr_queue_ptr 0
		.amdhsa_user_sgpr_kernarg_segment_ptr 1
		.amdhsa_user_sgpr_dispatch_id 0
		.amdhsa_user_sgpr_kernarg_preload_length 0
		.amdhsa_user_sgpr_kernarg_preload_offset 0
		.amdhsa_user_sgpr_private_segment_size 0
		.amdhsa_uses_dynamic_stack 0
		.amdhsa_enable_private_segment 0
		.amdhsa_system_sgpr_workgroup_id_x 1
		.amdhsa_system_sgpr_workgroup_id_y 1
		.amdhsa_system_sgpr_workgroup_id_z 0
		.amdhsa_system_sgpr_workgroup_info 0
		.amdhsa_system_vgpr_workitem_id 0
		.amdhsa_next_free_vgpr 155
		.amdhsa_next_free_sgpr 100
		.amdhsa_accum_offset 156
		.amdhsa_reserve_vcc 1
		.amdhsa_float_round_mode_32 0
		.amdhsa_float_round_mode_16_64 0
		.amdhsa_float_denorm_mode_32 3
		.amdhsa_float_denorm_mode_16_64 3
		.amdhsa_dx10_clamp 1
		.amdhsa_ieee_mode 1
		.amdhsa_fp16_overflow 0
		.amdhsa_tg_split 0
		.amdhsa_exception_fp_ieee_invalid_op 0
		.amdhsa_exception_fp_denorm_src 0
		.amdhsa_exception_fp_ieee_div_zero 0
		.amdhsa_exception_fp_ieee_overflow 0
		.amdhsa_exception_fp_ieee_underflow 0
		.amdhsa_exception_fp_ieee_inexact 0
		.amdhsa_exception_int_div_zero 0
	.end_amdhsa_kernel
	.section	.text._Z25selective_scan_fwd_kernelI32Selective_Scan_fwd_kernel_traitsILi128ELi16ELi1ELb1ELb1ELb1ELb0ELb0EN3c104HalfEfS2_EEv13SSMParamsBase,"axG",@progbits,_Z25selective_scan_fwd_kernelI32Selective_Scan_fwd_kernel_traitsILi128ELi16ELi1ELb1ELb1ELb1ELb0ELb0EN3c104HalfEfS2_EEv13SSMParamsBase,comdat
.Lfunc_end91:
	.size	_Z25selective_scan_fwd_kernelI32Selective_Scan_fwd_kernel_traitsILi128ELi16ELi1ELb1ELb1ELb1ELb0ELb0EN3c104HalfEfS2_EEv13SSMParamsBase, .Lfunc_end91-_Z25selective_scan_fwd_kernelI32Selective_Scan_fwd_kernel_traitsILi128ELi16ELi1ELb1ELb1ELb1ELb0ELb0EN3c104HalfEfS2_EEv13SSMParamsBase
                                        ; -- End function
	.section	.AMDGPU.csdata,"",@progbits
; Kernel info:
; codeLenInByte = 16876
; NumSgprs: 106
; NumVgprs: 155
; NumAgprs: 0
; TotalNumVgprs: 155
; ScratchSize: 0
; MemoryBound: 1
; FloatMode: 240
; IeeeMode: 1
; LDSByteSize: 0 bytes/workgroup (compile time only)
; SGPRBlocks: 13
; VGPRBlocks: 19
; NumSGPRsForWavesPerEU: 106
; NumVGPRsForWavesPerEU: 155
; AccumOffset: 156
; Occupancy: 3
; WaveLimiterHint : 1
; COMPUTE_PGM_RSRC2:SCRATCH_EN: 0
; COMPUTE_PGM_RSRC2:USER_SGPR: 2
; COMPUTE_PGM_RSRC2:TRAP_HANDLER: 0
; COMPUTE_PGM_RSRC2:TGID_X_EN: 1
; COMPUTE_PGM_RSRC2:TGID_Y_EN: 1
; COMPUTE_PGM_RSRC2:TGID_Z_EN: 0
; COMPUTE_PGM_RSRC2:TIDIG_COMP_CNT: 0
; COMPUTE_PGM_RSRC3_GFX90A:ACCUM_OFFSET: 38
; COMPUTE_PGM_RSRC3_GFX90A:TG_SPLIT: 0
	.section	.text._Z25selective_scan_fwd_kernelI32Selective_Scan_fwd_kernel_traitsILi128ELi16ELi1ELb0ELb1ELb1ELb1ELb1EN3c104HalfEfS2_EEv13SSMParamsBase,"axG",@progbits,_Z25selective_scan_fwd_kernelI32Selective_Scan_fwd_kernel_traitsILi128ELi16ELi1ELb0ELb1ELb1ELb1ELb1EN3c104HalfEfS2_EEv13SSMParamsBase,comdat
	.protected	_Z25selective_scan_fwd_kernelI32Selective_Scan_fwd_kernel_traitsILi128ELi16ELi1ELb0ELb1ELb1ELb1ELb1EN3c104HalfEfS2_EEv13SSMParamsBase ; -- Begin function _Z25selective_scan_fwd_kernelI32Selective_Scan_fwd_kernel_traitsILi128ELi16ELi1ELb0ELb1ELb1ELb1ELb1EN3c104HalfEfS2_EEv13SSMParamsBase
	.globl	_Z25selective_scan_fwd_kernelI32Selective_Scan_fwd_kernel_traitsILi128ELi16ELi1ELb0ELb1ELb1ELb1ELb1EN3c104HalfEfS2_EEv13SSMParamsBase
	.p2align	8
	.type	_Z25selective_scan_fwd_kernelI32Selective_Scan_fwd_kernel_traitsILi128ELi16ELi1ELb0ELb1ELb1ELb1ELb1EN3c104HalfEfS2_EEv13SSMParamsBase,@function
_Z25selective_scan_fwd_kernelI32Selective_Scan_fwd_kernel_traitsILi128ELi16ELi1ELb0ELb1ELb1ELb1ELb1EN3c104HalfEfS2_EEv13SSMParamsBase: ; @_Z25selective_scan_fwd_kernelI32Selective_Scan_fwd_kernel_traitsILi128ELi16ELi1ELb0ELb1ELb1ELb1ELb1EN3c104HalfEfS2_EEv13SSMParamsBase
; %bb.0:
	s_load_dword s15, s[0:1], 0x18
	s_load_dwordx4 s[4:7], s[0:1], 0xe8
	s_load_dwordx8 s[20:27], s[0:1], 0xc8
	s_mov_b32 s8, s3
	s_ashr_i32 s3, s2, 31
	s_lshl_b64 s[12:13], s[2:3], 2
	s_waitcnt lgkmcnt(0)
	s_abs_i32 s14, s15
	v_cvt_f32_u32_e32 v1, s14
	s_add_u32 s10, s26, s12
	s_addc_u32 s11, s27, s13
	s_cmp_eq_u64 s[6:7], 0
	v_rcp_iflag_f32_e32 v1, v1
                                        ; implicit-def: $vgpr166 : SGPR spill to VGPR lane
	s_nop 0
	v_mul_f32_e32 v1, 0x4f7ffffe, v1
	v_cvt_u32_f32_e32 v1, v1
	s_nop 0
	v_readfirstlane_b32 s16, v1
	s_cbranch_scc1 .LBB92_2
; %bb.1:
	s_add_u32 s6, s6, s2
	s_addc_u32 s7, s7, s3
	v_mov_b32_e32 v1, 0
	global_load_ubyte v1, v1, s[6:7]
	s_waitcnt vmcnt(0)
	v_and_b32_e32 v1, 1, v1
	v_cmp_eq_u32_e64 s[6:7], 1, v1
	s_branch .LBB92_3
.LBB92_2:
	s_mov_b64 s[6:7], 0
.LBB92_3:
	s_nop 0
	v_writelane_b32 v166, s6, 0
	s_cmp_eq_u64 s[4:5], 0
	s_nop 0
	v_writelane_b32 v166, s7, 1
	s_load_dwordx2 s[6:7], s[0:1], 0x20
	s_cbranch_scc1 .LBB92_5
; %bb.4:
	s_add_u32 s2, s4, s12
	s_addc_u32 s3, s5, s13
	s_load_dword s2, s[2:3], 0x0
	s_waitcnt lgkmcnt(0)
	s_ashr_i32 s3, s2, 31
.LBB92_5:
	s_waitcnt lgkmcnt(0)
	s_cmp_eq_u64 s[6:7], s[2:3]
	s_cbranch_scc1 .LBB92_302
; %bb.6:
	s_load_dwordx16 s[36:51], s[0:1], 0x88
	s_load_dwordx2 s[4:5], s[10:11], 0x0
	s_mov_b32 s3, 0
	v_writelane_b32 v166, s3, 2
	v_writelane_b32 v166, s3, 3
	s_waitcnt lgkmcnt(0)
	s_cmp_eq_u64 s[42:43], 0
	s_cbranch_scc1 .LBB92_8
; %bb.7:
	s_ashr_i32 s9, s8, 31
	s_lshl_b64 s[6:7], s[8:9], 2
	s_add_u32 s6, s42, s6
	s_addc_u32 s7, s43, s7
	s_load_dword s3, s[6:7], 0x0
	s_waitcnt lgkmcnt(0)
	v_writelane_b32 v166, s3, 3
.LBB92_8:
	s_cmp_eq_u64 s[48:49], 0
	s_cbranch_scc1 .LBB92_10
; %bb.9:
	s_ashr_i32 s9, s8, 31
	s_lshl_b64 s[6:7], s[8:9], 2
	s_add_u32 s6, s48, s6
	s_addc_u32 s7, s49, s7
	s_load_dword s3, s[6:7], 0x0
	s_waitcnt lgkmcnt(0)
	v_writelane_b32 v166, s3, 2
.LBB92_10:
	s_sub_i32 s17, s5, s4
	s_cmp_lt_i32 s17, 1
	s_cbranch_scc1 .LBB92_302
; %bb.11:
	s_sub_i32 s3, 0, s14
	s_mul_i32 s3, s3, s16
	s_mul_hi_u32 s3, s16, s3
	s_add_i32 s16, s16, s3
	s_load_dword s3, s[0:1], 0x84
	s_abs_i32 s5, s8
	s_load_dwordx8 s[52:59], s[0:1], 0x2c
	s_load_dwordx2 s[10:11], s[0:1], 0x7c
	s_load_dwordx4 s[28:31], s[0:1], 0x6c
	s_load_dwordx8 s[60:67], s[0:1], 0x4c
	s_load_dword s13, s[0:1], 0xc
	s_load_dword s9, s[0:1], 0x28
	s_ashr_i32 s0, s8, 31
	s_waitcnt lgkmcnt(0)
	v_writelane_b32 v166, s3, 4
	s_mul_hi_u32 s3, s5, s16
	s_ashr_i32 s1, s15, 31
	s_xor_b32 s0, s0, s1
	s_mul_i32 s1, s3, s14
	s_sub_i32 s1, s5, s1
	s_add_i32 s5, s3, 1
	s_sub_i32 s6, s1, s14
	s_cmp_ge_u32 s1, s14
	s_cselect_b32 s3, s5, s3
	s_cselect_b32 s1, s6, s1
	s_add_i32 s5, s3, 1
	s_cmp_ge_u32 s1, s14
	s_cselect_b32 s1, s5, s3
	s_xor_b32 s1, s1, s0
	s_mul_i32 s6, s4, s62
	s_mov_b32 s7, 0
	s_sub_i32 s3, s1, s0
	s_lshl_b64 s[0:1], s[6:7], 1
	s_add_u32 s5, s44, s0
	s_mul_i32 s6, s63, s8
	s_addc_u32 s12, s45, s1
	s_lshl_b64 s[0:1], s[6:7], 1
	s_add_u32 s14, s5, s0
	s_mul_i32 s6, s4, s64
	s_addc_u32 s15, s12, s1
	;; [unrolled: 4-line block ×3, first 2 shown]
	s_lshl_b64 s[0:1], s[6:7], 1
	s_add_u32 s0, s5, s0
	s_addc_u32 s1, s12, s1
	v_writelane_b32 v166, s0, 5
	s_mul_i32 s6, s52, s8
	v_mbcnt_lo_u32_b32 v1, -1, 0
	v_writelane_b32 v166, s1, 6
	s_lshl_b64 s[0:1], s[6:7], 2
	s_add_u32 s0, s36, s0
	v_writelane_b32 v166, s0, 7
	s_addc_u32 s0, s37, s1
	s_mul_i32 s6, s4, s54
	v_writelane_b32 v166, s0, 8
	s_lshl_b64 s[0:1], s[6:7], 1
	s_add_u32 s5, s38, s0
	s_mul_i32 s6, s3, s57
	s_addc_u32 s12, s39, s1
	s_lshl_b64 s[0:1], s[6:7], 1
	s_add_u32 s0, s5, s0
	s_addc_u32 s1, s12, s1
	v_writelane_b32 v166, s0, 9
	v_lshlrev_b32_e32 v19, 4, v0
	v_mbcnt_hi_u32_b32 v18, -1, v1
	v_writelane_b32 v166, s1, 10
	v_writelane_b32 v166, s52, 11
	v_and_b32_e32 v2, 0x400, v19
	v_or_b32_e32 v72, v18, v2
	v_writelane_b32 v166, s53, 12
	v_writelane_b32 v166, s54, 13
	s_mul_i32 s6, s4, s58
	v_lshrrev_b32_e32 v1, 5, v72
	v_writelane_b32 v166, s55, 14
	s_lshl_b64 s[0:1], s[6:7], 1
	v_and_b32_e32 v1, 34, v1
	v_writelane_b32 v166, s56, 15
	s_add_u32 s5, s40, s0
	s_mul_i32 s6, s3, s61
	v_add_u32_e32 v3, 64, v72
	v_or_b32_e32 v4, 0x80, v72
	v_add_u32_e32 v5, 0xc0, v72
	v_add_u32_e32 v1, v1, v72
	v_writelane_b32 v166, s57, 16
	s_addc_u32 s12, s41, s1
	s_lshl_b64 s[0:1], s[6:7], 1
	v_lshl_add_u32 v88, v1, 1, 0
	v_lshrrev_b32_e32 v1, 5, v3
	v_lshrrev_b32_e32 v3, 5, v4
	;; [unrolled: 1-line block ×3, first 2 shown]
	v_writelane_b32 v166, s58, 17
	s_add_u32 s0, s5, s0
	v_or_b32_e32 v75, 0x100, v72
	v_and_b32_e32 v4, 46, v4
	v_writelane_b32 v166, s59, 18
	s_addc_u32 s1, s12, s1
	v_add_lshl_u32 v8, v4, v72, 1
	v_lshrrev_b32_e32 v4, 5, v75
	v_writelane_b32 v166, s0, 19
	s_mul_i32 s6, s2, s10
	v_add_u32_e32 v6, 0x140, v72
	v_and_b32_e32 v4, 42, v4
	v_writelane_b32 v166, s1, 20
	s_lshl_b64 s[0:1], s[6:7], 1
	v_add_lshl_u32 v9, v4, v72, 1
	v_lshrrev_b32_e32 v4, 5, v6
	s_add_u32 s2, s20, s0
	s_mul_i32 s6, s11, s8
	v_or_b32_e32 v78, 0x180, v72
	v_and_b32_e32 v4, 46, v4
	s_addc_u32 s3, s21, s1
	s_lshl_b64 s[0:1], s[6:7], 1
	v_add_lshl_u32 v10, v4, v72, 1
	v_lshrrev_b32_e32 v4, 5, v78
	s_add_u32 s0, s2, s0
	v_add_u32_e32 v79, 0x1c0, v72
	v_and_b32_e32 v4, 46, v4
	v_writelane_b32 v166, s0, 21
	s_addc_u32 s0, s3, s1
	v_add_lshl_u32 v11, v4, v72, 1
	v_lshrrev_b32_e32 v4, 5, v79
	v_writelane_b32 v166, s0, 22
	s_add_i32 s0, s17, 0x7ff
	v_or_b32_e32 v80, 0x200, v72
	v_and_b32_e32 v4, 62, v4
	s_lshr_b32 s0, s0, 11
	v_add_lshl_u32 v12, v4, v72, 1
	v_lshrrev_b32_e32 v4, 5, v80
	v_add_u32_e32 v81, 0x240, v72
	v_and_b32_e32 v4, 50, v4
	s_bitcmp1_b32 s9, 0
	v_add_lshl_u32 v13, v4, v72, 1
	v_lshrrev_b32_e32 v4, 5, v81
	s_cselect_b64 s[2:3], -1, 0
	v_or_b32_e32 v82, 0x280, v72
	v_and_b32_e32 v4, 54, v4
	v_writelane_b32 v166, s2, 23
	v_add_lshl_u32 v14, v4, v72, 1
	v_lshrrev_b32_e32 v4, 5, v82
	v_writelane_b32 v166, s3, 24
	s_cmp_gt_i32 s13, 0
	v_add_u32_e32 v83, 0x2c0, v72
	v_and_b32_e32 v4, 54, v4
	v_writelane_b32 v166, s13, 25
	s_cselect_b64 s[2:3], -1, 0
	v_add_lshl_u32 v15, v4, v72, 1
	v_lshrrev_b32_e32 v4, 5, v83
	v_writelane_b32 v166, s2, 26
	v_or_b32_e32 v84, 0x300, v72
	v_and_b32_e32 v4, 62, v4
	v_writelane_b32 v166, s3, 27
	v_add_lshl_u32 v26, v4, v72, 1
	v_lshrrev_b32_e32 v4, 5, v84
	v_writelane_b32 v166, s17, 28
	v_add_u32_e32 v85, 0x340, v72
	v_and_b32_e32 v4, 58, v4
	v_writelane_b32 v166, s0, 29
	s_add_i32 s0, s0, -1
	s_mul_i32 s6, s4, s28
	v_add_lshl_u32 v27, v4, v72, 1
	v_lshrrev_b32_e32 v4, 5, v85
	s_add_i32 s9, 0, 0x1080
	s_and_b32 s10, s17, 0x7ff
	v_writelane_b32 v166, s0, 30
	s_lshl_b64 s[0:1], s[6:7], 1
	v_or_b32_e32 v86, 0x380, v72
	v_and_b32_e32 v4, 62, v4
	s_add_u32 s2, s50, s0
	s_mul_i32 s6, s29, s8
	v_add_lshl_u32 v28, v4, v72, 1
	v_lshrrev_b32_e32 v4, 5, v86
	s_addc_u32 s3, s51, s1
	s_lshl_b64 s[0:1], s[6:7], 1
	s_mul_i32 s6, s4, s66
	v_writelane_b32 v166, s60, 31
	v_and_b32_e32 v4, 62, v4
	v_add_lshl_u32 v29, v4, v72, 1
	v_writelane_b32 v166, s61, 32
	v_and_b32_e32 v4, 64, v0
	v_writelane_b32 v166, s62, 33
	v_add_u16_e32 v6, v18, v4
	s_add_u32 s2, s2, s0
	v_writelane_b32 v166, s63, 34
	v_lshrrev_b16_e32 v6, 1, v6
	s_addc_u32 s3, s3, s1
	s_lshl_b64 s[0:1], s[6:7], 1
	v_writelane_b32 v166, s64, 35
	v_add_lshl_u32 v5, v18, v4, 4
	v_and_b32_e32 v6, 0x7e, v6
	s_add_u32 s5, s22, s0
	v_writelane_b32 v166, s65, 36
	s_mul_i32 s6, s67, s8
	v_add_lshl_u32 v30, v6, v5, 1
	s_addc_u32 s11, s23, s1
	v_writelane_b32 v166, s66, 37
	s_lshl_b64 s[0:1], s[6:7], 1
	v_and_b32_e32 v5, 15, v18
	v_writelane_b32 v166, s67, 38
	s_add_u32 s12, s5, s0
	s_mul_i32 s6, s4, s30
	v_cmp_lt_u32_e64 s[16:17], 1, v5
	s_addc_u32 s13, s11, s1
	s_lshl_b64 s[0:1], s[6:7], 1
	v_writelane_b32 v166, s16, 39
	s_add_u32 s4, s24, s0
	s_mul_i32 s6, s31, s8
	v_writelane_b32 v166, s17, 40
	v_cmp_lt_u32_e64 s[16:17], 3, v5
	s_addc_u32 s5, s25, s1
	s_lshl_b64 s[0:1], s[6:7], 1
	v_writelane_b32 v166, s16, 41
	s_add_u32 s4, s4, s0
	s_addc_u32 s5, s5, s1
	v_writelane_b32 v166, s17, 42
	v_cmp_lt_u32_e64 s[16:17], 7, v5
	v_cmp_eq_u32_e64 s[0:1], 0, v5
	v_and_b32_e32 v5, 16, v18
	v_writelane_b32 v166, s16, 43
	v_or_b32_e32 v4, 63, v4
	v_mov_b32_e32 v17, 0
	v_writelane_b32 v166, s17, 44
	v_cmp_ne_u32_e64 s[16:17], 0, v5
	v_lshlrev_b32_e32 v16, 1, v18
	s_cmp_eq_u32 s10, 0
	v_writelane_b32 v166, s16, 45
	v_lshlrev_b32_e32 v6, 1, v2
	v_mov_b32_e32 v7, v17
	v_writelane_b32 v166, s17, 46
	v_cmp_eq_u32_e64 s[16:17], v4, v0
	v_and_b32_e32 v4, 1, v18
	v_add_u32_e32 v87, 0x3c0, v72
	v_writelane_b32 v166, s16, 47
	v_and_b32_e32 v1, 38, v1
	v_add_lshl_u32 v1, v1, v72, 1
	v_writelane_b32 v166, s17, 48
	v_cmp_eq_u32_e64 s[16:17], 0, v4
	v_lshl_add_u64 v[4:5], s[2:3], 0, v[16:17]
	s_cselect_b64 s[2:3], -1, 0
	v_writelane_b32 v166, s16, 49
	v_lshl_add_u64 v[20:21], v[4:5], 0, v[6:7]
	v_lshl_add_u64 v[4:5], s[12:13], 0, v[16:17]
	v_writelane_b32 v166, s17, 50
	v_writelane_b32 v166, s2, 51
	v_lshl_add_u64 v[22:23], v[4:5], 0, v[6:7]
	v_lshl_add_u64 v[4:5], s[4:5], 0, v[16:17]
	v_writelane_b32 v166, s3, 52
	v_cmp_lt_u32_e64 s[2:3], 31, v18
	v_lshl_add_u64 v[24:25], v[4:5], 0, v[6:7]
	v_add_u32_e32 v4, -1, v18
	v_writelane_b32 v166, s2, 53
	v_and_b32_e32 v5, 64, v18
	v_lshrrev_b32_e32 v6, 5, v87
	v_writelane_b32 v166, s3, 54
	v_cmp_gt_u32_e64 s[2:3], 2, v0
	v_add_u32_e32 v89, 0, v1
	v_and_b32_e32 v3, 38, v3
	v_writelane_b32 v166, s2, 55
	v_and_b32_e32 v6, 0x7e, v6
	v_add_u32_e32 v101, s9, v1
	v_writelane_b32 v166, s3, 56
	v_cmp_gt_u32_e64 s[2:3], 64, v0
	v_lshrrev_b32_e32 v1, 3, v0
	v_cmp_lt_i32_e32 vcc, v4, v5
	v_writelane_b32 v166, s2, 57
	v_add_lshl_u32 v3, v3, v72, 1
	v_add_lshl_u32 v6, v6, v72, 1
	v_and_b32_e32 v1, 8, v1
	v_writelane_b32 v166, s3, 58
	v_cmp_lt_u32_e64 s[20:21], 63, v0
	v_cmp_eq_u32_e64 s[22:23], 0, v0
	v_lshl_add_u32 v122, v0, 3, 0
	v_cndmask_b32_e32 v0, v4, v18, vcc
	s_add_i32 s2, 0, 0x2110
	v_add_u32_e32 v90, 0, v3
	v_add_u32_e32 v91, 0, v8
	;; [unrolled: 1-line block ×31, first 2 shown]
	v_lshlrev_b32_e32 v123, 2, v0
	v_cmp_eq_u32_e64 s[24:25], 0, v18
	v_lshlrev_b32_e32 v26, 1, v2
	s_mov_b32 s6, 0x41a00000
	s_mov_b32 s8, 0x3fb8aa3b
	;; [unrolled: 1-line block ×8, first 2 shown]
	v_writelane_b32 v166, s2, 59
	s_mov_b32 s33, 0xc2fc0000
	s_mov_b32 s3, 0
	v_mov_b32_e32 v139, 0x3ecc95a3
	v_mov_b32_e32 v140, 0x7f800000
	;; [unrolled: 1-line block ×5, first 2 shown]
                                        ; implicit-def: $vgpr0
	s_branch .LBB92_13
.LBB92_12:                              ;   in Loop: Header=BB92_13 Depth=1
	s_or_b64 exec, exec, s[2:3]
	v_readlane_b32 s2, v166, 5
	v_readlane_b32 s3, v166, 6
	s_add_u32 s2, s2, 0x1000
	s_addc_u32 s3, s3, 0
	v_writelane_b32 v166, s2, 5
	s_nop 1
	v_writelane_b32 v166, s3, 6
	s_nop 0
	v_readlane_b32 s14, v166, 63
	v_readlane_b32 s15, v167, 0
	s_add_u32 s14, s14, 0x1000
	s_addc_u32 s15, s15, 0
	v_readlane_b32 s2, v166, 9
	v_readlane_b32 s3, v166, 10
	s_add_u32 s2, s2, 0x1000
	s_addc_u32 s3, s3, 0
	v_writelane_b32 v166, s2, 9
	s_nop 1
	v_writelane_b32 v166, s3, 10
	s_nop 0
	v_readlane_b32 s2, v166, 19
	v_readlane_b32 s3, v166, 20
	s_add_u32 s2, s2, 0x1000
	s_addc_u32 s3, s3, 0
	v_writelane_b32 v166, s2, 19
	s_nop 1
	v_writelane_b32 v166, s3, 20
	s_nop 0
	v_readlane_b32 s3, v166, 60
	s_add_i32 s3, s3, 1
	v_readlane_b32 s2, v166, 29
	s_cmp_lg_u32 s3, s2
	s_cbranch_scc0 .LBB92_302
.LBB92_13:                              ; =>This Loop Header: Depth=1
                                        ;     Child Loop BB92_110 Depth 2
	s_lshl_b32 s18, s3, 11
	v_writelane_b32 v166, s3, 60
	s_mov_b32 s4, s18
	v_readlane_b32 s2, v166, 28
	v_writelane_b32 v166, s4, 61
	s_waitcnt lgkmcnt(14)
	v_lshlrev_b32_e32 v16, 1, v18
	s_sub_i32 s88, s2, s18
	v_writelane_b32 v166, s5, 62
                                        ; implicit-def: $vgpr167 : SGPR spill to VGPR lane
	v_writelane_b32 v166, s14, 63
	v_mov_b32_e32 v27, v17
	v_cmp_gt_u32_e64 s[26:27], s88, v72
	v_lshl_add_u64 v[0:1], s[14:15], 0, v[16:17]
	v_writelane_b32 v167, s15, 0
	v_lshl_add_u64 v[0:1], v[0:1], 0, v[26:27]
	s_waitcnt lgkmcnt(0)
	v_mov_b32_e32 v2, 0
	s_barrier
	s_and_saveexec_b64 s[2:3], s[26:27]
	s_cbranch_execz .LBB92_15
; %bb.14:                               ;   in Loop: Header=BB92_13 Depth=1
	global_load_ushort v2, v[0:1], off
.LBB92_15:                              ;   in Loop: Header=BB92_13 Depth=1
	s_or_b64 exec, exec, s[2:3]
	v_add_u32_e32 v3, 64, v72
	v_cmp_gt_u32_e64 s[28:29], s88, v3
	v_mov_b32_e32 v3, 0
	v_mov_b32_e32 v4, 0
	s_and_saveexec_b64 s[2:3], s[28:29]
	s_cbranch_execz .LBB92_17
; %bb.16:                               ;   in Loop: Header=BB92_13 Depth=1
	global_load_ushort v4, v[0:1], off offset:128
.LBB92_17:                              ;   in Loop: Header=BB92_13 Depth=1
	s_or_b64 exec, exec, s[2:3]
	v_or_b32_e32 v5, 0x80, v72
	v_cmp_gt_u32_e64 s[30:31], s88, v5
	s_and_saveexec_b64 s[2:3], s[30:31]
	s_cbranch_execz .LBB92_19
; %bb.18:                               ;   in Loop: Header=BB92_13 Depth=1
	global_load_ushort v3, v[0:1], off offset:256
.LBB92_19:                              ;   in Loop: Header=BB92_13 Depth=1
	s_or_b64 exec, exec, s[2:3]
	v_add_u32_e32 v5, 0xc0, v72
	v_cmp_gt_u32_e64 s[34:35], s88, v5
	v_mov_b32_e32 v5, 0
	v_mov_b32_e32 v6, 0
	s_and_saveexec_b64 s[2:3], s[34:35]
	s_cbranch_execz .LBB92_21
; %bb.20:                               ;   in Loop: Header=BB92_13 Depth=1
	global_load_ushort v6, v[0:1], off offset:384
.LBB92_21:                              ;   in Loop: Header=BB92_13 Depth=1
	s_or_b64 exec, exec, s[2:3]
	v_cmp_gt_u32_e64 s[36:37], s88, v75
	s_and_saveexec_b64 s[2:3], s[36:37]
	s_cbranch_execz .LBB92_23
; %bb.22:                               ;   in Loop: Header=BB92_13 Depth=1
	global_load_ushort v5, v[0:1], off offset:512
.LBB92_23:                              ;   in Loop: Header=BB92_13 Depth=1
	s_or_b64 exec, exec, s[2:3]
	v_add_u32_e32 v7, 0x140, v72
	v_cmp_gt_u32_e64 s[38:39], s88, v7
	v_mov_b32_e32 v7, 0
	v_mov_b32_e32 v8, 0
	s_and_saveexec_b64 s[2:3], s[38:39]
	s_cbranch_execz .LBB92_25
; %bb.24:                               ;   in Loop: Header=BB92_13 Depth=1
	global_load_ushort v8, v[0:1], off offset:640
.LBB92_25:                              ;   in Loop: Header=BB92_13 Depth=1
	s_or_b64 exec, exec, s[2:3]
	v_cmp_gt_u32_e64 s[40:41], s88, v78
	s_and_saveexec_b64 s[2:3], s[40:41]
	s_cbranch_execz .LBB92_27
; %bb.26:                               ;   in Loop: Header=BB92_13 Depth=1
	global_load_ushort v7, v[0:1], off offset:768
.LBB92_27:                              ;   in Loop: Header=BB92_13 Depth=1
	s_or_b64 exec, exec, s[2:3]
	v_cmp_gt_u32_e64 s[42:43], s88, v79
	v_mov_b32_e32 v9, 0
	v_mov_b32_e32 v11, 0
	s_and_saveexec_b64 s[2:3], s[42:43]
	s_cbranch_execz .LBB92_29
; %bb.28:                               ;   in Loop: Header=BB92_13 Depth=1
	global_load_ushort v11, v[0:1], off offset:896
.LBB92_29:                              ;   in Loop: Header=BB92_13 Depth=1
	s_or_b64 exec, exec, s[2:3]
	v_cmp_gt_u32_e64 s[44:45], s88, v80
	s_and_saveexec_b64 s[2:3], s[44:45]
	s_cbranch_execz .LBB92_31
; %bb.30:                               ;   in Loop: Header=BB92_13 Depth=1
	global_load_ushort v9, v[0:1], off offset:1024
.LBB92_31:                              ;   in Loop: Header=BB92_13 Depth=1
	s_or_b64 exec, exec, s[2:3]
	;; [unrolled: 16-line block ×5, first 2 shown]
	v_cmp_gt_u32_e64 s[58:59], s88, v87
	v_mov_b32_e32 v10, 0
	v_mov_b32_e32 v30, 0
	s_and_saveexec_b64 s[2:3], s[58:59]
	s_cbranch_execz .LBB92_45
; %bb.44:                               ;   in Loop: Header=BB92_13 Depth=1
	global_load_ushort v30, v[0:1], off offset:1920
.LBB92_45:                              ;   in Loop: Header=BB92_13 Depth=1
	s_or_b64 exec, exec, s[2:3]
	s_waitcnt vmcnt(0)
	ds_write_b16 v88, v2
	ds_write_b16 v89, v4 offset:128
	ds_write_b16 v90, v3 offset:256
	;; [unrolled: 1-line block ×15, first 2 shown]
	; wave barrier
	ds_read_b128 v[0:3], v119
	ds_read_b128 v[4:7], v119 offset:16
	v_readlane_b32 s2, v166, 5
	v_readlane_b32 s3, v166, 6
	v_mov_b32_e32 v27, v17
	s_waitcnt lgkmcnt(0)
	v_lshl_add_u64 v[8:9], s[2:3], 0, v[16:17]
	v_lshl_add_u64 v[8:9], v[8:9], 0, v[26:27]
	s_barrier
	s_and_saveexec_b64 s[2:3], s[26:27]
	s_cbranch_execz .LBB92_47
; %bb.46:                               ;   in Loop: Header=BB92_13 Depth=1
	global_load_ushort v10, v[8:9], off
.LBB92_47:                              ;   in Loop: Header=BB92_13 Depth=1
	s_or_b64 exec, exec, s[2:3]
	v_mov_b32_e32 v11, 0
	v_mov_b32_e32 v12, 0
	s_and_saveexec_b64 s[2:3], s[28:29]
	s_cbranch_execz .LBB92_49
; %bb.48:                               ;   in Loop: Header=BB92_13 Depth=1
	global_load_ushort v12, v[8:9], off offset:128
.LBB92_49:                              ;   in Loop: Header=BB92_13 Depth=1
	s_or_b64 exec, exec, s[2:3]
	s_and_saveexec_b64 s[2:3], s[30:31]
	s_cbranch_execz .LBB92_51
; %bb.50:                               ;   in Loop: Header=BB92_13 Depth=1
	global_load_ushort v11, v[8:9], off offset:256
.LBB92_51:                              ;   in Loop: Header=BB92_13 Depth=1
	s_or_b64 exec, exec, s[2:3]
	v_mov_b32_e32 v13, 0
	v_mov_b32_e32 v14, 0
	s_and_saveexec_b64 s[2:3], s[34:35]
	s_cbranch_execz .LBB92_53
; %bb.52:                               ;   in Loop: Header=BB92_13 Depth=1
	global_load_ushort v14, v[8:9], off offset:384
.LBB92_53:                              ;   in Loop: Header=BB92_13 Depth=1
	s_or_b64 exec, exec, s[2:3]
	s_and_saveexec_b64 s[2:3], s[36:37]
	s_cbranch_execz .LBB92_55
; %bb.54:                               ;   in Loop: Header=BB92_13 Depth=1
	global_load_ushort v13, v[8:9], off offset:512
.LBB92_55:                              ;   in Loop: Header=BB92_13 Depth=1
	;; [unrolled: 14-line block ×6, first 2 shown]
	s_or_b64 exec, exec, s[2:3]
	v_mov_b32_e32 v35, 0
	v_mov_b32_e32 v36, 0
	s_and_saveexec_b64 s[2:3], s[54:55]
	s_cbranch_execnz .LBB92_269
; %bb.72:                               ;   in Loop: Header=BB92_13 Depth=1
	s_or_b64 exec, exec, s[2:3]
	s_and_saveexec_b64 s[2:3], s[56:57]
	s_cbranch_execnz .LBB92_270
.LBB92_73:                              ;   in Loop: Header=BB92_13 Depth=1
	s_or_b64 exec, exec, s[2:3]
	v_mov_b32_e32 v37, 0
	s_and_saveexec_b64 s[2:3], s[58:59]
	s_cbranch_execz .LBB92_75
.LBB92_74:                              ;   in Loop: Header=BB92_13 Depth=1
	global_load_ushort v37, v[8:9], off offset:1920
.LBB92_75:                              ;   in Loop: Header=BB92_13 Depth=1
	s_or_b64 exec, exec, s[2:3]
	s_waitcnt vmcnt(0)
	ds_write_b16 v88, v10
	ds_write_b16 v89, v12 offset:128
	ds_write_b16 v90, v11 offset:256
	;; [unrolled: 1-line block ×15, first 2 shown]
	; wave barrier
	ds_read_b128 v[12:15], v119
	ds_read_b128 v[8:11], v119 offset:16
	v_readlane_b32 s2, v166, 2
	s_waitcnt lgkmcnt(1)
	v_cvt_f32_f16_e32 v27, v12
	v_add_f32_e32 v143, s2, v27
	v_readlane_b32 s2, v166, 23
	v_cmp_ge_f32_e32 vcc, s6, v143
	v_readlane_b32 s3, v166, 24
	s_and_b64 s[2:3], s[2:3], vcc
	s_and_saveexec_b64 s[4:5], s[2:3]
	s_cbranch_execz .LBB92_77
; %bb.76:                               ;   in Loop: Header=BB92_13 Depth=1
	v_mul_f32_e32 v27, 0x3fb8aa3b, v143
	v_rndne_f32_e32 v29, v27
	v_sub_f32_e32 v30, v27, v29
	v_fma_f32 v27, v143, s8, -v27
	v_fmac_f32_e32 v27, 0x32a5705f, v143
	v_add_f32_e32 v27, v30, v27
	v_cvt_i32_f32_e32 v29, v29
	v_exp_f32_e32 v27, v27
	v_cmp_ngt_f32_e32 vcc, s9, v143
	v_ldexp_f32 v27, v27, v29
	s_nop 0
	v_cndmask_b32_e32 v27, 0, v27, vcc
	v_cmp_nlt_f32_e32 vcc, s10, v143
	s_nop 1
	v_cndmask_b32_e32 v46, v140, v27, vcc
	v_add_f32_e32 v27, 1.0, v46
	v_add_f32_e32 v29, -1.0, v27
	v_sub_f32_e32 v30, v29, v27
	v_add_f32_e32 v30, 1.0, v30
	v_sub_f32_e32 v29, v46, v29
	v_add_f32_e32 v29, v29, v30
	v_frexp_mant_f32_e32 v32, v27
	v_cvt_f64_f32_e32 v[30:31], v27
	v_frexp_exp_i32_f64_e32 v30, v[30:31]
	v_cmp_gt_f32_e32 vcc, s12, v32
	v_cmp_gt_f32_e64 s[60:61], s16, v46
	s_nop 0
	v_subbrev_co_u32_e32 v38, vcc, 0, v30, vcc
	v_sub_u32_e32 v30, 0, v38
	v_ldexp_f32 v27, v27, v30
	v_ldexp_f32 v29, v29, v30
	v_add_f32_e32 v30, -1.0, v27
	v_add_f32_e32 v31, 1.0, v30
	v_sub_f32_e32 v31, v27, v31
	v_add_f32_e32 v32, v29, v31
	v_add_f32_e32 v31, 1.0, v27
	v_add_f32_e32 v33, -1.0, v31
	v_sub_f32_e32 v27, v27, v33
	v_add_f32_e32 v27, v29, v27
	v_add_f32_e32 v29, v31, v27
	v_rcp_f32_e32 v39, v29
	v_sub_f32_e32 v31, v31, v29
	v_add_f32_e32 v27, v27, v31
	v_add_f32_e32 v31, v30, v32
	v_sub_f32_e32 v30, v30, v31
	v_mul_f32_e32 v41, v31, v39
	v_add_f32_e32 v40, v32, v30
	v_mul_f32_e32 v32, v29, v41
	v_fma_f32 v34, v41, v29, -v32
	v_fmac_f32_e32 v34, v41, v27
	v_add_f32_e32 v30, v32, v34
	v_sub_f32_e32 v33, v31, v30
	v_pk_add_f32 v[36:37], v[30:31], v[32:33] neg_lo:[0,1] neg_hi:[0,1]
	v_mov_b32_e32 v35, v30
	v_pk_add_f32 v[30:31], v[36:37], v[34:35] neg_lo:[0,1] neg_hi:[0,1]
	v_cmp_eq_f32_e32 vcc, s11, v46
	v_add_f32_e32 v31, v40, v31
	v_add_f32_e32 v30, v30, v31
	v_add_f32_e32 v31, v33, v30
	v_mul_f32_e32 v40, v39, v31
	v_mul_f32_e32 v32, v29, v40
	v_fma_f32 v34, v40, v29, -v32
	v_fmac_f32_e32 v34, v40, v27
	v_sub_f32_e32 v27, v33, v31
	v_add_f32_e32 v27, v30, v27
	v_add_f32_e32 v30, v32, v34
	v_sub_f32_e32 v33, v31, v30
	v_pk_add_f32 v[36:37], v[30:31], v[32:33] neg_lo:[0,1] neg_hi:[0,1]
	v_mov_b32_e32 v35, v30
	v_pk_add_f32 v[30:31], v[36:37], v[34:35] neg_lo:[0,1] neg_hi:[0,1]
	s_or_b64 vcc, s[60:61], vcc
	v_add_f32_e32 v27, v27, v31
	v_add_f32_e32 v27, v30, v27
	;; [unrolled: 1-line block ×4, first 2 shown]
	v_sub_f32_e32 v29, v31, v41
	v_mul_f32_e32 v27, v39, v27
	v_sub_f32_e32 v29, v40, v29
	v_add_f32_e32 v27, v29, v27
	v_add_f32_e32 v32, v31, v27
	v_cvt_f32_i32_e32 v30, v38
	v_mul_f32_e32 v34, v32, v32
	v_fmamk_f32 v29, v34, 0x3e9b6dac, v139
	v_sub_f32_e32 v31, v32, v31
	v_fmaak_f32 v29, v34, v29, 0x3f2aaada
	v_sub_f32_e32 v27, v27, v31
	v_mul_f32_e32 v31, v32, v34
	v_pk_mul_f32 v[34:35], v[30:31], v[28:29]
	v_ldexp_f32 v33, v32, 1
	v_fma_f32 v32, v30, s13, -v34
	v_fmac_f32_e32 v32, 0xb102e308, v30
	v_pk_add_f32 v[30:31], v[34:35], v[32:33]
	v_ldexp_f32 v27, v27, 1
	v_sub_f32_e32 v29, v31, v33
	v_sub_f32_e32 v29, v35, v29
	v_add_f32_e32 v37, v27, v29
	v_mov_b32_e32 v36, v34
	v_pk_add_f32 v[34:35], v[30:31], v[34:35] neg_lo:[0,1] neg_hi:[0,1]
	v_pk_add_f32 v[38:39], v[30:31], v[36:37]
	v_mov_b32_e32 v33, v30
	v_mov_b32_e32 v35, v39
	v_pk_add_f32 v[40:41], v[32:33], v[34:35] neg_lo:[0,1] neg_hi:[0,1]
	v_pk_add_f32 v[32:33], v[32:33], v[34:35]
	v_mov_b32_e32 v36, v37
	v_mov_b32_e32 v34, v33
	v_pk_add_f32 v[42:43], v[34:35], v[30:31] neg_lo:[0,1] neg_hi:[0,1]
	v_mov_b32_e32 v32, v39
	v_mov_b32_e32 v27, v42
	v_pk_add_f32 v[44:45], v[38:39], v[26:27] neg_lo:[0,1] neg_hi:[0,1]
	v_mov_b32_e32 v38, v31
	v_mov_b32_e32 v39, v42
	;; [unrolled: 1-line block ×3, first 2 shown]
	v_pk_add_f32 v[32:33], v[32:33], v[38:39] neg_lo:[0,1] neg_hi:[0,1]
	v_mov_b32_e32 v37, v30
	v_pk_add_f32 v[30:31], v[36:37], v[32:33] neg_lo:[0,1] neg_hi:[0,1]
	v_mov_b32_e32 v44, v40
	v_pk_add_f32 v[32:33], v[44:45], v[30:31]
	s_nop 0
	v_mov_b32_e32 v36, v33
	v_pk_add_f32 v[36:37], v[32:33], v[36:37]
	s_nop 0
	v_pk_add_f32 v[34:35], v[34:35], v[36:37]
	v_mov_b32_e32 v31, v36
	v_mov_b32_e32 v33, v34
	v_pk_add_f32 v[38:39], v[32:33], v[40:41] neg_lo:[0,1] neg_hi:[0,1]
	s_nop 0
	v_sub_f32_e32 v27, v32, v38
	v_pk_add_f32 v[30:31], v[30:31], v[38:39] neg_lo:[0,1] neg_hi:[0,1]
	v_sub_f32_e32 v27, v40, v27
	v_add_f32_e32 v27, v30, v27
	v_add_f32_e32 v27, v27, v31
	;; [unrolled: 1-line block ×3, first 2 shown]
	v_cndmask_b32_e32 v143, v27, v46, vcc
.LBB92_77:                              ;   in Loop: Header=BB92_13 Depth=1
	s_or_b64 exec, exec, s[4:5]
	v_cvt_f32_f16_sdwa v12, v12 dst_sel:DWORD dst_unused:UNUSED_PAD src0_sel:WORD_1
	v_readlane_b32 s2, v166, 2
	s_nop 1
	v_add_f32_e32 v144, s2, v12
	v_readlane_b32 s2, v166, 23
	v_cmp_ge_f32_e32 vcc, s6, v144
	v_readlane_b32 s3, v166, 24
	s_and_b64 s[2:3], s[2:3], vcc
	s_and_saveexec_b64 s[4:5], s[2:3]
	s_cbranch_execz .LBB92_79
; %bb.78:                               ;   in Loop: Header=BB92_13 Depth=1
	v_mul_f32_e32 v12, 0x3fb8aa3b, v144
	v_rndne_f32_e32 v27, v12
	v_sub_f32_e32 v29, v12, v27
	v_fma_f32 v12, v144, s8, -v12
	v_fmac_f32_e32 v12, 0x32a5705f, v144
	v_add_f32_e32 v12, v29, v12
	v_cvt_i32_f32_e32 v27, v27
	v_exp_f32_e32 v12, v12
	v_cmp_ngt_f32_e32 vcc, s9, v144
	v_ldexp_f32 v12, v12, v27
	s_nop 0
	v_cndmask_b32_e32 v12, 0, v12, vcc
	v_cmp_nlt_f32_e32 vcc, s10, v144
	s_nop 1
	v_cndmask_b32_e32 v44, v140, v12, vcc
	v_add_f32_e32 v12, 1.0, v44
	v_add_f32_e32 v27, -1.0, v12
	v_sub_f32_e32 v29, v27, v12
	v_add_f32_e32 v29, 1.0, v29
	v_sub_f32_e32 v27, v44, v27
	v_add_f32_e32 v27, v27, v29
	v_frexp_mant_f32_e32 v29, v12
	v_cvt_f64_f32_e32 v[30:31], v12
	v_frexp_exp_i32_f64_e32 v30, v[30:31]
	v_cmp_gt_f32_e32 vcc, s12, v29
	v_cmp_gt_f32_e64 s[60:61], s16, v44
	s_nop 0
	v_subbrev_co_u32_e32 v38, vcc, 0, v30, vcc
	v_sub_u32_e32 v29, 0, v38
	v_ldexp_f32 v12, v12, v29
	v_ldexp_f32 v27, v27, v29
	v_add_f32_e32 v29, -1.0, v12
	v_add_f32_e32 v31, 1.0, v12
	v_add_f32_e32 v30, 1.0, v29
	v_add_f32_e32 v32, -1.0, v31
	v_sub_f32_e32 v30, v12, v30
	v_sub_f32_e32 v12, v12, v32
	v_add_f32_e32 v12, v27, v12
	v_add_f32_e32 v30, v27, v30
	;; [unrolled: 1-line block ×3, first 2 shown]
	v_rcp_f32_e32 v39, v27
	v_sub_f32_e32 v31, v31, v27
	v_add_f32_e32 v12, v12, v31
	v_add_f32_e32 v31, v29, v30
	v_mul_f32_e32 v40, v31, v39
	v_mul_f32_e32 v32, v27, v40
	v_fma_f32 v34, v40, v27, -v32
	v_sub_f32_e32 v29, v29, v31
	v_fmac_f32_e32 v34, v40, v12
	v_add_f32_e32 v29, v30, v29
	v_add_f32_e32 v30, v32, v34
	v_sub_f32_e32 v33, v31, v30
	v_pk_add_f32 v[36:37], v[30:31], v[32:33] neg_lo:[0,1] neg_hi:[0,1]
	v_mov_b32_e32 v35, v30
	v_pk_add_f32 v[30:31], v[36:37], v[34:35] neg_lo:[0,1] neg_hi:[0,1]
	v_cmp_eq_f32_e32 vcc, s11, v44
	v_add_f32_e32 v29, v29, v31
	v_add_f32_e32 v29, v30, v29
	;; [unrolled: 1-line block ×3, first 2 shown]
	v_mul_f32_e32 v41, v39, v31
	v_mul_f32_e32 v32, v27, v41
	v_fma_f32 v34, v41, v27, -v32
	v_fmac_f32_e32 v34, v41, v12
	v_add_f32_e32 v30, v32, v34
	v_sub_f32_e32 v12, v33, v31
	v_sub_f32_e32 v33, v31, v30
	v_pk_add_f32 v[36:37], v[30:31], v[32:33] neg_lo:[0,1] neg_hi:[0,1]
	v_mov_b32_e32 v35, v30
	v_add_f32_e32 v12, v29, v12
	v_pk_add_f32 v[30:31], v[36:37], v[34:35] neg_lo:[0,1] neg_hi:[0,1]
	v_add_f32_e32 v27, v40, v41
	v_add_f32_e32 v12, v12, v31
	;; [unrolled: 1-line block ×4, first 2 shown]
	v_sub_f32_e32 v29, v27, v40
	v_mul_f32_e32 v12, v39, v12
	v_sub_f32_e32 v29, v41, v29
	v_add_f32_e32 v12, v29, v12
	v_add_f32_e32 v31, v27, v12
	v_cvt_f32_i32_e32 v30, v38
	v_mul_f32_e32 v32, v31, v31
	v_fmamk_f32 v29, v32, 0x3e9b6dac, v139
	v_fmaak_f32 v29, v32, v29, 0x3f2aaada
	v_sub_f32_e32 v27, v31, v27
	v_ldexp_f32 v33, v31, 1
	v_mul_f32_e32 v31, v31, v32
	v_pk_mul_f32 v[34:35], v[30:31], v[28:29]
	v_sub_f32_e32 v12, v12, v27
	v_fma_f32 v32, v30, s13, -v34
	v_fmac_f32_e32 v32, 0xb102e308, v30
	v_pk_add_f32 v[30:31], v[34:35], v[32:33]
	v_ldexp_f32 v12, v12, 1
	v_sub_f32_e32 v27, v31, v33
	v_sub_f32_e32 v27, v35, v27
	v_add_f32_e32 v37, v12, v27
	v_mov_b32_e32 v36, v34
	v_pk_add_f32 v[34:35], v[30:31], v[34:35] neg_lo:[0,1] neg_hi:[0,1]
	v_pk_add_f32 v[38:39], v[30:31], v[36:37]
	v_mov_b32_e32 v33, v30
	v_mov_b32_e32 v35, v39
	v_pk_add_f32 v[40:41], v[32:33], v[34:35] neg_lo:[0,1] neg_hi:[0,1]
	v_pk_add_f32 v[32:33], v[32:33], v[34:35]
	s_or_b64 vcc, s[60:61], vcc
	v_mov_b32_e32 v12, v33
	v_pk_add_f32 v[34:35], v[12:13], v[30:31] neg_lo:[0,1] neg_hi:[0,1]
	v_mov_b32_e32 v32, v39
	v_mov_b32_e32 v27, v34
	v_pk_add_f32 v[42:43], v[38:39], v[26:27] neg_lo:[0,1] neg_hi:[0,1]
	v_mov_b32_e32 v38, v31
	v_mov_b32_e32 v39, v34
	;; [unrolled: 1-line block ×3, first 2 shown]
	v_pk_add_f32 v[32:33], v[32:33], v[38:39] neg_lo:[0,1] neg_hi:[0,1]
	v_mov_b32_e32 v34, v37
	v_mov_b32_e32 v35, v30
	v_pk_add_f32 v[30:31], v[34:35], v[32:33] neg_lo:[0,1] neg_hi:[0,1]
	v_mov_b32_e32 v42, v40
	v_pk_add_f32 v[32:33], v[42:43], v[30:31]
	s_nop 0
	v_mov_b32_e32 v34, v33
	v_pk_add_f32 v[34:35], v[32:33], v[34:35]
	s_nop 0
	v_pk_add_f32 v[36:37], v[12:13], v[34:35]
	v_mov_b32_e32 v31, v34
	v_mov_b32_e32 v33, v36
	v_pk_add_f32 v[38:39], v[32:33], v[40:41] neg_lo:[0,1] neg_hi:[0,1]
	s_nop 0
	v_sub_f32_e32 v12, v32, v38
	v_pk_add_f32 v[30:31], v[30:31], v[38:39] neg_lo:[0,1] neg_hi:[0,1]
	v_sub_f32_e32 v12, v40, v12
	v_add_f32_e32 v12, v30, v12
	v_add_f32_e32 v12, v12, v31
	;; [unrolled: 1-line block ×3, first 2 shown]
	v_cndmask_b32_e32 v144, v12, v44, vcc
.LBB92_79:                              ;   in Loop: Header=BB92_13 Depth=1
	s_or_b64 exec, exec, s[4:5]
	v_cvt_f32_f16_e32 v12, v13
	v_readlane_b32 s2, v166, 2
	s_nop 1
	v_add_f32_e32 v145, s2, v12
	v_readlane_b32 s2, v166, 23
	v_cmp_ge_f32_e32 vcc, s6, v145
	v_readlane_b32 s3, v166, 24
	s_and_b64 s[2:3], s[2:3], vcc
	s_and_saveexec_b64 s[4:5], s[2:3]
	s_cbranch_execz .LBB92_81
; %bb.80:                               ;   in Loop: Header=BB92_13 Depth=1
	v_mul_f32_e32 v12, 0x3fb8aa3b, v145
	v_rndne_f32_e32 v27, v12
	v_sub_f32_e32 v29, v12, v27
	v_fma_f32 v12, v145, s8, -v12
	v_fmac_f32_e32 v12, 0x32a5705f, v145
	v_add_f32_e32 v12, v29, v12
	v_cvt_i32_f32_e32 v27, v27
	v_exp_f32_e32 v12, v12
	v_cmp_ngt_f32_e32 vcc, s9, v145
	v_ldexp_f32 v12, v12, v27
	s_nop 0
	v_cndmask_b32_e32 v12, 0, v12, vcc
	v_cmp_nlt_f32_e32 vcc, s10, v145
	s_nop 1
	v_cndmask_b32_e32 v44, v140, v12, vcc
	v_add_f32_e32 v12, 1.0, v44
	v_add_f32_e32 v27, -1.0, v12
	v_sub_f32_e32 v29, v27, v12
	v_add_f32_e32 v29, 1.0, v29
	v_sub_f32_e32 v27, v44, v27
	v_add_f32_e32 v27, v27, v29
	v_frexp_mant_f32_e32 v29, v12
	v_cvt_f64_f32_e32 v[30:31], v12
	v_frexp_exp_i32_f64_e32 v30, v[30:31]
	v_cmp_gt_f32_e32 vcc, s12, v29
	v_cmp_gt_f32_e64 s[60:61], s16, v44
	s_nop 0
	v_subbrev_co_u32_e32 v38, vcc, 0, v30, vcc
	v_sub_u32_e32 v29, 0, v38
	v_ldexp_f32 v12, v12, v29
	v_ldexp_f32 v27, v27, v29
	v_add_f32_e32 v29, -1.0, v12
	v_add_f32_e32 v31, 1.0, v12
	v_add_f32_e32 v30, 1.0, v29
	v_add_f32_e32 v32, -1.0, v31
	v_sub_f32_e32 v30, v12, v30
	v_sub_f32_e32 v12, v12, v32
	v_add_f32_e32 v12, v27, v12
	v_add_f32_e32 v30, v27, v30
	;; [unrolled: 1-line block ×3, first 2 shown]
	v_rcp_f32_e32 v39, v27
	v_sub_f32_e32 v31, v31, v27
	v_add_f32_e32 v12, v12, v31
	v_add_f32_e32 v31, v29, v30
	v_mul_f32_e32 v40, v31, v39
	v_mul_f32_e32 v32, v27, v40
	v_fma_f32 v34, v40, v27, -v32
	v_sub_f32_e32 v29, v29, v31
	v_fmac_f32_e32 v34, v40, v12
	v_add_f32_e32 v29, v30, v29
	v_add_f32_e32 v30, v32, v34
	v_sub_f32_e32 v33, v31, v30
	v_pk_add_f32 v[36:37], v[30:31], v[32:33] neg_lo:[0,1] neg_hi:[0,1]
	v_mov_b32_e32 v35, v30
	v_pk_add_f32 v[30:31], v[36:37], v[34:35] neg_lo:[0,1] neg_hi:[0,1]
	v_cmp_eq_f32_e32 vcc, s11, v44
	v_add_f32_e32 v29, v29, v31
	v_add_f32_e32 v29, v30, v29
	;; [unrolled: 1-line block ×3, first 2 shown]
	v_mul_f32_e32 v41, v39, v31
	v_mul_f32_e32 v32, v27, v41
	v_fma_f32 v34, v41, v27, -v32
	v_fmac_f32_e32 v34, v41, v12
	v_add_f32_e32 v30, v32, v34
	v_sub_f32_e32 v12, v33, v31
	v_sub_f32_e32 v33, v31, v30
	v_pk_add_f32 v[36:37], v[30:31], v[32:33] neg_lo:[0,1] neg_hi:[0,1]
	v_mov_b32_e32 v35, v30
	v_add_f32_e32 v12, v29, v12
	v_pk_add_f32 v[30:31], v[36:37], v[34:35] neg_lo:[0,1] neg_hi:[0,1]
	v_add_f32_e32 v27, v40, v41
	v_add_f32_e32 v12, v12, v31
	;; [unrolled: 1-line block ×4, first 2 shown]
	v_sub_f32_e32 v29, v27, v40
	v_mul_f32_e32 v12, v39, v12
	v_sub_f32_e32 v29, v41, v29
	v_add_f32_e32 v12, v29, v12
	v_add_f32_e32 v31, v27, v12
	v_cvt_f32_i32_e32 v30, v38
	v_mul_f32_e32 v32, v31, v31
	v_fmamk_f32 v29, v32, 0x3e9b6dac, v139
	v_fmaak_f32 v29, v32, v29, 0x3f2aaada
	v_sub_f32_e32 v27, v31, v27
	v_ldexp_f32 v33, v31, 1
	v_mul_f32_e32 v31, v31, v32
	v_pk_mul_f32 v[34:35], v[30:31], v[28:29]
	v_sub_f32_e32 v12, v12, v27
	v_fma_f32 v32, v30, s13, -v34
	v_fmac_f32_e32 v32, 0xb102e308, v30
	v_pk_add_f32 v[30:31], v[34:35], v[32:33]
	v_ldexp_f32 v12, v12, 1
	v_sub_f32_e32 v27, v31, v33
	v_sub_f32_e32 v27, v35, v27
	v_add_f32_e32 v37, v12, v27
	v_mov_b32_e32 v36, v34
	v_pk_add_f32 v[34:35], v[30:31], v[34:35] neg_lo:[0,1] neg_hi:[0,1]
	v_pk_add_f32 v[38:39], v[30:31], v[36:37]
	v_mov_b32_e32 v33, v30
	v_mov_b32_e32 v35, v39
	v_pk_add_f32 v[40:41], v[32:33], v[34:35] neg_lo:[0,1] neg_hi:[0,1]
	v_pk_add_f32 v[32:33], v[32:33], v[34:35]
	s_or_b64 vcc, s[60:61], vcc
	v_mov_b32_e32 v12, v33
	v_pk_add_f32 v[34:35], v[12:13], v[30:31] neg_lo:[0,1] neg_hi:[0,1]
	v_mov_b32_e32 v32, v39
	v_mov_b32_e32 v27, v34
	v_pk_add_f32 v[42:43], v[38:39], v[26:27] neg_lo:[0,1] neg_hi:[0,1]
	v_mov_b32_e32 v38, v31
	v_mov_b32_e32 v39, v34
	;; [unrolled: 1-line block ×3, first 2 shown]
	v_pk_add_f32 v[32:33], v[32:33], v[38:39] neg_lo:[0,1] neg_hi:[0,1]
	v_mov_b32_e32 v34, v37
	v_mov_b32_e32 v35, v30
	v_pk_add_f32 v[30:31], v[34:35], v[32:33] neg_lo:[0,1] neg_hi:[0,1]
	v_mov_b32_e32 v42, v40
	v_pk_add_f32 v[32:33], v[42:43], v[30:31]
	s_nop 0
	v_mov_b32_e32 v34, v33
	v_pk_add_f32 v[34:35], v[32:33], v[34:35]
	s_nop 0
	v_pk_add_f32 v[36:37], v[12:13], v[34:35]
	v_mov_b32_e32 v31, v34
	v_mov_b32_e32 v33, v36
	v_pk_add_f32 v[38:39], v[32:33], v[40:41] neg_lo:[0,1] neg_hi:[0,1]
	s_nop 0
	v_sub_f32_e32 v12, v32, v38
	v_pk_add_f32 v[30:31], v[30:31], v[38:39] neg_lo:[0,1] neg_hi:[0,1]
	v_sub_f32_e32 v12, v40, v12
	v_add_f32_e32 v12, v30, v12
	v_add_f32_e32 v12, v12, v31
	;; [unrolled: 1-line block ×3, first 2 shown]
	v_cndmask_b32_e32 v145, v12, v44, vcc
.LBB92_81:                              ;   in Loop: Header=BB92_13 Depth=1
	s_or_b64 exec, exec, s[4:5]
	v_cvt_f32_f16_sdwa v12, v13 dst_sel:DWORD dst_unused:UNUSED_PAD src0_sel:WORD_1
	v_readlane_b32 s2, v166, 2
	s_nop 1
	v_add_f32_e32 v146, s2, v12
	v_readlane_b32 s2, v166, 23
	v_cmp_ge_f32_e32 vcc, s6, v146
	v_readlane_b32 s3, v166, 24
	s_and_b64 s[2:3], s[2:3], vcc
	s_and_saveexec_b64 s[4:5], s[2:3]
	s_cbranch_execz .LBB92_83
; %bb.82:                               ;   in Loop: Header=BB92_13 Depth=1
	v_mul_f32_e32 v12, 0x3fb8aa3b, v146
	v_rndne_f32_e32 v13, v12
	v_sub_f32_e32 v27, v12, v13
	v_fma_f32 v12, v146, s8, -v12
	v_fmac_f32_e32 v12, 0x32a5705f, v146
	v_add_f32_e32 v12, v27, v12
	v_cvt_i32_f32_e32 v13, v13
	v_exp_f32_e32 v12, v12
	v_cmp_ngt_f32_e32 vcc, s9, v146
	v_ldexp_f32 v12, v12, v13
	s_nop 0
	v_cndmask_b32_e32 v12, 0, v12, vcc
	v_cmp_nlt_f32_e32 vcc, s10, v146
	s_nop 1
	v_cndmask_b32_e32 v44, v140, v12, vcc
	v_add_f32_e32 v27, 1.0, v44
	v_add_f32_e32 v12, -1.0, v27
	v_sub_f32_e32 v13, v12, v27
	v_add_f32_e32 v13, 1.0, v13
	v_sub_f32_e32 v12, v44, v12
	v_add_f32_e32 v29, v12, v13
	v_frexp_mant_f32_e32 v30, v27
	v_cvt_f64_f32_e32 v[12:13], v27
	v_frexp_exp_i32_f64_e32 v12, v[12:13]
	v_cmp_gt_f32_e32 vcc, s12, v30
	v_cmp_gt_f32_e64 s[60:61], s16, v44
	s_nop 0
	v_subbrev_co_u32_e32 v36, vcc, 0, v12, vcc
	v_sub_u32_e32 v12, 0, v36
	v_ldexp_f32 v13, v27, v12
	v_add_f32_e32 v27, -1.0, v13
	v_add_f32_e32 v30, 1.0, v13
	v_ldexp_f32 v12, v29, v12
	v_add_f32_e32 v29, 1.0, v27
	v_add_f32_e32 v31, -1.0, v30
	v_sub_f32_e32 v29, v13, v29
	v_sub_f32_e32 v13, v13, v31
	v_add_f32_e32 v29, v12, v29
	v_add_f32_e32 v12, v12, v13
	;; [unrolled: 1-line block ×3, first 2 shown]
	v_rcp_f32_e32 v39, v37
	v_sub_f32_e32 v13, v30, v37
	v_add_f32_e32 v38, v12, v13
	v_add_f32_e32 v13, v27, v29
	v_sub_f32_e32 v12, v27, v13
	v_add_f32_e32 v27, v29, v12
	v_mul_f32_e32 v29, v13, v39
	v_mul_f32_e32 v30, v37, v29
	v_fma_f32 v32, v29, v37, -v30
	v_fmac_f32_e32 v32, v29, v38
	v_add_f32_e32 v12, v30, v32
	v_sub_f32_e32 v31, v13, v12
	v_pk_add_f32 v[34:35], v[12:13], v[30:31] neg_lo:[0,1] neg_hi:[0,1]
	v_mov_b32_e32 v33, v12
	v_pk_add_f32 v[12:13], v[34:35], v[32:33] neg_lo:[0,1] neg_hi:[0,1]
	v_cmp_eq_f32_e32 vcc, s11, v44
	v_add_f32_e32 v13, v27, v13
	v_add_f32_e32 v12, v12, v13
	;; [unrolled: 1-line block ×3, first 2 shown]
	v_mul_f32_e32 v27, v39, v13
	v_mul_f32_e32 v30, v37, v27
	v_fma_f32 v32, v27, v37, -v30
	v_fmac_f32_e32 v32, v27, v38
	v_sub_f32_e32 v31, v31, v13
	v_add_f32_e32 v37, v12, v31
	v_add_f32_e32 v12, v30, v32
	v_sub_f32_e32 v31, v13, v12
	v_pk_add_f32 v[34:35], v[12:13], v[30:31] neg_lo:[0,1] neg_hi:[0,1]
	v_mov_b32_e32 v33, v12
	v_pk_add_f32 v[12:13], v[34:35], v[32:33] neg_lo:[0,1] neg_hi:[0,1]
	s_or_b64 vcc, s[60:61], vcc
	v_add_f32_e32 v13, v37, v13
	v_add_f32_e32 v12, v12, v13
	;; [unrolled: 1-line block ×4, first 2 shown]
	v_sub_f32_e32 v29, v13, v29
	v_mul_f32_e32 v12, v39, v12
	v_sub_f32_e32 v27, v27, v29
	v_add_f32_e32 v27, v27, v12
	v_add_f32_e32 v30, v13, v27
	v_mul_f32_e32 v32, v30, v30
	v_fmamk_f32 v12, v32, 0x3e9b6dac, v139
	v_fmaak_f32 v29, v32, v12, 0x3f2aaada
	v_cvt_f32_i32_e32 v12, v36
	v_sub_f32_e32 v13, v30, v13
	v_sub_f32_e32 v13, v27, v13
	v_ldexp_f32 v27, v13, 1
	v_mul_f32_e32 v13, v30, v32
	v_pk_mul_f32 v[32:33], v[12:13], v[28:29]
	v_ldexp_f32 v31, v30, 1
	v_fma_f32 v30, v12, s13, -v32
	v_fmac_f32_e32 v30, 0xb102e308, v12
	v_pk_add_f32 v[12:13], v[32:33], v[30:31]
	v_mov_b32_e32 v34, v32
	v_sub_f32_e32 v29, v13, v31
	v_sub_f32_e32 v29, v33, v29
	v_add_f32_e32 v35, v27, v29
	v_pk_add_f32 v[32:33], v[12:13], v[32:33] neg_lo:[0,1] neg_hi:[0,1]
	v_pk_add_f32 v[36:37], v[12:13], v[34:35]
	v_mov_b32_e32 v31, v12
	v_mov_b32_e32 v33, v37
	v_pk_add_f32 v[38:39], v[30:31], v[32:33] neg_lo:[0,1] neg_hi:[0,1]
	v_pk_add_f32 v[30:31], v[30:31], v[32:33]
	v_mov_b32_e32 v34, v35
	v_mov_b32_e32 v32, v31
	v_pk_add_f32 v[40:41], v[32:33], v[12:13] neg_lo:[0,1] neg_hi:[0,1]
	v_mov_b32_e32 v30, v37
	v_mov_b32_e32 v27, v40
	v_pk_add_f32 v[42:43], v[36:37], v[26:27] neg_lo:[0,1] neg_hi:[0,1]
	v_mov_b32_e32 v36, v13
	v_mov_b32_e32 v37, v40
	;; [unrolled: 1-line block ×3, first 2 shown]
	v_pk_add_f32 v[30:31], v[30:31], v[36:37] neg_lo:[0,1] neg_hi:[0,1]
	v_mov_b32_e32 v35, v12
	v_pk_add_f32 v[12:13], v[34:35], v[30:31] neg_lo:[0,1] neg_hi:[0,1]
	v_mov_b32_e32 v42, v38
	v_pk_add_f32 v[30:31], v[42:43], v[12:13]
	s_nop 0
	v_mov_b32_e32 v34, v31
	v_pk_add_f32 v[34:35], v[30:31], v[34:35]
	s_nop 0
	v_pk_add_f32 v[32:33], v[32:33], v[34:35]
	v_mov_b32_e32 v13, v34
	v_mov_b32_e32 v31, v32
	v_pk_add_f32 v[36:37], v[30:31], v[38:39] neg_lo:[0,1] neg_hi:[0,1]
	s_nop 0
	v_sub_f32_e32 v27, v30, v36
	v_pk_add_f32 v[12:13], v[12:13], v[36:37] neg_lo:[0,1] neg_hi:[0,1]
	v_sub_f32_e32 v27, v38, v27
	v_add_f32_e32 v12, v12, v27
	v_add_f32_e32 v12, v12, v13
	;; [unrolled: 1-line block ×3, first 2 shown]
	v_cndmask_b32_e32 v146, v12, v44, vcc
.LBB92_83:                              ;   in Loop: Header=BB92_13 Depth=1
	s_or_b64 exec, exec, s[4:5]
	v_cvt_f32_f16_e32 v12, v14
	v_readlane_b32 s2, v166, 2
	s_nop 1
	v_add_f32_e32 v147, s2, v12
	v_readlane_b32 s2, v166, 23
	v_cmp_ge_f32_e32 vcc, s6, v147
	v_readlane_b32 s3, v166, 24
	s_and_b64 s[2:3], s[2:3], vcc
	s_and_saveexec_b64 s[4:5], s[2:3]
	s_cbranch_execz .LBB92_85
; %bb.84:                               ;   in Loop: Header=BB92_13 Depth=1
	v_mul_f32_e32 v12, 0x3fb8aa3b, v147
	v_rndne_f32_e32 v13, v12
	v_sub_f32_e32 v27, v12, v13
	v_fma_f32 v12, v147, s8, -v12
	v_fmac_f32_e32 v12, 0x32a5705f, v147
	v_add_f32_e32 v12, v27, v12
	v_cvt_i32_f32_e32 v13, v13
	v_exp_f32_e32 v12, v12
	v_cmp_ngt_f32_e32 vcc, s9, v147
	v_ldexp_f32 v12, v12, v13
	s_nop 0
	v_cndmask_b32_e32 v12, 0, v12, vcc
	v_cmp_nlt_f32_e32 vcc, s10, v147
	s_nop 1
	v_cndmask_b32_e32 v44, v140, v12, vcc
	v_add_f32_e32 v27, 1.0, v44
	v_add_f32_e32 v12, -1.0, v27
	v_sub_f32_e32 v13, v12, v27
	v_add_f32_e32 v13, 1.0, v13
	v_sub_f32_e32 v12, v44, v12
	v_add_f32_e32 v29, v12, v13
	v_frexp_mant_f32_e32 v30, v27
	v_cvt_f64_f32_e32 v[12:13], v27
	v_frexp_exp_i32_f64_e32 v12, v[12:13]
	v_cmp_gt_f32_e32 vcc, s12, v30
	v_cmp_gt_f32_e64 s[60:61], s16, v44
	s_nop 0
	v_subbrev_co_u32_e32 v36, vcc, 0, v12, vcc
	v_sub_u32_e32 v12, 0, v36
	v_ldexp_f32 v13, v27, v12
	v_add_f32_e32 v27, -1.0, v13
	v_add_f32_e32 v30, 1.0, v13
	v_ldexp_f32 v12, v29, v12
	v_add_f32_e32 v29, 1.0, v27
	v_add_f32_e32 v31, -1.0, v30
	v_sub_f32_e32 v29, v13, v29
	v_sub_f32_e32 v13, v13, v31
	v_add_f32_e32 v29, v12, v29
	v_add_f32_e32 v12, v12, v13
	v_add_f32_e32 v37, v30, v12
	v_rcp_f32_e32 v39, v37
	v_sub_f32_e32 v13, v30, v37
	v_add_f32_e32 v38, v12, v13
	v_add_f32_e32 v13, v27, v29
	v_sub_f32_e32 v12, v27, v13
	v_add_f32_e32 v27, v29, v12
	v_mul_f32_e32 v29, v13, v39
	v_mul_f32_e32 v30, v37, v29
	v_fma_f32 v32, v29, v37, -v30
	v_fmac_f32_e32 v32, v29, v38
	v_add_f32_e32 v12, v30, v32
	v_sub_f32_e32 v31, v13, v12
	v_pk_add_f32 v[34:35], v[12:13], v[30:31] neg_lo:[0,1] neg_hi:[0,1]
	v_mov_b32_e32 v33, v12
	v_pk_add_f32 v[12:13], v[34:35], v[32:33] neg_lo:[0,1] neg_hi:[0,1]
	v_cmp_eq_f32_e32 vcc, s11, v44
	v_add_f32_e32 v13, v27, v13
	v_add_f32_e32 v12, v12, v13
	;; [unrolled: 1-line block ×3, first 2 shown]
	v_mul_f32_e32 v27, v39, v13
	v_mul_f32_e32 v30, v37, v27
	v_fma_f32 v32, v27, v37, -v30
	v_fmac_f32_e32 v32, v27, v38
	v_sub_f32_e32 v31, v31, v13
	v_add_f32_e32 v37, v12, v31
	v_add_f32_e32 v12, v30, v32
	v_sub_f32_e32 v31, v13, v12
	v_pk_add_f32 v[34:35], v[12:13], v[30:31] neg_lo:[0,1] neg_hi:[0,1]
	v_mov_b32_e32 v33, v12
	v_pk_add_f32 v[12:13], v[34:35], v[32:33] neg_lo:[0,1] neg_hi:[0,1]
	s_or_b64 vcc, s[60:61], vcc
	v_add_f32_e32 v13, v37, v13
	v_add_f32_e32 v12, v12, v13
	;; [unrolled: 1-line block ×4, first 2 shown]
	v_sub_f32_e32 v29, v13, v29
	v_mul_f32_e32 v12, v39, v12
	v_sub_f32_e32 v27, v27, v29
	v_add_f32_e32 v27, v27, v12
	v_add_f32_e32 v30, v13, v27
	v_mul_f32_e32 v32, v30, v30
	v_fmamk_f32 v12, v32, 0x3e9b6dac, v139
	v_fmaak_f32 v29, v32, v12, 0x3f2aaada
	v_cvt_f32_i32_e32 v12, v36
	v_sub_f32_e32 v13, v30, v13
	v_sub_f32_e32 v13, v27, v13
	v_ldexp_f32 v27, v13, 1
	v_mul_f32_e32 v13, v30, v32
	v_pk_mul_f32 v[32:33], v[12:13], v[28:29]
	v_ldexp_f32 v31, v30, 1
	v_fma_f32 v30, v12, s13, -v32
	v_fmac_f32_e32 v30, 0xb102e308, v12
	v_pk_add_f32 v[12:13], v[32:33], v[30:31]
	v_mov_b32_e32 v34, v32
	v_sub_f32_e32 v29, v13, v31
	v_sub_f32_e32 v29, v33, v29
	v_add_f32_e32 v35, v27, v29
	v_pk_add_f32 v[32:33], v[12:13], v[32:33] neg_lo:[0,1] neg_hi:[0,1]
	v_pk_add_f32 v[36:37], v[12:13], v[34:35]
	v_mov_b32_e32 v31, v12
	v_mov_b32_e32 v33, v37
	v_pk_add_f32 v[38:39], v[30:31], v[32:33] neg_lo:[0,1] neg_hi:[0,1]
	v_pk_add_f32 v[30:31], v[30:31], v[32:33]
	v_mov_b32_e32 v34, v35
	v_mov_b32_e32 v32, v31
	v_pk_add_f32 v[40:41], v[32:33], v[12:13] neg_lo:[0,1] neg_hi:[0,1]
	v_mov_b32_e32 v30, v37
	v_mov_b32_e32 v27, v40
	v_pk_add_f32 v[42:43], v[36:37], v[26:27] neg_lo:[0,1] neg_hi:[0,1]
	v_mov_b32_e32 v36, v13
	v_mov_b32_e32 v37, v40
	;; [unrolled: 1-line block ×3, first 2 shown]
	v_pk_add_f32 v[30:31], v[30:31], v[36:37] neg_lo:[0,1] neg_hi:[0,1]
	v_mov_b32_e32 v35, v12
	v_pk_add_f32 v[12:13], v[34:35], v[30:31] neg_lo:[0,1] neg_hi:[0,1]
	v_mov_b32_e32 v42, v38
	v_pk_add_f32 v[30:31], v[42:43], v[12:13]
	s_nop 0
	v_mov_b32_e32 v34, v31
	v_pk_add_f32 v[34:35], v[30:31], v[34:35]
	s_nop 0
	v_pk_add_f32 v[32:33], v[32:33], v[34:35]
	v_mov_b32_e32 v13, v34
	v_mov_b32_e32 v31, v32
	v_pk_add_f32 v[36:37], v[30:31], v[38:39] neg_lo:[0,1] neg_hi:[0,1]
	s_nop 0
	v_sub_f32_e32 v27, v30, v36
	v_pk_add_f32 v[12:13], v[12:13], v[36:37] neg_lo:[0,1] neg_hi:[0,1]
	v_sub_f32_e32 v27, v38, v27
	v_add_f32_e32 v12, v12, v27
	v_add_f32_e32 v12, v12, v13
	;; [unrolled: 1-line block ×3, first 2 shown]
	v_cndmask_b32_e32 v147, v12, v44, vcc
.LBB92_85:                              ;   in Loop: Header=BB92_13 Depth=1
	s_or_b64 exec, exec, s[4:5]
	v_cvt_f32_f16_sdwa v12, v14 dst_sel:DWORD dst_unused:UNUSED_PAD src0_sel:WORD_1
	v_readlane_b32 s2, v166, 2
	s_nop 1
	v_add_f32_e32 v148, s2, v12
	v_readlane_b32 s2, v166, 23
	v_cmp_ge_f32_e32 vcc, s6, v148
	v_readlane_b32 s3, v166, 24
	s_and_b64 s[2:3], s[2:3], vcc
	s_and_saveexec_b64 s[4:5], s[2:3]
	s_cbranch_execz .LBB92_87
; %bb.86:                               ;   in Loop: Header=BB92_13 Depth=1
	v_mul_f32_e32 v12, 0x3fb8aa3b, v148
	v_rndne_f32_e32 v13, v12
	v_sub_f32_e32 v14, v12, v13
	v_fma_f32 v12, v148, s8, -v12
	v_fmac_f32_e32 v12, 0x32a5705f, v148
	v_add_f32_e32 v12, v14, v12
	v_cvt_i32_f32_e32 v13, v13
	v_exp_f32_e32 v12, v12
	v_cmp_ngt_f32_e32 vcc, s9, v148
	v_ldexp_f32 v12, v12, v13
	s_nop 0
	v_cndmask_b32_e32 v12, 0, v12, vcc
	v_cmp_nlt_f32_e32 vcc, s10, v148
	s_nop 1
	v_cndmask_b32_e32 v42, v140, v12, vcc
	v_add_f32_e32 v14, 1.0, v42
	v_add_f32_e32 v12, -1.0, v14
	v_sub_f32_e32 v13, v12, v14
	v_add_f32_e32 v13, 1.0, v13
	v_sub_f32_e32 v12, v42, v12
	v_add_f32_e32 v27, v12, v13
	v_frexp_mant_f32_e32 v29, v14
	v_cvt_f64_f32_e32 v[12:13], v14
	v_frexp_exp_i32_f64_e32 v12, v[12:13]
	v_cmp_gt_f32_e32 vcc, s12, v29
	v_cmp_gt_f32_e64 s[60:61], s16, v42
	s_nop 0
	v_subbrev_co_u32_e32 v36, vcc, 0, v12, vcc
	v_sub_u32_e32 v12, 0, v36
	v_ldexp_f32 v13, v14, v12
	v_add_f32_e32 v14, -1.0, v13
	v_add_f32_e32 v29, 1.0, v13
	v_ldexp_f32 v12, v27, v12
	v_add_f32_e32 v27, 1.0, v14
	v_add_f32_e32 v30, -1.0, v29
	v_sub_f32_e32 v27, v13, v27
	v_sub_f32_e32 v13, v13, v30
	v_add_f32_e32 v27, v12, v27
	v_add_f32_e32 v12, v12, v13
	;; [unrolled: 1-line block ×3, first 2 shown]
	v_rcp_f32_e32 v38, v37
	v_sub_f32_e32 v13, v29, v37
	v_add_f32_e32 v29, v12, v13
	v_add_f32_e32 v13, v14, v27
	v_sub_f32_e32 v12, v14, v13
	v_add_f32_e32 v14, v27, v12
	v_mul_f32_e32 v27, v13, v38
	v_mul_f32_e32 v30, v37, v27
	v_fma_f32 v32, v27, v37, -v30
	v_fmac_f32_e32 v32, v27, v29
	v_add_f32_e32 v12, v30, v32
	v_sub_f32_e32 v31, v13, v12
	v_pk_add_f32 v[34:35], v[12:13], v[30:31] neg_lo:[0,1] neg_hi:[0,1]
	v_mov_b32_e32 v33, v12
	v_pk_add_f32 v[12:13], v[34:35], v[32:33] neg_lo:[0,1] neg_hi:[0,1]
	v_cmp_eq_f32_e32 vcc, s11, v42
	v_add_f32_e32 v13, v14, v13
	v_add_f32_e32 v12, v12, v13
	;; [unrolled: 1-line block ×3, first 2 shown]
	v_mul_f32_e32 v14, v38, v13
	v_mul_f32_e32 v30, v37, v14
	v_fma_f32 v32, v14, v37, -v30
	v_fmac_f32_e32 v32, v14, v29
	v_sub_f32_e32 v29, v31, v13
	v_add_f32_e32 v29, v12, v29
	v_add_f32_e32 v12, v30, v32
	v_sub_f32_e32 v31, v13, v12
	v_pk_add_f32 v[34:35], v[12:13], v[30:31] neg_lo:[0,1] neg_hi:[0,1]
	v_mov_b32_e32 v33, v12
	v_pk_add_f32 v[12:13], v[34:35], v[32:33] neg_lo:[0,1] neg_hi:[0,1]
	s_or_b64 vcc, s[60:61], vcc
	v_add_f32_e32 v13, v29, v13
	v_add_f32_e32 v12, v12, v13
	;; [unrolled: 1-line block ×4, first 2 shown]
	v_sub_f32_e32 v27, v13, v27
	v_mul_f32_e32 v12, v38, v12
	v_sub_f32_e32 v14, v14, v27
	v_add_f32_e32 v14, v14, v12
	v_add_f32_e32 v27, v13, v14
	v_mul_f32_e32 v30, v27, v27
	v_fmamk_f32 v12, v30, 0x3e9b6dac, v139
	v_fmaak_f32 v29, v30, v12, 0x3f2aaada
	v_cvt_f32_i32_e32 v12, v36
	v_sub_f32_e32 v13, v27, v13
	v_sub_f32_e32 v13, v14, v13
	v_ldexp_f32 v14, v13, 1
	v_mul_f32_e32 v13, v27, v30
	v_pk_mul_f32 v[32:33], v[12:13], v[28:29]
	v_ldexp_f32 v31, v27, 1
	v_fma_f32 v30, v12, s13, -v32
	v_fmac_f32_e32 v30, 0xb102e308, v12
	v_pk_add_f32 v[12:13], v[32:33], v[30:31]
	v_mov_b32_e32 v34, v32
	v_sub_f32_e32 v27, v13, v31
	v_sub_f32_e32 v27, v33, v27
	v_add_f32_e32 v35, v14, v27
	v_pk_add_f32 v[32:33], v[12:13], v[32:33] neg_lo:[0,1] neg_hi:[0,1]
	v_pk_add_f32 v[36:37], v[12:13], v[34:35]
	v_mov_b32_e32 v31, v12
	v_mov_b32_e32 v33, v37
	v_pk_add_f32 v[38:39], v[30:31], v[32:33] neg_lo:[0,1] neg_hi:[0,1]
	v_pk_add_f32 v[30:31], v[30:31], v[32:33]
	s_nop 0
	v_mov_b32_e32 v14, v31
	v_pk_add_f32 v[32:33], v[14:15], v[12:13] neg_lo:[0,1] neg_hi:[0,1]
	v_mov_b32_e32 v30, v37
	v_mov_b32_e32 v27, v32
	v_pk_add_f32 v[40:41], v[36:37], v[26:27] neg_lo:[0,1] neg_hi:[0,1]
	v_mov_b32_e32 v36, v13
	v_mov_b32_e32 v37, v32
	;; [unrolled: 1-line block ×3, first 2 shown]
	v_pk_add_f32 v[30:31], v[30:31], v[36:37] neg_lo:[0,1] neg_hi:[0,1]
	v_mov_b32_e32 v32, v35
	v_mov_b32_e32 v33, v12
	v_pk_add_f32 v[12:13], v[32:33], v[30:31] neg_lo:[0,1] neg_hi:[0,1]
	v_mov_b32_e32 v40, v38
	v_pk_add_f32 v[30:31], v[40:41], v[12:13]
	s_nop 0
	v_mov_b32_e32 v32, v31
	v_pk_add_f32 v[32:33], v[30:31], v[32:33]
	s_nop 0
	v_pk_add_f32 v[34:35], v[14:15], v[32:33]
	v_mov_b32_e32 v13, v32
	v_mov_b32_e32 v31, v34
	v_pk_add_f32 v[36:37], v[30:31], v[38:39] neg_lo:[0,1] neg_hi:[0,1]
	s_nop 0
	v_sub_f32_e32 v14, v30, v36
	v_pk_add_f32 v[12:13], v[12:13], v[36:37] neg_lo:[0,1] neg_hi:[0,1]
	v_sub_f32_e32 v14, v38, v14
	v_add_f32_e32 v12, v12, v14
	v_add_f32_e32 v12, v12, v13
	;; [unrolled: 1-line block ×3, first 2 shown]
	v_cndmask_b32_e32 v148, v12, v42, vcc
.LBB92_87:                              ;   in Loop: Header=BB92_13 Depth=1
	s_or_b64 exec, exec, s[4:5]
	v_cvt_f32_f16_e32 v12, v15
	v_readlane_b32 s2, v166, 2
	s_nop 1
	v_add_f32_e32 v149, s2, v12
	v_readlane_b32 s2, v166, 23
	v_cmp_ge_f32_e32 vcc, s6, v149
	v_readlane_b32 s3, v166, 24
	s_and_b64 s[2:3], s[2:3], vcc
	s_and_saveexec_b64 s[4:5], s[2:3]
	s_cbranch_execz .LBB92_89
; %bb.88:                               ;   in Loop: Header=BB92_13 Depth=1
	v_mul_f32_e32 v12, 0x3fb8aa3b, v149
	v_rndne_f32_e32 v13, v12
	v_sub_f32_e32 v14, v12, v13
	v_fma_f32 v12, v149, s8, -v12
	v_fmac_f32_e32 v12, 0x32a5705f, v149
	v_add_f32_e32 v12, v14, v12
	v_cvt_i32_f32_e32 v13, v13
	v_exp_f32_e32 v12, v12
	v_cmp_ngt_f32_e32 vcc, s9, v149
	v_ldexp_f32 v12, v12, v13
	s_nop 0
	v_cndmask_b32_e32 v12, 0, v12, vcc
	v_cmp_nlt_f32_e32 vcc, s10, v149
	s_nop 1
	v_cndmask_b32_e32 v42, v140, v12, vcc
	v_add_f32_e32 v14, 1.0, v42
	v_add_f32_e32 v12, -1.0, v14
	v_sub_f32_e32 v13, v12, v14
	v_add_f32_e32 v13, 1.0, v13
	v_sub_f32_e32 v12, v42, v12
	v_add_f32_e32 v27, v12, v13
	v_frexp_mant_f32_e32 v29, v14
	v_cvt_f64_f32_e32 v[12:13], v14
	v_frexp_exp_i32_f64_e32 v12, v[12:13]
	v_cmp_gt_f32_e32 vcc, s12, v29
	v_cmp_gt_f32_e64 s[60:61], s16, v42
	s_nop 0
	v_subbrev_co_u32_e32 v36, vcc, 0, v12, vcc
	v_sub_u32_e32 v12, 0, v36
	v_ldexp_f32 v13, v14, v12
	v_add_f32_e32 v14, -1.0, v13
	v_add_f32_e32 v29, 1.0, v13
	v_ldexp_f32 v12, v27, v12
	v_add_f32_e32 v27, 1.0, v14
	v_add_f32_e32 v30, -1.0, v29
	v_sub_f32_e32 v27, v13, v27
	v_sub_f32_e32 v13, v13, v30
	v_add_f32_e32 v27, v12, v27
	v_add_f32_e32 v12, v12, v13
	;; [unrolled: 1-line block ×3, first 2 shown]
	v_rcp_f32_e32 v38, v37
	v_sub_f32_e32 v13, v29, v37
	v_add_f32_e32 v29, v12, v13
	v_add_f32_e32 v13, v14, v27
	v_sub_f32_e32 v12, v14, v13
	v_add_f32_e32 v14, v27, v12
	v_mul_f32_e32 v27, v13, v38
	v_mul_f32_e32 v30, v37, v27
	v_fma_f32 v32, v27, v37, -v30
	v_fmac_f32_e32 v32, v27, v29
	v_add_f32_e32 v12, v30, v32
	v_sub_f32_e32 v31, v13, v12
	v_pk_add_f32 v[34:35], v[12:13], v[30:31] neg_lo:[0,1] neg_hi:[0,1]
	v_mov_b32_e32 v33, v12
	v_pk_add_f32 v[12:13], v[34:35], v[32:33] neg_lo:[0,1] neg_hi:[0,1]
	v_cmp_eq_f32_e32 vcc, s11, v42
	v_add_f32_e32 v13, v14, v13
	v_add_f32_e32 v12, v12, v13
	;; [unrolled: 1-line block ×3, first 2 shown]
	v_mul_f32_e32 v14, v38, v13
	v_mul_f32_e32 v30, v37, v14
	v_fma_f32 v32, v14, v37, -v30
	v_fmac_f32_e32 v32, v14, v29
	v_sub_f32_e32 v29, v31, v13
	v_add_f32_e32 v29, v12, v29
	v_add_f32_e32 v12, v30, v32
	v_sub_f32_e32 v31, v13, v12
	v_pk_add_f32 v[34:35], v[12:13], v[30:31] neg_lo:[0,1] neg_hi:[0,1]
	v_mov_b32_e32 v33, v12
	v_pk_add_f32 v[12:13], v[34:35], v[32:33] neg_lo:[0,1] neg_hi:[0,1]
	s_or_b64 vcc, s[60:61], vcc
	v_add_f32_e32 v13, v29, v13
	v_add_f32_e32 v12, v12, v13
	;; [unrolled: 1-line block ×4, first 2 shown]
	v_sub_f32_e32 v27, v13, v27
	v_mul_f32_e32 v12, v38, v12
	v_sub_f32_e32 v14, v14, v27
	v_add_f32_e32 v14, v14, v12
	v_add_f32_e32 v27, v13, v14
	v_mul_f32_e32 v30, v27, v27
	v_fmamk_f32 v12, v30, 0x3e9b6dac, v139
	v_fmaak_f32 v29, v30, v12, 0x3f2aaada
	v_cvt_f32_i32_e32 v12, v36
	v_sub_f32_e32 v13, v27, v13
	v_sub_f32_e32 v13, v14, v13
	v_ldexp_f32 v14, v13, 1
	v_mul_f32_e32 v13, v27, v30
	v_pk_mul_f32 v[32:33], v[12:13], v[28:29]
	v_ldexp_f32 v31, v27, 1
	v_fma_f32 v30, v12, s13, -v32
	v_fmac_f32_e32 v30, 0xb102e308, v12
	v_pk_add_f32 v[12:13], v[32:33], v[30:31]
	v_mov_b32_e32 v34, v32
	v_sub_f32_e32 v27, v13, v31
	v_sub_f32_e32 v27, v33, v27
	v_add_f32_e32 v35, v14, v27
	v_pk_add_f32 v[32:33], v[12:13], v[32:33] neg_lo:[0,1] neg_hi:[0,1]
	v_pk_add_f32 v[36:37], v[12:13], v[34:35]
	v_mov_b32_e32 v31, v12
	v_mov_b32_e32 v33, v37
	v_pk_add_f32 v[38:39], v[30:31], v[32:33] neg_lo:[0,1] neg_hi:[0,1]
	v_pk_add_f32 v[30:31], v[30:31], v[32:33]
	s_nop 0
	v_mov_b32_e32 v14, v31
	v_pk_add_f32 v[32:33], v[14:15], v[12:13] neg_lo:[0,1] neg_hi:[0,1]
	v_mov_b32_e32 v30, v37
	v_mov_b32_e32 v27, v32
	v_pk_add_f32 v[40:41], v[36:37], v[26:27] neg_lo:[0,1] neg_hi:[0,1]
	v_mov_b32_e32 v36, v13
	v_mov_b32_e32 v37, v32
	;; [unrolled: 1-line block ×3, first 2 shown]
	v_pk_add_f32 v[30:31], v[30:31], v[36:37] neg_lo:[0,1] neg_hi:[0,1]
	v_mov_b32_e32 v32, v35
	v_mov_b32_e32 v33, v12
	v_pk_add_f32 v[12:13], v[32:33], v[30:31] neg_lo:[0,1] neg_hi:[0,1]
	v_mov_b32_e32 v40, v38
	v_pk_add_f32 v[30:31], v[40:41], v[12:13]
	s_nop 0
	v_mov_b32_e32 v32, v31
	v_pk_add_f32 v[32:33], v[30:31], v[32:33]
	s_nop 0
	v_pk_add_f32 v[34:35], v[14:15], v[32:33]
	v_mov_b32_e32 v13, v32
	v_mov_b32_e32 v31, v34
	v_pk_add_f32 v[36:37], v[30:31], v[38:39] neg_lo:[0,1] neg_hi:[0,1]
	s_nop 0
	v_sub_f32_e32 v14, v30, v36
	v_pk_add_f32 v[12:13], v[12:13], v[36:37] neg_lo:[0,1] neg_hi:[0,1]
	v_sub_f32_e32 v14, v38, v14
	v_add_f32_e32 v12, v12, v14
	v_add_f32_e32 v12, v12, v13
	;; [unrolled: 1-line block ×3, first 2 shown]
	v_cndmask_b32_e32 v149, v12, v42, vcc
.LBB92_89:                              ;   in Loop: Header=BB92_13 Depth=1
	s_or_b64 exec, exec, s[4:5]
	v_cvt_f32_f16_sdwa v12, v15 dst_sel:DWORD dst_unused:UNUSED_PAD src0_sel:WORD_1
	v_readlane_b32 s2, v166, 2
	s_nop 1
	v_add_f32_e32 v150, s2, v12
	v_readlane_b32 s2, v166, 23
	v_cmp_ge_f32_e32 vcc, s6, v150
	v_readlane_b32 s3, v166, 24
	s_and_b64 s[2:3], s[2:3], vcc
	s_and_saveexec_b64 s[4:5], s[2:3]
	s_cbranch_execz .LBB92_91
; %bb.90:                               ;   in Loop: Header=BB92_13 Depth=1
	v_mul_f32_e32 v12, 0x3fb8aa3b, v150
	v_rndne_f32_e32 v13, v12
	v_sub_f32_e32 v14, v12, v13
	v_fma_f32 v12, v150, s8, -v12
	v_fmac_f32_e32 v12, 0x32a5705f, v150
	v_add_f32_e32 v12, v14, v12
	v_cvt_i32_f32_e32 v13, v13
	v_exp_f32_e32 v12, v12
	v_cmp_ngt_f32_e32 vcc, s9, v150
	v_ldexp_f32 v12, v12, v13
	s_nop 0
	v_cndmask_b32_e32 v12, 0, v12, vcc
	v_cmp_nlt_f32_e32 vcc, s10, v150
	s_nop 1
	v_cndmask_b32_e32 v42, v140, v12, vcc
	v_add_f32_e32 v14, 1.0, v42
	v_add_f32_e32 v12, -1.0, v14
	v_sub_f32_e32 v13, v12, v14
	v_add_f32_e32 v13, 1.0, v13
	v_sub_f32_e32 v12, v42, v12
	v_add_f32_e32 v15, v12, v13
	v_frexp_mant_f32_e32 v27, v14
	v_cvt_f64_f32_e32 v[12:13], v14
	v_frexp_exp_i32_f64_e32 v12, v[12:13]
	v_cmp_gt_f32_e32 vcc, s12, v27
	v_cmp_gt_f32_e64 s[60:61], s16, v42
	s_nop 0
	v_subbrev_co_u32_e32 v27, vcc, 0, v12, vcc
	v_sub_u32_e32 v12, 0, v27
	v_ldexp_f32 v13, v14, v12
	v_add_f32_e32 v14, -1.0, v13
	v_add_f32_e32 v29, 1.0, v13
	v_ldexp_f32 v12, v15, v12
	v_add_f32_e32 v15, 1.0, v14
	v_add_f32_e32 v30, -1.0, v29
	v_sub_f32_e32 v15, v13, v15
	v_sub_f32_e32 v13, v13, v30
	v_add_f32_e32 v15, v12, v15
	v_add_f32_e32 v12, v12, v13
	;; [unrolled: 1-line block ×3, first 2 shown]
	v_rcp_f32_e32 v35, v34
	v_sub_f32_e32 v13, v29, v34
	v_add_f32_e32 v29, v12, v13
	v_add_f32_e32 v13, v14, v15
	v_mul_f32_e32 v37, v13, v35
	v_sub_f32_e32 v12, v14, v13
	v_mul_f32_e32 v14, v34, v37
	v_fma_f32 v30, v37, v34, -v14
	v_fmac_f32_e32 v30, v37, v29
	v_add_f32_e32 v36, v15, v12
	v_add_f32_e32 v12, v14, v30
	v_sub_f32_e32 v15, v13, v12
	v_pk_add_f32 v[32:33], v[12:13], v[14:15] neg_lo:[0,1] neg_hi:[0,1]
	v_mov_b32_e32 v31, v12
	v_pk_add_f32 v[12:13], v[32:33], v[30:31] neg_lo:[0,1] neg_hi:[0,1]
	v_cmp_eq_f32_e32 vcc, s11, v42
	v_add_f32_e32 v13, v36, v13
	v_add_f32_e32 v12, v12, v13
	;; [unrolled: 1-line block ×3, first 2 shown]
	v_mul_f32_e32 v36, v35, v13
	v_mul_f32_e32 v14, v34, v36
	v_fma_f32 v30, v36, v34, -v14
	v_fmac_f32_e32 v30, v36, v29
	v_sub_f32_e32 v15, v15, v13
	v_add_f32_e32 v29, v12, v15
	v_add_f32_e32 v12, v14, v30
	v_sub_f32_e32 v15, v13, v12
	v_pk_add_f32 v[32:33], v[12:13], v[14:15] neg_lo:[0,1] neg_hi:[0,1]
	v_mov_b32_e32 v31, v12
	v_pk_add_f32 v[12:13], v[32:33], v[30:31] neg_lo:[0,1] neg_hi:[0,1]
	s_or_b64 vcc, s[60:61], vcc
	v_add_f32_e32 v13, v29, v13
	v_add_f32_e32 v12, v12, v13
	;; [unrolled: 1-line block ×4, first 2 shown]
	v_sub_f32_e32 v14, v13, v37
	v_mul_f32_e32 v12, v35, v12
	v_sub_f32_e32 v14, v36, v14
	v_add_f32_e32 v14, v14, v12
	v_add_f32_e32 v30, v13, v14
	v_mul_f32_e32 v31, v30, v30
	v_fmamk_f32 v12, v31, 0x3e9b6dac, v139
	v_fmaak_f32 v29, v31, v12, 0x3f2aaada
	v_cvt_f32_i32_e32 v12, v27
	v_sub_f32_e32 v13, v30, v13
	v_sub_f32_e32 v13, v14, v13
	v_ldexp_f32 v27, v13, 1
	v_mul_f32_e32 v13, v30, v31
	v_ldexp_f32 v15, v30, 1
	v_pk_mul_f32 v[30:31], v[12:13], v[28:29]
	s_nop 0
	v_fma_f32 v14, v12, s13, -v30
	v_fmac_f32_e32 v14, 0xb102e308, v12
	v_pk_add_f32 v[12:13], v[30:31], v[14:15]
	v_mov_b32_e32 v32, v30
	v_sub_f32_e32 v15, v13, v15
	v_sub_f32_e32 v15, v31, v15
	v_add_f32_e32 v33, v27, v15
	v_pk_add_f32 v[30:31], v[12:13], v[30:31] neg_lo:[0,1] neg_hi:[0,1]
	v_pk_add_f32 v[34:35], v[12:13], v[32:33]
	v_mov_b32_e32 v15, v12
	v_mov_b32_e32 v31, v35
	v_pk_add_f32 v[36:37], v[14:15], v[30:31] neg_lo:[0,1] neg_hi:[0,1]
	v_pk_add_f32 v[14:15], v[14:15], v[30:31]
	v_mov_b32_e32 v32, v33
	v_mov_b32_e32 v30, v15
	v_pk_add_f32 v[38:39], v[30:31], v[12:13] neg_lo:[0,1] neg_hi:[0,1]
	v_mov_b32_e32 v14, v35
	v_mov_b32_e32 v27, v38
	v_pk_add_f32 v[40:41], v[34:35], v[26:27] neg_lo:[0,1] neg_hi:[0,1]
	v_mov_b32_e32 v34, v13
	v_mov_b32_e32 v35, v38
	;; [unrolled: 1-line block ×3, first 2 shown]
	v_pk_add_f32 v[14:15], v[14:15], v[34:35] neg_lo:[0,1] neg_hi:[0,1]
	v_mov_b32_e32 v33, v12
	v_pk_add_f32 v[12:13], v[32:33], v[14:15] neg_lo:[0,1] neg_hi:[0,1]
	v_mov_b32_e32 v40, v36
	v_pk_add_f32 v[14:15], v[40:41], v[12:13]
	s_nop 0
	v_mov_b32_e32 v32, v15
	v_pk_add_f32 v[32:33], v[14:15], v[32:33]
	s_nop 0
	v_pk_add_f32 v[30:31], v[30:31], v[32:33]
	v_mov_b32_e32 v13, v32
	v_mov_b32_e32 v15, v30
	v_pk_add_f32 v[34:35], v[14:15], v[36:37] neg_lo:[0,1] neg_hi:[0,1]
	s_nop 0
	v_sub_f32_e32 v14, v14, v34
	v_pk_add_f32 v[12:13], v[12:13], v[34:35] neg_lo:[0,1] neg_hi:[0,1]
	v_sub_f32_e32 v14, v36, v14
	v_add_f32_e32 v12, v12, v14
	v_add_f32_e32 v12, v12, v13
	;; [unrolled: 1-line block ×3, first 2 shown]
	v_cndmask_b32_e32 v150, v12, v42, vcc
.LBB92_91:                              ;   in Loop: Header=BB92_13 Depth=1
	s_or_b64 exec, exec, s[4:5]
	s_waitcnt lgkmcnt(0)
	v_cvt_f32_f16_e32 v12, v8
	v_readlane_b32 s2, v166, 2
	s_nop 1
	v_add_f32_e32 v151, s2, v12
	v_readlane_b32 s2, v166, 23
	v_cmp_ge_f32_e32 vcc, s6, v151
	v_readlane_b32 s3, v166, 24
	s_and_b64 s[2:3], s[2:3], vcc
	s_and_saveexec_b64 s[4:5], s[2:3]
	s_cbranch_execz .LBB92_93
; %bb.92:                               ;   in Loop: Header=BB92_13 Depth=1
	v_mul_f32_e32 v12, 0x3fb8aa3b, v151
	v_rndne_f32_e32 v13, v12
	v_sub_f32_e32 v14, v12, v13
	v_fma_f32 v12, v151, s8, -v12
	v_fmac_f32_e32 v12, 0x32a5705f, v151
	v_add_f32_e32 v12, v14, v12
	v_cvt_i32_f32_e32 v13, v13
	v_exp_f32_e32 v12, v12
	v_cmp_ngt_f32_e32 vcc, s9, v151
	v_ldexp_f32 v12, v12, v13
	s_nop 0
	v_cndmask_b32_e32 v12, 0, v12, vcc
	v_cmp_nlt_f32_e32 vcc, s10, v151
	s_nop 1
	v_cndmask_b32_e32 v42, v140, v12, vcc
	v_add_f32_e32 v14, 1.0, v42
	v_add_f32_e32 v12, -1.0, v14
	v_sub_f32_e32 v13, v12, v14
	v_add_f32_e32 v13, 1.0, v13
	v_sub_f32_e32 v12, v42, v12
	v_add_f32_e32 v15, v12, v13
	v_frexp_mant_f32_e32 v27, v14
	v_cvt_f64_f32_e32 v[12:13], v14
	v_frexp_exp_i32_f64_e32 v12, v[12:13]
	v_cmp_gt_f32_e32 vcc, s12, v27
	v_cmp_gt_f32_e64 s[60:61], s16, v42
	s_nop 0
	v_subbrev_co_u32_e32 v27, vcc, 0, v12, vcc
	v_sub_u32_e32 v12, 0, v27
	v_ldexp_f32 v13, v14, v12
	v_add_f32_e32 v14, -1.0, v13
	v_add_f32_e32 v29, 1.0, v13
	v_ldexp_f32 v12, v15, v12
	v_add_f32_e32 v15, 1.0, v14
	v_add_f32_e32 v30, -1.0, v29
	v_sub_f32_e32 v15, v13, v15
	v_sub_f32_e32 v13, v13, v30
	v_add_f32_e32 v15, v12, v15
	v_add_f32_e32 v12, v12, v13
	;; [unrolled: 1-line block ×3, first 2 shown]
	v_rcp_f32_e32 v35, v34
	v_sub_f32_e32 v13, v29, v34
	v_add_f32_e32 v29, v12, v13
	v_add_f32_e32 v13, v14, v15
	v_mul_f32_e32 v37, v13, v35
	v_sub_f32_e32 v12, v14, v13
	v_mul_f32_e32 v14, v34, v37
	v_fma_f32 v30, v37, v34, -v14
	v_fmac_f32_e32 v30, v37, v29
	v_add_f32_e32 v36, v15, v12
	v_add_f32_e32 v12, v14, v30
	v_sub_f32_e32 v15, v13, v12
	v_pk_add_f32 v[32:33], v[12:13], v[14:15] neg_lo:[0,1] neg_hi:[0,1]
	v_mov_b32_e32 v31, v12
	v_pk_add_f32 v[12:13], v[32:33], v[30:31] neg_lo:[0,1] neg_hi:[0,1]
	v_cmp_eq_f32_e32 vcc, s11, v42
	v_add_f32_e32 v13, v36, v13
	v_add_f32_e32 v12, v12, v13
	;; [unrolled: 1-line block ×3, first 2 shown]
	v_mul_f32_e32 v36, v35, v13
	v_mul_f32_e32 v14, v34, v36
	v_fma_f32 v30, v36, v34, -v14
	v_fmac_f32_e32 v30, v36, v29
	v_sub_f32_e32 v15, v15, v13
	v_add_f32_e32 v29, v12, v15
	v_add_f32_e32 v12, v14, v30
	v_sub_f32_e32 v15, v13, v12
	v_pk_add_f32 v[32:33], v[12:13], v[14:15] neg_lo:[0,1] neg_hi:[0,1]
	v_mov_b32_e32 v31, v12
	v_pk_add_f32 v[12:13], v[32:33], v[30:31] neg_lo:[0,1] neg_hi:[0,1]
	s_or_b64 vcc, s[60:61], vcc
	v_add_f32_e32 v13, v29, v13
	v_add_f32_e32 v12, v12, v13
	;; [unrolled: 1-line block ×4, first 2 shown]
	v_sub_f32_e32 v14, v13, v37
	v_mul_f32_e32 v12, v35, v12
	v_sub_f32_e32 v14, v36, v14
	v_add_f32_e32 v14, v14, v12
	v_add_f32_e32 v30, v13, v14
	v_mul_f32_e32 v31, v30, v30
	v_fmamk_f32 v12, v31, 0x3e9b6dac, v139
	v_fmaak_f32 v29, v31, v12, 0x3f2aaada
	v_cvt_f32_i32_e32 v12, v27
	v_sub_f32_e32 v13, v30, v13
	v_sub_f32_e32 v13, v14, v13
	v_ldexp_f32 v27, v13, 1
	v_mul_f32_e32 v13, v30, v31
	v_ldexp_f32 v15, v30, 1
	v_pk_mul_f32 v[30:31], v[12:13], v[28:29]
	s_nop 0
	v_fma_f32 v14, v12, s13, -v30
	v_fmac_f32_e32 v14, 0xb102e308, v12
	v_pk_add_f32 v[12:13], v[30:31], v[14:15]
	v_mov_b32_e32 v32, v30
	v_sub_f32_e32 v15, v13, v15
	v_sub_f32_e32 v15, v31, v15
	v_add_f32_e32 v33, v27, v15
	v_pk_add_f32 v[30:31], v[12:13], v[30:31] neg_lo:[0,1] neg_hi:[0,1]
	v_pk_add_f32 v[34:35], v[12:13], v[32:33]
	v_mov_b32_e32 v15, v12
	v_mov_b32_e32 v31, v35
	v_pk_add_f32 v[36:37], v[14:15], v[30:31] neg_lo:[0,1] neg_hi:[0,1]
	v_pk_add_f32 v[14:15], v[14:15], v[30:31]
	v_mov_b32_e32 v32, v33
	v_mov_b32_e32 v30, v15
	v_pk_add_f32 v[38:39], v[30:31], v[12:13] neg_lo:[0,1] neg_hi:[0,1]
	v_mov_b32_e32 v14, v35
	v_mov_b32_e32 v27, v38
	v_pk_add_f32 v[40:41], v[34:35], v[26:27] neg_lo:[0,1] neg_hi:[0,1]
	v_mov_b32_e32 v34, v13
	v_mov_b32_e32 v35, v38
	;; [unrolled: 1-line block ×3, first 2 shown]
	v_pk_add_f32 v[14:15], v[14:15], v[34:35] neg_lo:[0,1] neg_hi:[0,1]
	v_mov_b32_e32 v33, v12
	v_pk_add_f32 v[12:13], v[32:33], v[14:15] neg_lo:[0,1] neg_hi:[0,1]
	v_mov_b32_e32 v40, v36
	v_pk_add_f32 v[14:15], v[40:41], v[12:13]
	s_nop 0
	v_mov_b32_e32 v32, v15
	v_pk_add_f32 v[32:33], v[14:15], v[32:33]
	s_nop 0
	v_pk_add_f32 v[30:31], v[30:31], v[32:33]
	v_mov_b32_e32 v13, v32
	v_mov_b32_e32 v15, v30
	v_pk_add_f32 v[34:35], v[14:15], v[36:37] neg_lo:[0,1] neg_hi:[0,1]
	s_nop 0
	v_sub_f32_e32 v14, v14, v34
	v_pk_add_f32 v[12:13], v[12:13], v[34:35] neg_lo:[0,1] neg_hi:[0,1]
	v_sub_f32_e32 v14, v36, v14
	v_add_f32_e32 v12, v12, v14
	v_add_f32_e32 v12, v12, v13
	;; [unrolled: 1-line block ×3, first 2 shown]
	v_cndmask_b32_e32 v151, v12, v42, vcc
.LBB92_93:                              ;   in Loop: Header=BB92_13 Depth=1
	s_or_b64 exec, exec, s[4:5]
	v_cvt_f32_f16_sdwa v8, v8 dst_sel:DWORD dst_unused:UNUSED_PAD src0_sel:WORD_1
	v_readlane_b32 s2, v166, 2
	s_nop 1
	v_add_f32_e32 v152, s2, v8
	v_readlane_b32 s2, v166, 23
	v_cmp_ge_f32_e32 vcc, s6, v152
	v_readlane_b32 s3, v166, 24
	s_and_b64 s[2:3], s[2:3], vcc
	s_and_saveexec_b64 s[4:5], s[2:3]
	s_cbranch_execz .LBB92_95
; %bb.94:                               ;   in Loop: Header=BB92_13 Depth=1
	v_mul_f32_e32 v8, 0x3fb8aa3b, v152
	v_rndne_f32_e32 v12, v8
	v_sub_f32_e32 v13, v8, v12
	v_fma_f32 v8, v152, s8, -v8
	v_fmac_f32_e32 v8, 0x32a5705f, v152
	v_add_f32_e32 v8, v13, v8
	v_cvt_i32_f32_e32 v12, v12
	v_exp_f32_e32 v8, v8
	v_cmp_ngt_f32_e32 vcc, s9, v152
	v_ldexp_f32 v8, v8, v12
	s_nop 0
	v_cndmask_b32_e32 v8, 0, v8, vcc
	v_cmp_nlt_f32_e32 vcc, s10, v152
	s_nop 1
	v_cndmask_b32_e32 v40, v140, v8, vcc
	v_add_f32_e32 v8, 1.0, v40
	v_add_f32_e32 v12, -1.0, v8
	v_sub_f32_e32 v13, v12, v8
	v_add_f32_e32 v13, 1.0, v13
	v_sub_f32_e32 v12, v40, v12
	v_add_f32_e32 v14, v12, v13
	v_frexp_mant_f32_e32 v15, v8
	v_cvt_f64_f32_e32 v[12:13], v8
	v_frexp_exp_i32_f64_e32 v12, v[12:13]
	v_cmp_gt_f32_e32 vcc, s12, v15
	v_cmp_gt_f32_e64 s[60:61], s16, v40
	s_nop 0
	v_subbrev_co_u32_e32 v27, vcc, 0, v12, vcc
	v_sub_u32_e32 v12, 0, v27
	v_ldexp_f32 v8, v8, v12
	v_ldexp_f32 v12, v14, v12
	v_add_f32_e32 v14, -1.0, v8
	v_add_f32_e32 v13, 1.0, v14
	v_sub_f32_e32 v13, v8, v13
	v_add_f32_e32 v15, v12, v13
	v_add_f32_e32 v13, 1.0, v8
	v_add_f32_e32 v29, -1.0, v13
	v_sub_f32_e32 v8, v8, v29
	v_add_f32_e32 v8, v12, v8
	v_add_f32_e32 v29, v13, v8
	v_rcp_f32_e32 v34, v29
	v_sub_f32_e32 v12, v13, v29
	v_add_f32_e32 v13, v14, v15
	v_add_f32_e32 v8, v8, v12
	v_mul_f32_e32 v36, v13, v34
	v_sub_f32_e32 v12, v14, v13
	v_mul_f32_e32 v14, v29, v36
	v_fma_f32 v30, v36, v29, -v14
	v_fmac_f32_e32 v30, v36, v8
	v_add_f32_e32 v35, v15, v12
	v_add_f32_e32 v12, v14, v30
	v_sub_f32_e32 v15, v13, v12
	v_pk_add_f32 v[32:33], v[12:13], v[14:15] neg_lo:[0,1] neg_hi:[0,1]
	v_mov_b32_e32 v31, v12
	v_pk_add_f32 v[12:13], v[32:33], v[30:31] neg_lo:[0,1] neg_hi:[0,1]
	v_cmp_eq_f32_e32 vcc, s11, v40
	v_add_f32_e32 v13, v35, v13
	v_add_f32_e32 v12, v12, v13
	;; [unrolled: 1-line block ×3, first 2 shown]
	v_mul_f32_e32 v35, v34, v13
	v_mul_f32_e32 v14, v29, v35
	v_fma_f32 v30, v35, v29, -v14
	v_fmac_f32_e32 v30, v35, v8
	v_sub_f32_e32 v8, v15, v13
	v_add_f32_e32 v8, v12, v8
	v_add_f32_e32 v12, v14, v30
	v_sub_f32_e32 v15, v13, v12
	v_pk_add_f32 v[32:33], v[12:13], v[14:15] neg_lo:[0,1] neg_hi:[0,1]
	v_mov_b32_e32 v31, v12
	v_pk_add_f32 v[12:13], v[32:33], v[30:31] neg_lo:[0,1] neg_hi:[0,1]
	s_or_b64 vcc, s[60:61], vcc
	v_add_f32_e32 v8, v8, v13
	v_add_f32_e32 v8, v12, v8
	;; [unrolled: 1-line block ×4, first 2 shown]
	v_sub_f32_e32 v12, v13, v36
	v_mul_f32_e32 v8, v34, v8
	v_sub_f32_e32 v12, v35, v12
	v_add_f32_e32 v8, v12, v8
	v_add_f32_e32 v14, v13, v8
	v_mul_f32_e32 v30, v14, v14
	v_fmamk_f32 v12, v30, 0x3e9b6dac, v139
	v_fmaak_f32 v29, v30, v12, 0x3f2aaada
	v_cvt_f32_i32_e32 v12, v27
	v_sub_f32_e32 v13, v14, v13
	v_sub_f32_e32 v8, v8, v13
	v_mul_f32_e32 v13, v14, v30
	v_pk_mul_f32 v[30:31], v[12:13], v[28:29]
	v_ldexp_f32 v15, v14, 1
	v_fma_f32 v14, v12, s13, -v30
	v_fmac_f32_e32 v14, 0xb102e308, v12
	v_pk_add_f32 v[12:13], v[30:31], v[14:15]
	v_ldexp_f32 v8, v8, 1
	v_sub_f32_e32 v15, v13, v15
	v_sub_f32_e32 v15, v31, v15
	v_add_f32_e32 v33, v8, v15
	v_mov_b32_e32 v32, v30
	v_pk_add_f32 v[30:31], v[12:13], v[30:31] neg_lo:[0,1] neg_hi:[0,1]
	v_pk_add_f32 v[34:35], v[12:13], v[32:33]
	v_mov_b32_e32 v15, v12
	v_mov_b32_e32 v31, v35
	v_pk_add_f32 v[36:37], v[14:15], v[30:31] neg_lo:[0,1] neg_hi:[0,1]
	v_pk_add_f32 v[14:15], v[14:15], v[30:31]
	s_nop 0
	v_mov_b32_e32 v8, v15
	v_pk_add_f32 v[30:31], v[8:9], v[12:13] neg_lo:[0,1] neg_hi:[0,1]
	v_mov_b32_e32 v14, v35
	v_mov_b32_e32 v27, v30
	v_pk_add_f32 v[38:39], v[34:35], v[26:27] neg_lo:[0,1] neg_hi:[0,1]
	v_mov_b32_e32 v34, v13
	v_mov_b32_e32 v35, v30
	;; [unrolled: 1-line block ×3, first 2 shown]
	v_pk_add_f32 v[14:15], v[14:15], v[34:35] neg_lo:[0,1] neg_hi:[0,1]
	v_mov_b32_e32 v30, v33
	v_mov_b32_e32 v31, v12
	v_pk_add_f32 v[12:13], v[30:31], v[14:15] neg_lo:[0,1] neg_hi:[0,1]
	v_mov_b32_e32 v38, v36
	v_pk_add_f32 v[14:15], v[38:39], v[12:13]
	s_nop 0
	v_mov_b32_e32 v30, v15
	v_pk_add_f32 v[30:31], v[14:15], v[30:31]
	s_nop 0
	v_pk_add_f32 v[32:33], v[8:9], v[30:31]
	v_mov_b32_e32 v13, v30
	v_mov_b32_e32 v15, v32
	v_pk_add_f32 v[34:35], v[14:15], v[36:37] neg_lo:[0,1] neg_hi:[0,1]
	s_nop 0
	v_sub_f32_e32 v8, v14, v34
	v_pk_add_f32 v[12:13], v[12:13], v[34:35] neg_lo:[0,1] neg_hi:[0,1]
	v_sub_f32_e32 v8, v36, v8
	v_add_f32_e32 v8, v12, v8
	v_add_f32_e32 v8, v8, v13
	;; [unrolled: 1-line block ×3, first 2 shown]
	v_cndmask_b32_e32 v152, v8, v40, vcc
.LBB92_95:                              ;   in Loop: Header=BB92_13 Depth=1
	s_or_b64 exec, exec, s[4:5]
	v_cvt_f32_f16_e32 v8, v9
	v_readlane_b32 s2, v166, 2
	s_nop 1
	v_add_f32_e32 v153, s2, v8
	v_readlane_b32 s2, v166, 23
	v_cmp_ge_f32_e32 vcc, s6, v153
	v_readlane_b32 s3, v166, 24
	s_and_b64 s[2:3], s[2:3], vcc
	s_and_saveexec_b64 s[4:5], s[2:3]
	s_cbranch_execz .LBB92_97
; %bb.96:                               ;   in Loop: Header=BB92_13 Depth=1
	v_mul_f32_e32 v8, 0x3fb8aa3b, v153
	v_rndne_f32_e32 v12, v8
	v_sub_f32_e32 v13, v8, v12
	v_fma_f32 v8, v153, s8, -v8
	v_fmac_f32_e32 v8, 0x32a5705f, v153
	v_add_f32_e32 v8, v13, v8
	v_cvt_i32_f32_e32 v12, v12
	v_exp_f32_e32 v8, v8
	v_cmp_ngt_f32_e32 vcc, s9, v153
	v_ldexp_f32 v8, v8, v12
	s_nop 0
	v_cndmask_b32_e32 v8, 0, v8, vcc
	v_cmp_nlt_f32_e32 vcc, s10, v153
	s_nop 1
	v_cndmask_b32_e32 v40, v140, v8, vcc
	v_add_f32_e32 v8, 1.0, v40
	v_add_f32_e32 v12, -1.0, v8
	v_sub_f32_e32 v13, v12, v8
	v_add_f32_e32 v13, 1.0, v13
	v_sub_f32_e32 v12, v40, v12
	v_add_f32_e32 v14, v12, v13
	v_frexp_mant_f32_e32 v15, v8
	v_cvt_f64_f32_e32 v[12:13], v8
	v_frexp_exp_i32_f64_e32 v12, v[12:13]
	v_cmp_gt_f32_e32 vcc, s12, v15
	v_cmp_gt_f32_e64 s[60:61], s16, v40
	s_nop 0
	v_subbrev_co_u32_e32 v27, vcc, 0, v12, vcc
	v_sub_u32_e32 v12, 0, v27
	v_ldexp_f32 v8, v8, v12
	v_ldexp_f32 v12, v14, v12
	v_add_f32_e32 v14, -1.0, v8
	v_add_f32_e32 v13, 1.0, v14
	v_sub_f32_e32 v13, v8, v13
	v_add_f32_e32 v15, v12, v13
	v_add_f32_e32 v13, 1.0, v8
	v_add_f32_e32 v29, -1.0, v13
	v_sub_f32_e32 v8, v8, v29
	v_add_f32_e32 v8, v12, v8
	v_add_f32_e32 v29, v13, v8
	v_rcp_f32_e32 v34, v29
	v_sub_f32_e32 v12, v13, v29
	v_add_f32_e32 v13, v14, v15
	v_add_f32_e32 v8, v8, v12
	v_mul_f32_e32 v36, v13, v34
	v_sub_f32_e32 v12, v14, v13
	v_mul_f32_e32 v14, v29, v36
	v_fma_f32 v30, v36, v29, -v14
	v_fmac_f32_e32 v30, v36, v8
	v_add_f32_e32 v35, v15, v12
	v_add_f32_e32 v12, v14, v30
	v_sub_f32_e32 v15, v13, v12
	v_pk_add_f32 v[32:33], v[12:13], v[14:15] neg_lo:[0,1] neg_hi:[0,1]
	v_mov_b32_e32 v31, v12
	v_pk_add_f32 v[12:13], v[32:33], v[30:31] neg_lo:[0,1] neg_hi:[0,1]
	v_cmp_eq_f32_e32 vcc, s11, v40
	v_add_f32_e32 v13, v35, v13
	v_add_f32_e32 v12, v12, v13
	v_add_f32_e32 v13, v15, v12
	v_mul_f32_e32 v35, v34, v13
	v_mul_f32_e32 v14, v29, v35
	v_fma_f32 v30, v35, v29, -v14
	v_fmac_f32_e32 v30, v35, v8
	v_sub_f32_e32 v8, v15, v13
	v_add_f32_e32 v8, v12, v8
	v_add_f32_e32 v12, v14, v30
	v_sub_f32_e32 v15, v13, v12
	v_pk_add_f32 v[32:33], v[12:13], v[14:15] neg_lo:[0,1] neg_hi:[0,1]
	v_mov_b32_e32 v31, v12
	v_pk_add_f32 v[12:13], v[32:33], v[30:31] neg_lo:[0,1] neg_hi:[0,1]
	s_or_b64 vcc, s[60:61], vcc
	v_add_f32_e32 v8, v8, v13
	v_add_f32_e32 v8, v12, v8
	;; [unrolled: 1-line block ×4, first 2 shown]
	v_sub_f32_e32 v12, v13, v36
	v_mul_f32_e32 v8, v34, v8
	v_sub_f32_e32 v12, v35, v12
	v_add_f32_e32 v8, v12, v8
	v_add_f32_e32 v14, v13, v8
	v_mul_f32_e32 v30, v14, v14
	v_fmamk_f32 v12, v30, 0x3e9b6dac, v139
	v_fmaak_f32 v29, v30, v12, 0x3f2aaada
	v_cvt_f32_i32_e32 v12, v27
	v_sub_f32_e32 v13, v14, v13
	v_sub_f32_e32 v8, v8, v13
	v_mul_f32_e32 v13, v14, v30
	v_pk_mul_f32 v[30:31], v[12:13], v[28:29]
	v_ldexp_f32 v15, v14, 1
	v_fma_f32 v14, v12, s13, -v30
	v_fmac_f32_e32 v14, 0xb102e308, v12
	v_pk_add_f32 v[12:13], v[30:31], v[14:15]
	v_ldexp_f32 v8, v8, 1
	v_sub_f32_e32 v15, v13, v15
	v_sub_f32_e32 v15, v31, v15
	v_add_f32_e32 v33, v8, v15
	v_mov_b32_e32 v32, v30
	v_pk_add_f32 v[30:31], v[12:13], v[30:31] neg_lo:[0,1] neg_hi:[0,1]
	v_pk_add_f32 v[34:35], v[12:13], v[32:33]
	v_mov_b32_e32 v15, v12
	v_mov_b32_e32 v31, v35
	v_pk_add_f32 v[36:37], v[14:15], v[30:31] neg_lo:[0,1] neg_hi:[0,1]
	v_pk_add_f32 v[14:15], v[14:15], v[30:31]
	s_nop 0
	v_mov_b32_e32 v8, v15
	v_pk_add_f32 v[30:31], v[8:9], v[12:13] neg_lo:[0,1] neg_hi:[0,1]
	v_mov_b32_e32 v14, v35
	v_mov_b32_e32 v27, v30
	v_pk_add_f32 v[38:39], v[34:35], v[26:27] neg_lo:[0,1] neg_hi:[0,1]
	v_mov_b32_e32 v34, v13
	v_mov_b32_e32 v35, v30
	;; [unrolled: 1-line block ×3, first 2 shown]
	v_pk_add_f32 v[14:15], v[14:15], v[34:35] neg_lo:[0,1] neg_hi:[0,1]
	v_mov_b32_e32 v30, v33
	v_mov_b32_e32 v31, v12
	v_pk_add_f32 v[12:13], v[30:31], v[14:15] neg_lo:[0,1] neg_hi:[0,1]
	v_mov_b32_e32 v38, v36
	v_pk_add_f32 v[14:15], v[38:39], v[12:13]
	s_nop 0
	v_mov_b32_e32 v30, v15
	v_pk_add_f32 v[30:31], v[14:15], v[30:31]
	s_nop 0
	v_pk_add_f32 v[32:33], v[8:9], v[30:31]
	v_mov_b32_e32 v13, v30
	v_mov_b32_e32 v15, v32
	v_pk_add_f32 v[34:35], v[14:15], v[36:37] neg_lo:[0,1] neg_hi:[0,1]
	s_nop 0
	v_sub_f32_e32 v8, v14, v34
	v_pk_add_f32 v[12:13], v[12:13], v[34:35] neg_lo:[0,1] neg_hi:[0,1]
	v_sub_f32_e32 v8, v36, v8
	v_add_f32_e32 v8, v12, v8
	v_add_f32_e32 v8, v8, v13
	;; [unrolled: 1-line block ×3, first 2 shown]
	v_cndmask_b32_e32 v153, v8, v40, vcc
.LBB92_97:                              ;   in Loop: Header=BB92_13 Depth=1
	s_or_b64 exec, exec, s[4:5]
	v_cvt_f32_f16_sdwa v8, v9 dst_sel:DWORD dst_unused:UNUSED_PAD src0_sel:WORD_1
	v_readlane_b32 s2, v166, 2
	s_nop 1
	v_add_f32_e32 v154, s2, v8
	v_readlane_b32 s2, v166, 23
	v_cmp_ge_f32_e32 vcc, s6, v154
	v_readlane_b32 s3, v166, 24
	s_and_b64 s[2:3], s[2:3], vcc
	s_and_saveexec_b64 s[4:5], s[2:3]
	s_cbranch_execz .LBB92_99
; %bb.98:                               ;   in Loop: Header=BB92_13 Depth=1
	v_mul_f32_e32 v8, 0x3fb8aa3b, v154
	v_rndne_f32_e32 v9, v8
	v_sub_f32_e32 v12, v8, v9
	v_fma_f32 v8, v154, s8, -v8
	v_fmac_f32_e32 v8, 0x32a5705f, v154
	v_add_f32_e32 v8, v12, v8
	v_cvt_i32_f32_e32 v9, v9
	v_exp_f32_e32 v8, v8
	v_cmp_ngt_f32_e32 vcc, s9, v154
	v_ldexp_f32 v8, v8, v9
	s_nop 0
	v_cndmask_b32_e32 v8, 0, v8, vcc
	v_cmp_nlt_f32_e32 vcc, s10, v154
	s_nop 1
	v_cndmask_b32_e32 v27, v140, v8, vcc
	v_add_f32_e32 v12, 1.0, v27
	v_add_f32_e32 v8, -1.0, v12
	v_sub_f32_e32 v9, v8, v12
	v_add_f32_e32 v9, 1.0, v9
	v_sub_f32_e32 v8, v27, v8
	v_add_f32_e32 v13, v8, v9
	v_frexp_mant_f32_e32 v14, v12
	v_cvt_f64_f32_e32 v[8:9], v12
	v_frexp_exp_i32_f64_e32 v8, v[8:9]
	v_cmp_gt_f32_e32 vcc, s12, v14
	v_cmp_gt_f32_e64 s[60:61], s16, v27
	s_nop 0
	v_subbrev_co_u32_e32 v32, vcc, 0, v8, vcc
	v_sub_u32_e32 v8, 0, v32
	v_ldexp_f32 v9, v12, v8
	v_add_f32_e32 v12, -1.0, v9
	v_add_f32_e32 v14, 1.0, v9
	v_ldexp_f32 v8, v13, v8
	v_add_f32_e32 v13, 1.0, v12
	v_add_f32_e32 v15, -1.0, v14
	v_sub_f32_e32 v13, v9, v13
	v_sub_f32_e32 v9, v9, v15
	v_add_f32_e32 v13, v8, v13
	v_add_f32_e32 v8, v8, v9
	;; [unrolled: 1-line block ×3, first 2 shown]
	v_rcp_f32_e32 v34, v29
	v_sub_f32_e32 v9, v14, v29
	v_add_f32_e32 v33, v8, v9
	v_add_f32_e32 v9, v12, v13
	v_mul_f32_e32 v36, v9, v34
	v_sub_f32_e32 v8, v12, v9
	v_mul_f32_e32 v12, v29, v36
	v_fma_f32 v14, v36, v29, -v12
	v_fmac_f32_e32 v14, v36, v33
	v_add_f32_e32 v35, v13, v8
	v_add_f32_e32 v8, v12, v14
	v_sub_f32_e32 v13, v9, v8
	v_pk_add_f32 v[30:31], v[8:9], v[12:13] neg_lo:[0,1] neg_hi:[0,1]
	v_mov_b32_e32 v15, v8
	v_pk_add_f32 v[8:9], v[30:31], v[14:15] neg_lo:[0,1] neg_hi:[0,1]
	v_cmp_eq_f32_e32 vcc, s11, v27
	v_add_f32_e32 v9, v35, v9
	v_add_f32_e32 v8, v8, v9
	;; [unrolled: 1-line block ×3, first 2 shown]
	v_mul_f32_e32 v35, v34, v9
	v_mul_f32_e32 v12, v29, v35
	v_fma_f32 v14, v35, v29, -v12
	v_fmac_f32_e32 v14, v35, v33
	v_sub_f32_e32 v13, v13, v9
	v_add_f32_e32 v29, v8, v13
	v_add_f32_e32 v8, v12, v14
	v_sub_f32_e32 v13, v9, v8
	v_pk_add_f32 v[30:31], v[8:9], v[12:13] neg_lo:[0,1] neg_hi:[0,1]
	v_mov_b32_e32 v15, v8
	v_pk_add_f32 v[8:9], v[30:31], v[14:15] neg_lo:[0,1] neg_hi:[0,1]
	s_or_b64 vcc, s[60:61], vcc
	v_add_f32_e32 v9, v29, v9
	v_add_f32_e32 v8, v8, v9
	;; [unrolled: 1-line block ×4, first 2 shown]
	v_sub_f32_e32 v12, v9, v36
	v_mul_f32_e32 v8, v34, v8
	v_sub_f32_e32 v12, v35, v12
	v_add_f32_e32 v12, v12, v8
	v_add_f32_e32 v14, v9, v12
	v_mul_f32_e32 v15, v14, v14
	v_fmamk_f32 v8, v15, 0x3e9b6dac, v139
	v_fmaak_f32 v29, v15, v8, 0x3f2aaada
	v_cvt_f32_i32_e32 v8, v32
	v_sub_f32_e32 v9, v14, v9
	v_sub_f32_e32 v9, v12, v9
	v_ldexp_f32 v30, v9, 1
	v_mul_f32_e32 v9, v14, v15
	v_ldexp_f32 v13, v14, 1
	v_pk_mul_f32 v[14:15], v[8:9], v[28:29]
	s_nop 0
	v_fma_f32 v12, v8, s13, -v14
	v_fmac_f32_e32 v12, 0xb102e308, v8
	v_pk_add_f32 v[8:9], v[14:15], v[12:13]
	s_nop 0
	v_sub_f32_e32 v13, v9, v13
	v_sub_f32_e32 v13, v15, v13
	v_add_f32_e32 v31, v30, v13
	v_mov_b32_e32 v30, v14
	v_pk_add_f32 v[14:15], v[8:9], v[14:15] neg_lo:[0,1] neg_hi:[0,1]
	v_pk_add_f32 v[32:33], v[8:9], v[30:31]
	v_mov_b32_e32 v13, v8
	v_mov_b32_e32 v15, v33
	v_pk_add_f32 v[34:35], v[12:13], v[14:15] neg_lo:[0,1] neg_hi:[0,1]
	v_pk_add_f32 v[12:13], v[12:13], v[14:15]
	v_mov_b32_e32 v30, v31
	v_mov_b32_e32 v14, v13
	v_pk_add_f32 v[36:37], v[14:15], v[8:9] neg_lo:[0,1] neg_hi:[0,1]
	v_mov_b32_e32 v12, v33
	v_mov_b32_e32 v15, v36
	v_pk_add_f32 v[38:39], v[32:33], v[14:15] neg_lo:[0,1] neg_hi:[0,1]
	v_mov_b32_e32 v32, v9
	v_mov_b32_e32 v33, v36
	v_mov_b32_e32 v35, v13
	v_pk_add_f32 v[12:13], v[12:13], v[32:33] neg_lo:[0,1] neg_hi:[0,1]
	v_mov_b32_e32 v31, v8
	v_pk_add_f32 v[8:9], v[30:31], v[12:13] neg_lo:[0,1] neg_hi:[0,1]
	v_mov_b32_e32 v38, v34
	v_pk_add_f32 v[12:13], v[38:39], v[8:9]
	s_nop 0
	v_mov_b32_e32 v30, v13
	v_pk_add_f32 v[30:31], v[12:13], v[30:31]
	s_nop 0
	v_pk_add_f32 v[14:15], v[14:15], v[30:31]
	v_mov_b32_e32 v9, v30
	v_mov_b32_e32 v13, v14
	v_pk_add_f32 v[32:33], v[12:13], v[34:35] neg_lo:[0,1] neg_hi:[0,1]
	s_nop 0
	v_sub_f32_e32 v12, v12, v32
	v_pk_add_f32 v[8:9], v[8:9], v[32:33] neg_lo:[0,1] neg_hi:[0,1]
	v_sub_f32_e32 v12, v34, v12
	v_add_f32_e32 v8, v8, v12
	v_add_f32_e32 v8, v8, v9
	;; [unrolled: 1-line block ×3, first 2 shown]
	v_cndmask_b32_e32 v154, v8, v27, vcc
.LBB92_99:                              ;   in Loop: Header=BB92_13 Depth=1
	s_or_b64 exec, exec, s[4:5]
	v_cvt_f32_f16_e32 v8, v10
	v_readlane_b32 s2, v166, 2
	s_nop 1
	v_add_f32_e32 v155, s2, v8
	v_readlane_b32 s2, v166, 23
	v_cmp_ge_f32_e32 vcc, s6, v155
	v_readlane_b32 s3, v166, 24
	s_and_b64 s[2:3], s[2:3], vcc
	s_and_saveexec_b64 s[4:5], s[2:3]
	s_cbranch_execz .LBB92_101
; %bb.100:                              ;   in Loop: Header=BB92_13 Depth=1
	v_mul_f32_e32 v8, 0x3fb8aa3b, v155
	v_rndne_f32_e32 v9, v8
	v_sub_f32_e32 v12, v8, v9
	v_fma_f32 v8, v155, s8, -v8
	v_fmac_f32_e32 v8, 0x32a5705f, v155
	v_add_f32_e32 v8, v12, v8
	v_cvt_i32_f32_e32 v9, v9
	v_exp_f32_e32 v8, v8
	v_cmp_ngt_f32_e32 vcc, s9, v155
	v_ldexp_f32 v8, v8, v9
	s_nop 0
	v_cndmask_b32_e32 v8, 0, v8, vcc
	v_cmp_nlt_f32_e32 vcc, s10, v155
	s_nop 1
	v_cndmask_b32_e32 v27, v140, v8, vcc
	v_add_f32_e32 v12, 1.0, v27
	v_add_f32_e32 v8, -1.0, v12
	v_sub_f32_e32 v9, v8, v12
	v_add_f32_e32 v9, 1.0, v9
	v_sub_f32_e32 v8, v27, v8
	v_add_f32_e32 v13, v8, v9
	v_frexp_mant_f32_e32 v14, v12
	v_cvt_f64_f32_e32 v[8:9], v12
	v_frexp_exp_i32_f64_e32 v8, v[8:9]
	v_cmp_gt_f32_e32 vcc, s12, v14
	v_cmp_gt_f32_e64 s[60:61], s16, v27
	s_nop 0
	v_subbrev_co_u32_e32 v32, vcc, 0, v8, vcc
	v_sub_u32_e32 v8, 0, v32
	v_ldexp_f32 v9, v12, v8
	v_add_f32_e32 v12, -1.0, v9
	v_add_f32_e32 v14, 1.0, v9
	v_ldexp_f32 v8, v13, v8
	v_add_f32_e32 v13, 1.0, v12
	v_add_f32_e32 v15, -1.0, v14
	v_sub_f32_e32 v13, v9, v13
	v_sub_f32_e32 v9, v9, v15
	v_add_f32_e32 v13, v8, v13
	v_add_f32_e32 v8, v8, v9
	;; [unrolled: 1-line block ×3, first 2 shown]
	v_rcp_f32_e32 v34, v29
	v_sub_f32_e32 v9, v14, v29
	v_add_f32_e32 v33, v8, v9
	v_add_f32_e32 v9, v12, v13
	v_mul_f32_e32 v36, v9, v34
	v_sub_f32_e32 v8, v12, v9
	v_mul_f32_e32 v12, v29, v36
	v_fma_f32 v14, v36, v29, -v12
	v_fmac_f32_e32 v14, v36, v33
	v_add_f32_e32 v35, v13, v8
	v_add_f32_e32 v8, v12, v14
	v_sub_f32_e32 v13, v9, v8
	v_pk_add_f32 v[30:31], v[8:9], v[12:13] neg_lo:[0,1] neg_hi:[0,1]
	v_mov_b32_e32 v15, v8
	v_pk_add_f32 v[8:9], v[30:31], v[14:15] neg_lo:[0,1] neg_hi:[0,1]
	v_cmp_eq_f32_e32 vcc, s11, v27
	v_add_f32_e32 v9, v35, v9
	v_add_f32_e32 v8, v8, v9
	;; [unrolled: 1-line block ×3, first 2 shown]
	v_mul_f32_e32 v35, v34, v9
	v_mul_f32_e32 v12, v29, v35
	v_fma_f32 v14, v35, v29, -v12
	v_fmac_f32_e32 v14, v35, v33
	v_sub_f32_e32 v13, v13, v9
	v_add_f32_e32 v29, v8, v13
	v_add_f32_e32 v8, v12, v14
	v_sub_f32_e32 v13, v9, v8
	v_pk_add_f32 v[30:31], v[8:9], v[12:13] neg_lo:[0,1] neg_hi:[0,1]
	v_mov_b32_e32 v15, v8
	v_pk_add_f32 v[8:9], v[30:31], v[14:15] neg_lo:[0,1] neg_hi:[0,1]
	s_or_b64 vcc, s[60:61], vcc
	v_add_f32_e32 v9, v29, v9
	v_add_f32_e32 v8, v8, v9
	;; [unrolled: 1-line block ×4, first 2 shown]
	v_sub_f32_e32 v12, v9, v36
	v_mul_f32_e32 v8, v34, v8
	v_sub_f32_e32 v12, v35, v12
	v_add_f32_e32 v12, v12, v8
	v_add_f32_e32 v14, v9, v12
	v_mul_f32_e32 v15, v14, v14
	v_fmamk_f32 v8, v15, 0x3e9b6dac, v139
	v_fmaak_f32 v29, v15, v8, 0x3f2aaada
	v_cvt_f32_i32_e32 v8, v32
	v_sub_f32_e32 v9, v14, v9
	v_sub_f32_e32 v9, v12, v9
	v_ldexp_f32 v30, v9, 1
	v_mul_f32_e32 v9, v14, v15
	v_ldexp_f32 v13, v14, 1
	v_pk_mul_f32 v[14:15], v[8:9], v[28:29]
	s_nop 0
	v_fma_f32 v12, v8, s13, -v14
	v_fmac_f32_e32 v12, 0xb102e308, v8
	v_pk_add_f32 v[8:9], v[14:15], v[12:13]
	s_nop 0
	v_sub_f32_e32 v13, v9, v13
	v_sub_f32_e32 v13, v15, v13
	v_add_f32_e32 v31, v30, v13
	v_mov_b32_e32 v30, v14
	v_pk_add_f32 v[14:15], v[8:9], v[14:15] neg_lo:[0,1] neg_hi:[0,1]
	v_pk_add_f32 v[32:33], v[8:9], v[30:31]
	v_mov_b32_e32 v13, v8
	v_mov_b32_e32 v15, v33
	v_pk_add_f32 v[34:35], v[12:13], v[14:15] neg_lo:[0,1] neg_hi:[0,1]
	v_pk_add_f32 v[12:13], v[12:13], v[14:15]
	v_mov_b32_e32 v30, v31
	v_mov_b32_e32 v14, v13
	v_pk_add_f32 v[36:37], v[14:15], v[8:9] neg_lo:[0,1] neg_hi:[0,1]
	v_mov_b32_e32 v12, v33
	v_mov_b32_e32 v15, v36
	v_pk_add_f32 v[38:39], v[32:33], v[14:15] neg_lo:[0,1] neg_hi:[0,1]
	v_mov_b32_e32 v32, v9
	v_mov_b32_e32 v33, v36
	;; [unrolled: 1-line block ×3, first 2 shown]
	v_pk_add_f32 v[12:13], v[12:13], v[32:33] neg_lo:[0,1] neg_hi:[0,1]
	v_mov_b32_e32 v31, v8
	v_pk_add_f32 v[8:9], v[30:31], v[12:13] neg_lo:[0,1] neg_hi:[0,1]
	v_mov_b32_e32 v38, v34
	v_pk_add_f32 v[12:13], v[38:39], v[8:9]
	s_nop 0
	v_mov_b32_e32 v30, v13
	v_pk_add_f32 v[30:31], v[12:13], v[30:31]
	s_nop 0
	v_pk_add_f32 v[14:15], v[14:15], v[30:31]
	v_mov_b32_e32 v9, v30
	v_mov_b32_e32 v13, v14
	v_pk_add_f32 v[32:33], v[12:13], v[34:35] neg_lo:[0,1] neg_hi:[0,1]
	s_nop 0
	v_sub_f32_e32 v12, v12, v32
	v_pk_add_f32 v[8:9], v[8:9], v[32:33] neg_lo:[0,1] neg_hi:[0,1]
	v_sub_f32_e32 v12, v34, v12
	v_add_f32_e32 v8, v8, v12
	v_add_f32_e32 v8, v8, v9
	;; [unrolled: 1-line block ×3, first 2 shown]
	v_cndmask_b32_e32 v155, v8, v27, vcc
.LBB92_101:                             ;   in Loop: Header=BB92_13 Depth=1
	s_or_b64 exec, exec, s[4:5]
	v_cvt_f32_f16_sdwa v8, v10 dst_sel:DWORD dst_unused:UNUSED_PAD src0_sel:WORD_1
	v_readlane_b32 s2, v166, 2
	s_nop 1
	v_add_f32_e32 v156, s2, v8
	v_readlane_b32 s2, v166, 23
	v_cmp_ge_f32_e32 vcc, s6, v156
	v_readlane_b32 s3, v166, 24
	s_and_b64 s[2:3], s[2:3], vcc
	s_and_saveexec_b64 s[4:5], s[2:3]
	s_cbranch_execz .LBB92_103
; %bb.102:                              ;   in Loop: Header=BB92_13 Depth=1
	v_mul_f32_e32 v8, 0x3fb8aa3b, v156
	v_rndne_f32_e32 v9, v8
	v_sub_f32_e32 v10, v8, v9
	v_fma_f32 v8, v156, s8, -v8
	v_fmac_f32_e32 v8, 0x32a5705f, v156
	v_add_f32_e32 v8, v10, v8
	v_cvt_i32_f32_e32 v9, v9
	v_exp_f32_e32 v8, v8
	v_cmp_ngt_f32_e32 vcc, s9, v156
	v_ldexp_f32 v8, v8, v9
	s_nop 0
	v_cndmask_b32_e32 v8, 0, v8, vcc
	v_cmp_nlt_f32_e32 vcc, s10, v156
	s_nop 1
	v_cndmask_b32_e32 v27, v140, v8, vcc
	v_add_f32_e32 v10, 1.0, v27
	v_add_f32_e32 v8, -1.0, v10
	v_sub_f32_e32 v9, v8, v10
	v_add_f32_e32 v9, 1.0, v9
	v_sub_f32_e32 v8, v27, v8
	v_add_f32_e32 v12, v8, v9
	v_frexp_mant_f32_e32 v13, v10
	v_cvt_f64_f32_e32 v[8:9], v10
	v_frexp_exp_i32_f64_e32 v8, v[8:9]
	v_cmp_gt_f32_e32 vcc, s12, v13
	v_cmp_gt_f32_e64 s[60:61], s16, v27
	s_nop 0
	v_subbrev_co_u32_e32 v32, vcc, 0, v8, vcc
	v_sub_u32_e32 v8, 0, v32
	v_ldexp_f32 v9, v10, v8
	v_add_f32_e32 v10, -1.0, v9
	v_add_f32_e32 v13, 1.0, v9
	v_ldexp_f32 v8, v12, v8
	v_add_f32_e32 v12, 1.0, v10
	v_add_f32_e32 v14, -1.0, v13
	v_sub_f32_e32 v12, v9, v12
	v_sub_f32_e32 v9, v9, v14
	v_add_f32_e32 v12, v8, v12
	v_add_f32_e32 v8, v8, v9
	;; [unrolled: 1-line block ×3, first 2 shown]
	v_rcp_f32_e32 v34, v29
	v_sub_f32_e32 v9, v13, v29
	v_add_f32_e32 v33, v8, v9
	v_add_f32_e32 v9, v10, v12
	v_sub_f32_e32 v8, v10, v9
	v_mul_f32_e32 v35, v9, v34
	v_add_f32_e32 v10, v12, v8
	v_mul_f32_e32 v12, v29, v35
	v_fma_f32 v14, v35, v29, -v12
	v_fmac_f32_e32 v14, v35, v33
	v_add_f32_e32 v8, v12, v14
	v_sub_f32_e32 v13, v9, v8
	v_pk_add_f32 v[30:31], v[8:9], v[12:13] neg_lo:[0,1] neg_hi:[0,1]
	v_mov_b32_e32 v15, v8
	v_pk_add_f32 v[8:9], v[30:31], v[14:15] neg_lo:[0,1] neg_hi:[0,1]
	v_cmp_eq_f32_e32 vcc, s11, v27
	v_add_f32_e32 v9, v10, v9
	v_add_f32_e32 v8, v8, v9
	;; [unrolled: 1-line block ×3, first 2 shown]
	v_mul_f32_e32 v10, v34, v9
	v_mul_f32_e32 v12, v29, v10
	v_fma_f32 v14, v10, v29, -v12
	v_fmac_f32_e32 v14, v10, v33
	v_sub_f32_e32 v13, v13, v9
	v_add_f32_e32 v29, v8, v13
	v_add_f32_e32 v8, v12, v14
	v_sub_f32_e32 v13, v9, v8
	v_pk_add_f32 v[30:31], v[8:9], v[12:13] neg_lo:[0,1] neg_hi:[0,1]
	v_mov_b32_e32 v15, v8
	v_pk_add_f32 v[8:9], v[30:31], v[14:15] neg_lo:[0,1] neg_hi:[0,1]
	s_or_b64 vcc, s[60:61], vcc
	v_add_f32_e32 v9, v29, v9
	v_add_f32_e32 v8, v8, v9
	;; [unrolled: 1-line block ×4, first 2 shown]
	v_sub_f32_e32 v12, v9, v35
	v_mul_f32_e32 v8, v34, v8
	v_sub_f32_e32 v10, v10, v12
	v_add_f32_e32 v10, v10, v8
	v_add_f32_e32 v12, v9, v10
	v_mul_f32_e32 v14, v12, v12
	v_fmamk_f32 v8, v14, 0x3e9b6dac, v139
	v_fmaak_f32 v29, v14, v8, 0x3f2aaada
	v_cvt_f32_i32_e32 v8, v32
	v_sub_f32_e32 v9, v12, v9
	v_sub_f32_e32 v9, v10, v9
	v_ldexp_f32 v10, v9, 1
	v_mul_f32_e32 v9, v12, v14
	v_pk_mul_f32 v[14:15], v[8:9], v[28:29]
	v_ldexp_f32 v13, v12, 1
	v_fma_f32 v12, v8, s13, -v14
	v_fmac_f32_e32 v12, 0xb102e308, v8
	v_pk_add_f32 v[8:9], v[14:15], v[12:13]
	v_mov_b32_e32 v30, v14
	v_sub_f32_e32 v13, v9, v13
	v_sub_f32_e32 v13, v15, v13
	v_add_f32_e32 v31, v10, v13
	v_pk_add_f32 v[14:15], v[8:9], v[14:15] neg_lo:[0,1] neg_hi:[0,1]
	v_pk_add_f32 v[32:33], v[8:9], v[30:31]
	v_mov_b32_e32 v13, v8
	v_mov_b32_e32 v15, v33
	v_pk_add_f32 v[34:35], v[12:13], v[14:15] neg_lo:[0,1] neg_hi:[0,1]
	v_pk_add_f32 v[12:13], v[12:13], v[14:15]
	s_nop 0
	v_mov_b32_e32 v10, v13
	v_pk_add_f32 v[14:15], v[10:11], v[8:9] neg_lo:[0,1] neg_hi:[0,1]
	v_mov_b32_e32 v12, v33
	v_mov_b32_e32 v15, v14
	v_pk_add_f32 v[36:37], v[32:33], v[14:15] neg_lo:[0,1] neg_hi:[0,1]
	v_mov_b32_e32 v32, v9
	v_mov_b32_e32 v33, v14
	;; [unrolled: 1-line block ×3, first 2 shown]
	v_pk_add_f32 v[12:13], v[12:13], v[32:33] neg_lo:[0,1] neg_hi:[0,1]
	v_mov_b32_e32 v14, v31
	v_mov_b32_e32 v15, v8
	v_pk_add_f32 v[8:9], v[14:15], v[12:13] neg_lo:[0,1] neg_hi:[0,1]
	v_mov_b32_e32 v36, v34
	v_pk_add_f32 v[12:13], v[36:37], v[8:9]
	s_nop 0
	v_mov_b32_e32 v14, v13
	v_pk_add_f32 v[14:15], v[12:13], v[14:15]
	s_nop 0
	v_pk_add_f32 v[30:31], v[10:11], v[14:15]
	v_mov_b32_e32 v9, v14
	v_mov_b32_e32 v13, v30
	v_pk_add_f32 v[32:33], v[12:13], v[34:35] neg_lo:[0,1] neg_hi:[0,1]
	s_nop 0
	v_sub_f32_e32 v10, v12, v32
	v_pk_add_f32 v[8:9], v[8:9], v[32:33] neg_lo:[0,1] neg_hi:[0,1]
	v_sub_f32_e32 v10, v34, v10
	v_add_f32_e32 v8, v8, v10
	v_add_f32_e32 v8, v8, v9
	;; [unrolled: 1-line block ×3, first 2 shown]
	v_cndmask_b32_e32 v156, v8, v27, vcc
.LBB92_103:                             ;   in Loop: Header=BB92_13 Depth=1
	s_or_b64 exec, exec, s[4:5]
	v_cvt_f32_f16_e32 v8, v11
	v_readlane_b32 s2, v166, 2
	s_nop 1
	v_add_f32_e32 v46, s2, v8
	v_readlane_b32 s2, v166, 23
	v_cmp_ge_f32_e32 vcc, s6, v46
	v_readlane_b32 s3, v166, 24
	s_and_b64 s[2:3], s[2:3], vcc
	s_and_saveexec_b64 s[4:5], s[2:3]
	s_cbranch_execz .LBB92_105
; %bb.104:                              ;   in Loop: Header=BB92_13 Depth=1
	v_mul_f32_e32 v8, 0x3fb8aa3b, v46
	v_rndne_f32_e32 v9, v8
	v_sub_f32_e32 v10, v8, v9
	v_fma_f32 v8, v46, s8, -v8
	v_fmac_f32_e32 v8, 0x32a5705f, v46
	v_add_f32_e32 v8, v10, v8
	v_cvt_i32_f32_e32 v9, v9
	v_exp_f32_e32 v8, v8
	v_cmp_ngt_f32_e32 vcc, s9, v46
	v_ldexp_f32 v8, v8, v9
	s_nop 0
	v_cndmask_b32_e32 v8, 0, v8, vcc
	v_cmp_nlt_f32_e32 vcc, s10, v46
	s_nop 1
	v_cndmask_b32_e32 v27, v140, v8, vcc
	v_add_f32_e32 v10, 1.0, v27
	v_add_f32_e32 v8, -1.0, v10
	v_sub_f32_e32 v9, v8, v10
	v_add_f32_e32 v9, 1.0, v9
	v_sub_f32_e32 v8, v27, v8
	v_add_f32_e32 v12, v8, v9
	v_frexp_mant_f32_e32 v13, v10
	v_cvt_f64_f32_e32 v[8:9], v10
	v_frexp_exp_i32_f64_e32 v8, v[8:9]
	v_cmp_gt_f32_e32 vcc, s12, v13
	v_cmp_gt_f32_e64 s[60:61], s16, v27
	s_nop 0
	v_subbrev_co_u32_e32 v32, vcc, 0, v8, vcc
	v_sub_u32_e32 v8, 0, v32
	v_ldexp_f32 v9, v10, v8
	v_add_f32_e32 v10, -1.0, v9
	v_add_f32_e32 v13, 1.0, v9
	v_ldexp_f32 v8, v12, v8
	v_add_f32_e32 v12, 1.0, v10
	v_add_f32_e32 v14, -1.0, v13
	v_sub_f32_e32 v12, v9, v12
	v_sub_f32_e32 v9, v9, v14
	v_add_f32_e32 v12, v8, v12
	v_add_f32_e32 v8, v8, v9
	;; [unrolled: 1-line block ×3, first 2 shown]
	v_rcp_f32_e32 v34, v29
	v_sub_f32_e32 v9, v13, v29
	v_add_f32_e32 v33, v8, v9
	v_add_f32_e32 v9, v10, v12
	v_sub_f32_e32 v8, v10, v9
	v_mul_f32_e32 v35, v9, v34
	v_add_f32_e32 v10, v12, v8
	v_mul_f32_e32 v12, v29, v35
	v_fma_f32 v14, v35, v29, -v12
	v_fmac_f32_e32 v14, v35, v33
	v_add_f32_e32 v8, v12, v14
	v_sub_f32_e32 v13, v9, v8
	v_pk_add_f32 v[30:31], v[8:9], v[12:13] neg_lo:[0,1] neg_hi:[0,1]
	v_mov_b32_e32 v15, v8
	v_pk_add_f32 v[8:9], v[30:31], v[14:15] neg_lo:[0,1] neg_hi:[0,1]
	v_cmp_eq_f32_e32 vcc, s11, v27
	v_add_f32_e32 v9, v10, v9
	v_add_f32_e32 v8, v8, v9
	;; [unrolled: 1-line block ×3, first 2 shown]
	v_mul_f32_e32 v10, v34, v9
	v_mul_f32_e32 v12, v29, v10
	v_fma_f32 v14, v10, v29, -v12
	v_fmac_f32_e32 v14, v10, v33
	v_sub_f32_e32 v13, v13, v9
	v_add_f32_e32 v29, v8, v13
	v_add_f32_e32 v8, v12, v14
	v_sub_f32_e32 v13, v9, v8
	v_pk_add_f32 v[30:31], v[8:9], v[12:13] neg_lo:[0,1] neg_hi:[0,1]
	v_mov_b32_e32 v15, v8
	v_pk_add_f32 v[8:9], v[30:31], v[14:15] neg_lo:[0,1] neg_hi:[0,1]
	s_or_b64 vcc, s[60:61], vcc
	v_add_f32_e32 v9, v29, v9
	v_add_f32_e32 v8, v8, v9
	;; [unrolled: 1-line block ×4, first 2 shown]
	v_sub_f32_e32 v12, v9, v35
	v_mul_f32_e32 v8, v34, v8
	v_sub_f32_e32 v10, v10, v12
	v_add_f32_e32 v10, v10, v8
	v_add_f32_e32 v12, v9, v10
	v_mul_f32_e32 v14, v12, v12
	v_fmamk_f32 v8, v14, 0x3e9b6dac, v139
	v_fmaak_f32 v29, v14, v8, 0x3f2aaada
	v_cvt_f32_i32_e32 v8, v32
	v_sub_f32_e32 v9, v12, v9
	v_sub_f32_e32 v9, v10, v9
	v_ldexp_f32 v10, v9, 1
	v_mul_f32_e32 v9, v12, v14
	v_pk_mul_f32 v[14:15], v[8:9], v[28:29]
	v_ldexp_f32 v13, v12, 1
	v_fma_f32 v12, v8, s13, -v14
	v_fmac_f32_e32 v12, 0xb102e308, v8
	v_pk_add_f32 v[8:9], v[14:15], v[12:13]
	v_mov_b32_e32 v30, v14
	v_sub_f32_e32 v13, v9, v13
	v_sub_f32_e32 v13, v15, v13
	v_add_f32_e32 v31, v10, v13
	v_pk_add_f32 v[14:15], v[8:9], v[14:15] neg_lo:[0,1] neg_hi:[0,1]
	v_pk_add_f32 v[32:33], v[8:9], v[30:31]
	v_mov_b32_e32 v13, v8
	v_mov_b32_e32 v15, v33
	v_pk_add_f32 v[34:35], v[12:13], v[14:15] neg_lo:[0,1] neg_hi:[0,1]
	v_pk_add_f32 v[12:13], v[12:13], v[14:15]
	s_nop 0
	v_mov_b32_e32 v10, v13
	v_pk_add_f32 v[14:15], v[10:11], v[8:9] neg_lo:[0,1] neg_hi:[0,1]
	v_mov_b32_e32 v12, v33
	v_mov_b32_e32 v15, v14
	v_pk_add_f32 v[36:37], v[32:33], v[14:15] neg_lo:[0,1] neg_hi:[0,1]
	v_mov_b32_e32 v32, v9
	v_mov_b32_e32 v33, v14
	v_mov_b32_e32 v35, v13
	v_pk_add_f32 v[12:13], v[12:13], v[32:33] neg_lo:[0,1] neg_hi:[0,1]
	v_mov_b32_e32 v14, v31
	v_mov_b32_e32 v15, v8
	v_pk_add_f32 v[8:9], v[14:15], v[12:13] neg_lo:[0,1] neg_hi:[0,1]
	v_mov_b32_e32 v36, v34
	v_pk_add_f32 v[12:13], v[36:37], v[8:9]
	s_nop 0
	v_mov_b32_e32 v14, v13
	v_pk_add_f32 v[14:15], v[12:13], v[14:15]
	s_nop 0
	v_pk_add_f32 v[30:31], v[10:11], v[14:15]
	v_mov_b32_e32 v9, v14
	v_mov_b32_e32 v13, v30
	v_pk_add_f32 v[32:33], v[12:13], v[34:35] neg_lo:[0,1] neg_hi:[0,1]
	s_nop 0
	v_sub_f32_e32 v10, v12, v32
	v_pk_add_f32 v[8:9], v[8:9], v[32:33] neg_lo:[0,1] neg_hi:[0,1]
	v_sub_f32_e32 v10, v34, v10
	v_add_f32_e32 v8, v8, v10
	v_add_f32_e32 v8, v8, v9
	;; [unrolled: 1-line block ×3, first 2 shown]
	v_cndmask_b32_e32 v46, v8, v27, vcc
.LBB92_105:                             ;   in Loop: Header=BB92_13 Depth=1
	s_or_b64 exec, exec, s[4:5]
	v_cvt_f32_f16_sdwa v8, v11 dst_sel:DWORD dst_unused:UNUSED_PAD src0_sel:WORD_1
	v_readlane_b32 s2, v166, 2
	s_nop 1
	v_add_f32_e32 v47, s2, v8
	v_readlane_b32 s2, v166, 23
	v_cmp_ge_f32_e32 vcc, s6, v47
	v_readlane_b32 s3, v166, 24
	s_and_b64 s[2:3], s[2:3], vcc
	s_and_saveexec_b64 s[4:5], s[2:3]
	s_cbranch_execz .LBB92_107
; %bb.106:                              ;   in Loop: Header=BB92_13 Depth=1
	v_mul_f32_e32 v8, 0x3fb8aa3b, v47
	v_rndne_f32_e32 v9, v8
	v_sub_f32_e32 v10, v8, v9
	v_fma_f32 v8, v47, s8, -v8
	v_fmac_f32_e32 v8, 0x32a5705f, v47
	v_add_f32_e32 v8, v10, v8
	v_cvt_i32_f32_e32 v9, v9
	v_exp_f32_e32 v8, v8
	v_cmp_ngt_f32_e32 vcc, s9, v47
	v_ldexp_f32 v8, v8, v9
	s_nop 0
	v_cndmask_b32_e32 v8, 0, v8, vcc
	v_cmp_nlt_f32_e32 vcc, s10, v47
	s_nop 1
	v_cndmask_b32_e32 v27, v140, v8, vcc
	v_add_f32_e32 v10, 1.0, v27
	v_add_f32_e32 v8, -1.0, v10
	v_sub_f32_e32 v9, v8, v10
	v_add_f32_e32 v9, 1.0, v9
	v_sub_f32_e32 v8, v27, v8
	v_add_f32_e32 v11, v8, v9
	v_frexp_mant_f32_e32 v12, v10
	v_cvt_f64_f32_e32 v[8:9], v10
	v_frexp_exp_i32_f64_e32 v8, v[8:9]
	v_cmp_gt_f32_e32 vcc, s12, v12
	v_cmp_gt_f32_e64 s[60:61], s16, v27
	s_nop 0
	v_subbrev_co_u32_e32 v30, vcc, 0, v8, vcc
	v_sub_u32_e32 v8, 0, v30
	v_ldexp_f32 v9, v10, v8
	v_add_f32_e32 v10, -1.0, v9
	v_add_f32_e32 v12, 1.0, v9
	v_ldexp_f32 v8, v11, v8
	v_add_f32_e32 v11, 1.0, v10
	v_add_f32_e32 v13, -1.0, v12
	v_sub_f32_e32 v11, v9, v11
	v_sub_f32_e32 v9, v9, v13
	v_add_f32_e32 v11, v8, v11
	v_add_f32_e32 v8, v8, v9
	;; [unrolled: 1-line block ×3, first 2 shown]
	v_rcp_f32_e32 v32, v29
	v_sub_f32_e32 v9, v12, v29
	v_add_f32_e32 v31, v8, v9
	v_add_f32_e32 v9, v10, v11
	v_mul_f32_e32 v34, v9, v32
	v_sub_f32_e32 v8, v10, v9
	v_mul_f32_e32 v10, v29, v34
	v_fma_f32 v12, v34, v29, -v10
	v_fmac_f32_e32 v12, v34, v31
	v_add_f32_e32 v33, v11, v8
	v_add_f32_e32 v8, v10, v12
	v_sub_f32_e32 v11, v9, v8
	v_pk_add_f32 v[14:15], v[8:9], v[10:11] neg_lo:[0,1] neg_hi:[0,1]
	v_mov_b32_e32 v13, v8
	v_pk_add_f32 v[8:9], v[14:15], v[12:13] neg_lo:[0,1] neg_hi:[0,1]
	v_cmp_eq_f32_e32 vcc, s11, v27
	v_add_f32_e32 v9, v33, v9
	v_add_f32_e32 v8, v8, v9
	;; [unrolled: 1-line block ×3, first 2 shown]
	v_mul_f32_e32 v33, v32, v9
	v_mul_f32_e32 v10, v29, v33
	v_fma_f32 v12, v33, v29, -v10
	v_fmac_f32_e32 v12, v33, v31
	v_sub_f32_e32 v11, v11, v9
	v_add_f32_e32 v29, v8, v11
	v_add_f32_e32 v8, v10, v12
	v_sub_f32_e32 v11, v9, v8
	v_pk_add_f32 v[14:15], v[8:9], v[10:11] neg_lo:[0,1] neg_hi:[0,1]
	v_mov_b32_e32 v13, v8
	v_pk_add_f32 v[8:9], v[14:15], v[12:13] neg_lo:[0,1] neg_hi:[0,1]
	s_or_b64 vcc, s[60:61], vcc
	v_add_f32_e32 v9, v29, v9
	v_add_f32_e32 v8, v8, v9
	v_add_f32_e32 v9, v34, v33
	v_add_f32_e32 v8, v11, v8
	v_sub_f32_e32 v10, v9, v34
	v_mul_f32_e32 v8, v32, v8
	v_sub_f32_e32 v10, v33, v10
	v_add_f32_e32 v10, v10, v8
	v_add_f32_e32 v12, v9, v10
	v_mul_f32_e32 v13, v12, v12
	v_fmamk_f32 v8, v13, 0x3e9b6dac, v139
	v_fmaak_f32 v29, v13, v8, 0x3f2aaada
	v_cvt_f32_i32_e32 v8, v30
	v_sub_f32_e32 v9, v12, v9
	v_sub_f32_e32 v9, v10, v9
	v_ldexp_f32 v14, v9, 1
	v_mul_f32_e32 v9, v12, v13
	v_ldexp_f32 v11, v12, 1
	v_pk_mul_f32 v[12:13], v[8:9], v[28:29]
	s_nop 0
	v_fma_f32 v10, v8, s13, -v12
	v_fmac_f32_e32 v10, 0xb102e308, v8
	v_pk_add_f32 v[8:9], v[12:13], v[10:11]
	s_nop 0
	v_sub_f32_e32 v11, v9, v11
	v_sub_f32_e32 v11, v13, v11
	v_add_f32_e32 v15, v14, v11
	v_mov_b32_e32 v14, v12
	v_pk_add_f32 v[12:13], v[8:9], v[12:13] neg_lo:[0,1] neg_hi:[0,1]
	v_pk_add_f32 v[30:31], v[8:9], v[14:15]
	v_mov_b32_e32 v11, v8
	v_mov_b32_e32 v13, v31
	v_pk_add_f32 v[32:33], v[10:11], v[12:13] neg_lo:[0,1] neg_hi:[0,1]
	v_pk_add_f32 v[10:11], v[10:11], v[12:13]
	v_mov_b32_e32 v14, v15
	v_mov_b32_e32 v12, v11
	v_pk_add_f32 v[34:35], v[12:13], v[8:9] neg_lo:[0,1] neg_hi:[0,1]
	v_mov_b32_e32 v10, v31
	v_mov_b32_e32 v13, v34
	v_pk_add_f32 v[36:37], v[30:31], v[12:13] neg_lo:[0,1] neg_hi:[0,1]
	v_mov_b32_e32 v30, v9
	v_mov_b32_e32 v31, v34
	;; [unrolled: 1-line block ×3, first 2 shown]
	v_pk_add_f32 v[10:11], v[10:11], v[30:31] neg_lo:[0,1] neg_hi:[0,1]
	v_mov_b32_e32 v15, v8
	v_pk_add_f32 v[8:9], v[14:15], v[10:11] neg_lo:[0,1] neg_hi:[0,1]
	v_mov_b32_e32 v36, v32
	v_pk_add_f32 v[10:11], v[36:37], v[8:9]
	s_nop 0
	v_mov_b32_e32 v14, v11
	v_pk_add_f32 v[14:15], v[10:11], v[14:15]
	s_nop 0
	v_pk_add_f32 v[12:13], v[12:13], v[14:15]
	v_mov_b32_e32 v9, v14
	v_mov_b32_e32 v11, v12
	v_pk_add_f32 v[30:31], v[10:11], v[32:33] neg_lo:[0,1] neg_hi:[0,1]
	s_nop 0
	v_sub_f32_e32 v10, v10, v30
	v_pk_add_f32 v[8:9], v[8:9], v[30:31] neg_lo:[0,1] neg_hi:[0,1]
	v_sub_f32_e32 v10, v32, v10
	v_add_f32_e32 v8, v8, v10
	v_add_f32_e32 v8, v8, v9
	;; [unrolled: 1-line block ×3, first 2 shown]
	v_cndmask_b32_e32 v47, v8, v27, vcc
.LBB92_107:                             ;   in Loop: Header=BB92_13 Depth=1
	s_or_b64 exec, exec, s[4:5]
	v_cvt_f32_f16_e32 v8, v7
	v_cvt_f32_f16_sdwa v9, v6 dst_sel:DWORD dst_unused:UNUSED_PAD src0_sel:WORD_1
	v_cvt_f32_f16_e32 v6, v6
	v_cvt_f32_f16_sdwa v13, v7 dst_sel:DWORD dst_unused:UNUSED_PAD src0_sel:WORD_1
	v_cvt_f32_f16_sdwa v7, v5 dst_sel:DWORD dst_unused:UNUSED_PAD src0_sel:WORD_1
	v_cvt_f32_f16_e32 v5, v5
	v_cvt_f32_f16_sdwa v10, v4 dst_sel:DWORD dst_unused:UNUSED_PAD src0_sel:WORD_1
	v_cvt_f32_f16_e32 v4, v4
	;; [unrolled: 2-line block ×6, first 2 shown]
	v_readlane_b32 s2, v166, 3
	s_barrier
	s_nop 0
	v_mul_f32_e32 v32, s2, v8
	v_mul_f32_e32 v31, s2, v9
	v_mul_f32_e32 v30, s2, v6
	v_mul_f32_e32 v37, s2, v7
	v_mul_f32_e32 v36, s2, v5
	v_mul_f32_e32 v35, s2, v10
	v_mul_f32_e32 v34, s2, v4
	v_mul_f32_e32 v41, s2, v11
	v_mul_f32_e32 v40, s2, v3
	v_mul_f32_e32 v39, s2, v12
	v_mul_f32_e32 v38, s2, v2
	v_mul_f32_e32 v45, s2, v14
	v_mul_f32_e32 v44, s2, v1
	v_mul_f32_e32 v43, s2, v15
	v_mul_f32_e32 v42, s2, v0
	v_mul_f32_e32 v33, s2, v13
	v_readlane_b32 s2, v166, 26
	v_readlane_b32 s3, v166, 27
	s_and_b64 vcc, exec, s[2:3]
	s_cbranch_vccz .LBB92_204
; %bb.108:                              ;   in Loop: Header=BB92_13 Depth=1
	v_readlane_b32 s2, v166, 9
	v_readlane_b32 s3, v166, 10
	v_mul_f32_e32 v127, v143, v0
	v_cmp_gt_u32_e32 vcc, s88, v19
	v_lshl_add_u64 v[48:49], s[2:3], 0, v[16:17]
	v_readlane_b32 s2, v166, 19
	v_readlane_b32 s3, v166, 20
	v_or_b32_e32 v0, 1, v19
	v_mov_b32_e32 v27, v17
	v_lshl_add_u64 v[50:51], s[2:3], 0, v[16:17]
	v_readlane_b32 s3, v166, 60
	s_cmp_lg_u32 s3, 0
	v_readlane_b32 s2, v166, 30
	s_cselect_b64 s[94:95], -1, 0
	s_cmp_eq_u32 s3, s2
	v_readlane_b32 s2, v166, 51
	v_readlane_b32 s3, v166, 52
	s_cselect_b64 s[96:97], -1, 0
	s_or_b64 s[60:61], s[2:3], vcc
	v_cmp_gt_u32_e32 vcc, s88, v0
	v_or_b32_e32 v0, 2, v19
	s_or_b64 s[62:63], s[2:3], vcc
	v_cmp_gt_u32_e32 vcc, s88, v0
	v_or_b32_e32 v0, 3, v19
	;; [unrolled: 3-line block ×14, first 2 shown]
	s_mov_b32 s6, 0
	v_cmp_gt_u32_e64 s[88:89], s88, v0
	v_mul_f32_e32 v29, v47, v13
	v_lshl_add_u64 v[48:49], v[48:49], 0, v[26:27]
	v_lshl_add_u64 v[50:51], v[50:51], 0, v[26:27]
	v_mul_f32_e32 v16, v46, v8
	v_mul_f32_e32 v27, v156, v9
	;; [unrolled: 1-line block ×14, first 2 shown]
	s_or_b64 s[88:89], s[2:3], s[88:89]
	s_or_b64 s[90:91], s[2:3], vcc
	s_mov_b32 s92, s6
	s_mov_b32 s98, s6
	;; [unrolled: 1-line block ×3, first 2 shown]
	v_readlane_b32 s8, v166, 25
	v_readlane_b32 s9, v166, 59
	s_branch .LBB92_110
.LBB92_109:                             ;   in Loop: Header=BB92_110 Depth=2
	s_or_b64 exec, exec, s[2:3]
	v_cndmask_b32_e64 v8, v8, v71, s[24:25]
	v_cndmask_b32_e64 v52, v62, v70, s[24:25]
	v_mul_f32_e32 v52, v52, v129
	v_fma_f32 v8, v8, v129, v128
	v_cndmask_b32_e64 v8, v8, v128, s[22:23]
	v_cndmask_b32_e64 v52, v52, v129, s[22:23]
	s_waitcnt lgkmcnt(0)
	v_fmac_f32_e32 v8, v65, v52
	v_fmac_f32_e32 v9, v8, v130
	;; [unrolled: 1-line block ×15, first 2 shown]
	v_readlane_b32 s12, v166, 31
	v_fmac_f32_e32 v63, v61, v67
	v_cvt_f32_f16_sdwa v53, v4 dst_sel:DWORD dst_unused:UNUSED_PAD src0_sel:WORD_1
	v_cvt_f32_f16_sdwa v65, v5 dst_sel:DWORD dst_unused:UNUSED_PAD src0_sel:WORD_1
	v_cvt_f32_f16_e32 v52, v4
	v_cvt_f32_f16_e32 v64, v5
	v_cvt_f32_f16_sdwa v5, v6 dst_sel:DWORD dst_unused:UNUSED_PAD src0_sel:WORD_1
	v_cvt_f32_f16_sdwa v67, v7 dst_sel:DWORD dst_unused:UNUSED_PAD src0_sel:WORD_1
	v_cvt_f32_f16_e32 v4, v6
	v_cvt_f32_f16_e32 v66, v7
	;; [unrolled: 4-line block ×4, first 2 shown]
	v_readlane_b32 s13, v166, 32
	v_readlane_b32 s14, v166, 33
	;; [unrolled: 1-line block ×7, first 2 shown]
	s_add_i32 s98, s98, s12
	v_readlane_b32 s12, v166, 11
	v_readlane_b32 s2, v166, 4
	v_readlane_b32 s13, v166, 12
	v_readlane_b32 s16, v166, 15
	v_mov_b32_e32 v62, v61
	s_add_i32 s9, s9, 8
	s_add_i32 s8, s8, -1
	s_add_i32 s4, s4, s2
	s_add_i32 s92, s92, s16
	;; [unrolled: 1-line block ×3, first 2 shown]
	v_pk_fma_f32 v[44:45], v[10:11], v[64:65], v[44:45]
	v_pk_fma_f32 v[42:43], v[8:9], v[52:53], v[42:43]
	;; [unrolled: 1-line block ×7, first 2 shown]
	s_cmp_eq_u32 s8, 0
	v_pk_fma_f32 v[30:31], v[56:57], v[0:1], v[30:31]
	v_readlane_b32 s14, v166, 13
	v_readlane_b32 s15, v166, 14
	;; [unrolled: 1-line block ×5, first 2 shown]
	s_cbranch_scc1 .LBB92_203
.LBB92_110:                             ;   Parent Loop BB92_13 Depth=1
                                        ; =>  This Inner Loop Header: Depth=2
	s_lshl_b64 s[2:3], s[6:7], 2
	v_readlane_b32 s5, v166, 7
	s_add_u32 s2, s5, s2
	v_readlane_b32 s5, v166, 8
	s_addc_u32 s3, s5, s3
	global_load_dword v54, v17, s[2:3]
	s_mov_b32 s93, s7
	v_lshl_add_u64 v[0:1], s[92:93], 1, v[48:49]
	v_mov_b32_e32 v2, 0
	v_mov_b32_e32 v3, 0
	s_and_saveexec_b64 s[2:3], s[26:27]
	s_cbranch_execnz .LBB92_146
; %bb.111:                              ;   in Loop: Header=BB92_110 Depth=2
	s_or_b64 exec, exec, s[2:3]
	s_and_saveexec_b64 s[2:3], s[28:29]
	s_cbranch_execnz .LBB92_147
.LBB92_112:                             ;   in Loop: Header=BB92_110 Depth=2
	s_or_b64 exec, exec, s[2:3]
	v_mov_b32_e32 v4, 0
	s_and_saveexec_b64 s[2:3], s[30:31]
	s_cbranch_execnz .LBB92_148
.LBB92_113:                             ;   in Loop: Header=BB92_110 Depth=2
	s_or_b64 exec, exec, s[2:3]
	s_and_saveexec_b64 s[2:3], s[34:35]
	s_cbranch_execnz .LBB92_149
.LBB92_114:                             ;   in Loop: Header=BB92_110 Depth=2
	s_or_b64 exec, exec, s[2:3]
	v_mov_b32_e32 v5, 0
	s_and_saveexec_b64 s[2:3], s[36:37]
	s_cbranch_execnz .LBB92_150
.LBB92_115:                             ;   in Loop: Header=BB92_110 Depth=2
	s_or_b64 exec, exec, s[2:3]
	s_and_saveexec_b64 s[2:3], s[38:39]
	s_cbranch_execnz .LBB92_151
.LBB92_116:                             ;   in Loop: Header=BB92_110 Depth=2
	s_or_b64 exec, exec, s[2:3]
	v_mov_b32_e32 v6, 0
	s_and_saveexec_b64 s[2:3], s[40:41]
	s_cbranch_execnz .LBB92_152
.LBB92_117:                             ;   in Loop: Header=BB92_110 Depth=2
	s_or_b64 exec, exec, s[2:3]
	s_and_saveexec_b64 s[2:3], s[42:43]
	s_cbranch_execnz .LBB92_153
.LBB92_118:                             ;   in Loop: Header=BB92_110 Depth=2
	s_or_b64 exec, exec, s[2:3]
	v_mov_b32_e32 v7, 0
	s_and_saveexec_b64 s[2:3], s[44:45]
	s_cbranch_execnz .LBB92_154
.LBB92_119:                             ;   in Loop: Header=BB92_110 Depth=2
	s_or_b64 exec, exec, s[2:3]
	s_and_saveexec_b64 s[2:3], s[46:47]
	s_cbranch_execnz .LBB92_155
.LBB92_120:                             ;   in Loop: Header=BB92_110 Depth=2
	s_or_b64 exec, exec, s[2:3]
	v_mov_b32_e32 v8, 0
	s_and_saveexec_b64 s[2:3], s[48:49]
	s_cbranch_execnz .LBB92_156
.LBB92_121:                             ;   in Loop: Header=BB92_110 Depth=2
	s_or_b64 exec, exec, s[2:3]
	s_and_saveexec_b64 s[2:3], s[50:51]
	s_cbranch_execnz .LBB92_157
.LBB92_122:                             ;   in Loop: Header=BB92_110 Depth=2
	s_or_b64 exec, exec, s[2:3]
	v_mov_b32_e32 v9, 0
	s_and_saveexec_b64 s[2:3], s[52:53]
	s_cbranch_execnz .LBB92_158
.LBB92_123:                             ;   in Loop: Header=BB92_110 Depth=2
	s_or_b64 exec, exec, s[2:3]
	s_and_saveexec_b64 s[2:3], s[54:55]
	s_cbranch_execnz .LBB92_159
.LBB92_124:                             ;   in Loop: Header=BB92_110 Depth=2
	s_or_b64 exec, exec, s[2:3]
	v_mov_b32_e32 v10, 0
	s_and_saveexec_b64 s[2:3], s[56:57]
	s_cbranch_execnz .LBB92_160
.LBB92_125:                             ;   in Loop: Header=BB92_110 Depth=2
	s_or_b64 exec, exec, s[2:3]
	s_and_saveexec_b64 s[2:3], s[58:59]
	s_cbranch_execz .LBB92_127
.LBB92_126:                             ;   in Loop: Header=BB92_110 Depth=2
	global_load_ushort v0, v[0:1], off offset:1920
	s_waitcnt vmcnt(0)
	v_lshl_or_b32 v10, v0, 16, v10
.LBB92_127:                             ;   in Loop: Header=BB92_110 Depth=2
	s_or_b64 exec, exec, s[2:3]
	s_waitcnt vmcnt(0)
	ds_write_b16 v88, v3
	ds_write_b16 v89, v2 offset:128
	ds_write_b16 v90, v4 offset:256
	ds_write_b16_d16_hi v91, v4 offset:384
	ds_write_b16 v92, v5 offset:512
	ds_write_b16_d16_hi v93, v5 offset:640
	;; [unrolled: 2-line block ×7, first 2 shown]
	; wave barrier
	ds_read_b128 v[12:15], v119
	ds_read_b128 v[8:11], v119 offset:16
	s_mov_b32 s99, s7
	v_lshl_add_u64 v[0:1], s[98:99], 1, v[50:51]
	v_mov_b32_e32 v2, 0
	v_mov_b32_e32 v3, 0
	s_and_saveexec_b64 s[2:3], s[26:27]
	s_cbranch_execnz .LBB92_161
; %bb.128:                              ;   in Loop: Header=BB92_110 Depth=2
	s_or_b64 exec, exec, s[2:3]
	s_and_saveexec_b64 s[2:3], s[28:29]
	s_cbranch_execnz .LBB92_162
.LBB92_129:                             ;   in Loop: Header=BB92_110 Depth=2
	s_or_b64 exec, exec, s[2:3]
	v_mov_b32_e32 v4, 0
	s_and_saveexec_b64 s[2:3], s[30:31]
	s_cbranch_execnz .LBB92_163
.LBB92_130:                             ;   in Loop: Header=BB92_110 Depth=2
	s_or_b64 exec, exec, s[2:3]
	s_and_saveexec_b64 s[2:3], s[34:35]
	s_cbranch_execnz .LBB92_164
.LBB92_131:                             ;   in Loop: Header=BB92_110 Depth=2
	s_or_b64 exec, exec, s[2:3]
	v_mov_b32_e32 v5, 0
	s_and_saveexec_b64 s[2:3], s[36:37]
	s_cbranch_execnz .LBB92_165
.LBB92_132:                             ;   in Loop: Header=BB92_110 Depth=2
	s_or_b64 exec, exec, s[2:3]
	s_and_saveexec_b64 s[2:3], s[38:39]
	s_cbranch_execnz .LBB92_166
.LBB92_133:                             ;   in Loop: Header=BB92_110 Depth=2
	s_or_b64 exec, exec, s[2:3]
	v_mov_b32_e32 v6, 0
	s_and_saveexec_b64 s[2:3], s[40:41]
	s_cbranch_execnz .LBB92_167
.LBB92_134:                             ;   in Loop: Header=BB92_110 Depth=2
	s_or_b64 exec, exec, s[2:3]
	s_and_saveexec_b64 s[2:3], s[42:43]
	s_cbranch_execnz .LBB92_168
.LBB92_135:                             ;   in Loop: Header=BB92_110 Depth=2
	s_or_b64 exec, exec, s[2:3]
	v_mov_b32_e32 v7, 0
	s_and_saveexec_b64 s[2:3], s[44:45]
	s_cbranch_execnz .LBB92_169
.LBB92_136:                             ;   in Loop: Header=BB92_110 Depth=2
	s_or_b64 exec, exec, s[2:3]
	s_and_saveexec_b64 s[2:3], s[46:47]
	s_cbranch_execnz .LBB92_170
.LBB92_137:                             ;   in Loop: Header=BB92_110 Depth=2
	s_or_b64 exec, exec, s[2:3]
	v_mov_b32_e32 v52, 0
	s_and_saveexec_b64 s[2:3], s[48:49]
	s_cbranch_execnz .LBB92_171
.LBB92_138:                             ;   in Loop: Header=BB92_110 Depth=2
	s_or_b64 exec, exec, s[2:3]
	s_and_saveexec_b64 s[2:3], s[50:51]
	s_cbranch_execnz .LBB92_172
.LBB92_139:                             ;   in Loop: Header=BB92_110 Depth=2
	s_or_b64 exec, exec, s[2:3]
	v_mov_b32_e32 v53, 0
	s_and_saveexec_b64 s[2:3], s[52:53]
	s_cbranch_execnz .LBB92_173
.LBB92_140:                             ;   in Loop: Header=BB92_110 Depth=2
	s_or_b64 exec, exec, s[2:3]
	s_and_saveexec_b64 s[2:3], s[54:55]
	s_cbranch_execnz .LBB92_174
.LBB92_141:                             ;   in Loop: Header=BB92_110 Depth=2
	s_or_b64 exec, exec, s[2:3]
	v_mov_b32_e32 v55, 0
	s_and_saveexec_b64 s[2:3], s[56:57]
	s_cbranch_execnz .LBB92_175
.LBB92_142:                             ;   in Loop: Header=BB92_110 Depth=2
	s_or_b64 exec, exec, s[2:3]
	s_and_saveexec_b64 s[2:3], s[58:59]
	s_cbranch_execz .LBB92_144
.LBB92_143:                             ;   in Loop: Header=BB92_110 Depth=2
	global_load_ushort v0, v[0:1], off offset:1920
	s_waitcnt vmcnt(0)
	v_lshl_or_b32 v55, v0, 16, v55
.LBB92_144:                             ;   in Loop: Header=BB92_110 Depth=2
	s_or_b64 exec, exec, s[2:3]
	s_waitcnt vmcnt(0)
	ds_write_b16 v88, v3 offset:4224
	ds_write_b16 v101, v2 offset:128
	ds_write_b16 v102, v4 offset:256
	ds_write_b16_d16_hi v103, v4 offset:384
	ds_write_b16 v104, v5 offset:512
	ds_write_b16_d16_hi v105, v5 offset:640
	ds_write_b16 v106, v6 offset:768
	;; [unrolled: 2-line block ×6, first 2 shown]
	ds_write_b16_d16_hi v118, v55 offset:1920
	; wave barrier
	ds_read_b128 v[4:7], v119 offset:4224
	ds_read_b128 v[0:3], v120 offset:16
	s_andn2_b64 vcc, exec, s[94:95]
	s_cbranch_vccnz .LBB92_176
; %bb.145:                              ;   in Loop: Header=BB92_110 Depth=2
	v_mov_b32_e32 v52, s9
	ds_read_b64 v[52:53], v52
	s_cbranch_execz .LBB92_177
	s_branch .LBB92_180
.LBB92_146:                             ;   in Loop: Header=BB92_110 Depth=2
	global_load_ushort v3, v[0:1], off
	s_or_b64 exec, exec, s[2:3]
	s_and_saveexec_b64 s[2:3], s[28:29]
	s_cbranch_execz .LBB92_112
.LBB92_147:                             ;   in Loop: Header=BB92_110 Depth=2
	global_load_ushort v2, v[0:1], off offset:128
	s_or_b64 exec, exec, s[2:3]
	v_mov_b32_e32 v4, 0
	s_and_saveexec_b64 s[2:3], s[30:31]
	s_cbranch_execz .LBB92_113
.LBB92_148:                             ;   in Loop: Header=BB92_110 Depth=2
	global_load_ushort v4, v[0:1], off offset:256
	s_or_b64 exec, exec, s[2:3]
	s_and_saveexec_b64 s[2:3], s[34:35]
	s_cbranch_execz .LBB92_114
.LBB92_149:                             ;   in Loop: Header=BB92_110 Depth=2
	global_load_ushort v5, v[0:1], off offset:384
	s_waitcnt vmcnt(0)
	v_lshl_or_b32 v4, v5, 16, v4
	s_or_b64 exec, exec, s[2:3]
	v_mov_b32_e32 v5, 0
	s_and_saveexec_b64 s[2:3], s[36:37]
	s_cbranch_execz .LBB92_115
.LBB92_150:                             ;   in Loop: Header=BB92_110 Depth=2
	global_load_ushort v5, v[0:1], off offset:512
	s_or_b64 exec, exec, s[2:3]
	s_and_saveexec_b64 s[2:3], s[38:39]
	s_cbranch_execz .LBB92_116
.LBB92_151:                             ;   in Loop: Header=BB92_110 Depth=2
	global_load_ushort v6, v[0:1], off offset:640
	s_waitcnt vmcnt(0)
	v_lshl_or_b32 v5, v6, 16, v5
	s_or_b64 exec, exec, s[2:3]
	v_mov_b32_e32 v6, 0
	s_and_saveexec_b64 s[2:3], s[40:41]
	s_cbranch_execz .LBB92_117
.LBB92_152:                             ;   in Loop: Header=BB92_110 Depth=2
	global_load_ushort v6, v[0:1], off offset:768
	s_or_b64 exec, exec, s[2:3]
	s_and_saveexec_b64 s[2:3], s[42:43]
	s_cbranch_execz .LBB92_118
.LBB92_153:                             ;   in Loop: Header=BB92_110 Depth=2
	global_load_ushort v7, v[0:1], off offset:896
	s_waitcnt vmcnt(0)
	v_lshl_or_b32 v6, v7, 16, v6
	s_or_b64 exec, exec, s[2:3]
	v_mov_b32_e32 v7, 0
	s_and_saveexec_b64 s[2:3], s[44:45]
	s_cbranch_execz .LBB92_119
.LBB92_154:                             ;   in Loop: Header=BB92_110 Depth=2
	global_load_ushort v7, v[0:1], off offset:1024
	s_or_b64 exec, exec, s[2:3]
	s_and_saveexec_b64 s[2:3], s[46:47]
	s_cbranch_execz .LBB92_120
.LBB92_155:                             ;   in Loop: Header=BB92_110 Depth=2
	global_load_ushort v8, v[0:1], off offset:1152
	s_waitcnt vmcnt(0)
	v_lshl_or_b32 v7, v8, 16, v7
	s_or_b64 exec, exec, s[2:3]
	v_mov_b32_e32 v8, 0
	s_and_saveexec_b64 s[2:3], s[48:49]
	s_cbranch_execz .LBB92_121
.LBB92_156:                             ;   in Loop: Header=BB92_110 Depth=2
	global_load_ushort v8, v[0:1], off offset:1280
	s_or_b64 exec, exec, s[2:3]
	s_and_saveexec_b64 s[2:3], s[50:51]
	s_cbranch_execz .LBB92_122
.LBB92_157:                             ;   in Loop: Header=BB92_110 Depth=2
	global_load_ushort v9, v[0:1], off offset:1408
	s_waitcnt vmcnt(0)
	v_lshl_or_b32 v8, v9, 16, v8
	s_or_b64 exec, exec, s[2:3]
	v_mov_b32_e32 v9, 0
	s_and_saveexec_b64 s[2:3], s[52:53]
	s_cbranch_execz .LBB92_123
.LBB92_158:                             ;   in Loop: Header=BB92_110 Depth=2
	global_load_ushort v9, v[0:1], off offset:1536
	s_or_b64 exec, exec, s[2:3]
	s_and_saveexec_b64 s[2:3], s[54:55]
	s_cbranch_execz .LBB92_124
.LBB92_159:                             ;   in Loop: Header=BB92_110 Depth=2
	global_load_ushort v10, v[0:1], off offset:1664
	s_waitcnt vmcnt(0)
	v_lshl_or_b32 v9, v10, 16, v9
	s_or_b64 exec, exec, s[2:3]
	v_mov_b32_e32 v10, 0
	s_and_saveexec_b64 s[2:3], s[56:57]
	s_cbranch_execz .LBB92_125
.LBB92_160:                             ;   in Loop: Header=BB92_110 Depth=2
	global_load_ushort v10, v[0:1], off offset:1792
	s_or_b64 exec, exec, s[2:3]
	s_and_saveexec_b64 s[2:3], s[58:59]
	s_cbranch_execnz .LBB92_126
	s_branch .LBB92_127
.LBB92_161:                             ;   in Loop: Header=BB92_110 Depth=2
	global_load_ushort v3, v[0:1], off
	s_or_b64 exec, exec, s[2:3]
	s_and_saveexec_b64 s[2:3], s[28:29]
	s_cbranch_execz .LBB92_129
.LBB92_162:                             ;   in Loop: Header=BB92_110 Depth=2
	global_load_ushort v2, v[0:1], off offset:128
	s_or_b64 exec, exec, s[2:3]
	v_mov_b32_e32 v4, 0
	s_and_saveexec_b64 s[2:3], s[30:31]
	s_cbranch_execz .LBB92_130
.LBB92_163:                             ;   in Loop: Header=BB92_110 Depth=2
	global_load_ushort v4, v[0:1], off offset:256
	s_or_b64 exec, exec, s[2:3]
	s_and_saveexec_b64 s[2:3], s[34:35]
	s_cbranch_execz .LBB92_131
.LBB92_164:                             ;   in Loop: Header=BB92_110 Depth=2
	global_load_ushort v5, v[0:1], off offset:384
	s_waitcnt vmcnt(0)
	v_lshl_or_b32 v4, v5, 16, v4
	s_or_b64 exec, exec, s[2:3]
	v_mov_b32_e32 v5, 0
	s_and_saveexec_b64 s[2:3], s[36:37]
	s_cbranch_execz .LBB92_132
.LBB92_165:                             ;   in Loop: Header=BB92_110 Depth=2
	global_load_ushort v5, v[0:1], off offset:512
	s_or_b64 exec, exec, s[2:3]
	s_and_saveexec_b64 s[2:3], s[38:39]
	s_cbranch_execz .LBB92_133
.LBB92_166:                             ;   in Loop: Header=BB92_110 Depth=2
	global_load_ushort v6, v[0:1], off offset:640
	s_waitcnt vmcnt(0)
	v_lshl_or_b32 v5, v6, 16, v5
	s_or_b64 exec, exec, s[2:3]
	v_mov_b32_e32 v6, 0
	s_and_saveexec_b64 s[2:3], s[40:41]
	s_cbranch_execz .LBB92_134
.LBB92_167:                             ;   in Loop: Header=BB92_110 Depth=2
	global_load_ushort v6, v[0:1], off offset:768
	s_or_b64 exec, exec, s[2:3]
	s_and_saveexec_b64 s[2:3], s[42:43]
	s_cbranch_execz .LBB92_135
.LBB92_168:                             ;   in Loop: Header=BB92_110 Depth=2
	global_load_ushort v7, v[0:1], off offset:896
	s_waitcnt vmcnt(0)
	v_lshl_or_b32 v6, v7, 16, v6
	s_or_b64 exec, exec, s[2:3]
	v_mov_b32_e32 v7, 0
	s_and_saveexec_b64 s[2:3], s[44:45]
	s_cbranch_execz .LBB92_136
.LBB92_169:                             ;   in Loop: Header=BB92_110 Depth=2
	global_load_ushort v7, v[0:1], off offset:1024
	s_or_b64 exec, exec, s[2:3]
	s_and_saveexec_b64 s[2:3], s[46:47]
	s_cbranch_execz .LBB92_137
.LBB92_170:                             ;   in Loop: Header=BB92_110 Depth=2
	global_load_ushort v52, v[0:1], off offset:1152
	s_waitcnt vmcnt(0)
	v_lshl_or_b32 v7, v52, 16, v7
	s_or_b64 exec, exec, s[2:3]
	v_mov_b32_e32 v52, 0
	s_and_saveexec_b64 s[2:3], s[48:49]
	s_cbranch_execz .LBB92_138
.LBB92_171:                             ;   in Loop: Header=BB92_110 Depth=2
	global_load_ushort v52, v[0:1], off offset:1280
	s_or_b64 exec, exec, s[2:3]
	s_and_saveexec_b64 s[2:3], s[50:51]
	s_cbranch_execz .LBB92_139
.LBB92_172:                             ;   in Loop: Header=BB92_110 Depth=2
	global_load_ushort v53, v[0:1], off offset:1408
	s_waitcnt vmcnt(0)
	v_lshl_or_b32 v52, v53, 16, v52
	s_or_b64 exec, exec, s[2:3]
	v_mov_b32_e32 v53, 0
	s_and_saveexec_b64 s[2:3], s[52:53]
	s_cbranch_execz .LBB92_140
.LBB92_173:                             ;   in Loop: Header=BB92_110 Depth=2
	global_load_ushort v53, v[0:1], off offset:1536
	s_or_b64 exec, exec, s[2:3]
	s_and_saveexec_b64 s[2:3], s[54:55]
	s_cbranch_execz .LBB92_141
.LBB92_174:                             ;   in Loop: Header=BB92_110 Depth=2
	global_load_ushort v55, v[0:1], off offset:1664
	s_waitcnt vmcnt(0)
	v_lshl_or_b32 v53, v55, 16, v53
	s_or_b64 exec, exec, s[2:3]
	v_mov_b32_e32 v55, 0
	s_and_saveexec_b64 s[2:3], s[56:57]
	s_cbranch_execz .LBB92_142
.LBB92_175:                             ;   in Loop: Header=BB92_110 Depth=2
	global_load_ushort v55, v[0:1], off offset:1792
	s_or_b64 exec, exec, s[2:3]
	s_and_saveexec_b64 s[2:3], s[58:59]
	s_cbranch_execnz .LBB92_143
	s_branch .LBB92_144
.LBB92_176:                             ;   in Loop: Header=BB92_110 Depth=2
                                        ; implicit-def: $vgpr53
.LBB92_177:                             ;   in Loop: Header=BB92_110 Depth=2
	v_readlane_b32 s2, v166, 0
	v_readlane_b32 s3, v166, 1
	s_andn2_b64 vcc, exec, s[2:3]
	s_waitcnt lgkmcnt(0)
	v_mov_b32_e32 v53, 0
	s_cbranch_vccnz .LBB92_179
; %bb.178:                              ;   in Loop: Header=BB92_110 Depth=2
	s_mov_b32 s5, s7
	s_lshl_b64 s[2:3], s[4:5], 1
	v_readlane_b32 s5, v166, 21
	s_add_u32 s2, s5, s2
	v_readlane_b32 s5, v166, 22
	s_addc_u32 s3, s5, s3
	global_load_ushort v52, v17, s[2:3]
	s_waitcnt vmcnt(0)
	v_cvt_f32_f16_e32 v53, v52
.LBB92_179:                             ;   in Loop: Header=BB92_110 Depth=2
	v_mov_b32_e32 v52, 1.0
.LBB92_180:                             ;   in Loop: Header=BB92_110 Depth=2
	s_waitcnt lgkmcnt(14)
	v_cvt_f32_f16_e32 v59, v8
	v_cvt_f32_f16_sdwa v60, v8 dst_sel:DWORD dst_unused:UNUSED_PAD src0_sel:WORD_1
	v_mul_f32_e32 v8, 0x3fb8aa3b, v54
	v_cvt_f32_f16_e32 v61, v9
	v_cvt_f32_f16_sdwa v63, v9 dst_sel:DWORD dst_unused:UNUSED_PAD src0_sel:WORD_1
	v_mul_f32_e32 v9, v8, v143
	v_cmp_gt_f32_e32 vcc, s33, v9
	v_cvt_f32_f16_e32 v64, v10
	v_cvt_f32_f16_sdwa v65, v10 dst_sel:DWORD dst_unused:UNUSED_PAD src0_sel:WORD_1
	v_cndmask_b32_e32 v9, 0, v141, vcc
	v_fmac_f32_e32 v9, v8, v143
	v_exp_f32_e32 v9, v9
	v_cndmask_b32_e32 v10, 1.0, v142, vcc
	v_cvt_f32_f16_e32 v55, v12
	v_cvt_f32_f16_e32 v68, v11
	v_mul_f32_e32 v9, v9, v10
	v_cndmask_b32_e64 v129, 1.0, v9, s[60:61]
	v_mul_f32_e32 v9, v8, v144
	v_cmp_gt_f32_e32 vcc, s33, v9
	v_mul_f32_e32 v10, v127, v55
	v_cndmask_b32_e64 v128, 0, v10, s[60:61]
	v_cndmask_b32_e32 v9, 0, v141, vcc
	v_fmac_f32_e32 v9, v8, v144
	v_exp_f32_e32 v9, v9
	v_cndmask_b32_e32 v10, 1.0, v142, vcc
	v_cvt_f32_f16_sdwa v62, v11 dst_sel:DWORD dst_unused:UNUSED_PAD src0_sel:WORD_1
	v_cvt_f32_f16_sdwa v12, v12 dst_sel:DWORD dst_unused:UNUSED_PAD src0_sel:WORD_1
	v_mul_f32_e32 v10, v9, v10
	v_cndmask_b32_e64 v130, 1.0, v10, s[62:63]
	v_mul_f32_e32 v10, v8, v145
	v_cmp_gt_f32_e32 vcc, s33, v10
	v_mul_f32_e32 v9, v126, v12
	v_cvt_f32_f16_e32 v56, v13
	v_cndmask_b32_e32 v10, 0, v141, vcc
	v_fmac_f32_e32 v10, v8, v145
	v_exp_f32_e32 v10, v10
	v_cndmask_b32_e32 v11, 1.0, v142, vcc
	v_cvt_f32_f16_sdwa v13, v13 dst_sel:DWORD dst_unused:UNUSED_PAD src0_sel:WORD_1
	v_cvt_f32_f16_e32 v57, v14
	v_mul_f32_e32 v11, v10, v11
	v_cndmask_b32_e64 v131, 1.0, v11, s[64:65]
	v_mul_f32_e32 v11, v8, v146
	v_cmp_gt_f32_e32 vcc, s33, v11
	v_cvt_f32_f16_sdwa v14, v14 dst_sel:DWORD dst_unused:UNUSED_PAD src0_sel:WORD_1
	v_mul_f32_e32 v10, v125, v56
	v_cndmask_b32_e32 v11, 0, v141, vcc
	v_fmac_f32_e32 v11, v8, v146
	v_exp_f32_e32 v11, v11
	v_cndmask_b32_e32 v12, 1.0, v142, vcc
	v_cvt_f32_f16_e32 v58, v15
	v_cndmask_b32_e64 v9, 0, v9, s[62:63]
	v_mul_f32_e32 v12, v11, v12
	v_cndmask_b32_e64 v132, 1.0, v12, s[66:67]
	v_mul_f32_e32 v12, v8, v147
	v_cmp_gt_f32_e32 vcc, s33, v12
	v_mul_f32_e32 v11, v124, v13
	v_pk_mul_f32 v[66:67], v[8:9], v[46:47] op_sel_hi:[0,1]
	v_cndmask_b32_e32 v12, 0, v141, vcc
	v_fmac_f32_e32 v12, v8, v147
	v_exp_f32_e32 v12, v12
	v_cndmask_b32_e32 v13, 1.0, v142, vcc
	v_mul_f32_e32 v62, v29, v62
	v_cvt_f32_f16_sdwa v15, v15 dst_sel:DWORD dst_unused:UNUSED_PAD src0_sel:WORD_1
	v_mul_f32_e32 v13, v12, v13
	v_cndmask_b32_e64 v133, 1.0, v13, s[68:69]
	v_mul_f32_e32 v13, v8, v148
	v_cmp_gt_f32_e32 vcc, s33, v13
	v_mul_f32_e32 v12, v165, v57
	v_cndmask_b32_e64 v10, 0, v10, s[64:65]
	v_cndmask_b32_e32 v13, 0, v141, vcc
	v_fmac_f32_e32 v13, v8, v148
	v_exp_f32_e32 v13, v13
	v_cndmask_b32_e32 v54, 1.0, v142, vcc
	v_cndmask_b32_e64 v11, 0, v11, s[66:67]
	v_cndmask_b32_e64 v12, 0, v12, s[68:69]
	v_mul_f32_e32 v54, v13, v54
	v_mul_f32_e32 v13, v164, v14
	;; [unrolled: 1-line block ×3, first 2 shown]
	v_cmp_gt_f32_e32 vcc, s33, v14
	v_cndmask_b32_e64 v134, 1.0, v54, s[70:71]
	v_cndmask_b32_e64 v13, 0, v13, s[70:71]
	v_cndmask_b32_e32 v14, 0, v141, vcc
	v_fmac_f32_e32 v14, v8, v149
	v_exp_f32_e32 v14, v14
	v_cndmask_b32_e32 v54, 1.0, v142, vcc
	v_mul_f32_e32 v15, v162, v15
	v_cndmask_b32_e64 v15, 0, v15, s[74:75]
	v_mul_f32_e32 v54, v14, v54
	v_cndmask_b32_e64 v135, 1.0, v54, s[72:73]
	v_mul_f32_e32 v54, v8, v150
	v_cmp_gt_f32_e32 vcc, s33, v54
	v_mul_f32_e32 v14, v163, v58
	v_cndmask_b32_e64 v14, 0, v14, s[72:73]
	v_cndmask_b32_e32 v54, 0, v141, vcc
	v_fmac_f32_e32 v54, v8, v150
	v_exp_f32_e32 v54, v54
	v_cndmask_b32_e32 v55, 1.0, v142, vcc
	v_readlane_b32 s10, v166, 39
	v_readlane_b32 s11, v166, 40
	v_mul_f32_e32 v54, v54, v55
	v_cndmask_b32_e64 v136, 1.0, v54, s[74:75]
	v_mul_f32_e32 v54, v8, v151
	v_cmp_gt_f32_e32 vcc, s33, v54
	s_nop 1
	v_cndmask_b32_e32 v54, 0, v141, vcc
	v_fmac_f32_e32 v54, v8, v151
	v_exp_f32_e32 v54, v54
	v_cndmask_b32_e32 v55, 1.0, v142, vcc
	v_mul_f32_e32 v55, v54, v55
	v_cndmask_b32_e64 v137, 1.0, v55, s[76:77]
	v_mul_f32_e32 v55, v8, v152
	v_cmp_gt_f32_e32 vcc, s33, v55
	v_mul_f32_e32 v54, v161, v59
	v_cndmask_b32_e64 v54, 0, v54, s[76:77]
	v_cndmask_b32_e32 v55, 0, v141, vcc
	v_fmac_f32_e32 v55, v8, v152
	v_exp_f32_e32 v55, v55
	v_cndmask_b32_e32 v56, 1.0, v142, vcc
	v_mul_f32_e32 v56, v55, v56
	v_cndmask_b32_e64 v138, 1.0, v56, s[78:79]
	v_mul_f32_e32 v56, v8, v153
	v_cmp_gt_f32_e32 vcc, s33, v56
	v_mul_f32_e32 v55, v160, v60
	v_cndmask_b32_e64 v55, 0, v55, s[78:79]
	;; [unrolled: 10-line block ×4, first 2 shown]
	v_cndmask_b32_e32 v56, 0, v141, vcc
	v_fmac_f32_e32 v56, v8, v155
	v_exp_f32_e32 v56, v56
	v_cndmask_b32_e32 v57, 1.0, v142, vcc
	v_mul_f32_e32 v57, v56, v57
	v_mul_f32_e32 v56, v157, v64
	v_cndmask_b32_e64 v64, 1.0, v57, s[84:85]
	v_mul_f32_e32 v57, v8, v156
	v_cmp_gt_f32_e32 vcc, s33, v57
	v_cndmask_b32_e64 v56, 0, v56, s[84:85]
	s_nop 0
	v_cndmask_b32_e32 v57, 0, v141, vcc
	v_fmac_f32_e32 v57, v8, v156
	v_cndmask_b32_e32 v60, 1.0, v142, vcc
	v_mul_f32_e32 v8, v16, v68
	v_cmp_gt_f32_e32 vcc, s33, v66
	v_cndmask_b32_e64 v61, 0, v8, s[90:91]
	v_exp_f32_e32 v57, v57
	v_cndmask_b32_e32 v8, 0, v141, vcc
	v_add_f32_e32 v8, v66, v8
	v_exp_f32_e32 v8, v8
	v_cndmask_b32_e32 v63, 1.0, v142, vcc
	v_cmp_gt_f32_e32 vcc, s33, v67
	v_mul_f32_e32 v60, v57, v60
	v_mul_f32_e32 v8, v8, v63
	v_cndmask_b32_e32 v63, 0, v141, vcc
	v_add_f32_e32 v63, v67, v63
	v_exp_f32_e32 v63, v63
	v_mul_f32_e32 v57, v27, v65
	v_cndmask_b32_e32 v65, 1.0, v142, vcc
	v_cndmask_b32_e64 v66, 1.0, v8, s[90:91]
	v_mul_f32_e32 v65, v63, v65
	v_cndmask_b32_e64 v63, 0, v62, s[88:89]
	v_mul_f32_e32 v8, v130, v129
	v_fma_f32 v62, v130, v128, v9
	v_mul_f32_e32 v8, v8, v131
	v_fma_f32 v62, v62, v131, v10
	;; [unrolled: 2-line block ×11, first 2 shown]
	v_cndmask_b32_e64 v57, 0, v57, s[86:87]
	v_cndmask_b32_e64 v60, 1.0, v60, s[86:87]
	v_fma_f32 v8, v8, v64, v56
	v_cndmask_b32_e64 v67, 1.0, v65, s[88:89]
	v_fma_f32 v69, v8, v60, v57
	v_mov_b32_e32 v65, v66
	v_pk_mul_f32 v[76:77], v[68:69], v[64:65]
	v_pk_fma_f32 v[68:69], v[68:69], v[64:65], v[60:61]
	v_pk_mul_f32 v[76:77], v[76:77], v[60:61]
	v_mov_b32_e32 v70, v67
	v_mov_b32_e32 v77, v69
	;; [unrolled: 1-line block ×3, first 2 shown]
	v_pk_mul_f32 v[68:69], v[76:77], v[66:67]
	v_mov_b32_e32 v62, v67
	v_pk_mul_f32 v[70:71], v[68:69], v[70:71]
	v_pk_fma_f32 v[68:69], v[76:77], v[66:67], v[62:63]
	s_nop 0
	v_mov_b32_dpp v8, v70 row_shr:1 row_mask:0xf bank_mask:0xf
	v_mov_b32_dpp v62, v69 row_shr:1 row_mask:0xf bank_mask:0xf
	v_mul_f32_e32 v65, v70, v8
	v_fma_f32 v62, v70, v62, v69
	v_cndmask_b32_e64 v68, v65, v70, s[0:1]
	v_cndmask_b32_e64 v71, v62, v69, s[0:1]
	;; [unrolled: 1-line block ×4, first 2 shown]
	v_mov_b32_dpp v65, v71 row_shr:2 row_mask:0xf bank_mask:0xf
	v_mov_b32_dpp v62, v70 row_shr:2 row_mask:0xf bank_mask:0xf
	s_and_saveexec_b64 s[2:3], s[10:11]
; %bb.181:                              ;   in Loop: Header=BB92_110 Depth=2
	v_fmac_f32_e32 v71, v70, v65
	v_mul_f32_e32 v70, v70, v62
	v_mov_b32_e32 v68, v70
	v_mov_b32_e32 v8, v71
; %bb.182:                              ;   in Loop: Header=BB92_110 Depth=2
	s_or_b64 exec, exec, s[2:3]
	v_readlane_b32 s10, v166, 41
	v_mov_b32_dpp v62, v70 row_shr:4 row_mask:0xf bank_mask:0xf
	v_mov_b32_dpp v65, v71 row_shr:4 row_mask:0xf bank_mask:0xf
	v_readlane_b32 s11, v166, 42
	s_and_saveexec_b64 s[2:3], s[10:11]
; %bb.183:                              ;   in Loop: Header=BB92_110 Depth=2
	v_fmac_f32_e32 v71, v70, v65
	v_mul_f32_e32 v70, v70, v62
	v_mov_b32_e32 v68, v70
	v_mov_b32_e32 v8, v71
; %bb.184:                              ;   in Loop: Header=BB92_110 Depth=2
	s_or_b64 exec, exec, s[2:3]
	v_readlane_b32 s10, v166, 43
	v_mov_b32_dpp v62, v70 row_shr:8 row_mask:0xf bank_mask:0xf
	v_mov_b32_dpp v65, v71 row_shr:8 row_mask:0xf bank_mask:0xf
	v_readlane_b32 s11, v166, 44
	s_and_saveexec_b64 s[2:3], s[10:11]
; %bb.185:                              ;   in Loop: Header=BB92_110 Depth=2
	v_fmac_f32_e32 v71, v70, v65
	v_mul_f32_e32 v70, v70, v62
	v_mov_b32_e32 v68, v70
	v_mov_b32_e32 v8, v71
; %bb.186:                              ;   in Loop: Header=BB92_110 Depth=2
	s_or_b64 exec, exec, s[2:3]
	v_readlane_b32 s10, v166, 45
	v_mov_b32_dpp v62, v70 row_bcast:15 row_mask:0xf bank_mask:0xf
	v_mov_b32_dpp v65, v71 row_bcast:15 row_mask:0xf bank_mask:0xf
	v_readlane_b32 s11, v166, 46
	s_and_saveexec_b64 s[2:3], s[10:11]
; %bb.187:                              ;   in Loop: Header=BB92_110 Depth=2
	v_fmac_f32_e32 v71, v70, v65
	v_mul_f32_e32 v70, v70, v62
	v_mov_b32_e32 v68, v70
	v_mov_b32_e32 v8, v71
; %bb.188:                              ;   in Loop: Header=BB92_110 Depth=2
	s_or_b64 exec, exec, s[2:3]
	v_readlane_b32 s10, v166, 53
	v_mov_b32_dpp v65, v70 row_bcast:31 row_mask:0xf bank_mask:0xf
	v_mov_b32_dpp v62, v71 row_bcast:31 row_mask:0xf bank_mask:0xf
	v_readlane_b32 s11, v166, 54
	s_and_saveexec_b64 s[2:3], s[10:11]
; %bb.189:                              ;   in Loop: Header=BB92_110 Depth=2
	v_fmac_f32_e32 v71, v70, v62
	v_mul_f32_e32 v68, v70, v65
	v_mov_b32_e32 v69, v71
	v_mov_b32_e32 v8, v71
	v_mov_b64_e32 v[70:71], v[68:69]
; %bb.190:                              ;   in Loop: Header=BB92_110 Depth=2
	s_or_b64 exec, exec, s[2:3]
	v_readlane_b32 s10, v166, 47
	v_readlane_b32 s11, v166, 48
	s_and_saveexec_b64 s[2:3], s[10:11]
	s_cbranch_execz .LBB92_192
; %bb.191:                              ;   in Loop: Header=BB92_110 Depth=2
	ds_write_b64 v121, v[70:71] offset:8448
.LBB92_192:                             ;   in Loop: Header=BB92_110 Depth=2
	s_or_b64 exec, exec, s[2:3]
	v_readlane_b32 s10, v166, 55
	v_readlane_b32 s11, v166, 56
	s_waitcnt lgkmcnt(0)
	s_barrier
	s_and_saveexec_b64 s[2:3], s[10:11]
	s_cbranch_execz .LBB92_194
; %bb.193:                              ;   in Loop: Header=BB92_110 Depth=2
	ds_read_b64 v[70:71], v122 offset:8448
	v_readlane_b32 s10, v166, 49
	v_readlane_b32 s11, v166, 50
	s_waitcnt lgkmcnt(0)
	v_mov_b32_dpp v62, v70 row_shr:1 row_mask:0xf bank_mask:0xf
	v_mov_b32_dpp v65, v71 row_shr:1 row_mask:0xf bank_mask:0xf
	v_fma_f32 v65, v70, v65, v71
	v_mul_f32_e32 v62, v70, v62
	v_cndmask_b32_e64 v70, v62, v70, s[10:11]
	v_cndmask_b32_e64 v71, v65, v71, s[10:11]
	ds_write_b64 v122, v[70:71] offset:8448
.LBB92_194:                             ;   in Loop: Header=BB92_110 Depth=2
	s_or_b64 exec, exec, s[2:3]
	s_waitcnt lgkmcnt(0)
	s_barrier
	s_waitcnt lgkmcnt(0)
                                        ; implicit-def: $vgpr70
	s_and_saveexec_b64 s[2:3], s[20:21]
	s_cbranch_execz .LBB92_196
; %bb.195:                              ;   in Loop: Header=BB92_110 Depth=2
	ds_read_b64 v[70:71], v121 offset:8440
	s_waitcnt lgkmcnt(0)
	v_mul_f32_e32 v62, v68, v70
	v_fmac_f32_e32 v8, v68, v71
	v_mov_b32_e32 v68, v62
.LBB92_196:                             ;   in Loop: Header=BB92_110 Depth=2
	s_or_b64 exec, exec, s[2:3]
	ds_bpermute_b32 v62, v123, v68
	ds_bpermute_b32 v8, v123, v8
	v_readlane_b32 s10, v166, 57
	v_mov_b32_e32 v69, v53
	v_readlane_b32 s11, v166, 58
	s_and_saveexec_b64 s[2:3], s[10:11]
	s_cbranch_execz .LBB92_200
; %bb.197:                              ;   in Loop: Header=BB92_110 Depth=2
	ds_read_b64 v[68:69], v17 offset:8456
	s_and_saveexec_b64 vcc, s[22:23]
	s_cbranch_execz .LBB92_199
; %bb.198:                              ;   in Loop: Header=BB92_110 Depth=2
	ds_write_b64 v17, v[52:53] offset:8456
.LBB92_199:                             ;   in Loop: Header=BB92_110 Depth=2
	s_or_b64 exec, exec, vcc
	s_waitcnt lgkmcnt(0)
	v_fmac_f32_e32 v69, v53, v68
	v_mul_f32_e32 v52, v52, v68
	v_mov_b32_e32 v53, v69
.LBB92_200:                             ;   in Loop: Header=BB92_110 Depth=2
	s_or_b64 exec, exec, s[2:3]
	s_waitcnt lgkmcnt(0)
	s_barrier
	ds_read_b32 v65, v17 offset:8460
	s_and_saveexec_b64 s[2:3], s[22:23]
	s_cbranch_execz .LBB92_109
; %bb.201:                              ;   in Loop: Header=BB92_110 Depth=2
	v_mov_b32_e32 v68, s9
	s_andn2_b64 vcc, exec, s[96:97]
	ds_write_b64 v68, v[52:53]
	s_cbranch_vccnz .LBB92_109
; %bb.202:                              ;   in Loop: Header=BB92_110 Depth=2
	s_mov_b32 s5, s7
	v_cvt_f16_f32_e32 v52, v69
	s_lshl_b64 s[10:11], s[4:5], 1
	v_readlane_b32 s5, v166, 21
	s_add_u32 s10, s5, s10
	v_readlane_b32 s5, v166, 22
	s_addc_u32 s11, s5, s11
	global_store_short v17, v52, s[10:11]
	s_branch .LBB92_109
.LBB92_203:                             ;   in Loop: Header=BB92_13 Depth=1
	s_mov_b32 s6, 0x41a00000
	s_mov_b32 s8, 0x3fb8aa3b
	;; [unrolled: 1-line block ×8, first 2 shown]
.LBB92_204:                             ;   in Loop: Header=BB92_13 Depth=1
	v_cvt_f16_f32_e32 v0, v42
	v_cvt_f16_f32_e32 v4, v43
	;; [unrolled: 1-line block ×16, first 2 shown]
	v_pack_b32_f16 v3, v3, v7
	v_pack_b32_f16 v2, v2, v6
	;; [unrolled: 1-line block ×4, first 2 shown]
	s_barrier
	ds_write_b128 v119, v[0:3]
	v_pack_b32_f16 v3, v14, v15
	v_pack_b32_f16 v2, v12, v13
	;; [unrolled: 1-line block ×4, first 2 shown]
	ds_write_b128 v119, v[0:3] offset:16
	; wave barrier
	ds_read_u16 v16, v89 offset:128
	ds_read_u16 v15, v90 offset:256
	;; [unrolled: 1-line block ×15, first 2 shown]
	v_readlane_b32 s2, v166, 61
	v_readlane_b32 s3, v166, 62
	s_mov_b32 s3, s7
	s_mov_b64 s[18:19], s[2:3]
	v_lshl_add_u64 v[0:1], s[2:3], 1, v[20:21]
	s_and_saveexec_b64 s[2:3], s[26:27]
	s_cbranch_execnz .LBB92_271
; %bb.205:                              ;   in Loop: Header=BB92_13 Depth=1
	s_or_b64 exec, exec, s[2:3]
	s_and_saveexec_b64 s[2:3], s[28:29]
	s_cbranch_execnz .LBB92_272
.LBB92_206:                             ;   in Loop: Header=BB92_13 Depth=1
	s_or_b64 exec, exec, s[2:3]
	s_and_saveexec_b64 s[2:3], s[30:31]
	s_cbranch_execnz .LBB92_273
.LBB92_207:                             ;   in Loop: Header=BB92_13 Depth=1
	s_or_b64 exec, exec, s[2:3]
	s_and_saveexec_b64 s[2:3], s[34:35]
	s_cbranch_execnz .LBB92_274
.LBB92_208:                             ;   in Loop: Header=BB92_13 Depth=1
	s_or_b64 exec, exec, s[2:3]
	s_and_saveexec_b64 s[2:3], s[36:37]
	s_cbranch_execnz .LBB92_275
.LBB92_209:                             ;   in Loop: Header=BB92_13 Depth=1
	s_or_b64 exec, exec, s[2:3]
	s_and_saveexec_b64 s[2:3], s[38:39]
	s_cbranch_execnz .LBB92_276
.LBB92_210:                             ;   in Loop: Header=BB92_13 Depth=1
	s_or_b64 exec, exec, s[2:3]
	s_and_saveexec_b64 s[2:3], s[40:41]
	s_cbranch_execnz .LBB92_277
.LBB92_211:                             ;   in Loop: Header=BB92_13 Depth=1
	s_or_b64 exec, exec, s[2:3]
	s_and_saveexec_b64 s[2:3], s[42:43]
	s_cbranch_execnz .LBB92_278
.LBB92_212:                             ;   in Loop: Header=BB92_13 Depth=1
	s_or_b64 exec, exec, s[2:3]
	s_and_saveexec_b64 s[2:3], s[44:45]
	s_cbranch_execnz .LBB92_279
.LBB92_213:                             ;   in Loop: Header=BB92_13 Depth=1
	s_or_b64 exec, exec, s[2:3]
	s_and_saveexec_b64 s[2:3], s[46:47]
	s_cbranch_execnz .LBB92_280
.LBB92_214:                             ;   in Loop: Header=BB92_13 Depth=1
	s_or_b64 exec, exec, s[2:3]
	s_and_saveexec_b64 s[2:3], s[48:49]
	s_cbranch_execnz .LBB92_281
.LBB92_215:                             ;   in Loop: Header=BB92_13 Depth=1
	s_or_b64 exec, exec, s[2:3]
	s_and_saveexec_b64 s[2:3], s[50:51]
	s_cbranch_execnz .LBB92_282
.LBB92_216:                             ;   in Loop: Header=BB92_13 Depth=1
	s_or_b64 exec, exec, s[2:3]
	s_and_saveexec_b64 s[2:3], s[52:53]
	s_cbranch_execnz .LBB92_283
.LBB92_217:                             ;   in Loop: Header=BB92_13 Depth=1
	s_or_b64 exec, exec, s[2:3]
	s_and_saveexec_b64 s[2:3], s[54:55]
	s_cbranch_execnz .LBB92_284
.LBB92_218:                             ;   in Loop: Header=BB92_13 Depth=1
	s_or_b64 exec, exec, s[2:3]
	s_and_saveexec_b64 s[2:3], s[56:57]
	s_cbranch_execnz .LBB92_285
.LBB92_219:                             ;   in Loop: Header=BB92_13 Depth=1
	s_or_b64 exec, exec, s[2:3]
	s_and_saveexec_b64 s[2:3], s[58:59]
	s_cbranch_execz .LBB92_221
.LBB92_220:                             ;   in Loop: Header=BB92_13 Depth=1
	s_waitcnt lgkmcnt(0)
	global_store_short v[0:1], v2, off offset:1920
.LBB92_221:                             ;   in Loop: Header=BB92_13 Depth=1
	s_or_b64 exec, exec, s[2:3]
	v_lshl_add_u64 v[0:1], s[18:19], 1, v[22:23]
	s_waitcnt lgkmcnt(0)
	v_mov_b32_e32 v2, 0
	v_mov_b32_e32 v3, 0
	s_barrier
	s_and_saveexec_b64 s[2:3], s[26:27]
	s_cbranch_execz .LBB92_223
; %bb.222:                              ;   in Loop: Header=BB92_13 Depth=1
	global_load_ushort v3, v[0:1], off
.LBB92_223:                             ;   in Loop: Header=BB92_13 Depth=1
	s_or_b64 exec, exec, s[2:3]
	s_and_saveexec_b64 s[2:3], s[28:29]
	s_cbranch_execz .LBB92_225
; %bb.224:                              ;   in Loop: Header=BB92_13 Depth=1
	global_load_ushort v2, v[0:1], off offset:128
.LBB92_225:                             ;   in Loop: Header=BB92_13 Depth=1
	s_or_b64 exec, exec, s[2:3]
	v_mov_b32_e32 v4, 0
	v_mov_b32_e32 v5, 0
	s_and_saveexec_b64 s[2:3], s[30:31]
	s_cbranch_execz .LBB92_227
; %bb.226:                              ;   in Loop: Header=BB92_13 Depth=1
	global_load_ushort v5, v[0:1], off offset:256
.LBB92_227:                             ;   in Loop: Header=BB92_13 Depth=1
	s_or_b64 exec, exec, s[2:3]
	s_and_saveexec_b64 s[2:3], s[34:35]
	s_cbranch_execz .LBB92_229
; %bb.228:                              ;   in Loop: Header=BB92_13 Depth=1
	global_load_ushort v4, v[0:1], off offset:384
.LBB92_229:                             ;   in Loop: Header=BB92_13 Depth=1
	s_or_b64 exec, exec, s[2:3]
	v_mov_b32_e32 v6, 0
	v_mov_b32_e32 v7, 0
	s_and_saveexec_b64 s[2:3], s[36:37]
	s_cbranch_execz .LBB92_231
; %bb.230:                              ;   in Loop: Header=BB92_13 Depth=1
	global_load_ushort v7, v[0:1], off offset:512
.LBB92_231:                             ;   in Loop: Header=BB92_13 Depth=1
	;; [unrolled: 14-line block ×7, first 2 shown]
	s_or_b64 exec, exec, s[2:3]
	s_and_saveexec_b64 s[2:3], s[58:59]
	s_cbranch_execz .LBB92_253
; %bb.252:                              ;   in Loop: Header=BB92_13 Depth=1
	global_load_ushort v16, v[0:1], off offset:1920
.LBB92_253:                             ;   in Loop: Header=BB92_13 Depth=1
	s_or_b64 exec, exec, s[2:3]
	s_waitcnt vmcnt(0)
	ds_write_b16 v88, v3
	ds_write_b16 v89, v2 offset:128
	ds_write_b16 v90, v5 offset:256
	;; [unrolled: 1-line block ×15, first 2 shown]
	; wave barrier
	ds_read_b128 v[4:7], v119
	ds_read_b128 v[0:3], v119 offset:16
	s_mov_b32 s4, 0xbfb8aa3b
	s_mov_b32 s5, 0xb2a5705f
	;; [unrolled: 1-line block ×3, first 2 shown]
	s_waitcnt lgkmcnt(1)
	v_cvt_f32_f16_e32 v13, v4
	v_cvt_f32_f16_sdwa v11, v4 dst_sel:DWORD dst_unused:UNUSED_PAD src0_sel:WORD_1
	v_cvt_f32_f16_e32 v12, v5
	s_mov_b32 s15, 0xc2b17218
	v_mul_f32_e32 v8, 0xbfb8aa3b, v13
	v_rndne_f32_e32 v9, v8
	v_sub_f32_e32 v14, v8, v9
	v_fma_mix_f32 v8, v4, s4, -v8 op_sel_hi:[1,0,0]
	v_cvt_i32_f32_e32 v9, v9
	v_fma_mix_f32 v8, v4, s5, v8 op_sel_hi:[1,0,0]
	v_cmp_nlt_f32_e32 vcc, s14, v13
	v_add_f32_e32 v8, v14, v8
	v_exp_f32_e32 v8, v8
	v_cvt_f32_f16_sdwa v10, v5 dst_sel:DWORD dst_unused:UNUSED_PAD src0_sel:WORD_1
	s_waitcnt lgkmcnt(0)
	s_barrier
	v_ldexp_f32 v8, v8, v9
	v_mul_f32_e32 v9, 0xbfb8aa3b, v11
	v_rndne_f32_e32 v14, v9
	v_sub_f32_e32 v15, v9, v14
	v_fma_mix_f32 v9, v4, s4, -v9 op_sel:[1,0,0] op_sel_hi:[1,0,0]
	v_cndmask_b32_e32 v8, 0, v8, vcc
	v_fma_mix_f32 v4, v4, s5, v9 op_sel:[1,0,0] op_sel_hi:[1,0,0]
	v_cvt_i32_f32_e32 v9, v14
	v_add_f32_e32 v4, v15, v4
	v_exp_f32_e32 v4, v4
	v_cmp_ngt_f32_e32 vcc, s15, v13
	v_ldexp_f32 v4, v4, v9
	s_nop 0
	v_cndmask_b32_e32 v8, v140, v8, vcc
	v_cmp_nlt_f32_e32 vcc, s14, v11
	s_nop 1
	v_cndmask_b32_e32 v4, 0, v4, vcc
	v_cmp_ngt_f32_e32 vcc, s15, v11
	s_nop 1
	v_cndmask_b32_e32 v9, v140, v4, vcc
	v_mul_f32_e32 v4, 0xbfb8aa3b, v12
	v_rndne_f32_e32 v14, v4
	v_sub_f32_e32 v15, v4, v14
	v_fma_mix_f32 v4, v5, s4, -v4 op_sel_hi:[1,0,0]
	v_cvt_i32_f32_e32 v14, v14
	v_fma_mix_f32 v4, v5, s5, v4 op_sel_hi:[1,0,0]
	v_pk_add_f32 v[8:9], v[8:9], 1.0 op_sel_hi:[1,0]
	v_add_f32_e32 v4, v15, v4
	v_exp_f32_e32 v4, v4
	v_cmp_nlt_f32_e32 vcc, s14, v12
	v_ldexp_f32 v4, v4, v14
	v_mul_f32_e32 v14, 0xbfb8aa3b, v10
	v_rndne_f32_e32 v15, v14
	v_sub_f32_e32 v16, v14, v15
	v_fma_mix_f32 v14, v5, s4, -v14 op_sel:[1,0,0] op_sel_hi:[1,0,0]
	v_cndmask_b32_e32 v4, 0, v4, vcc
	v_fma_mix_f32 v5, v5, s5, v14 op_sel:[1,0,0] op_sel_hi:[1,0,0]
	v_cvt_i32_f32_e32 v14, v15
	v_add_f32_e32 v5, v16, v5
	v_exp_f32_e32 v5, v5
	v_cmp_ngt_f32_e32 vcc, s15, v12
	v_ldexp_f32 v5, v5, v14
	v_div_scale_f32 v14, s[2:3], v9, v9, v11
	v_rcp_f32_e32 v15, v14
	v_cndmask_b32_e32 v4, v140, v4, vcc
	v_cmp_nlt_f32_e32 vcc, s14, v10
	v_fma_f32 v16, -v14, v15, 1.0
	s_nop 0
	v_cndmask_b32_e32 v5, 0, v5, vcc
	v_cmp_ngt_f32_e32 vcc, s15, v10
	v_fmac_f32_e32 v15, v16, v15
	s_nop 0
	v_cndmask_b32_e32 v5, v140, v5, vcc
	v_div_scale_f32 v16, vcc, v11, v9, v11
	v_mul_f32_e32 v27, v16, v15
	v_fma_f32 v29, -v14, v27, v16
	v_fmac_f32_e32 v27, v29, v15
	v_fma_f32 v14, -v14, v27, v16
	v_div_fmas_f32 v14, v14, v15, v27
	v_div_fixup_f32 v9, v14, v9, v11
	v_div_scale_f32 v11, s[2:3], v8, v8, v13
	v_rcp_f32_e32 v14, v11
	v_pk_add_f32 v[4:5], v[4:5], 1.0 op_sel_hi:[1,0]
	v_fma_f32 v15, -v11, v14, 1.0
	v_fmac_f32_e32 v14, v15, v14
	v_div_scale_f32 v15, vcc, v13, v8, v13
	v_mul_f32_e32 v16, v15, v14
	v_fma_f32 v27, -v11, v16, v15
	v_fmac_f32_e32 v16, v27, v14
	v_fma_f32 v11, -v11, v16, v15
	v_div_fmas_f32 v11, v11, v14, v16
	v_div_fixup_f32 v8, v11, v8, v13
	v_div_scale_f32 v11, s[2:3], v5, v5, v10
	v_rcp_f32_e32 v13, v11
	v_pk_mul_f32 v[8:9], v[42:43], v[8:9]
	v_fma_f32 v14, -v11, v13, 1.0
	v_fmac_f32_e32 v13, v14, v13
	v_div_scale_f32 v14, vcc, v10, v5, v10
	v_mul_f32_e32 v15, v14, v13
	v_fma_f32 v16, -v11, v15, v14
	v_fmac_f32_e32 v15, v16, v13
	v_fma_f32 v11, -v11, v15, v14
	v_div_fmas_f32 v11, v11, v13, v15
	v_div_fixup_f32 v5, v11, v5, v10
	v_div_scale_f32 v10, s[2:3], v4, v4, v12
	v_rcp_f32_e32 v11, v10
	s_nop 0
	v_fma_f32 v13, -v10, v11, 1.0
	v_fmac_f32_e32 v11, v13, v11
	v_div_scale_f32 v13, vcc, v12, v4, v12
	v_mul_f32_e32 v14, v13, v11
	v_fma_f32 v15, -v10, v14, v13
	v_fmac_f32_e32 v14, v15, v11
	v_fma_f32 v10, -v10, v14, v13
	v_cvt_f32_f16_e32 v15, v6
	v_div_fmas_f32 v10, v10, v11, v14
	v_div_fixup_f32 v4, v10, v4, v12
	v_pk_mul_f32 v[10:11], v[44:45], v[4:5]
	v_cvt_f16_f32_e32 v4, v9
	v_cvt_f16_f32_e32 v9, v10
	v_mul_f32_e32 v10, 0xbfb8aa3b, v15
	v_cvt_f16_f32_e32 v5, v8
	v_cvt_f16_f32_e32 v8, v11
	v_rndne_f32_e32 v11, v10
	v_sub_f32_e32 v16, v10, v11
	v_fma_mix_f32 v10, v6, s4, -v10 op_sel_hi:[1,0,0]
	v_cvt_f32_f16_sdwa v13, v6 dst_sel:DWORD dst_unused:UNUSED_PAD src0_sel:WORD_1
	v_fma_mix_f32 v10, v6, s5, v10 op_sel_hi:[1,0,0]
	v_cvt_i32_f32_e32 v11, v11
	v_add_f32_e32 v10, v16, v10
	v_exp_f32_e32 v10, v10
	v_cvt_f32_f16_e32 v14, v7
	v_cmp_nlt_f32_e32 vcc, s14, v15
	v_cvt_f32_f16_sdwa v12, v7 dst_sel:DWORD dst_unused:UNUSED_PAD src0_sel:WORD_1
	v_ldexp_f32 v10, v10, v11
	v_mul_f32_e32 v11, 0xbfb8aa3b, v13
	v_rndne_f32_e32 v16, v11
	v_sub_f32_e32 v27, v11, v16
	v_fma_mix_f32 v11, v6, s4, -v11 op_sel:[1,0,0] op_sel_hi:[1,0,0]
	v_cndmask_b32_e32 v10, 0, v10, vcc
	v_fma_mix_f32 v6, v6, s5, v11 op_sel:[1,0,0] op_sel_hi:[1,0,0]
	v_cvt_i32_f32_e32 v11, v16
	v_add_f32_e32 v6, v27, v6
	v_exp_f32_e32 v6, v6
	v_cmp_ngt_f32_e32 vcc, s15, v15
	v_ldexp_f32 v6, v6, v11
	s_nop 0
	v_cndmask_b32_e32 v10, v140, v10, vcc
	v_cmp_nlt_f32_e32 vcc, s14, v13
	s_nop 1
	v_cndmask_b32_e32 v6, 0, v6, vcc
	v_cmp_ngt_f32_e32 vcc, s15, v13
	s_nop 1
	v_cndmask_b32_e32 v11, v140, v6, vcc
	v_mul_f32_e32 v6, 0xbfb8aa3b, v14
	v_rndne_f32_e32 v16, v6
	v_sub_f32_e32 v27, v6, v16
	v_fma_mix_f32 v6, v7, s4, -v6 op_sel_hi:[1,0,0]
	v_cvt_i32_f32_e32 v16, v16
	v_fma_mix_f32 v6, v7, s5, v6 op_sel_hi:[1,0,0]
	v_pk_add_f32 v[10:11], v[10:11], 1.0 op_sel_hi:[1,0]
	v_add_f32_e32 v6, v27, v6
	v_exp_f32_e32 v6, v6
	v_cmp_nlt_f32_e32 vcc, s14, v14
	v_ldexp_f32 v6, v6, v16
	v_mul_f32_e32 v16, 0xbfb8aa3b, v12
	v_rndne_f32_e32 v27, v16
	v_sub_f32_e32 v29, v16, v27
	v_fma_mix_f32 v16, v7, s4, -v16 op_sel:[1,0,0] op_sel_hi:[1,0,0]
	v_cndmask_b32_e32 v6, 0, v6, vcc
	v_fma_mix_f32 v7, v7, s5, v16 op_sel:[1,0,0] op_sel_hi:[1,0,0]
	v_cvt_i32_f32_e32 v16, v27
	v_add_f32_e32 v7, v29, v7
	v_exp_f32_e32 v7, v7
	v_cmp_ngt_f32_e32 vcc, s15, v14
	v_ldexp_f32 v7, v7, v16
	v_div_scale_f32 v16, s[2:3], v11, v11, v13
	v_rcp_f32_e32 v27, v16
	v_cndmask_b32_e32 v6, v140, v6, vcc
	v_cmp_nlt_f32_e32 vcc, s14, v12
	v_fma_f32 v29, -v16, v27, 1.0
	s_nop 0
	v_cndmask_b32_e32 v7, 0, v7, vcc
	v_cmp_ngt_f32_e32 vcc, s15, v12
	v_fmac_f32_e32 v27, v29, v27
	s_nop 0
	v_cndmask_b32_e32 v7, v140, v7, vcc
	v_div_scale_f32 v29, vcc, v13, v11, v13
	v_mul_f32_e32 v42, v29, v27
	v_fma_f32 v43, -v16, v42, v29
	v_fmac_f32_e32 v42, v43, v27
	v_fma_f32 v16, -v16, v42, v29
	v_div_fmas_f32 v16, v16, v27, v42
	v_div_fixup_f32 v11, v16, v11, v13
	v_div_scale_f32 v13, s[2:3], v10, v10, v15
	v_rcp_f32_e32 v16, v13
	v_pk_add_f32 v[6:7], v[6:7], 1.0 op_sel_hi:[1,0]
	v_fma_f32 v27, -v13, v16, 1.0
	v_fmac_f32_e32 v16, v27, v16
	v_div_scale_f32 v27, vcc, v15, v10, v15
	v_mul_f32_e32 v29, v27, v16
	v_fma_f32 v42, -v13, v29, v27
	v_fmac_f32_e32 v29, v42, v16
	v_fma_f32 v13, -v13, v29, v27
	v_div_fmas_f32 v13, v13, v16, v29
	v_div_fixup_f32 v10, v13, v10, v15
	v_div_scale_f32 v13, s[2:3], v7, v7, v12
	v_rcp_f32_e32 v15, v13
	v_pk_mul_f32 v[10:11], v[38:39], v[10:11]
	v_fma_f32 v16, -v13, v15, 1.0
	v_fmac_f32_e32 v15, v16, v15
	v_div_scale_f32 v16, vcc, v12, v7, v12
	v_mul_f32_e32 v27, v16, v15
	v_fma_f32 v29, -v13, v27, v16
	v_fmac_f32_e32 v27, v29, v15
	v_fma_f32 v13, -v13, v27, v16
	v_div_fmas_f32 v13, v13, v15, v27
	v_div_fixup_f32 v7, v13, v7, v12
	v_div_scale_f32 v12, s[2:3], v6, v6, v14
	v_rcp_f32_e32 v13, v12
	s_nop 0
	v_fma_f32 v15, -v12, v13, 1.0
	v_fmac_f32_e32 v13, v15, v13
	v_div_scale_f32 v15, vcc, v14, v6, v14
	v_mul_f32_e32 v16, v15, v13
	v_fma_f32 v27, -v12, v16, v15
	v_fmac_f32_e32 v16, v27, v13
	v_fma_f32 v12, -v12, v16, v15
	v_cvt_f32_f16_e32 v27, v0
	v_div_fmas_f32 v12, v12, v13, v16
	v_div_fixup_f32 v6, v12, v6, v14
	v_pk_mul_f32 v[12:13], v[40:41], v[6:7]
	v_cvt_f16_f32_e32 v6, v11
	v_cvt_f16_f32_e32 v11, v12
	v_mul_f32_e32 v12, 0xbfb8aa3b, v27
	v_cvt_f16_f32_e32 v7, v10
	v_cvt_f16_f32_e32 v10, v13
	v_rndne_f32_e32 v13, v12
	v_sub_f32_e32 v29, v12, v13
	v_fma_mix_f32 v12, v0, s4, -v12 op_sel_hi:[1,0,0]
	v_cvt_f32_f16_sdwa v15, v0 dst_sel:DWORD dst_unused:UNUSED_PAD src0_sel:WORD_1
	v_fma_mix_f32 v12, v0, s5, v12 op_sel_hi:[1,0,0]
	v_cvt_i32_f32_e32 v13, v13
	v_add_f32_e32 v12, v29, v12
	v_exp_f32_e32 v12, v12
	v_cvt_f32_f16_e32 v16, v1
	v_cmp_nlt_f32_e32 vcc, s14, v27
	v_cvt_f32_f16_sdwa v14, v1 dst_sel:DWORD dst_unused:UNUSED_PAD src0_sel:WORD_1
	v_ldexp_f32 v12, v12, v13
	v_mul_f32_e32 v13, 0xbfb8aa3b, v15
	v_rndne_f32_e32 v29, v13
	v_sub_f32_e32 v38, v13, v29
	v_fma_mix_f32 v13, v0, s4, -v13 op_sel:[1,0,0] op_sel_hi:[1,0,0]
	v_cndmask_b32_e32 v12, 0, v12, vcc
	v_fma_mix_f32 v0, v0, s5, v13 op_sel:[1,0,0] op_sel_hi:[1,0,0]
	v_cvt_i32_f32_e32 v13, v29
	v_add_f32_e32 v0, v38, v0
	v_exp_f32_e32 v0, v0
	v_cmp_ngt_f32_e32 vcc, s15, v27
	v_ldexp_f32 v0, v0, v13
	s_nop 0
	v_cndmask_b32_e32 v12, v140, v12, vcc
	v_cmp_nlt_f32_e32 vcc, s14, v15
	s_nop 1
	v_cndmask_b32_e32 v0, 0, v0, vcc
	v_cmp_ngt_f32_e32 vcc, s15, v15
	s_nop 1
	v_cndmask_b32_e32 v13, v140, v0, vcc
	v_mul_f32_e32 v0, 0xbfb8aa3b, v16
	v_rndne_f32_e32 v29, v0
	v_sub_f32_e32 v38, v0, v29
	v_fma_mix_f32 v0, v1, s4, -v0 op_sel_hi:[1,0,0]
	v_cvt_i32_f32_e32 v29, v29
	v_fma_mix_f32 v0, v1, s5, v0 op_sel_hi:[1,0,0]
	v_pk_add_f32 v[12:13], v[12:13], 1.0 op_sel_hi:[1,0]
	v_add_f32_e32 v0, v38, v0
	v_exp_f32_e32 v0, v0
	v_cmp_nlt_f32_e32 vcc, s14, v16
	v_ldexp_f32 v0, v0, v29
	v_mul_f32_e32 v29, 0xbfb8aa3b, v14
	v_rndne_f32_e32 v38, v29
	v_sub_f32_e32 v39, v29, v38
	v_fma_mix_f32 v29, v1, s4, -v29 op_sel:[1,0,0] op_sel_hi:[1,0,0]
	v_cndmask_b32_e32 v0, 0, v0, vcc
	v_fma_mix_f32 v1, v1, s5, v29 op_sel:[1,0,0] op_sel_hi:[1,0,0]
	v_cvt_i32_f32_e32 v29, v38
	v_add_f32_e32 v1, v39, v1
	v_exp_f32_e32 v1, v1
	v_cmp_ngt_f32_e32 vcc, s15, v16
	v_ldexp_f32 v1, v1, v29
	v_div_scale_f32 v29, s[2:3], v13, v13, v15
	v_rcp_f32_e32 v38, v29
	v_cndmask_b32_e32 v0, v140, v0, vcc
	v_cmp_nlt_f32_e32 vcc, s14, v14
	v_fma_f32 v39, -v29, v38, 1.0
	s_nop 0
	v_cndmask_b32_e32 v1, 0, v1, vcc
	v_cmp_ngt_f32_e32 vcc, s15, v14
	v_fmac_f32_e32 v38, v39, v38
	s_nop 0
	v_cndmask_b32_e32 v1, v140, v1, vcc
	v_div_scale_f32 v39, vcc, v15, v13, v15
	v_mul_f32_e32 v40, v39, v38
	v_fma_f32 v41, -v29, v40, v39
	v_fmac_f32_e32 v40, v41, v38
	v_fma_f32 v29, -v29, v40, v39
	v_div_fmas_f32 v29, v29, v38, v40
	v_div_fixup_f32 v13, v29, v13, v15
	v_div_scale_f32 v15, s[2:3], v12, v12, v27
	v_rcp_f32_e32 v29, v15
	v_pk_add_f32 v[0:1], v[0:1], 1.0 op_sel_hi:[1,0]
	v_fma_f32 v38, -v15, v29, 1.0
	v_fmac_f32_e32 v29, v38, v29
	v_div_scale_f32 v38, vcc, v27, v12, v27
	v_mul_f32_e32 v39, v38, v29
	v_fma_f32 v40, -v15, v39, v38
	v_fmac_f32_e32 v39, v40, v29
	v_fma_f32 v15, -v15, v39, v38
	v_div_fmas_f32 v15, v15, v29, v39
	v_div_fixup_f32 v12, v15, v12, v27
	v_div_scale_f32 v15, s[2:3], v1, v1, v14
	v_rcp_f32_e32 v27, v15
	v_pk_mul_f32 v[12:13], v[34:35], v[12:13]
	v_cvt_f32_f16_e32 v34, v2
	v_cvt_f16_f32_e32 v13, v13
	v_fma_f32 v29, -v15, v27, 1.0
	v_fmac_f32_e32 v27, v29, v27
	v_div_scale_f32 v29, vcc, v14, v1, v14
	v_mul_f32_e32 v38, v29, v27
	v_fma_f32 v39, -v15, v38, v29
	v_fmac_f32_e32 v38, v39, v27
	v_fma_f32 v15, -v15, v38, v29
	v_div_fmas_f32 v15, v15, v27, v38
	v_div_fixup_f32 v1, v15, v1, v14
	v_div_scale_f32 v14, s[2:3], v0, v0, v16
	v_rcp_f32_e32 v15, v14
	v_cvt_f16_f32_e32 v12, v12
	v_fma_f32 v27, -v14, v15, 1.0
	v_fmac_f32_e32 v15, v27, v15
	v_div_scale_f32 v27, vcc, v16, v0, v16
	v_mul_f32_e32 v29, v27, v15
	v_fma_f32 v38, -v14, v29, v27
	v_fmac_f32_e32 v29, v38, v15
	v_fma_f32 v14, -v14, v29, v27
	v_div_fmas_f32 v14, v14, v15, v29
	v_div_fixup_f32 v0, v14, v0, v16
	v_pk_mul_f32 v[0:1], v[36:37], v[0:1]
	v_cvt_f32_f16_sdwa v27, v2 dst_sel:DWORD dst_unused:UNUSED_PAD src0_sel:WORD_1
	v_cvt_f16_f32_e32 v15, v0
	v_mul_f32_e32 v0, 0xbfb8aa3b, v34
	v_cvt_f16_f32_e32 v14, v1
	v_rndne_f32_e32 v1, v0
	v_sub_f32_e32 v35, v0, v1
	v_fma_mix_f32 v0, v2, s4, -v0 op_sel_hi:[1,0,0]
	v_cvt_i32_f32_e32 v1, v1
	v_fma_mix_f32 v0, v2, s5, v0 op_sel_hi:[1,0,0]
	v_cvt_f32_f16_e32 v29, v3
	v_add_f32_e32 v0, v35, v0
	v_exp_f32_e32 v0, v0
	v_cvt_f32_f16_sdwa v16, v3 dst_sel:DWORD dst_unused:UNUSED_PAD src0_sel:WORD_1
	v_cmp_nlt_f32_e32 vcc, s14, v34
	v_ldexp_f32 v0, v0, v1
	v_mul_f32_e32 v1, 0xbfb8aa3b, v27
	v_rndne_f32_e32 v35, v1
	v_sub_f32_e32 v36, v1, v35
	v_fma_mix_f32 v1, v2, s4, -v1 op_sel:[1,0,0] op_sel_hi:[1,0,0]
	v_cndmask_b32_e32 v0, 0, v0, vcc
	v_fma_mix_f32 v1, v2, s5, v1 op_sel:[1,0,0] op_sel_hi:[1,0,0]
	v_cvt_i32_f32_e32 v2, v35
	v_add_f32_e32 v1, v36, v1
	v_exp_f32_e32 v1, v1
	v_cmp_ngt_f32_e32 vcc, s15, v34
	v_ldexp_f32 v1, v1, v2
	v_mul_f32_e32 v2, 0xbfb8aa3b, v29
	v_rndne_f32_e32 v35, v2
	v_sub_f32_e32 v36, v2, v35
	v_fma_mix_f32 v2, v3, s4, -v2 op_sel_hi:[1,0,0]
	v_cvt_i32_f32_e32 v35, v35
	v_fma_mix_f32 v2, v3, s5, v2 op_sel_hi:[1,0,0]
	v_cndmask_b32_e32 v0, v140, v0, vcc
	v_add_f32_e32 v2, v36, v2
	v_exp_f32_e32 v2, v2
	v_cmp_nlt_f32_e32 vcc, s14, v27
	v_ldexp_f32 v2, v2, v35
	v_mul_f32_e32 v35, 0xbfb8aa3b, v16
	v_rndne_f32_e32 v36, v35
	v_sub_f32_e32 v37, v35, v36
	v_fma_mix_f32 v35, v3, s4, -v35 op_sel:[1,0,0] op_sel_hi:[1,0,0]
	v_cndmask_b32_e32 v1, 0, v1, vcc
	v_fma_mix_f32 v3, v3, s5, v35 op_sel:[1,0,0] op_sel_hi:[1,0,0]
	v_cvt_i32_f32_e32 v35, v36
	v_add_f32_e32 v3, v37, v3
	v_exp_f32_e32 v3, v3
	v_cmp_ngt_f32_e32 vcc, s15, v27
	v_ldexp_f32 v3, v3, v35
	s_nop 0
	v_cndmask_b32_e32 v1, v140, v1, vcc
	v_pk_add_f32 v[0:1], v[0:1], 1.0 op_sel_hi:[1,0]
	v_cmp_nlt_f32_e32 vcc, s14, v29
	v_div_scale_f32 v35, s[2:3], v1, v1, v27
	v_rcp_f32_e32 v36, v35
	v_cndmask_b32_e32 v2, 0, v2, vcc
	v_cmp_ngt_f32_e32 vcc, s15, v29
	v_fma_f32 v37, -v35, v36, 1.0
	s_nop 0
	v_cndmask_b32_e32 v2, v140, v2, vcc
	v_cmp_nlt_f32_e32 vcc, s14, v16
	v_fmac_f32_e32 v36, v37, v36
	s_nop 0
	v_cndmask_b32_e32 v3, 0, v3, vcc
	v_cmp_ngt_f32_e32 vcc, s15, v16
	s_nop 1
	v_cndmask_b32_e32 v3, v140, v3, vcc
	v_div_scale_f32 v37, vcc, v27, v1, v27
	v_mul_f32_e32 v38, v37, v36
	v_fma_f32 v39, -v35, v38, v37
	v_fmac_f32_e32 v38, v39, v36
	v_fma_f32 v35, -v35, v38, v37
	v_div_fmas_f32 v35, v35, v36, v38
	v_div_fixup_f32 v1, v35, v1, v27
	v_div_scale_f32 v27, s[2:3], v0, v0, v34
	v_rcp_f32_e32 v35, v27
	v_pk_add_f32 v[2:3], v[2:3], 1.0 op_sel_hi:[1,0]
	v_fma_f32 v36, -v27, v35, 1.0
	v_fmac_f32_e32 v35, v36, v35
	v_div_scale_f32 v36, vcc, v34, v0, v34
	v_mul_f32_e32 v37, v36, v35
	v_fma_f32 v38, -v27, v37, v36
	v_fmac_f32_e32 v37, v38, v35
	v_fma_f32 v27, -v27, v37, v36
	v_div_fmas_f32 v27, v27, v35, v37
	v_div_fixup_f32 v0, v27, v0, v34
	v_div_scale_f32 v27, s[2:3], v3, v3, v16
	v_rcp_f32_e32 v34, v27
	v_pk_mul_f32 v[0:1], v[30:31], v[0:1]
	v_fma_f32 v35, -v27, v34, 1.0
	v_fmac_f32_e32 v34, v35, v34
	v_div_scale_f32 v35, vcc, v16, v3, v16
	v_mul_f32_e32 v36, v35, v34
	v_fma_f32 v37, -v27, v36, v35
	v_fmac_f32_e32 v36, v37, v34
	v_fma_f32 v27, -v27, v36, v35
	v_div_fmas_f32 v27, v27, v34, v36
	v_div_fixup_f32 v3, v27, v3, v16
	v_div_scale_f32 v16, s[2:3], v2, v2, v29
	v_rcp_f32_e32 v27, v16
	s_nop 0
	v_fma_f32 v34, -v16, v27, 1.0
	v_fmac_f32_e32 v27, v34, v27
	v_div_scale_f32 v34, vcc, v29, v2, v29
	v_mul_f32_e32 v35, v34, v27
	v_fma_f32 v36, -v16, v35, v34
	v_fmac_f32_e32 v35, v36, v27
	v_fma_f32 v16, -v16, v35, v34
	v_div_fmas_f32 v16, v16, v27, v35
	v_div_fixup_f32 v2, v16, v2, v29
	v_pk_mul_f32 v[2:3], v[32:33], v[2:3]
	v_cvt_f16_f32_e32 v16, v1
	v_cvt_f16_f32_e32 v27, v0
	;; [unrolled: 1-line block ×4, first 2 shown]
	v_pack_b32_f16 v3, v11, v10
	v_pack_b32_f16 v2, v7, v6
	;; [unrolled: 1-line block ×4, first 2 shown]
	ds_write_b128 v119, v[0:3]
	v_pack_b32_f16 v3, v30, v29
	v_pack_b32_f16 v2, v27, v16
	;; [unrolled: 1-line block ×4, first 2 shown]
	ds_write_b128 v119, v[0:3] offset:16
	; wave barrier
	ds_read_u16 v16, v89 offset:128
	ds_read_u16 v15, v90 offset:256
	ds_read_u16 v14, v91 offset:384
	ds_read_u16 v13, v92 offset:512
	ds_read_u16 v12, v93 offset:640
	ds_read_u16 v11, v94 offset:768
	ds_read_u16 v10, v95 offset:896
	ds_read_u16 v9, v96 offset:1024
	ds_read_u16 v8, v97 offset:1152
	ds_read_u16 v7, v98 offset:1280
	ds_read_u16 v6, v99 offset:1408
	ds_read_u16 v5, v100 offset:1536
	ds_read_u16 v4, v113 offset:1664
	ds_read_u16 v3, v115 offset:1792
	ds_read_u16 v2, v117 offset:1920
	v_lshl_add_u64 v[0:1], s[18:19], 1, v[24:25]
	s_and_saveexec_b64 s[2:3], s[26:27]
	s_cbranch_execnz .LBB92_286
; %bb.254:                              ;   in Loop: Header=BB92_13 Depth=1
	s_or_b64 exec, exec, s[2:3]
	s_and_saveexec_b64 s[2:3], s[28:29]
	s_cbranch_execnz .LBB92_287
.LBB92_255:                             ;   in Loop: Header=BB92_13 Depth=1
	s_or_b64 exec, exec, s[2:3]
	s_and_saveexec_b64 s[2:3], s[30:31]
	s_cbranch_execnz .LBB92_288
.LBB92_256:                             ;   in Loop: Header=BB92_13 Depth=1
	s_or_b64 exec, exec, s[2:3]
	s_and_saveexec_b64 s[2:3], s[34:35]
	s_cbranch_execnz .LBB92_289
.LBB92_257:                             ;   in Loop: Header=BB92_13 Depth=1
	s_or_b64 exec, exec, s[2:3]
	s_and_saveexec_b64 s[2:3], s[36:37]
	s_cbranch_execnz .LBB92_290
.LBB92_258:                             ;   in Loop: Header=BB92_13 Depth=1
	s_or_b64 exec, exec, s[2:3]
	s_and_saveexec_b64 s[2:3], s[38:39]
	s_cbranch_execnz .LBB92_291
.LBB92_259:                             ;   in Loop: Header=BB92_13 Depth=1
	s_or_b64 exec, exec, s[2:3]
	s_and_saveexec_b64 s[2:3], s[40:41]
	s_cbranch_execnz .LBB92_292
.LBB92_260:                             ;   in Loop: Header=BB92_13 Depth=1
	s_or_b64 exec, exec, s[2:3]
	s_and_saveexec_b64 s[2:3], s[42:43]
	s_cbranch_execnz .LBB92_293
.LBB92_261:                             ;   in Loop: Header=BB92_13 Depth=1
	s_or_b64 exec, exec, s[2:3]
	s_and_saveexec_b64 s[2:3], s[44:45]
	s_cbranch_execnz .LBB92_294
.LBB92_262:                             ;   in Loop: Header=BB92_13 Depth=1
	s_or_b64 exec, exec, s[2:3]
	s_and_saveexec_b64 s[2:3], s[46:47]
	s_cbranch_execnz .LBB92_295
.LBB92_263:                             ;   in Loop: Header=BB92_13 Depth=1
	s_or_b64 exec, exec, s[2:3]
	s_and_saveexec_b64 s[2:3], s[48:49]
	s_cbranch_execnz .LBB92_296
.LBB92_264:                             ;   in Loop: Header=BB92_13 Depth=1
	s_or_b64 exec, exec, s[2:3]
	s_and_saveexec_b64 s[2:3], s[50:51]
	s_cbranch_execnz .LBB92_297
.LBB92_265:                             ;   in Loop: Header=BB92_13 Depth=1
	s_or_b64 exec, exec, s[2:3]
	s_and_saveexec_b64 s[2:3], s[52:53]
	s_cbranch_execnz .LBB92_298
.LBB92_266:                             ;   in Loop: Header=BB92_13 Depth=1
	s_or_b64 exec, exec, s[2:3]
	s_and_saveexec_b64 s[2:3], s[54:55]
	s_cbranch_execnz .LBB92_299
.LBB92_267:                             ;   in Loop: Header=BB92_13 Depth=1
	s_or_b64 exec, exec, s[2:3]
	s_and_saveexec_b64 s[2:3], s[56:57]
	s_cbranch_execnz .LBB92_300
.LBB92_268:                             ;   in Loop: Header=BB92_13 Depth=1
	s_or_b64 exec, exec, s[2:3]
	s_and_saveexec_b64 s[2:3], s[58:59]
	s_cbranch_execz .LBB92_12
	s_branch .LBB92_301
.LBB92_269:                             ;   in Loop: Header=BB92_13 Depth=1
	global_load_ushort v36, v[8:9], off offset:1664
	s_or_b64 exec, exec, s[2:3]
	s_and_saveexec_b64 s[2:3], s[56:57]
	s_cbranch_execz .LBB92_73
.LBB92_270:                             ;   in Loop: Header=BB92_13 Depth=1
	global_load_ushort v35, v[8:9], off offset:1792
	s_or_b64 exec, exec, s[2:3]
	v_mov_b32_e32 v37, 0
	s_and_saveexec_b64 s[2:3], s[58:59]
	s_cbranch_execnz .LBB92_74
	s_branch .LBB92_75
.LBB92_271:                             ;   in Loop: Header=BB92_13 Depth=1
	ds_read_u16 v27, v88
	s_waitcnt lgkmcnt(0)
	global_store_short v[0:1], v27, off
	s_or_b64 exec, exec, s[2:3]
	s_and_saveexec_b64 s[2:3], s[28:29]
	s_cbranch_execz .LBB92_206
.LBB92_272:                             ;   in Loop: Header=BB92_13 Depth=1
	s_waitcnt lgkmcnt(14)
	global_store_short v[0:1], v16, off offset:128
	s_or_b64 exec, exec, s[2:3]
	s_and_saveexec_b64 s[2:3], s[30:31]
	s_cbranch_execz .LBB92_207
.LBB92_273:                             ;   in Loop: Header=BB92_13 Depth=1
	s_waitcnt lgkmcnt(13)
	global_store_short v[0:1], v15, off offset:256
	s_or_b64 exec, exec, s[2:3]
	s_and_saveexec_b64 s[2:3], s[34:35]
	s_cbranch_execz .LBB92_208
.LBB92_274:                             ;   in Loop: Header=BB92_13 Depth=1
	s_waitcnt lgkmcnt(12)
	global_store_short v[0:1], v14, off offset:384
	s_or_b64 exec, exec, s[2:3]
	s_and_saveexec_b64 s[2:3], s[36:37]
	s_cbranch_execz .LBB92_209
.LBB92_275:                             ;   in Loop: Header=BB92_13 Depth=1
	s_waitcnt lgkmcnt(11)
	global_store_short v[0:1], v13, off offset:512
	s_or_b64 exec, exec, s[2:3]
	s_and_saveexec_b64 s[2:3], s[38:39]
	s_cbranch_execz .LBB92_210
.LBB92_276:                             ;   in Loop: Header=BB92_13 Depth=1
	s_waitcnt lgkmcnt(10)
	global_store_short v[0:1], v12, off offset:640
	s_or_b64 exec, exec, s[2:3]
	s_and_saveexec_b64 s[2:3], s[40:41]
	s_cbranch_execz .LBB92_211
.LBB92_277:                             ;   in Loop: Header=BB92_13 Depth=1
	s_waitcnt lgkmcnt(9)
	global_store_short v[0:1], v11, off offset:768
	s_or_b64 exec, exec, s[2:3]
	s_and_saveexec_b64 s[2:3], s[42:43]
	s_cbranch_execz .LBB92_212
.LBB92_278:                             ;   in Loop: Header=BB92_13 Depth=1
	s_waitcnt lgkmcnt(8)
	global_store_short v[0:1], v10, off offset:896
	s_or_b64 exec, exec, s[2:3]
	s_and_saveexec_b64 s[2:3], s[44:45]
	s_cbranch_execz .LBB92_213
.LBB92_279:                             ;   in Loop: Header=BB92_13 Depth=1
	s_waitcnt lgkmcnt(7)
	global_store_short v[0:1], v9, off offset:1024
	s_or_b64 exec, exec, s[2:3]
	s_and_saveexec_b64 s[2:3], s[46:47]
	s_cbranch_execz .LBB92_214
.LBB92_280:                             ;   in Loop: Header=BB92_13 Depth=1
	s_waitcnt lgkmcnt(6)
	global_store_short v[0:1], v8, off offset:1152
	s_or_b64 exec, exec, s[2:3]
	s_and_saveexec_b64 s[2:3], s[48:49]
	s_cbranch_execz .LBB92_215
.LBB92_281:                             ;   in Loop: Header=BB92_13 Depth=1
	s_waitcnt lgkmcnt(5)
	global_store_short v[0:1], v7, off offset:1280
	s_or_b64 exec, exec, s[2:3]
	s_and_saveexec_b64 s[2:3], s[50:51]
	s_cbranch_execz .LBB92_216
.LBB92_282:                             ;   in Loop: Header=BB92_13 Depth=1
	s_waitcnt lgkmcnt(4)
	global_store_short v[0:1], v6, off offset:1408
	s_or_b64 exec, exec, s[2:3]
	s_and_saveexec_b64 s[2:3], s[52:53]
	s_cbranch_execz .LBB92_217
.LBB92_283:                             ;   in Loop: Header=BB92_13 Depth=1
	s_waitcnt lgkmcnt(3)
	global_store_short v[0:1], v5, off offset:1536
	s_or_b64 exec, exec, s[2:3]
	s_and_saveexec_b64 s[2:3], s[54:55]
	s_cbranch_execz .LBB92_218
.LBB92_284:                             ;   in Loop: Header=BB92_13 Depth=1
	s_waitcnt lgkmcnt(2)
	global_store_short v[0:1], v4, off offset:1664
	s_or_b64 exec, exec, s[2:3]
	s_and_saveexec_b64 s[2:3], s[56:57]
	s_cbranch_execz .LBB92_219
.LBB92_285:                             ;   in Loop: Header=BB92_13 Depth=1
	s_waitcnt lgkmcnt(1)
	global_store_short v[0:1], v3, off offset:1792
	s_or_b64 exec, exec, s[2:3]
	s_and_saveexec_b64 s[2:3], s[58:59]
	s_cbranch_execnz .LBB92_220
	s_branch .LBB92_221
.LBB92_286:                             ;   in Loop: Header=BB92_13 Depth=1
	ds_read_u16 v27, v88
	s_waitcnt lgkmcnt(0)
	global_store_short v[0:1], v27, off
	s_or_b64 exec, exec, s[2:3]
	s_and_saveexec_b64 s[2:3], s[28:29]
	s_cbranch_execz .LBB92_255
.LBB92_287:                             ;   in Loop: Header=BB92_13 Depth=1
	s_waitcnt lgkmcnt(14)
	global_store_short v[0:1], v16, off offset:128
	s_or_b64 exec, exec, s[2:3]
	s_and_saveexec_b64 s[2:3], s[30:31]
	s_cbranch_execz .LBB92_256
.LBB92_288:                             ;   in Loop: Header=BB92_13 Depth=1
	s_waitcnt lgkmcnt(13)
	global_store_short v[0:1], v15, off offset:256
	s_or_b64 exec, exec, s[2:3]
	s_and_saveexec_b64 s[2:3], s[34:35]
	s_cbranch_execz .LBB92_257
.LBB92_289:                             ;   in Loop: Header=BB92_13 Depth=1
	s_waitcnt lgkmcnt(12)
	global_store_short v[0:1], v14, off offset:384
	s_or_b64 exec, exec, s[2:3]
	s_and_saveexec_b64 s[2:3], s[36:37]
	s_cbranch_execz .LBB92_258
.LBB92_290:                             ;   in Loop: Header=BB92_13 Depth=1
	s_waitcnt lgkmcnt(11)
	global_store_short v[0:1], v13, off offset:512
	s_or_b64 exec, exec, s[2:3]
	s_and_saveexec_b64 s[2:3], s[38:39]
	s_cbranch_execz .LBB92_259
.LBB92_291:                             ;   in Loop: Header=BB92_13 Depth=1
	s_waitcnt lgkmcnt(10)
	global_store_short v[0:1], v12, off offset:640
	s_or_b64 exec, exec, s[2:3]
	s_and_saveexec_b64 s[2:3], s[40:41]
	s_cbranch_execz .LBB92_260
.LBB92_292:                             ;   in Loop: Header=BB92_13 Depth=1
	s_waitcnt lgkmcnt(9)
	global_store_short v[0:1], v11, off offset:768
	s_or_b64 exec, exec, s[2:3]
	s_and_saveexec_b64 s[2:3], s[42:43]
	s_cbranch_execz .LBB92_261
.LBB92_293:                             ;   in Loop: Header=BB92_13 Depth=1
	s_waitcnt lgkmcnt(8)
	global_store_short v[0:1], v10, off offset:896
	s_or_b64 exec, exec, s[2:3]
	s_and_saveexec_b64 s[2:3], s[44:45]
	s_cbranch_execz .LBB92_262
.LBB92_294:                             ;   in Loop: Header=BB92_13 Depth=1
	s_waitcnt lgkmcnt(7)
	global_store_short v[0:1], v9, off offset:1024
	s_or_b64 exec, exec, s[2:3]
	s_and_saveexec_b64 s[2:3], s[46:47]
	s_cbranch_execz .LBB92_263
.LBB92_295:                             ;   in Loop: Header=BB92_13 Depth=1
	s_waitcnt lgkmcnt(6)
	global_store_short v[0:1], v8, off offset:1152
	s_or_b64 exec, exec, s[2:3]
	s_and_saveexec_b64 s[2:3], s[48:49]
	s_cbranch_execz .LBB92_264
.LBB92_296:                             ;   in Loop: Header=BB92_13 Depth=1
	s_waitcnt lgkmcnt(5)
	global_store_short v[0:1], v7, off offset:1280
	s_or_b64 exec, exec, s[2:3]
	s_and_saveexec_b64 s[2:3], s[50:51]
	s_cbranch_execz .LBB92_265
.LBB92_297:                             ;   in Loop: Header=BB92_13 Depth=1
	s_waitcnt lgkmcnt(4)
	global_store_short v[0:1], v6, off offset:1408
	s_or_b64 exec, exec, s[2:3]
	s_and_saveexec_b64 s[2:3], s[52:53]
	s_cbranch_execz .LBB92_266
.LBB92_298:                             ;   in Loop: Header=BB92_13 Depth=1
	s_waitcnt lgkmcnt(3)
	global_store_short v[0:1], v5, off offset:1536
	s_or_b64 exec, exec, s[2:3]
	s_and_saveexec_b64 s[2:3], s[54:55]
	s_cbranch_execz .LBB92_267
.LBB92_299:                             ;   in Loop: Header=BB92_13 Depth=1
	s_waitcnt lgkmcnt(2)
	global_store_short v[0:1], v4, off offset:1664
	s_or_b64 exec, exec, s[2:3]
	s_and_saveexec_b64 s[2:3], s[56:57]
	s_cbranch_execz .LBB92_268
.LBB92_300:                             ;   in Loop: Header=BB92_13 Depth=1
	s_waitcnt lgkmcnt(1)
	global_store_short v[0:1], v3, off offset:1792
	s_or_b64 exec, exec, s[2:3]
	s_and_saveexec_b64 s[2:3], s[58:59]
	s_cbranch_execz .LBB92_12
.LBB92_301:                             ;   in Loop: Header=BB92_13 Depth=1
	s_waitcnt lgkmcnt(0)
	global_store_short v[0:1], v2, off offset:1920
	s_branch .LBB92_12
.LBB92_302:
	s_endpgm
	.section	.rodata,"a",@progbits
	.p2align	6, 0x0
	.amdhsa_kernel _Z25selective_scan_fwd_kernelI32Selective_Scan_fwd_kernel_traitsILi128ELi16ELi1ELb0ELb1ELb1ELb1ELb1EN3c104HalfEfS2_EEv13SSMParamsBase
		.amdhsa_group_segment_fixed_size 0
		.amdhsa_private_segment_fixed_size 0
		.amdhsa_kernarg_size 248
		.amdhsa_user_sgpr_count 2
		.amdhsa_user_sgpr_dispatch_ptr 0
		.amdhsa_user_sgpr_queue_ptr 0
		.amdhsa_user_sgpr_kernarg_segment_ptr 1
		.amdhsa_user_sgpr_dispatch_id 0
		.amdhsa_user_sgpr_kernarg_preload_length 0
		.amdhsa_user_sgpr_kernarg_preload_offset 0
		.amdhsa_user_sgpr_private_segment_size 0
		.amdhsa_uses_dynamic_stack 0
		.amdhsa_enable_private_segment 0
		.amdhsa_system_sgpr_workgroup_id_x 1
		.amdhsa_system_sgpr_workgroup_id_y 1
		.amdhsa_system_sgpr_workgroup_id_z 0
		.amdhsa_system_sgpr_workgroup_info 0
		.amdhsa_system_vgpr_workitem_id 0
		.amdhsa_next_free_vgpr 168
		.amdhsa_next_free_sgpr 100
		.amdhsa_accum_offset 168
		.amdhsa_reserve_vcc 1
		.amdhsa_float_round_mode_32 0
		.amdhsa_float_round_mode_16_64 0
		.amdhsa_float_denorm_mode_32 3
		.amdhsa_float_denorm_mode_16_64 3
		.amdhsa_dx10_clamp 1
		.amdhsa_ieee_mode 1
		.amdhsa_fp16_overflow 0
		.amdhsa_tg_split 0
		.amdhsa_exception_fp_ieee_invalid_op 0
		.amdhsa_exception_fp_denorm_src 0
		.amdhsa_exception_fp_ieee_div_zero 0
		.amdhsa_exception_fp_ieee_overflow 0
		.amdhsa_exception_fp_ieee_underflow 0
		.amdhsa_exception_fp_ieee_inexact 0
		.amdhsa_exception_int_div_zero 0
	.end_amdhsa_kernel
	.section	.text._Z25selective_scan_fwd_kernelI32Selective_Scan_fwd_kernel_traitsILi128ELi16ELi1ELb0ELb1ELb1ELb1ELb1EN3c104HalfEfS2_EEv13SSMParamsBase,"axG",@progbits,_Z25selective_scan_fwd_kernelI32Selective_Scan_fwd_kernel_traitsILi128ELi16ELi1ELb0ELb1ELb1ELb1ELb1EN3c104HalfEfS2_EEv13SSMParamsBase,comdat
.Lfunc_end92:
	.size	_Z25selective_scan_fwd_kernelI32Selective_Scan_fwd_kernel_traitsILi128ELi16ELi1ELb0ELb1ELb1ELb1ELb1EN3c104HalfEfS2_EEv13SSMParamsBase, .Lfunc_end92-_Z25selective_scan_fwd_kernelI32Selective_Scan_fwd_kernel_traitsILi128ELi16ELi1ELb0ELb1ELb1ELb1ELb1EN3c104HalfEfS2_EEv13SSMParamsBase
                                        ; -- End function
	.section	.AMDGPU.csdata,"",@progbits
; Kernel info:
; codeLenInByte = 25088
; NumSgprs: 106
; NumVgprs: 168
; NumAgprs: 0
; TotalNumVgprs: 168
; ScratchSize: 0
; MemoryBound: 0
; FloatMode: 240
; IeeeMode: 1
; LDSByteSize: 0 bytes/workgroup (compile time only)
; SGPRBlocks: 13
; VGPRBlocks: 20
; NumSGPRsForWavesPerEU: 106
; NumVGPRsForWavesPerEU: 168
; AccumOffset: 168
; Occupancy: 3
; WaveLimiterHint : 1
; COMPUTE_PGM_RSRC2:SCRATCH_EN: 0
; COMPUTE_PGM_RSRC2:USER_SGPR: 2
; COMPUTE_PGM_RSRC2:TRAP_HANDLER: 0
; COMPUTE_PGM_RSRC2:TGID_X_EN: 1
; COMPUTE_PGM_RSRC2:TGID_Y_EN: 1
; COMPUTE_PGM_RSRC2:TGID_Z_EN: 0
; COMPUTE_PGM_RSRC2:TIDIG_COMP_CNT: 0
; COMPUTE_PGM_RSRC3_GFX90A:ACCUM_OFFSET: 41
; COMPUTE_PGM_RSRC3_GFX90A:TG_SPLIT: 0
	.section	.text._Z25selective_scan_fwd_kernelI32Selective_Scan_fwd_kernel_traitsILi128ELi16ELi1ELb0ELb1ELb1ELb1ELb0EN3c104HalfEfS2_EEv13SSMParamsBase,"axG",@progbits,_Z25selective_scan_fwd_kernelI32Selective_Scan_fwd_kernel_traitsILi128ELi16ELi1ELb0ELb1ELb1ELb1ELb0EN3c104HalfEfS2_EEv13SSMParamsBase,comdat
	.protected	_Z25selective_scan_fwd_kernelI32Selective_Scan_fwd_kernel_traitsILi128ELi16ELi1ELb0ELb1ELb1ELb1ELb0EN3c104HalfEfS2_EEv13SSMParamsBase ; -- Begin function _Z25selective_scan_fwd_kernelI32Selective_Scan_fwd_kernel_traitsILi128ELi16ELi1ELb0ELb1ELb1ELb1ELb0EN3c104HalfEfS2_EEv13SSMParamsBase
	.globl	_Z25selective_scan_fwd_kernelI32Selective_Scan_fwd_kernel_traitsILi128ELi16ELi1ELb0ELb1ELb1ELb1ELb0EN3c104HalfEfS2_EEv13SSMParamsBase
	.p2align	8
	.type	_Z25selective_scan_fwd_kernelI32Selective_Scan_fwd_kernel_traitsILi128ELi16ELi1ELb0ELb1ELb1ELb1ELb0EN3c104HalfEfS2_EEv13SSMParamsBase,@function
_Z25selective_scan_fwd_kernelI32Selective_Scan_fwd_kernel_traitsILi128ELi16ELi1ELb0ELb1ELb1ELb1ELb0EN3c104HalfEfS2_EEv13SSMParamsBase: ; @_Z25selective_scan_fwd_kernelI32Selective_Scan_fwd_kernel_traitsILi128ELi16ELi1ELb0ELb1ELb1ELb1ELb0EN3c104HalfEfS2_EEv13SSMParamsBase
; %bb.0:
	s_load_dword s13, s[0:1], 0x18
	s_load_dwordx4 s[4:7], s[0:1], 0xe8
	s_mov_b32 s8, s3
                                        ; implicit-def: $vgpr166 : SGPR spill to VGPR lane
	s_waitcnt lgkmcnt(0)
	s_abs_i32 s12, s13
	v_cvt_f32_u32_e32 v1, s12
	s_cmp_eq_u64 s[6:7], 0
	v_rcp_iflag_f32_e32 v1, v1
	s_nop 0
	v_mul_f32_e32 v1, 0x4f7ffffe, v1
	v_cvt_u32_f32_e32 v1, v1
	s_nop 0
	v_readfirstlane_b32 s14, v1
	s_cbranch_scc1 .LBB93_2
; %bb.1:
	s_ashr_i32 s3, s2, 31
	s_add_u32 s6, s6, s2
	s_addc_u32 s7, s7, s3
	v_mov_b32_e32 v1, 0
	global_load_ubyte v1, v1, s[6:7]
	s_waitcnt vmcnt(0)
	v_and_b32_e32 v1, 1, v1
	v_cmp_eq_u32_e64 s[6:7], 1, v1
	s_branch .LBB93_3
.LBB93_2:
	s_mov_b64 s[6:7], 0
.LBB93_3:
	s_nop 0
	v_writelane_b32 v166, s6, 0
	s_cmp_eq_u64 s[4:5], 0
	s_nop 0
	v_writelane_b32 v166, s7, 1
	s_load_dwordx2 s[6:7], s[0:1], 0x20
	s_cbranch_scc1 .LBB93_5
; %bb.4:
	s_ashr_i32 s3, s2, 31
	s_lshl_b64 s[10:11], s[2:3], 2
	s_add_u32 s4, s4, s10
	s_addc_u32 s5, s5, s11
	s_load_dword s10, s[4:5], 0x0
	s_waitcnt lgkmcnt(0)
	s_ashr_i32 s11, s10, 31
	s_cmp_eq_u64 s[6:7], s[10:11]
	s_cbranch_scc0 .LBB93_6
	s_branch .LBB93_302
.LBB93_5:
	s_mov_b32 s10, s2
	s_ashr_i32 s11, s10, 31
	s_waitcnt lgkmcnt(0)
	s_cmp_eq_u64 s[6:7], s[10:11]
	s_cbranch_scc1 .LBB93_302
.LBB93_6:
	s_load_dwordx16 s[36:51], s[0:1], 0x88
	s_load_dwordx2 s[18:19], s[0:1], 0x8
	s_mov_b32 s3, 0
	v_writelane_b32 v166, s3, 2
	v_writelane_b32 v166, s3, 3
	s_waitcnt lgkmcnt(0)
	s_cmp_eq_u64 s[42:43], 0
	s_cbranch_scc1 .LBB93_8
; %bb.7:
	s_ashr_i32 s9, s8, 31
	s_lshl_b64 s[4:5], s[8:9], 2
	s_add_u32 s4, s42, s4
	s_addc_u32 s5, s43, s5
	s_load_dword s3, s[4:5], 0x0
	s_waitcnt lgkmcnt(0)
	v_writelane_b32 v166, s3, 3
.LBB93_8:
	s_cmp_eq_u64 s[48:49], 0
	s_cbranch_scc1 .LBB93_10
; %bb.9:
	s_ashr_i32 s9, s8, 31
	s_lshl_b64 s[4:5], s[8:9], 2
	s_add_u32 s4, s48, s4
	s_addc_u32 s5, s49, s5
	s_load_dword s3, s[4:5], 0x0
	s_waitcnt lgkmcnt(0)
	v_writelane_b32 v166, s3, 2
.LBB93_10:
	s_cmp_lt_i32 s18, 1
	s_cbranch_scc1 .LBB93_302
; %bb.11:
	s_sub_i32 s3, 0, s12
	s_mul_i32 s3, s3, s14
	s_mul_hi_u32 s3, s14, s3
	s_load_dwordx8 s[52:59], s[0:1], 0x2c
	s_load_dwordx2 s[16:17], s[0:1], 0x7c
	s_load_dwordx4 s[20:23], s[0:1], 0x6c
	s_load_dwordx8 s[60:67], s[0:1], 0x4c
	s_load_dwordx2 s[4:5], s[0:1], 0xd8
	s_add_i32 s14, s14, s3
	s_load_dwordx4 s[24:27], s[0:1], 0xc8
	s_load_dword s3, s[0:1], 0x84
	s_abs_i32 s6, s8
	s_load_dword s9, s[0:1], 0x28
	s_ashr_i32 s0, s8, 31
	s_ashr_i32 s1, s13, 31
	s_waitcnt lgkmcnt(0)
	v_writelane_b32 v166, s3, 4
	s_mul_hi_u32 s3, s6, s14
	s_xor_b32 s0, s0, s1
	s_mul_i32 s1, s3, s12
	s_sub_i32 s1, s6, s1
	s_add_i32 s6, s3, 1
	s_sub_i32 s7, s1, s12
	s_cmp_ge_u32 s1, s12
	s_cselect_b32 s3, s6, s3
	s_cselect_b32 s1, s7, s1
	s_add_i32 s6, s3, 1
	s_cmp_ge_u32 s1, s12
	s_cselect_b32 s1, s6, s3
	s_xor_b32 s1, s1, s0
	s_mul_i32 s6, s62, s2
	s_mov_b32 s7, 0
	s_sub_i32 s3, s1, s0
	s_lshl_b64 s[0:1], s[6:7], 1
	s_add_u32 s11, s44, s0
	s_mul_i32 s6, s63, s8
	s_addc_u32 s12, s45, s1
	s_lshl_b64 s[0:1], s[6:7], 1
	s_add_u32 s28, s11, s0
	s_mul_i32 s6, s64, s2
	s_addc_u32 s29, s12, s1
	;; [unrolled: 4-line block ×3, first 2 shown]
	s_lshl_b64 s[0:1], s[6:7], 1
	s_add_u32 s0, s11, s0
	s_addc_u32 s1, s12, s1
	v_writelane_b32 v166, s0, 5
	s_mul_i32 s6, s52, s8
	v_mbcnt_lo_u32_b32 v1, -1, 0
	v_writelane_b32 v166, s1, 6
	s_lshl_b64 s[0:1], s[6:7], 2
	s_add_u32 s0, s36, s0
	v_writelane_b32 v166, s0, 7
	s_addc_u32 s0, s37, s1
	s_mul_i32 s6, s54, s2
	v_writelane_b32 v166, s0, 8
	s_lshl_b64 s[0:1], s[6:7], 1
	s_add_u32 s11, s38, s0
	s_mul_i32 s6, s3, s57
	s_addc_u32 s12, s39, s1
	s_lshl_b64 s[0:1], s[6:7], 1
	s_add_u32 s0, s11, s0
	s_addc_u32 s1, s12, s1
	v_writelane_b32 v166, s0, 9
	v_lshlrev_b32_e32 v19, 4, v0
	v_mbcnt_hi_u32_b32 v18, -1, v1
	v_writelane_b32 v166, s1, 10
	v_writelane_b32 v166, s52, 11
	v_and_b32_e32 v2, 0x400, v19
	s_mul_i32 s6, s58, s2
	v_writelane_b32 v166, s53, 12
	v_writelane_b32 v166, s54, 13
	v_or_b32_e32 v72, v18, v2
	v_writelane_b32 v166, s55, 14
	s_lshl_b64 s[0:1], s[6:7], 1
	v_lshrrev_b32_e32 v1, 5, v72
	v_writelane_b32 v166, s56, 15
	s_add_u32 s11, s40, s0
	s_mul_i32 s6, s3, s61
	v_and_b32_e32 v1, 34, v1
	v_writelane_b32 v166, s57, 16
	s_addc_u32 s12, s41, s1
	s_lshl_b64 s[0:1], s[6:7], 1
	v_add_u32_e32 v3, 64, v72
	v_or_b32_e32 v4, 0x80, v72
	v_add_u32_e32 v5, 0xc0, v72
	v_add_u32_e32 v1, v1, v72
	v_writelane_b32 v166, s58, 17
	s_add_u32 s0, s11, s0
	v_lshl_add_u32 v88, v1, 1, 0
	v_lshrrev_b32_e32 v1, 5, v3
	v_lshrrev_b32_e32 v3, 5, v4
	;; [unrolled: 1-line block ×3, first 2 shown]
	v_writelane_b32 v166, s59, 18
	s_addc_u32 s1, s12, s1
	v_or_b32_e32 v75, 0x100, v72
	v_and_b32_e32 v4, 46, v4
	v_writelane_b32 v166, s0, 19
	s_mul_i32 s6, s10, s16
	v_add_lshl_u32 v8, v4, v72, 1
	v_lshrrev_b32_e32 v4, 5, v75
	v_writelane_b32 v166, s1, 20
	s_lshl_b64 s[0:1], s[6:7], 1
	v_add_u32_e32 v6, 0x140, v72
	v_and_b32_e32 v4, 42, v4
	s_add_u32 s3, s24, s0
	s_mul_i32 s6, s17, s8
	v_add_lshl_u32 v9, v4, v72, 1
	v_lshrrev_b32_e32 v4, 5, v6
	s_addc_u32 s10, s25, s1
	s_lshl_b64 s[0:1], s[6:7], 1
	v_or_b32_e32 v78, 0x180, v72
	v_and_b32_e32 v4, 46, v4
	s_add_u32 s0, s3, s0
	v_add_lshl_u32 v10, v4, v72, 1
	v_lshrrev_b32_e32 v4, 5, v78
	v_writelane_b32 v166, s0, 21
	s_addc_u32 s0, s10, s1
	v_add_u32_e32 v79, 0x1c0, v72
	v_and_b32_e32 v4, 46, v4
	v_writelane_b32 v166, s0, 22
	s_add_i32 s0, s18, 0x7ff
	v_add_lshl_u32 v11, v4, v72, 1
	v_lshrrev_b32_e32 v4, 5, v79
	s_lshr_b32 s0, s0, 11
	v_or_b32_e32 v80, 0x200, v72
	v_and_b32_e32 v4, 62, v4
	v_add_lshl_u32 v12, v4, v72, 1
	v_lshrrev_b32_e32 v4, 5, v80
	s_bitcmp1_b32 s9, 0
	v_add_u32_e32 v81, 0x240, v72
	v_and_b32_e32 v4, 50, v4
	s_cselect_b64 s[10:11], -1, 0
	v_add_lshl_u32 v13, v4, v72, 1
	v_lshrrev_b32_e32 v4, 5, v81
	v_writelane_b32 v166, s10, 23
	s_cmp_gt_i32 s19, 0
	v_or_b32_e32 v82, 0x280, v72
	v_and_b32_e32 v4, 54, v4
	v_writelane_b32 v166, s11, 24
	s_cselect_b64 s[10:11], -1, 0
	v_add_lshl_u32 v14, v4, v72, 1
	v_lshrrev_b32_e32 v4, 5, v82
	v_writelane_b32 v166, s10, 25
	v_add_u32_e32 v83, 0x2c0, v72
	v_and_b32_e32 v4, 54, v4
	v_writelane_b32 v166, s11, 26
	v_add_lshl_u32 v15, v4, v72, 1
	v_lshrrev_b32_e32 v4, 5, v83
	v_writelane_b32 v166, s18, 27
	v_or_b32_e32 v84, 0x300, v72
	v_and_b32_e32 v4, 62, v4
	v_writelane_b32 v166, s19, 28
	v_add_lshl_u32 v26, v4, v72, 1
	v_lshrrev_b32_e32 v4, 5, v84
	v_writelane_b32 v166, s0, 29
	s_add_i32 s0, s0, -1
	s_mul_i32 s6, s20, s2
	v_add_u32_e32 v85, 0x340, v72
	v_and_b32_e32 v4, 58, v4
	s_add_i32 s9, 0, 0x1080
	s_and_b32 s10, s18, 0x7ff
	v_writelane_b32 v166, s0, 30
	s_lshl_b64 s[0:1], s[6:7], 1
	v_add_lshl_u32 v27, v4, v72, 1
	v_lshrrev_b32_e32 v4, 5, v85
	s_add_u32 s3, s50, s0
	s_mul_i32 s6, s21, s8
	v_or_b32_e32 v86, 0x380, v72
	v_and_b32_e32 v4, 62, v4
	s_addc_u32 s11, s51, s1
	s_lshl_b64 s[0:1], s[6:7], 1
	v_add_lshl_u32 v28, v4, v72, 1
	v_lshrrev_b32_e32 v4, 5, v86
	s_add_u32 s12, s3, s0
	s_mul_i32 s6, s66, s2
	v_writelane_b32 v166, s60, 31
	v_and_b32_e32 v4, 62, v4
	s_addc_u32 s13, s11, s1
	s_lshl_b64 s[0:1], s[6:7], 1
	v_writelane_b32 v166, s61, 32
	v_add_lshl_u32 v29, v4, v72, 1
	v_and_b32_e32 v4, 64, v0
	s_add_u32 s3, s26, s0
	v_writelane_b32 v166, s62, 33
	s_mul_i32 s6, s67, s8
	v_add_u16_e32 v6, v18, v4
	s_addc_u32 s11, s27, s1
	v_writelane_b32 v166, s63, 34
	s_lshl_b64 s[0:1], s[6:7], 1
	v_lshrrev_b16_e32 v6, 1, v6
	v_writelane_b32 v166, s64, 35
	s_add_u32 s14, s3, s0
	s_mul_i32 s6, s22, s2
	v_add_lshl_u32 v5, v18, v4, 4
	v_and_b32_e32 v6, 0x7e, v6
	v_writelane_b32 v166, s65, 36
	s_addc_u32 s15, s11, s1
	s_lshl_b64 s[0:1], s[6:7], 1
	v_add_lshl_u32 v30, v6, v5, 1
	v_writelane_b32 v166, s66, 37
	s_add_u32 s2, s4, s0
	v_and_b32_e32 v5, 15, v18
	v_writelane_b32 v166, s67, 38
	s_addc_u32 s3, s5, s1
	v_cmp_lt_u32_e64 s[4:5], 1, v5
	s_mul_i32 s6, s23, s8
	s_lshl_b64 s[0:1], s[6:7], 1
	v_writelane_b32 v166, s4, 39
	s_add_u32 s2, s2, s0
	s_addc_u32 s3, s3, s1
	v_writelane_b32 v166, s5, 40
	v_cmp_lt_u32_e64 s[4:5], 3, v5
	v_cmp_eq_u32_e64 s[0:1], 0, v5
	v_or_b32_e32 v4, 63, v4
	v_writelane_b32 v166, s4, 41
	v_mov_b32_e32 v17, 0
	v_lshlrev_b32_e32 v16, 1, v18
	v_writelane_b32 v166, s5, 42
	v_cmp_lt_u32_e64 s[4:5], 7, v5
	v_and_b32_e32 v5, 16, v18
	v_lshlrev_b32_e32 v6, 1, v2
	v_writelane_b32 v166, s4, 43
	v_mov_b32_e32 v7, v17
	s_cmp_eq_u32 s10, 0
	v_writelane_b32 v166, s5, 44
	v_cmp_ne_u32_e64 s[4:5], 0, v5
	v_add_u32_e32 v87, 0x3c0, v72
	v_and_b32_e32 v1, 38, v1
	v_writelane_b32 v166, s4, 45
	v_add_lshl_u32 v1, v1, v72, 1
	v_add_u32_e32 v89, 0, v1
	v_writelane_b32 v166, s5, 46
	v_cmp_eq_u32_e64 s[4:5], v4, v0
	v_and_b32_e32 v4, 1, v18
	v_and_b32_e32 v3, 38, v3
	v_writelane_b32 v166, s4, 47
	v_add_u32_e32 v101, s9, v1
	v_lshrrev_b32_e32 v1, 3, v0
	v_writelane_b32 v166, s5, 48
	v_cmp_eq_u32_e64 s[4:5], 0, v4
	v_lshl_add_u64 v[4:5], s[12:13], 0, v[16:17]
	v_lshl_add_u64 v[20:21], v[4:5], 0, v[6:7]
	v_writelane_b32 v166, s4, 49
	v_lshl_add_u64 v[4:5], s[14:15], 0, v[16:17]
	v_lshl_add_u64 v[22:23], v[4:5], 0, v[6:7]
	v_writelane_b32 v166, s5, 50
	v_lshl_add_u64 v[4:5], s[2:3], 0, v[16:17]
	s_cselect_b64 s[2:3], -1, 0
	v_writelane_b32 v166, s2, 51
	v_lshl_add_u64 v[24:25], v[4:5], 0, v[6:7]
	v_add_u32_e32 v4, -1, v18
	v_writelane_b32 v166, s3, 52
	v_cmp_lt_u32_e64 s[2:3], 31, v18
	v_and_b32_e32 v5, 64, v18
	v_lshrrev_b32_e32 v6, 5, v87
	v_writelane_b32 v166, s2, 53
	v_and_b32_e32 v6, 0x7e, v6
	v_cmp_lt_i32_e32 vcc, v4, v5
	v_writelane_b32 v166, s3, 54
	v_cmp_gt_u32_e64 s[2:3], 2, v0
	v_add_lshl_u32 v3, v3, v72, 1
	v_add_lshl_u32 v6, v6, v72, 1
	v_writelane_b32 v166, s2, 55
	v_and_b32_e32 v1, 8, v1
	v_cmp_lt_u32_e64 s[20:21], 63, v0
	v_writelane_b32 v166, s3, 56
	v_cmp_gt_u32_e64 s[2:3], 64, v0
	v_cmp_eq_u32_e64 s[22:23], 0, v0
	v_lshl_add_u32 v122, v0, 3, 0
	v_writelane_b32 v166, s2, 57
	v_cndmask_b32_e32 v0, v4, v18, vcc
	v_add_u32_e32 v90, 0, v3
	v_writelane_b32 v166, s3, 58
	s_add_i32 s2, 0, 0x2110
	v_add_u32_e32 v91, 0, v8
	v_add_u32_e32 v92, 0, v9
	;; [unrolled: 1-line block ×30, first 2 shown]
	v_lshlrev_b32_e32 v123, 2, v0
	v_cmp_eq_u32_e64 s[24:25], 0, v18
	v_lshlrev_b32_e32 v26, 1, v2
	s_mov_b32 s6, 0x41a00000
	s_mov_b32 s8, 0x3fb8aa3b
	;; [unrolled: 1-line block ×8, first 2 shown]
	v_writelane_b32 v166, s2, 59
	s_mov_b32 s33, 0xc2fc0000
	s_mov_b32 s3, 0
	v_mov_b32_e32 v139, 0x3ecc95a3
	v_mov_b32_e32 v140, 0x7f800000
	;; [unrolled: 1-line block ×5, first 2 shown]
                                        ; implicit-def: $vgpr0
	s_branch .LBB93_13
.LBB93_12:                              ;   in Loop: Header=BB93_13 Depth=1
	s_or_b64 exec, exec, s[2:3]
	v_readlane_b32 s2, v166, 5
	v_readlane_b32 s3, v166, 6
	s_add_u32 s2, s2, 0x1000
	s_addc_u32 s3, s3, 0
	v_writelane_b32 v166, s2, 5
	s_nop 1
	v_writelane_b32 v166, s3, 6
	s_nop 0
	v_readlane_b32 s28, v166, 63
	v_readlane_b32 s29, v167, 0
	s_add_u32 s28, s28, 0x1000
	s_addc_u32 s29, s29, 0
	v_readlane_b32 s2, v166, 9
	v_readlane_b32 s3, v166, 10
	s_add_u32 s2, s2, 0x1000
	s_addc_u32 s3, s3, 0
	v_writelane_b32 v166, s2, 9
	s_nop 1
	v_writelane_b32 v166, s3, 10
	s_nop 0
	v_readlane_b32 s2, v166, 19
	v_readlane_b32 s3, v166, 20
	s_add_u32 s2, s2, 0x1000
	s_addc_u32 s3, s3, 0
	v_writelane_b32 v166, s2, 19
	s_nop 1
	v_writelane_b32 v166, s3, 20
	s_nop 0
	v_readlane_b32 s3, v166, 60
	s_add_i32 s3, s3, 1
	v_readlane_b32 s2, v166, 29
	s_cmp_lg_u32 s3, s2
	s_cbranch_scc0 .LBB93_302
.LBB93_13:                              ; =>This Loop Header: Depth=1
                                        ;     Child Loop BB93_110 Depth 2
	v_writelane_b32 v166, s3, 60
	s_lshl_b32 s16, s3, 11
	v_readlane_b32 s2, v166, 27
	s_mov_b32 s4, s16
	v_readlane_b32 s3, v166, 28
	v_writelane_b32 v166, s4, 61
	s_waitcnt lgkmcnt(14)
	v_lshlrev_b32_e32 v16, 1, v18
	s_sub_i32 s88, s2, s16
	v_writelane_b32 v166, s5, 62
                                        ; implicit-def: $vgpr167 : SGPR spill to VGPR lane
	v_writelane_b32 v166, s28, 63
	v_mov_b32_e32 v27, v17
	v_cmp_gt_u32_e64 s[26:27], s88, v72
	v_lshl_add_u64 v[0:1], s[28:29], 0, v[16:17]
	v_writelane_b32 v167, s29, 0
	v_lshl_add_u64 v[0:1], v[0:1], 0, v[26:27]
	s_waitcnt lgkmcnt(0)
	v_mov_b32_e32 v2, 0
	s_barrier
	s_and_saveexec_b64 s[2:3], s[26:27]
	s_cbranch_execz .LBB93_15
; %bb.14:                               ;   in Loop: Header=BB93_13 Depth=1
	global_load_ushort v2, v[0:1], off
.LBB93_15:                              ;   in Loop: Header=BB93_13 Depth=1
	s_or_b64 exec, exec, s[2:3]
	v_add_u32_e32 v3, 64, v72
	v_cmp_gt_u32_e64 s[28:29], s88, v3
	v_mov_b32_e32 v3, 0
	v_mov_b32_e32 v4, 0
	s_and_saveexec_b64 s[2:3], s[28:29]
	s_cbranch_execz .LBB93_17
; %bb.16:                               ;   in Loop: Header=BB93_13 Depth=1
	global_load_ushort v4, v[0:1], off offset:128
.LBB93_17:                              ;   in Loop: Header=BB93_13 Depth=1
	s_or_b64 exec, exec, s[2:3]
	v_or_b32_e32 v5, 0x80, v72
	v_cmp_gt_u32_e64 s[30:31], s88, v5
	s_and_saveexec_b64 s[2:3], s[30:31]
	s_cbranch_execz .LBB93_19
; %bb.18:                               ;   in Loop: Header=BB93_13 Depth=1
	global_load_ushort v3, v[0:1], off offset:256
.LBB93_19:                              ;   in Loop: Header=BB93_13 Depth=1
	s_or_b64 exec, exec, s[2:3]
	v_add_u32_e32 v5, 0xc0, v72
	v_cmp_gt_u32_e64 s[34:35], s88, v5
	v_mov_b32_e32 v5, 0
	v_mov_b32_e32 v6, 0
	s_and_saveexec_b64 s[2:3], s[34:35]
	s_cbranch_execz .LBB93_21
; %bb.20:                               ;   in Loop: Header=BB93_13 Depth=1
	global_load_ushort v6, v[0:1], off offset:384
.LBB93_21:                              ;   in Loop: Header=BB93_13 Depth=1
	s_or_b64 exec, exec, s[2:3]
	v_cmp_gt_u32_e64 s[36:37], s88, v75
	s_and_saveexec_b64 s[2:3], s[36:37]
	s_cbranch_execz .LBB93_23
; %bb.22:                               ;   in Loop: Header=BB93_13 Depth=1
	global_load_ushort v5, v[0:1], off offset:512
.LBB93_23:                              ;   in Loop: Header=BB93_13 Depth=1
	s_or_b64 exec, exec, s[2:3]
	v_add_u32_e32 v7, 0x140, v72
	v_cmp_gt_u32_e64 s[38:39], s88, v7
	v_mov_b32_e32 v7, 0
	v_mov_b32_e32 v8, 0
	s_and_saveexec_b64 s[2:3], s[38:39]
	s_cbranch_execz .LBB93_25
; %bb.24:                               ;   in Loop: Header=BB93_13 Depth=1
	global_load_ushort v8, v[0:1], off offset:640
.LBB93_25:                              ;   in Loop: Header=BB93_13 Depth=1
	s_or_b64 exec, exec, s[2:3]
	v_cmp_gt_u32_e64 s[40:41], s88, v78
	s_and_saveexec_b64 s[2:3], s[40:41]
	s_cbranch_execz .LBB93_27
; %bb.26:                               ;   in Loop: Header=BB93_13 Depth=1
	global_load_ushort v7, v[0:1], off offset:768
.LBB93_27:                              ;   in Loop: Header=BB93_13 Depth=1
	s_or_b64 exec, exec, s[2:3]
	v_cmp_gt_u32_e64 s[42:43], s88, v79
	v_mov_b32_e32 v9, 0
	v_mov_b32_e32 v11, 0
	s_and_saveexec_b64 s[2:3], s[42:43]
	s_cbranch_execz .LBB93_29
; %bb.28:                               ;   in Loop: Header=BB93_13 Depth=1
	global_load_ushort v11, v[0:1], off offset:896
.LBB93_29:                              ;   in Loop: Header=BB93_13 Depth=1
	s_or_b64 exec, exec, s[2:3]
	v_cmp_gt_u32_e64 s[44:45], s88, v80
	s_and_saveexec_b64 s[2:3], s[44:45]
	s_cbranch_execz .LBB93_31
; %bb.30:                               ;   in Loop: Header=BB93_13 Depth=1
	global_load_ushort v9, v[0:1], off offset:1024
.LBB93_31:                              ;   in Loop: Header=BB93_13 Depth=1
	s_or_b64 exec, exec, s[2:3]
	;; [unrolled: 16-line block ×5, first 2 shown]
	v_cmp_gt_u32_e64 s[58:59], s88, v87
	v_mov_b32_e32 v10, 0
	v_mov_b32_e32 v30, 0
	s_and_saveexec_b64 s[2:3], s[58:59]
	s_cbranch_execz .LBB93_45
; %bb.44:                               ;   in Loop: Header=BB93_13 Depth=1
	global_load_ushort v30, v[0:1], off offset:1920
.LBB93_45:                              ;   in Loop: Header=BB93_13 Depth=1
	s_or_b64 exec, exec, s[2:3]
	s_waitcnt vmcnt(0)
	ds_write_b16 v88, v2
	ds_write_b16 v89, v4 offset:128
	ds_write_b16 v90, v3 offset:256
	;; [unrolled: 1-line block ×15, first 2 shown]
	; wave barrier
	ds_read_b128 v[0:3], v119
	ds_read_b128 v[4:7], v119 offset:16
	v_readlane_b32 s2, v166, 5
	v_readlane_b32 s3, v166, 6
	v_mov_b32_e32 v27, v17
	s_waitcnt lgkmcnt(0)
	v_lshl_add_u64 v[8:9], s[2:3], 0, v[16:17]
	v_lshl_add_u64 v[8:9], v[8:9], 0, v[26:27]
	s_barrier
	s_and_saveexec_b64 s[2:3], s[26:27]
	s_cbranch_execz .LBB93_47
; %bb.46:                               ;   in Loop: Header=BB93_13 Depth=1
	global_load_ushort v10, v[8:9], off
.LBB93_47:                              ;   in Loop: Header=BB93_13 Depth=1
	s_or_b64 exec, exec, s[2:3]
	v_mov_b32_e32 v11, 0
	v_mov_b32_e32 v12, 0
	s_and_saveexec_b64 s[2:3], s[28:29]
	s_cbranch_execz .LBB93_49
; %bb.48:                               ;   in Loop: Header=BB93_13 Depth=1
	global_load_ushort v12, v[8:9], off offset:128
.LBB93_49:                              ;   in Loop: Header=BB93_13 Depth=1
	s_or_b64 exec, exec, s[2:3]
	s_and_saveexec_b64 s[2:3], s[30:31]
	s_cbranch_execz .LBB93_51
; %bb.50:                               ;   in Loop: Header=BB93_13 Depth=1
	global_load_ushort v11, v[8:9], off offset:256
.LBB93_51:                              ;   in Loop: Header=BB93_13 Depth=1
	s_or_b64 exec, exec, s[2:3]
	v_mov_b32_e32 v13, 0
	v_mov_b32_e32 v14, 0
	s_and_saveexec_b64 s[2:3], s[34:35]
	s_cbranch_execz .LBB93_53
; %bb.52:                               ;   in Loop: Header=BB93_13 Depth=1
	global_load_ushort v14, v[8:9], off offset:384
.LBB93_53:                              ;   in Loop: Header=BB93_13 Depth=1
	s_or_b64 exec, exec, s[2:3]
	s_and_saveexec_b64 s[2:3], s[36:37]
	s_cbranch_execz .LBB93_55
; %bb.54:                               ;   in Loop: Header=BB93_13 Depth=1
	global_load_ushort v13, v[8:9], off offset:512
.LBB93_55:                              ;   in Loop: Header=BB93_13 Depth=1
	s_or_b64 exec, exec, s[2:3]
	v_mov_b32_e32 v15, 0
	v_mov_b32_e32 v27, 0
	s_and_saveexec_b64 s[2:3], s[38:39]
	s_cbranch_execz .LBB93_57
; %bb.56:                               ;   in Loop: Header=BB93_13 Depth=1
	global_load_ushort v27, v[8:9], off offset:640
.LBB93_57:                              ;   in Loop: Header=BB93_13 Depth=1
	s_or_b64 exec, exec, s[2:3]
	s_and_saveexec_b64 s[2:3], s[40:41]
	s_cbranch_execz .LBB93_59
; %bb.58:                               ;   in Loop: Header=BB93_13 Depth=1
	global_load_ushort v15, v[8:9], off offset:768
.LBB93_59:                              ;   in Loop: Header=BB93_13 Depth=1
	s_or_b64 exec, exec, s[2:3]
	v_mov_b32_e32 v29, 0
	v_mov_b32_e32 v30, 0
	s_and_saveexec_b64 s[2:3], s[42:43]
	s_cbranch_execz .LBB93_61
; %bb.60:                               ;   in Loop: Header=BB93_13 Depth=1
	global_load_ushort v30, v[8:9], off offset:896
.LBB93_61:                              ;   in Loop: Header=BB93_13 Depth=1
	s_or_b64 exec, exec, s[2:3]
	s_and_saveexec_b64 s[2:3], s[44:45]
	s_cbranch_execz .LBB93_63
; %bb.62:                               ;   in Loop: Header=BB93_13 Depth=1
	global_load_ushort v29, v[8:9], off offset:1024
.LBB93_63:                              ;   in Loop: Header=BB93_13 Depth=1
	s_or_b64 exec, exec, s[2:3]
	v_mov_b32_e32 v31, 0
	v_mov_b32_e32 v32, 0
	s_and_saveexec_b64 s[2:3], s[46:47]
	s_cbranch_execz .LBB93_65
; %bb.64:                               ;   in Loop: Header=BB93_13 Depth=1
	global_load_ushort v32, v[8:9], off offset:1152
.LBB93_65:                              ;   in Loop: Header=BB93_13 Depth=1
	s_or_b64 exec, exec, s[2:3]
	s_and_saveexec_b64 s[2:3], s[48:49]
	s_cbranch_execz .LBB93_67
; %bb.66:                               ;   in Loop: Header=BB93_13 Depth=1
	global_load_ushort v31, v[8:9], off offset:1280
.LBB93_67:                              ;   in Loop: Header=BB93_13 Depth=1
	s_or_b64 exec, exec, s[2:3]
	v_mov_b32_e32 v33, 0
	v_mov_b32_e32 v34, 0
	s_and_saveexec_b64 s[2:3], s[50:51]
	s_cbranch_execz .LBB93_69
; %bb.68:                               ;   in Loop: Header=BB93_13 Depth=1
	global_load_ushort v34, v[8:9], off offset:1408
.LBB93_69:                              ;   in Loop: Header=BB93_13 Depth=1
	s_or_b64 exec, exec, s[2:3]
	s_and_saveexec_b64 s[2:3], s[52:53]
	s_cbranch_execz .LBB93_71
; %bb.70:                               ;   in Loop: Header=BB93_13 Depth=1
	global_load_ushort v33, v[8:9], off offset:1536
.LBB93_71:                              ;   in Loop: Header=BB93_13 Depth=1
	s_or_b64 exec, exec, s[2:3]
	v_mov_b32_e32 v35, 0
	v_mov_b32_e32 v36, 0
	s_and_saveexec_b64 s[2:3], s[54:55]
	s_cbranch_execnz .LBB93_269
; %bb.72:                               ;   in Loop: Header=BB93_13 Depth=1
	s_or_b64 exec, exec, s[2:3]
	s_and_saveexec_b64 s[2:3], s[56:57]
	s_cbranch_execnz .LBB93_270
.LBB93_73:                              ;   in Loop: Header=BB93_13 Depth=1
	s_or_b64 exec, exec, s[2:3]
	v_mov_b32_e32 v37, 0
	s_and_saveexec_b64 s[2:3], s[58:59]
	s_cbranch_execz .LBB93_75
.LBB93_74:                              ;   in Loop: Header=BB93_13 Depth=1
	global_load_ushort v37, v[8:9], off offset:1920
.LBB93_75:                              ;   in Loop: Header=BB93_13 Depth=1
	s_or_b64 exec, exec, s[2:3]
	s_waitcnt vmcnt(0)
	ds_write_b16 v88, v10
	ds_write_b16 v89, v12 offset:128
	ds_write_b16 v90, v11 offset:256
	;; [unrolled: 1-line block ×15, first 2 shown]
	; wave barrier
	ds_read_b128 v[12:15], v119
	ds_read_b128 v[8:11], v119 offset:16
	v_readlane_b32 s2, v166, 2
	s_waitcnt lgkmcnt(1)
	v_cvt_f32_f16_e32 v27, v12
	v_add_f32_e32 v143, s2, v27
	v_readlane_b32 s2, v166, 23
	v_cmp_ge_f32_e32 vcc, s6, v143
	v_readlane_b32 s3, v166, 24
	s_and_b64 s[2:3], s[2:3], vcc
	s_and_saveexec_b64 s[4:5], s[2:3]
	s_cbranch_execz .LBB93_77
; %bb.76:                               ;   in Loop: Header=BB93_13 Depth=1
	v_mul_f32_e32 v27, 0x3fb8aa3b, v143
	v_rndne_f32_e32 v29, v27
	v_sub_f32_e32 v30, v27, v29
	v_fma_f32 v27, v143, s8, -v27
	v_fmac_f32_e32 v27, 0x32a5705f, v143
	v_add_f32_e32 v27, v30, v27
	v_cvt_i32_f32_e32 v29, v29
	v_exp_f32_e32 v27, v27
	v_cmp_ngt_f32_e32 vcc, s9, v143
	v_ldexp_f32 v27, v27, v29
	s_nop 0
	v_cndmask_b32_e32 v27, 0, v27, vcc
	v_cmp_nlt_f32_e32 vcc, s10, v143
	s_nop 1
	v_cndmask_b32_e32 v46, v140, v27, vcc
	v_add_f32_e32 v27, 1.0, v46
	v_add_f32_e32 v29, -1.0, v27
	v_sub_f32_e32 v30, v29, v27
	v_add_f32_e32 v30, 1.0, v30
	v_sub_f32_e32 v29, v46, v29
	v_add_f32_e32 v29, v29, v30
	v_frexp_mant_f32_e32 v32, v27
	v_cvt_f64_f32_e32 v[30:31], v27
	v_frexp_exp_i32_f64_e32 v30, v[30:31]
	v_cmp_gt_f32_e32 vcc, s12, v32
	v_cmp_gt_f32_e64 s[60:61], s14, v46
	s_nop 0
	v_subbrev_co_u32_e32 v38, vcc, 0, v30, vcc
	v_sub_u32_e32 v30, 0, v38
	v_ldexp_f32 v27, v27, v30
	v_ldexp_f32 v29, v29, v30
	v_add_f32_e32 v30, -1.0, v27
	v_add_f32_e32 v31, 1.0, v30
	v_sub_f32_e32 v31, v27, v31
	v_add_f32_e32 v32, v29, v31
	v_add_f32_e32 v31, 1.0, v27
	v_add_f32_e32 v33, -1.0, v31
	v_sub_f32_e32 v27, v27, v33
	v_add_f32_e32 v27, v29, v27
	v_add_f32_e32 v29, v31, v27
	v_rcp_f32_e32 v39, v29
	v_sub_f32_e32 v31, v31, v29
	v_add_f32_e32 v27, v27, v31
	v_add_f32_e32 v31, v30, v32
	v_sub_f32_e32 v30, v30, v31
	v_mul_f32_e32 v41, v31, v39
	v_add_f32_e32 v40, v32, v30
	v_mul_f32_e32 v32, v29, v41
	v_fma_f32 v34, v41, v29, -v32
	v_fmac_f32_e32 v34, v41, v27
	v_add_f32_e32 v30, v32, v34
	v_sub_f32_e32 v33, v31, v30
	v_pk_add_f32 v[36:37], v[30:31], v[32:33] neg_lo:[0,1] neg_hi:[0,1]
	v_mov_b32_e32 v35, v30
	v_pk_add_f32 v[30:31], v[36:37], v[34:35] neg_lo:[0,1] neg_hi:[0,1]
	v_cmp_eq_f32_e32 vcc, s11, v46
	v_add_f32_e32 v31, v40, v31
	v_add_f32_e32 v30, v30, v31
	;; [unrolled: 1-line block ×3, first 2 shown]
	v_mul_f32_e32 v40, v39, v31
	v_mul_f32_e32 v32, v29, v40
	v_fma_f32 v34, v40, v29, -v32
	v_fmac_f32_e32 v34, v40, v27
	v_sub_f32_e32 v27, v33, v31
	v_add_f32_e32 v27, v30, v27
	v_add_f32_e32 v30, v32, v34
	v_sub_f32_e32 v33, v31, v30
	v_pk_add_f32 v[36:37], v[30:31], v[32:33] neg_lo:[0,1] neg_hi:[0,1]
	v_mov_b32_e32 v35, v30
	v_pk_add_f32 v[30:31], v[36:37], v[34:35] neg_lo:[0,1] neg_hi:[0,1]
	s_or_b64 vcc, s[60:61], vcc
	v_add_f32_e32 v27, v27, v31
	v_add_f32_e32 v27, v30, v27
	;; [unrolled: 1-line block ×4, first 2 shown]
	v_sub_f32_e32 v29, v31, v41
	v_mul_f32_e32 v27, v39, v27
	v_sub_f32_e32 v29, v40, v29
	v_add_f32_e32 v27, v29, v27
	v_add_f32_e32 v32, v31, v27
	v_cvt_f32_i32_e32 v30, v38
	v_mul_f32_e32 v34, v32, v32
	v_fmamk_f32 v29, v34, 0x3e9b6dac, v139
	v_sub_f32_e32 v31, v32, v31
	v_fmaak_f32 v29, v34, v29, 0x3f2aaada
	v_sub_f32_e32 v27, v27, v31
	v_mul_f32_e32 v31, v32, v34
	v_pk_mul_f32 v[34:35], v[30:31], v[28:29]
	v_ldexp_f32 v33, v32, 1
	v_fma_f32 v32, v30, s13, -v34
	v_fmac_f32_e32 v32, 0xb102e308, v30
	v_pk_add_f32 v[30:31], v[34:35], v[32:33]
	v_ldexp_f32 v27, v27, 1
	v_sub_f32_e32 v29, v31, v33
	v_sub_f32_e32 v29, v35, v29
	v_add_f32_e32 v37, v27, v29
	v_mov_b32_e32 v36, v34
	v_pk_add_f32 v[34:35], v[30:31], v[34:35] neg_lo:[0,1] neg_hi:[0,1]
	v_pk_add_f32 v[38:39], v[30:31], v[36:37]
	v_mov_b32_e32 v33, v30
	v_mov_b32_e32 v35, v39
	v_pk_add_f32 v[40:41], v[32:33], v[34:35] neg_lo:[0,1] neg_hi:[0,1]
	v_pk_add_f32 v[32:33], v[32:33], v[34:35]
	v_mov_b32_e32 v36, v37
	v_mov_b32_e32 v34, v33
	v_pk_add_f32 v[42:43], v[34:35], v[30:31] neg_lo:[0,1] neg_hi:[0,1]
	v_mov_b32_e32 v32, v39
	v_mov_b32_e32 v27, v42
	v_pk_add_f32 v[44:45], v[38:39], v[26:27] neg_lo:[0,1] neg_hi:[0,1]
	v_mov_b32_e32 v38, v31
	v_mov_b32_e32 v39, v42
	;; [unrolled: 1-line block ×3, first 2 shown]
	v_pk_add_f32 v[32:33], v[32:33], v[38:39] neg_lo:[0,1] neg_hi:[0,1]
	v_mov_b32_e32 v37, v30
	v_pk_add_f32 v[30:31], v[36:37], v[32:33] neg_lo:[0,1] neg_hi:[0,1]
	v_mov_b32_e32 v44, v40
	v_pk_add_f32 v[32:33], v[44:45], v[30:31]
	s_nop 0
	v_mov_b32_e32 v36, v33
	v_pk_add_f32 v[36:37], v[32:33], v[36:37]
	s_nop 0
	v_pk_add_f32 v[34:35], v[34:35], v[36:37]
	v_mov_b32_e32 v31, v36
	v_mov_b32_e32 v33, v34
	v_pk_add_f32 v[38:39], v[32:33], v[40:41] neg_lo:[0,1] neg_hi:[0,1]
	s_nop 0
	v_sub_f32_e32 v27, v32, v38
	v_pk_add_f32 v[30:31], v[30:31], v[38:39] neg_lo:[0,1] neg_hi:[0,1]
	v_sub_f32_e32 v27, v40, v27
	v_add_f32_e32 v27, v30, v27
	v_add_f32_e32 v27, v27, v31
	;; [unrolled: 1-line block ×3, first 2 shown]
	v_cndmask_b32_e32 v143, v27, v46, vcc
.LBB93_77:                              ;   in Loop: Header=BB93_13 Depth=1
	s_or_b64 exec, exec, s[4:5]
	v_cvt_f32_f16_sdwa v12, v12 dst_sel:DWORD dst_unused:UNUSED_PAD src0_sel:WORD_1
	v_readlane_b32 s2, v166, 2
	s_nop 1
	v_add_f32_e32 v144, s2, v12
	v_readlane_b32 s2, v166, 23
	v_cmp_ge_f32_e32 vcc, s6, v144
	v_readlane_b32 s3, v166, 24
	s_and_b64 s[2:3], s[2:3], vcc
	s_and_saveexec_b64 s[4:5], s[2:3]
	s_cbranch_execz .LBB93_79
; %bb.78:                               ;   in Loop: Header=BB93_13 Depth=1
	v_mul_f32_e32 v12, 0x3fb8aa3b, v144
	v_rndne_f32_e32 v27, v12
	v_sub_f32_e32 v29, v12, v27
	v_fma_f32 v12, v144, s8, -v12
	v_fmac_f32_e32 v12, 0x32a5705f, v144
	v_add_f32_e32 v12, v29, v12
	v_cvt_i32_f32_e32 v27, v27
	v_exp_f32_e32 v12, v12
	v_cmp_ngt_f32_e32 vcc, s9, v144
	v_ldexp_f32 v12, v12, v27
	s_nop 0
	v_cndmask_b32_e32 v12, 0, v12, vcc
	v_cmp_nlt_f32_e32 vcc, s10, v144
	s_nop 1
	v_cndmask_b32_e32 v44, v140, v12, vcc
	v_add_f32_e32 v12, 1.0, v44
	v_add_f32_e32 v27, -1.0, v12
	v_sub_f32_e32 v29, v27, v12
	v_add_f32_e32 v29, 1.0, v29
	v_sub_f32_e32 v27, v44, v27
	v_add_f32_e32 v27, v27, v29
	v_frexp_mant_f32_e32 v29, v12
	v_cvt_f64_f32_e32 v[30:31], v12
	v_frexp_exp_i32_f64_e32 v30, v[30:31]
	v_cmp_gt_f32_e32 vcc, s12, v29
	v_cmp_gt_f32_e64 s[60:61], s14, v44
	s_nop 0
	v_subbrev_co_u32_e32 v38, vcc, 0, v30, vcc
	v_sub_u32_e32 v29, 0, v38
	v_ldexp_f32 v12, v12, v29
	v_ldexp_f32 v27, v27, v29
	v_add_f32_e32 v29, -1.0, v12
	v_add_f32_e32 v31, 1.0, v12
	v_add_f32_e32 v30, 1.0, v29
	v_add_f32_e32 v32, -1.0, v31
	v_sub_f32_e32 v30, v12, v30
	v_sub_f32_e32 v12, v12, v32
	v_add_f32_e32 v12, v27, v12
	v_add_f32_e32 v30, v27, v30
	v_add_f32_e32 v27, v31, v12
	v_rcp_f32_e32 v39, v27
	v_sub_f32_e32 v31, v31, v27
	v_add_f32_e32 v12, v12, v31
	v_add_f32_e32 v31, v29, v30
	v_mul_f32_e32 v40, v31, v39
	v_mul_f32_e32 v32, v27, v40
	v_fma_f32 v34, v40, v27, -v32
	v_sub_f32_e32 v29, v29, v31
	v_fmac_f32_e32 v34, v40, v12
	v_add_f32_e32 v29, v30, v29
	v_add_f32_e32 v30, v32, v34
	v_sub_f32_e32 v33, v31, v30
	v_pk_add_f32 v[36:37], v[30:31], v[32:33] neg_lo:[0,1] neg_hi:[0,1]
	v_mov_b32_e32 v35, v30
	v_pk_add_f32 v[30:31], v[36:37], v[34:35] neg_lo:[0,1] neg_hi:[0,1]
	v_cmp_eq_f32_e32 vcc, s11, v44
	v_add_f32_e32 v29, v29, v31
	v_add_f32_e32 v29, v30, v29
	v_add_f32_e32 v31, v33, v29
	v_mul_f32_e32 v41, v39, v31
	v_mul_f32_e32 v32, v27, v41
	v_fma_f32 v34, v41, v27, -v32
	v_fmac_f32_e32 v34, v41, v12
	v_add_f32_e32 v30, v32, v34
	v_sub_f32_e32 v12, v33, v31
	v_sub_f32_e32 v33, v31, v30
	v_pk_add_f32 v[36:37], v[30:31], v[32:33] neg_lo:[0,1] neg_hi:[0,1]
	v_mov_b32_e32 v35, v30
	v_add_f32_e32 v12, v29, v12
	v_pk_add_f32 v[30:31], v[36:37], v[34:35] neg_lo:[0,1] neg_hi:[0,1]
	v_add_f32_e32 v27, v40, v41
	v_add_f32_e32 v12, v12, v31
	;; [unrolled: 1-line block ×4, first 2 shown]
	v_sub_f32_e32 v29, v27, v40
	v_mul_f32_e32 v12, v39, v12
	v_sub_f32_e32 v29, v41, v29
	v_add_f32_e32 v12, v29, v12
	v_add_f32_e32 v31, v27, v12
	v_cvt_f32_i32_e32 v30, v38
	v_mul_f32_e32 v32, v31, v31
	v_fmamk_f32 v29, v32, 0x3e9b6dac, v139
	v_fmaak_f32 v29, v32, v29, 0x3f2aaada
	v_sub_f32_e32 v27, v31, v27
	v_ldexp_f32 v33, v31, 1
	v_mul_f32_e32 v31, v31, v32
	v_pk_mul_f32 v[34:35], v[30:31], v[28:29]
	v_sub_f32_e32 v12, v12, v27
	v_fma_f32 v32, v30, s13, -v34
	v_fmac_f32_e32 v32, 0xb102e308, v30
	v_pk_add_f32 v[30:31], v[34:35], v[32:33]
	v_ldexp_f32 v12, v12, 1
	v_sub_f32_e32 v27, v31, v33
	v_sub_f32_e32 v27, v35, v27
	v_add_f32_e32 v37, v12, v27
	v_mov_b32_e32 v36, v34
	v_pk_add_f32 v[34:35], v[30:31], v[34:35] neg_lo:[0,1] neg_hi:[0,1]
	v_pk_add_f32 v[38:39], v[30:31], v[36:37]
	v_mov_b32_e32 v33, v30
	v_mov_b32_e32 v35, v39
	v_pk_add_f32 v[40:41], v[32:33], v[34:35] neg_lo:[0,1] neg_hi:[0,1]
	v_pk_add_f32 v[32:33], v[32:33], v[34:35]
	s_or_b64 vcc, s[60:61], vcc
	v_mov_b32_e32 v12, v33
	v_pk_add_f32 v[34:35], v[12:13], v[30:31] neg_lo:[0,1] neg_hi:[0,1]
	v_mov_b32_e32 v32, v39
	v_mov_b32_e32 v27, v34
	v_pk_add_f32 v[42:43], v[38:39], v[26:27] neg_lo:[0,1] neg_hi:[0,1]
	v_mov_b32_e32 v38, v31
	v_mov_b32_e32 v39, v34
	;; [unrolled: 1-line block ×3, first 2 shown]
	v_pk_add_f32 v[32:33], v[32:33], v[38:39] neg_lo:[0,1] neg_hi:[0,1]
	v_mov_b32_e32 v34, v37
	v_mov_b32_e32 v35, v30
	v_pk_add_f32 v[30:31], v[34:35], v[32:33] neg_lo:[0,1] neg_hi:[0,1]
	v_mov_b32_e32 v42, v40
	v_pk_add_f32 v[32:33], v[42:43], v[30:31]
	s_nop 0
	v_mov_b32_e32 v34, v33
	v_pk_add_f32 v[34:35], v[32:33], v[34:35]
	s_nop 0
	v_pk_add_f32 v[36:37], v[12:13], v[34:35]
	v_mov_b32_e32 v31, v34
	v_mov_b32_e32 v33, v36
	v_pk_add_f32 v[38:39], v[32:33], v[40:41] neg_lo:[0,1] neg_hi:[0,1]
	s_nop 0
	v_sub_f32_e32 v12, v32, v38
	v_pk_add_f32 v[30:31], v[30:31], v[38:39] neg_lo:[0,1] neg_hi:[0,1]
	v_sub_f32_e32 v12, v40, v12
	v_add_f32_e32 v12, v30, v12
	v_add_f32_e32 v12, v12, v31
	;; [unrolled: 1-line block ×3, first 2 shown]
	v_cndmask_b32_e32 v144, v12, v44, vcc
.LBB93_79:                              ;   in Loop: Header=BB93_13 Depth=1
	s_or_b64 exec, exec, s[4:5]
	v_cvt_f32_f16_e32 v12, v13
	v_readlane_b32 s2, v166, 2
	s_nop 1
	v_add_f32_e32 v145, s2, v12
	v_readlane_b32 s2, v166, 23
	v_cmp_ge_f32_e32 vcc, s6, v145
	v_readlane_b32 s3, v166, 24
	s_and_b64 s[2:3], s[2:3], vcc
	s_and_saveexec_b64 s[4:5], s[2:3]
	s_cbranch_execz .LBB93_81
; %bb.80:                               ;   in Loop: Header=BB93_13 Depth=1
	v_mul_f32_e32 v12, 0x3fb8aa3b, v145
	v_rndne_f32_e32 v27, v12
	v_sub_f32_e32 v29, v12, v27
	v_fma_f32 v12, v145, s8, -v12
	v_fmac_f32_e32 v12, 0x32a5705f, v145
	v_add_f32_e32 v12, v29, v12
	v_cvt_i32_f32_e32 v27, v27
	v_exp_f32_e32 v12, v12
	v_cmp_ngt_f32_e32 vcc, s9, v145
	v_ldexp_f32 v12, v12, v27
	s_nop 0
	v_cndmask_b32_e32 v12, 0, v12, vcc
	v_cmp_nlt_f32_e32 vcc, s10, v145
	s_nop 1
	v_cndmask_b32_e32 v44, v140, v12, vcc
	v_add_f32_e32 v12, 1.0, v44
	v_add_f32_e32 v27, -1.0, v12
	v_sub_f32_e32 v29, v27, v12
	v_add_f32_e32 v29, 1.0, v29
	v_sub_f32_e32 v27, v44, v27
	v_add_f32_e32 v27, v27, v29
	v_frexp_mant_f32_e32 v29, v12
	v_cvt_f64_f32_e32 v[30:31], v12
	v_frexp_exp_i32_f64_e32 v30, v[30:31]
	v_cmp_gt_f32_e32 vcc, s12, v29
	v_cmp_gt_f32_e64 s[60:61], s14, v44
	s_nop 0
	v_subbrev_co_u32_e32 v38, vcc, 0, v30, vcc
	v_sub_u32_e32 v29, 0, v38
	v_ldexp_f32 v12, v12, v29
	v_ldexp_f32 v27, v27, v29
	v_add_f32_e32 v29, -1.0, v12
	v_add_f32_e32 v31, 1.0, v12
	v_add_f32_e32 v30, 1.0, v29
	v_add_f32_e32 v32, -1.0, v31
	v_sub_f32_e32 v30, v12, v30
	v_sub_f32_e32 v12, v12, v32
	v_add_f32_e32 v12, v27, v12
	v_add_f32_e32 v30, v27, v30
	;; [unrolled: 1-line block ×3, first 2 shown]
	v_rcp_f32_e32 v39, v27
	v_sub_f32_e32 v31, v31, v27
	v_add_f32_e32 v12, v12, v31
	v_add_f32_e32 v31, v29, v30
	v_mul_f32_e32 v40, v31, v39
	v_mul_f32_e32 v32, v27, v40
	v_fma_f32 v34, v40, v27, -v32
	v_sub_f32_e32 v29, v29, v31
	v_fmac_f32_e32 v34, v40, v12
	v_add_f32_e32 v29, v30, v29
	v_add_f32_e32 v30, v32, v34
	v_sub_f32_e32 v33, v31, v30
	v_pk_add_f32 v[36:37], v[30:31], v[32:33] neg_lo:[0,1] neg_hi:[0,1]
	v_mov_b32_e32 v35, v30
	v_pk_add_f32 v[30:31], v[36:37], v[34:35] neg_lo:[0,1] neg_hi:[0,1]
	v_cmp_eq_f32_e32 vcc, s11, v44
	v_add_f32_e32 v29, v29, v31
	v_add_f32_e32 v29, v30, v29
	;; [unrolled: 1-line block ×3, first 2 shown]
	v_mul_f32_e32 v41, v39, v31
	v_mul_f32_e32 v32, v27, v41
	v_fma_f32 v34, v41, v27, -v32
	v_fmac_f32_e32 v34, v41, v12
	v_add_f32_e32 v30, v32, v34
	v_sub_f32_e32 v12, v33, v31
	v_sub_f32_e32 v33, v31, v30
	v_pk_add_f32 v[36:37], v[30:31], v[32:33] neg_lo:[0,1] neg_hi:[0,1]
	v_mov_b32_e32 v35, v30
	v_add_f32_e32 v12, v29, v12
	v_pk_add_f32 v[30:31], v[36:37], v[34:35] neg_lo:[0,1] neg_hi:[0,1]
	v_add_f32_e32 v27, v40, v41
	v_add_f32_e32 v12, v12, v31
	;; [unrolled: 1-line block ×4, first 2 shown]
	v_sub_f32_e32 v29, v27, v40
	v_mul_f32_e32 v12, v39, v12
	v_sub_f32_e32 v29, v41, v29
	v_add_f32_e32 v12, v29, v12
	v_add_f32_e32 v31, v27, v12
	v_cvt_f32_i32_e32 v30, v38
	v_mul_f32_e32 v32, v31, v31
	v_fmamk_f32 v29, v32, 0x3e9b6dac, v139
	v_fmaak_f32 v29, v32, v29, 0x3f2aaada
	v_sub_f32_e32 v27, v31, v27
	v_ldexp_f32 v33, v31, 1
	v_mul_f32_e32 v31, v31, v32
	v_pk_mul_f32 v[34:35], v[30:31], v[28:29]
	v_sub_f32_e32 v12, v12, v27
	v_fma_f32 v32, v30, s13, -v34
	v_fmac_f32_e32 v32, 0xb102e308, v30
	v_pk_add_f32 v[30:31], v[34:35], v[32:33]
	v_ldexp_f32 v12, v12, 1
	v_sub_f32_e32 v27, v31, v33
	v_sub_f32_e32 v27, v35, v27
	v_add_f32_e32 v37, v12, v27
	v_mov_b32_e32 v36, v34
	v_pk_add_f32 v[34:35], v[30:31], v[34:35] neg_lo:[0,1] neg_hi:[0,1]
	v_pk_add_f32 v[38:39], v[30:31], v[36:37]
	v_mov_b32_e32 v33, v30
	v_mov_b32_e32 v35, v39
	v_pk_add_f32 v[40:41], v[32:33], v[34:35] neg_lo:[0,1] neg_hi:[0,1]
	v_pk_add_f32 v[32:33], v[32:33], v[34:35]
	s_or_b64 vcc, s[60:61], vcc
	v_mov_b32_e32 v12, v33
	v_pk_add_f32 v[34:35], v[12:13], v[30:31] neg_lo:[0,1] neg_hi:[0,1]
	v_mov_b32_e32 v32, v39
	v_mov_b32_e32 v27, v34
	v_pk_add_f32 v[42:43], v[38:39], v[26:27] neg_lo:[0,1] neg_hi:[0,1]
	v_mov_b32_e32 v38, v31
	v_mov_b32_e32 v39, v34
	;; [unrolled: 1-line block ×3, first 2 shown]
	v_pk_add_f32 v[32:33], v[32:33], v[38:39] neg_lo:[0,1] neg_hi:[0,1]
	v_mov_b32_e32 v34, v37
	v_mov_b32_e32 v35, v30
	v_pk_add_f32 v[30:31], v[34:35], v[32:33] neg_lo:[0,1] neg_hi:[0,1]
	v_mov_b32_e32 v42, v40
	v_pk_add_f32 v[32:33], v[42:43], v[30:31]
	s_nop 0
	v_mov_b32_e32 v34, v33
	v_pk_add_f32 v[34:35], v[32:33], v[34:35]
	s_nop 0
	v_pk_add_f32 v[36:37], v[12:13], v[34:35]
	v_mov_b32_e32 v31, v34
	v_mov_b32_e32 v33, v36
	v_pk_add_f32 v[38:39], v[32:33], v[40:41] neg_lo:[0,1] neg_hi:[0,1]
	s_nop 0
	v_sub_f32_e32 v12, v32, v38
	v_pk_add_f32 v[30:31], v[30:31], v[38:39] neg_lo:[0,1] neg_hi:[0,1]
	v_sub_f32_e32 v12, v40, v12
	v_add_f32_e32 v12, v30, v12
	v_add_f32_e32 v12, v12, v31
	v_add_f32_e32 v12, v36, v12
	v_cndmask_b32_e32 v145, v12, v44, vcc
.LBB93_81:                              ;   in Loop: Header=BB93_13 Depth=1
	s_or_b64 exec, exec, s[4:5]
	v_cvt_f32_f16_sdwa v12, v13 dst_sel:DWORD dst_unused:UNUSED_PAD src0_sel:WORD_1
	v_readlane_b32 s2, v166, 2
	s_nop 1
	v_add_f32_e32 v146, s2, v12
	v_readlane_b32 s2, v166, 23
	v_cmp_ge_f32_e32 vcc, s6, v146
	v_readlane_b32 s3, v166, 24
	s_and_b64 s[2:3], s[2:3], vcc
	s_and_saveexec_b64 s[4:5], s[2:3]
	s_cbranch_execz .LBB93_83
; %bb.82:                               ;   in Loop: Header=BB93_13 Depth=1
	v_mul_f32_e32 v12, 0x3fb8aa3b, v146
	v_rndne_f32_e32 v13, v12
	v_sub_f32_e32 v27, v12, v13
	v_fma_f32 v12, v146, s8, -v12
	v_fmac_f32_e32 v12, 0x32a5705f, v146
	v_add_f32_e32 v12, v27, v12
	v_cvt_i32_f32_e32 v13, v13
	v_exp_f32_e32 v12, v12
	v_cmp_ngt_f32_e32 vcc, s9, v146
	v_ldexp_f32 v12, v12, v13
	s_nop 0
	v_cndmask_b32_e32 v12, 0, v12, vcc
	v_cmp_nlt_f32_e32 vcc, s10, v146
	s_nop 1
	v_cndmask_b32_e32 v44, v140, v12, vcc
	v_add_f32_e32 v27, 1.0, v44
	v_add_f32_e32 v12, -1.0, v27
	v_sub_f32_e32 v13, v12, v27
	v_add_f32_e32 v13, 1.0, v13
	v_sub_f32_e32 v12, v44, v12
	v_add_f32_e32 v29, v12, v13
	v_frexp_mant_f32_e32 v30, v27
	v_cvt_f64_f32_e32 v[12:13], v27
	v_frexp_exp_i32_f64_e32 v12, v[12:13]
	v_cmp_gt_f32_e32 vcc, s12, v30
	v_cmp_gt_f32_e64 s[60:61], s14, v44
	s_nop 0
	v_subbrev_co_u32_e32 v36, vcc, 0, v12, vcc
	v_sub_u32_e32 v12, 0, v36
	v_ldexp_f32 v13, v27, v12
	v_add_f32_e32 v27, -1.0, v13
	v_add_f32_e32 v30, 1.0, v13
	v_ldexp_f32 v12, v29, v12
	v_add_f32_e32 v29, 1.0, v27
	v_add_f32_e32 v31, -1.0, v30
	v_sub_f32_e32 v29, v13, v29
	v_sub_f32_e32 v13, v13, v31
	v_add_f32_e32 v29, v12, v29
	v_add_f32_e32 v12, v12, v13
	;; [unrolled: 1-line block ×3, first 2 shown]
	v_rcp_f32_e32 v39, v37
	v_sub_f32_e32 v13, v30, v37
	v_add_f32_e32 v38, v12, v13
	v_add_f32_e32 v13, v27, v29
	v_sub_f32_e32 v12, v27, v13
	v_add_f32_e32 v27, v29, v12
	v_mul_f32_e32 v29, v13, v39
	v_mul_f32_e32 v30, v37, v29
	v_fma_f32 v32, v29, v37, -v30
	v_fmac_f32_e32 v32, v29, v38
	v_add_f32_e32 v12, v30, v32
	v_sub_f32_e32 v31, v13, v12
	v_pk_add_f32 v[34:35], v[12:13], v[30:31] neg_lo:[0,1] neg_hi:[0,1]
	v_mov_b32_e32 v33, v12
	v_pk_add_f32 v[12:13], v[34:35], v[32:33] neg_lo:[0,1] neg_hi:[0,1]
	v_cmp_eq_f32_e32 vcc, s11, v44
	v_add_f32_e32 v13, v27, v13
	v_add_f32_e32 v12, v12, v13
	;; [unrolled: 1-line block ×3, first 2 shown]
	v_mul_f32_e32 v27, v39, v13
	v_mul_f32_e32 v30, v37, v27
	v_fma_f32 v32, v27, v37, -v30
	v_fmac_f32_e32 v32, v27, v38
	v_sub_f32_e32 v31, v31, v13
	v_add_f32_e32 v37, v12, v31
	v_add_f32_e32 v12, v30, v32
	v_sub_f32_e32 v31, v13, v12
	v_pk_add_f32 v[34:35], v[12:13], v[30:31] neg_lo:[0,1] neg_hi:[0,1]
	v_mov_b32_e32 v33, v12
	v_pk_add_f32 v[12:13], v[34:35], v[32:33] neg_lo:[0,1] neg_hi:[0,1]
	s_or_b64 vcc, s[60:61], vcc
	v_add_f32_e32 v13, v37, v13
	v_add_f32_e32 v12, v12, v13
	;; [unrolled: 1-line block ×4, first 2 shown]
	v_sub_f32_e32 v29, v13, v29
	v_mul_f32_e32 v12, v39, v12
	v_sub_f32_e32 v27, v27, v29
	v_add_f32_e32 v27, v27, v12
	v_add_f32_e32 v30, v13, v27
	v_mul_f32_e32 v32, v30, v30
	v_fmamk_f32 v12, v32, 0x3e9b6dac, v139
	v_fmaak_f32 v29, v32, v12, 0x3f2aaada
	v_cvt_f32_i32_e32 v12, v36
	v_sub_f32_e32 v13, v30, v13
	v_sub_f32_e32 v13, v27, v13
	v_ldexp_f32 v27, v13, 1
	v_mul_f32_e32 v13, v30, v32
	v_pk_mul_f32 v[32:33], v[12:13], v[28:29]
	v_ldexp_f32 v31, v30, 1
	v_fma_f32 v30, v12, s13, -v32
	v_fmac_f32_e32 v30, 0xb102e308, v12
	v_pk_add_f32 v[12:13], v[32:33], v[30:31]
	v_mov_b32_e32 v34, v32
	v_sub_f32_e32 v29, v13, v31
	v_sub_f32_e32 v29, v33, v29
	v_add_f32_e32 v35, v27, v29
	v_pk_add_f32 v[32:33], v[12:13], v[32:33] neg_lo:[0,1] neg_hi:[0,1]
	v_pk_add_f32 v[36:37], v[12:13], v[34:35]
	v_mov_b32_e32 v31, v12
	v_mov_b32_e32 v33, v37
	v_pk_add_f32 v[38:39], v[30:31], v[32:33] neg_lo:[0,1] neg_hi:[0,1]
	v_pk_add_f32 v[30:31], v[30:31], v[32:33]
	v_mov_b32_e32 v34, v35
	v_mov_b32_e32 v32, v31
	v_pk_add_f32 v[40:41], v[32:33], v[12:13] neg_lo:[0,1] neg_hi:[0,1]
	v_mov_b32_e32 v30, v37
	v_mov_b32_e32 v27, v40
	v_pk_add_f32 v[42:43], v[36:37], v[26:27] neg_lo:[0,1] neg_hi:[0,1]
	v_mov_b32_e32 v36, v13
	v_mov_b32_e32 v37, v40
	;; [unrolled: 1-line block ×3, first 2 shown]
	v_pk_add_f32 v[30:31], v[30:31], v[36:37] neg_lo:[0,1] neg_hi:[0,1]
	v_mov_b32_e32 v35, v12
	v_pk_add_f32 v[12:13], v[34:35], v[30:31] neg_lo:[0,1] neg_hi:[0,1]
	v_mov_b32_e32 v42, v38
	v_pk_add_f32 v[30:31], v[42:43], v[12:13]
	s_nop 0
	v_mov_b32_e32 v34, v31
	v_pk_add_f32 v[34:35], v[30:31], v[34:35]
	s_nop 0
	v_pk_add_f32 v[32:33], v[32:33], v[34:35]
	v_mov_b32_e32 v13, v34
	v_mov_b32_e32 v31, v32
	v_pk_add_f32 v[36:37], v[30:31], v[38:39] neg_lo:[0,1] neg_hi:[0,1]
	s_nop 0
	v_sub_f32_e32 v27, v30, v36
	v_pk_add_f32 v[12:13], v[12:13], v[36:37] neg_lo:[0,1] neg_hi:[0,1]
	v_sub_f32_e32 v27, v38, v27
	v_add_f32_e32 v12, v12, v27
	v_add_f32_e32 v12, v12, v13
	;; [unrolled: 1-line block ×3, first 2 shown]
	v_cndmask_b32_e32 v146, v12, v44, vcc
.LBB93_83:                              ;   in Loop: Header=BB93_13 Depth=1
	s_or_b64 exec, exec, s[4:5]
	v_cvt_f32_f16_e32 v12, v14
	v_readlane_b32 s2, v166, 2
	s_nop 1
	v_add_f32_e32 v147, s2, v12
	v_readlane_b32 s2, v166, 23
	v_cmp_ge_f32_e32 vcc, s6, v147
	v_readlane_b32 s3, v166, 24
	s_and_b64 s[2:3], s[2:3], vcc
	s_and_saveexec_b64 s[4:5], s[2:3]
	s_cbranch_execz .LBB93_85
; %bb.84:                               ;   in Loop: Header=BB93_13 Depth=1
	v_mul_f32_e32 v12, 0x3fb8aa3b, v147
	v_rndne_f32_e32 v13, v12
	v_sub_f32_e32 v27, v12, v13
	v_fma_f32 v12, v147, s8, -v12
	v_fmac_f32_e32 v12, 0x32a5705f, v147
	v_add_f32_e32 v12, v27, v12
	v_cvt_i32_f32_e32 v13, v13
	v_exp_f32_e32 v12, v12
	v_cmp_ngt_f32_e32 vcc, s9, v147
	v_ldexp_f32 v12, v12, v13
	s_nop 0
	v_cndmask_b32_e32 v12, 0, v12, vcc
	v_cmp_nlt_f32_e32 vcc, s10, v147
	s_nop 1
	v_cndmask_b32_e32 v44, v140, v12, vcc
	v_add_f32_e32 v27, 1.0, v44
	v_add_f32_e32 v12, -1.0, v27
	v_sub_f32_e32 v13, v12, v27
	v_add_f32_e32 v13, 1.0, v13
	v_sub_f32_e32 v12, v44, v12
	v_add_f32_e32 v29, v12, v13
	v_frexp_mant_f32_e32 v30, v27
	v_cvt_f64_f32_e32 v[12:13], v27
	v_frexp_exp_i32_f64_e32 v12, v[12:13]
	v_cmp_gt_f32_e32 vcc, s12, v30
	v_cmp_gt_f32_e64 s[60:61], s14, v44
	s_nop 0
	v_subbrev_co_u32_e32 v36, vcc, 0, v12, vcc
	v_sub_u32_e32 v12, 0, v36
	v_ldexp_f32 v13, v27, v12
	v_add_f32_e32 v27, -1.0, v13
	v_add_f32_e32 v30, 1.0, v13
	v_ldexp_f32 v12, v29, v12
	v_add_f32_e32 v29, 1.0, v27
	v_add_f32_e32 v31, -1.0, v30
	v_sub_f32_e32 v29, v13, v29
	v_sub_f32_e32 v13, v13, v31
	v_add_f32_e32 v29, v12, v29
	v_add_f32_e32 v12, v12, v13
	;; [unrolled: 1-line block ×3, first 2 shown]
	v_rcp_f32_e32 v39, v37
	v_sub_f32_e32 v13, v30, v37
	v_add_f32_e32 v38, v12, v13
	v_add_f32_e32 v13, v27, v29
	v_sub_f32_e32 v12, v27, v13
	v_add_f32_e32 v27, v29, v12
	v_mul_f32_e32 v29, v13, v39
	v_mul_f32_e32 v30, v37, v29
	v_fma_f32 v32, v29, v37, -v30
	v_fmac_f32_e32 v32, v29, v38
	v_add_f32_e32 v12, v30, v32
	v_sub_f32_e32 v31, v13, v12
	v_pk_add_f32 v[34:35], v[12:13], v[30:31] neg_lo:[0,1] neg_hi:[0,1]
	v_mov_b32_e32 v33, v12
	v_pk_add_f32 v[12:13], v[34:35], v[32:33] neg_lo:[0,1] neg_hi:[0,1]
	v_cmp_eq_f32_e32 vcc, s11, v44
	v_add_f32_e32 v13, v27, v13
	v_add_f32_e32 v12, v12, v13
	;; [unrolled: 1-line block ×3, first 2 shown]
	v_mul_f32_e32 v27, v39, v13
	v_mul_f32_e32 v30, v37, v27
	v_fma_f32 v32, v27, v37, -v30
	v_fmac_f32_e32 v32, v27, v38
	v_sub_f32_e32 v31, v31, v13
	v_add_f32_e32 v37, v12, v31
	v_add_f32_e32 v12, v30, v32
	v_sub_f32_e32 v31, v13, v12
	v_pk_add_f32 v[34:35], v[12:13], v[30:31] neg_lo:[0,1] neg_hi:[0,1]
	v_mov_b32_e32 v33, v12
	v_pk_add_f32 v[12:13], v[34:35], v[32:33] neg_lo:[0,1] neg_hi:[0,1]
	s_or_b64 vcc, s[60:61], vcc
	v_add_f32_e32 v13, v37, v13
	v_add_f32_e32 v12, v12, v13
	;; [unrolled: 1-line block ×4, first 2 shown]
	v_sub_f32_e32 v29, v13, v29
	v_mul_f32_e32 v12, v39, v12
	v_sub_f32_e32 v27, v27, v29
	v_add_f32_e32 v27, v27, v12
	v_add_f32_e32 v30, v13, v27
	v_mul_f32_e32 v32, v30, v30
	v_fmamk_f32 v12, v32, 0x3e9b6dac, v139
	v_fmaak_f32 v29, v32, v12, 0x3f2aaada
	v_cvt_f32_i32_e32 v12, v36
	v_sub_f32_e32 v13, v30, v13
	v_sub_f32_e32 v13, v27, v13
	v_ldexp_f32 v27, v13, 1
	v_mul_f32_e32 v13, v30, v32
	v_pk_mul_f32 v[32:33], v[12:13], v[28:29]
	v_ldexp_f32 v31, v30, 1
	v_fma_f32 v30, v12, s13, -v32
	v_fmac_f32_e32 v30, 0xb102e308, v12
	v_pk_add_f32 v[12:13], v[32:33], v[30:31]
	v_mov_b32_e32 v34, v32
	v_sub_f32_e32 v29, v13, v31
	v_sub_f32_e32 v29, v33, v29
	v_add_f32_e32 v35, v27, v29
	v_pk_add_f32 v[32:33], v[12:13], v[32:33] neg_lo:[0,1] neg_hi:[0,1]
	v_pk_add_f32 v[36:37], v[12:13], v[34:35]
	v_mov_b32_e32 v31, v12
	v_mov_b32_e32 v33, v37
	v_pk_add_f32 v[38:39], v[30:31], v[32:33] neg_lo:[0,1] neg_hi:[0,1]
	v_pk_add_f32 v[30:31], v[30:31], v[32:33]
	v_mov_b32_e32 v34, v35
	v_mov_b32_e32 v32, v31
	v_pk_add_f32 v[40:41], v[32:33], v[12:13] neg_lo:[0,1] neg_hi:[0,1]
	v_mov_b32_e32 v30, v37
	v_mov_b32_e32 v27, v40
	v_pk_add_f32 v[42:43], v[36:37], v[26:27] neg_lo:[0,1] neg_hi:[0,1]
	v_mov_b32_e32 v36, v13
	v_mov_b32_e32 v37, v40
	;; [unrolled: 1-line block ×3, first 2 shown]
	v_pk_add_f32 v[30:31], v[30:31], v[36:37] neg_lo:[0,1] neg_hi:[0,1]
	v_mov_b32_e32 v35, v12
	v_pk_add_f32 v[12:13], v[34:35], v[30:31] neg_lo:[0,1] neg_hi:[0,1]
	v_mov_b32_e32 v42, v38
	v_pk_add_f32 v[30:31], v[42:43], v[12:13]
	s_nop 0
	v_mov_b32_e32 v34, v31
	v_pk_add_f32 v[34:35], v[30:31], v[34:35]
	s_nop 0
	v_pk_add_f32 v[32:33], v[32:33], v[34:35]
	v_mov_b32_e32 v13, v34
	v_mov_b32_e32 v31, v32
	v_pk_add_f32 v[36:37], v[30:31], v[38:39] neg_lo:[0,1] neg_hi:[0,1]
	s_nop 0
	v_sub_f32_e32 v27, v30, v36
	v_pk_add_f32 v[12:13], v[12:13], v[36:37] neg_lo:[0,1] neg_hi:[0,1]
	v_sub_f32_e32 v27, v38, v27
	v_add_f32_e32 v12, v12, v27
	v_add_f32_e32 v12, v12, v13
	;; [unrolled: 1-line block ×3, first 2 shown]
	v_cndmask_b32_e32 v147, v12, v44, vcc
.LBB93_85:                              ;   in Loop: Header=BB93_13 Depth=1
	s_or_b64 exec, exec, s[4:5]
	v_cvt_f32_f16_sdwa v12, v14 dst_sel:DWORD dst_unused:UNUSED_PAD src0_sel:WORD_1
	v_readlane_b32 s2, v166, 2
	s_nop 1
	v_add_f32_e32 v148, s2, v12
	v_readlane_b32 s2, v166, 23
	v_cmp_ge_f32_e32 vcc, s6, v148
	v_readlane_b32 s3, v166, 24
	s_and_b64 s[2:3], s[2:3], vcc
	s_and_saveexec_b64 s[4:5], s[2:3]
	s_cbranch_execz .LBB93_87
; %bb.86:                               ;   in Loop: Header=BB93_13 Depth=1
	v_mul_f32_e32 v12, 0x3fb8aa3b, v148
	v_rndne_f32_e32 v13, v12
	v_sub_f32_e32 v14, v12, v13
	v_fma_f32 v12, v148, s8, -v12
	v_fmac_f32_e32 v12, 0x32a5705f, v148
	v_add_f32_e32 v12, v14, v12
	v_cvt_i32_f32_e32 v13, v13
	v_exp_f32_e32 v12, v12
	v_cmp_ngt_f32_e32 vcc, s9, v148
	v_ldexp_f32 v12, v12, v13
	s_nop 0
	v_cndmask_b32_e32 v12, 0, v12, vcc
	v_cmp_nlt_f32_e32 vcc, s10, v148
	s_nop 1
	v_cndmask_b32_e32 v42, v140, v12, vcc
	v_add_f32_e32 v14, 1.0, v42
	v_add_f32_e32 v12, -1.0, v14
	v_sub_f32_e32 v13, v12, v14
	v_add_f32_e32 v13, 1.0, v13
	v_sub_f32_e32 v12, v42, v12
	v_add_f32_e32 v27, v12, v13
	v_frexp_mant_f32_e32 v29, v14
	v_cvt_f64_f32_e32 v[12:13], v14
	v_frexp_exp_i32_f64_e32 v12, v[12:13]
	v_cmp_gt_f32_e32 vcc, s12, v29
	v_cmp_gt_f32_e64 s[60:61], s14, v42
	s_nop 0
	v_subbrev_co_u32_e32 v36, vcc, 0, v12, vcc
	v_sub_u32_e32 v12, 0, v36
	v_ldexp_f32 v13, v14, v12
	v_add_f32_e32 v14, -1.0, v13
	v_add_f32_e32 v29, 1.0, v13
	v_ldexp_f32 v12, v27, v12
	v_add_f32_e32 v27, 1.0, v14
	v_add_f32_e32 v30, -1.0, v29
	v_sub_f32_e32 v27, v13, v27
	v_sub_f32_e32 v13, v13, v30
	v_add_f32_e32 v27, v12, v27
	v_add_f32_e32 v12, v12, v13
	;; [unrolled: 1-line block ×3, first 2 shown]
	v_rcp_f32_e32 v38, v37
	v_sub_f32_e32 v13, v29, v37
	v_add_f32_e32 v29, v12, v13
	v_add_f32_e32 v13, v14, v27
	v_sub_f32_e32 v12, v14, v13
	v_add_f32_e32 v14, v27, v12
	v_mul_f32_e32 v27, v13, v38
	v_mul_f32_e32 v30, v37, v27
	v_fma_f32 v32, v27, v37, -v30
	v_fmac_f32_e32 v32, v27, v29
	v_add_f32_e32 v12, v30, v32
	v_sub_f32_e32 v31, v13, v12
	v_pk_add_f32 v[34:35], v[12:13], v[30:31] neg_lo:[0,1] neg_hi:[0,1]
	v_mov_b32_e32 v33, v12
	v_pk_add_f32 v[12:13], v[34:35], v[32:33] neg_lo:[0,1] neg_hi:[0,1]
	v_cmp_eq_f32_e32 vcc, s11, v42
	v_add_f32_e32 v13, v14, v13
	v_add_f32_e32 v12, v12, v13
	;; [unrolled: 1-line block ×3, first 2 shown]
	v_mul_f32_e32 v14, v38, v13
	v_mul_f32_e32 v30, v37, v14
	v_fma_f32 v32, v14, v37, -v30
	v_fmac_f32_e32 v32, v14, v29
	v_sub_f32_e32 v29, v31, v13
	v_add_f32_e32 v29, v12, v29
	v_add_f32_e32 v12, v30, v32
	v_sub_f32_e32 v31, v13, v12
	v_pk_add_f32 v[34:35], v[12:13], v[30:31] neg_lo:[0,1] neg_hi:[0,1]
	v_mov_b32_e32 v33, v12
	v_pk_add_f32 v[12:13], v[34:35], v[32:33] neg_lo:[0,1] neg_hi:[0,1]
	s_or_b64 vcc, s[60:61], vcc
	v_add_f32_e32 v13, v29, v13
	v_add_f32_e32 v12, v12, v13
	;; [unrolled: 1-line block ×4, first 2 shown]
	v_sub_f32_e32 v27, v13, v27
	v_mul_f32_e32 v12, v38, v12
	v_sub_f32_e32 v14, v14, v27
	v_add_f32_e32 v14, v14, v12
	v_add_f32_e32 v27, v13, v14
	v_mul_f32_e32 v30, v27, v27
	v_fmamk_f32 v12, v30, 0x3e9b6dac, v139
	v_fmaak_f32 v29, v30, v12, 0x3f2aaada
	v_cvt_f32_i32_e32 v12, v36
	v_sub_f32_e32 v13, v27, v13
	v_sub_f32_e32 v13, v14, v13
	v_ldexp_f32 v14, v13, 1
	v_mul_f32_e32 v13, v27, v30
	v_pk_mul_f32 v[32:33], v[12:13], v[28:29]
	v_ldexp_f32 v31, v27, 1
	v_fma_f32 v30, v12, s13, -v32
	v_fmac_f32_e32 v30, 0xb102e308, v12
	v_pk_add_f32 v[12:13], v[32:33], v[30:31]
	v_mov_b32_e32 v34, v32
	v_sub_f32_e32 v27, v13, v31
	v_sub_f32_e32 v27, v33, v27
	v_add_f32_e32 v35, v14, v27
	v_pk_add_f32 v[32:33], v[12:13], v[32:33] neg_lo:[0,1] neg_hi:[0,1]
	v_pk_add_f32 v[36:37], v[12:13], v[34:35]
	v_mov_b32_e32 v31, v12
	v_mov_b32_e32 v33, v37
	v_pk_add_f32 v[38:39], v[30:31], v[32:33] neg_lo:[0,1] neg_hi:[0,1]
	v_pk_add_f32 v[30:31], v[30:31], v[32:33]
	s_nop 0
	v_mov_b32_e32 v14, v31
	v_pk_add_f32 v[32:33], v[14:15], v[12:13] neg_lo:[0,1] neg_hi:[0,1]
	v_mov_b32_e32 v30, v37
	v_mov_b32_e32 v27, v32
	v_pk_add_f32 v[40:41], v[36:37], v[26:27] neg_lo:[0,1] neg_hi:[0,1]
	v_mov_b32_e32 v36, v13
	v_mov_b32_e32 v37, v32
	;; [unrolled: 1-line block ×3, first 2 shown]
	v_pk_add_f32 v[30:31], v[30:31], v[36:37] neg_lo:[0,1] neg_hi:[0,1]
	v_mov_b32_e32 v32, v35
	v_mov_b32_e32 v33, v12
	v_pk_add_f32 v[12:13], v[32:33], v[30:31] neg_lo:[0,1] neg_hi:[0,1]
	v_mov_b32_e32 v40, v38
	v_pk_add_f32 v[30:31], v[40:41], v[12:13]
	s_nop 0
	v_mov_b32_e32 v32, v31
	v_pk_add_f32 v[32:33], v[30:31], v[32:33]
	s_nop 0
	v_pk_add_f32 v[34:35], v[14:15], v[32:33]
	v_mov_b32_e32 v13, v32
	v_mov_b32_e32 v31, v34
	v_pk_add_f32 v[36:37], v[30:31], v[38:39] neg_lo:[0,1] neg_hi:[0,1]
	s_nop 0
	v_sub_f32_e32 v14, v30, v36
	v_pk_add_f32 v[12:13], v[12:13], v[36:37] neg_lo:[0,1] neg_hi:[0,1]
	v_sub_f32_e32 v14, v38, v14
	v_add_f32_e32 v12, v12, v14
	v_add_f32_e32 v12, v12, v13
	;; [unrolled: 1-line block ×3, first 2 shown]
	v_cndmask_b32_e32 v148, v12, v42, vcc
.LBB93_87:                              ;   in Loop: Header=BB93_13 Depth=1
	s_or_b64 exec, exec, s[4:5]
	v_cvt_f32_f16_e32 v12, v15
	v_readlane_b32 s2, v166, 2
	s_nop 1
	v_add_f32_e32 v149, s2, v12
	v_readlane_b32 s2, v166, 23
	v_cmp_ge_f32_e32 vcc, s6, v149
	v_readlane_b32 s3, v166, 24
	s_and_b64 s[2:3], s[2:3], vcc
	s_and_saveexec_b64 s[4:5], s[2:3]
	s_cbranch_execz .LBB93_89
; %bb.88:                               ;   in Loop: Header=BB93_13 Depth=1
	v_mul_f32_e32 v12, 0x3fb8aa3b, v149
	v_rndne_f32_e32 v13, v12
	v_sub_f32_e32 v14, v12, v13
	v_fma_f32 v12, v149, s8, -v12
	v_fmac_f32_e32 v12, 0x32a5705f, v149
	v_add_f32_e32 v12, v14, v12
	v_cvt_i32_f32_e32 v13, v13
	v_exp_f32_e32 v12, v12
	v_cmp_ngt_f32_e32 vcc, s9, v149
	v_ldexp_f32 v12, v12, v13
	s_nop 0
	v_cndmask_b32_e32 v12, 0, v12, vcc
	v_cmp_nlt_f32_e32 vcc, s10, v149
	s_nop 1
	v_cndmask_b32_e32 v42, v140, v12, vcc
	v_add_f32_e32 v14, 1.0, v42
	v_add_f32_e32 v12, -1.0, v14
	v_sub_f32_e32 v13, v12, v14
	v_add_f32_e32 v13, 1.0, v13
	v_sub_f32_e32 v12, v42, v12
	v_add_f32_e32 v27, v12, v13
	v_frexp_mant_f32_e32 v29, v14
	v_cvt_f64_f32_e32 v[12:13], v14
	v_frexp_exp_i32_f64_e32 v12, v[12:13]
	v_cmp_gt_f32_e32 vcc, s12, v29
	v_cmp_gt_f32_e64 s[60:61], s14, v42
	s_nop 0
	v_subbrev_co_u32_e32 v36, vcc, 0, v12, vcc
	v_sub_u32_e32 v12, 0, v36
	v_ldexp_f32 v13, v14, v12
	v_add_f32_e32 v14, -1.0, v13
	v_add_f32_e32 v29, 1.0, v13
	v_ldexp_f32 v12, v27, v12
	v_add_f32_e32 v27, 1.0, v14
	v_add_f32_e32 v30, -1.0, v29
	v_sub_f32_e32 v27, v13, v27
	v_sub_f32_e32 v13, v13, v30
	v_add_f32_e32 v27, v12, v27
	v_add_f32_e32 v12, v12, v13
	;; [unrolled: 1-line block ×3, first 2 shown]
	v_rcp_f32_e32 v38, v37
	v_sub_f32_e32 v13, v29, v37
	v_add_f32_e32 v29, v12, v13
	v_add_f32_e32 v13, v14, v27
	v_sub_f32_e32 v12, v14, v13
	v_add_f32_e32 v14, v27, v12
	v_mul_f32_e32 v27, v13, v38
	v_mul_f32_e32 v30, v37, v27
	v_fma_f32 v32, v27, v37, -v30
	v_fmac_f32_e32 v32, v27, v29
	v_add_f32_e32 v12, v30, v32
	v_sub_f32_e32 v31, v13, v12
	v_pk_add_f32 v[34:35], v[12:13], v[30:31] neg_lo:[0,1] neg_hi:[0,1]
	v_mov_b32_e32 v33, v12
	v_pk_add_f32 v[12:13], v[34:35], v[32:33] neg_lo:[0,1] neg_hi:[0,1]
	v_cmp_eq_f32_e32 vcc, s11, v42
	v_add_f32_e32 v13, v14, v13
	v_add_f32_e32 v12, v12, v13
	v_add_f32_e32 v13, v31, v12
	v_mul_f32_e32 v14, v38, v13
	v_mul_f32_e32 v30, v37, v14
	v_fma_f32 v32, v14, v37, -v30
	v_fmac_f32_e32 v32, v14, v29
	v_sub_f32_e32 v29, v31, v13
	v_add_f32_e32 v29, v12, v29
	v_add_f32_e32 v12, v30, v32
	v_sub_f32_e32 v31, v13, v12
	v_pk_add_f32 v[34:35], v[12:13], v[30:31] neg_lo:[0,1] neg_hi:[0,1]
	v_mov_b32_e32 v33, v12
	v_pk_add_f32 v[12:13], v[34:35], v[32:33] neg_lo:[0,1] neg_hi:[0,1]
	s_or_b64 vcc, s[60:61], vcc
	v_add_f32_e32 v13, v29, v13
	v_add_f32_e32 v12, v12, v13
	;; [unrolled: 1-line block ×4, first 2 shown]
	v_sub_f32_e32 v27, v13, v27
	v_mul_f32_e32 v12, v38, v12
	v_sub_f32_e32 v14, v14, v27
	v_add_f32_e32 v14, v14, v12
	v_add_f32_e32 v27, v13, v14
	v_mul_f32_e32 v30, v27, v27
	v_fmamk_f32 v12, v30, 0x3e9b6dac, v139
	v_fmaak_f32 v29, v30, v12, 0x3f2aaada
	v_cvt_f32_i32_e32 v12, v36
	v_sub_f32_e32 v13, v27, v13
	v_sub_f32_e32 v13, v14, v13
	v_ldexp_f32 v14, v13, 1
	v_mul_f32_e32 v13, v27, v30
	v_pk_mul_f32 v[32:33], v[12:13], v[28:29]
	v_ldexp_f32 v31, v27, 1
	v_fma_f32 v30, v12, s13, -v32
	v_fmac_f32_e32 v30, 0xb102e308, v12
	v_pk_add_f32 v[12:13], v[32:33], v[30:31]
	v_mov_b32_e32 v34, v32
	v_sub_f32_e32 v27, v13, v31
	v_sub_f32_e32 v27, v33, v27
	v_add_f32_e32 v35, v14, v27
	v_pk_add_f32 v[32:33], v[12:13], v[32:33] neg_lo:[0,1] neg_hi:[0,1]
	v_pk_add_f32 v[36:37], v[12:13], v[34:35]
	v_mov_b32_e32 v31, v12
	v_mov_b32_e32 v33, v37
	v_pk_add_f32 v[38:39], v[30:31], v[32:33] neg_lo:[0,1] neg_hi:[0,1]
	v_pk_add_f32 v[30:31], v[30:31], v[32:33]
	s_nop 0
	v_mov_b32_e32 v14, v31
	v_pk_add_f32 v[32:33], v[14:15], v[12:13] neg_lo:[0,1] neg_hi:[0,1]
	v_mov_b32_e32 v30, v37
	v_mov_b32_e32 v27, v32
	v_pk_add_f32 v[40:41], v[36:37], v[26:27] neg_lo:[0,1] neg_hi:[0,1]
	v_mov_b32_e32 v36, v13
	v_mov_b32_e32 v37, v32
	;; [unrolled: 1-line block ×3, first 2 shown]
	v_pk_add_f32 v[30:31], v[30:31], v[36:37] neg_lo:[0,1] neg_hi:[0,1]
	v_mov_b32_e32 v32, v35
	v_mov_b32_e32 v33, v12
	v_pk_add_f32 v[12:13], v[32:33], v[30:31] neg_lo:[0,1] neg_hi:[0,1]
	v_mov_b32_e32 v40, v38
	v_pk_add_f32 v[30:31], v[40:41], v[12:13]
	s_nop 0
	v_mov_b32_e32 v32, v31
	v_pk_add_f32 v[32:33], v[30:31], v[32:33]
	s_nop 0
	v_pk_add_f32 v[34:35], v[14:15], v[32:33]
	v_mov_b32_e32 v13, v32
	v_mov_b32_e32 v31, v34
	v_pk_add_f32 v[36:37], v[30:31], v[38:39] neg_lo:[0,1] neg_hi:[0,1]
	s_nop 0
	v_sub_f32_e32 v14, v30, v36
	v_pk_add_f32 v[12:13], v[12:13], v[36:37] neg_lo:[0,1] neg_hi:[0,1]
	v_sub_f32_e32 v14, v38, v14
	v_add_f32_e32 v12, v12, v14
	v_add_f32_e32 v12, v12, v13
	;; [unrolled: 1-line block ×3, first 2 shown]
	v_cndmask_b32_e32 v149, v12, v42, vcc
.LBB93_89:                              ;   in Loop: Header=BB93_13 Depth=1
	s_or_b64 exec, exec, s[4:5]
	v_cvt_f32_f16_sdwa v12, v15 dst_sel:DWORD dst_unused:UNUSED_PAD src0_sel:WORD_1
	v_readlane_b32 s2, v166, 2
	s_nop 1
	v_add_f32_e32 v150, s2, v12
	v_readlane_b32 s2, v166, 23
	v_cmp_ge_f32_e32 vcc, s6, v150
	v_readlane_b32 s3, v166, 24
	s_and_b64 s[2:3], s[2:3], vcc
	s_and_saveexec_b64 s[4:5], s[2:3]
	s_cbranch_execz .LBB93_91
; %bb.90:                               ;   in Loop: Header=BB93_13 Depth=1
	v_mul_f32_e32 v12, 0x3fb8aa3b, v150
	v_rndne_f32_e32 v13, v12
	v_sub_f32_e32 v14, v12, v13
	v_fma_f32 v12, v150, s8, -v12
	v_fmac_f32_e32 v12, 0x32a5705f, v150
	v_add_f32_e32 v12, v14, v12
	v_cvt_i32_f32_e32 v13, v13
	v_exp_f32_e32 v12, v12
	v_cmp_ngt_f32_e32 vcc, s9, v150
	v_ldexp_f32 v12, v12, v13
	s_nop 0
	v_cndmask_b32_e32 v12, 0, v12, vcc
	v_cmp_nlt_f32_e32 vcc, s10, v150
	s_nop 1
	v_cndmask_b32_e32 v42, v140, v12, vcc
	v_add_f32_e32 v14, 1.0, v42
	v_add_f32_e32 v12, -1.0, v14
	v_sub_f32_e32 v13, v12, v14
	v_add_f32_e32 v13, 1.0, v13
	v_sub_f32_e32 v12, v42, v12
	v_add_f32_e32 v15, v12, v13
	v_frexp_mant_f32_e32 v27, v14
	v_cvt_f64_f32_e32 v[12:13], v14
	v_frexp_exp_i32_f64_e32 v12, v[12:13]
	v_cmp_gt_f32_e32 vcc, s12, v27
	v_cmp_gt_f32_e64 s[60:61], s14, v42
	s_nop 0
	v_subbrev_co_u32_e32 v27, vcc, 0, v12, vcc
	v_sub_u32_e32 v12, 0, v27
	v_ldexp_f32 v13, v14, v12
	v_add_f32_e32 v14, -1.0, v13
	v_add_f32_e32 v29, 1.0, v13
	v_ldexp_f32 v12, v15, v12
	v_add_f32_e32 v15, 1.0, v14
	v_add_f32_e32 v30, -1.0, v29
	v_sub_f32_e32 v15, v13, v15
	v_sub_f32_e32 v13, v13, v30
	v_add_f32_e32 v15, v12, v15
	v_add_f32_e32 v12, v12, v13
	v_add_f32_e32 v34, v29, v12
	v_rcp_f32_e32 v35, v34
	v_sub_f32_e32 v13, v29, v34
	v_add_f32_e32 v29, v12, v13
	v_add_f32_e32 v13, v14, v15
	v_mul_f32_e32 v37, v13, v35
	v_sub_f32_e32 v12, v14, v13
	v_mul_f32_e32 v14, v34, v37
	v_fma_f32 v30, v37, v34, -v14
	v_fmac_f32_e32 v30, v37, v29
	v_add_f32_e32 v36, v15, v12
	v_add_f32_e32 v12, v14, v30
	v_sub_f32_e32 v15, v13, v12
	v_pk_add_f32 v[32:33], v[12:13], v[14:15] neg_lo:[0,1] neg_hi:[0,1]
	v_mov_b32_e32 v31, v12
	v_pk_add_f32 v[12:13], v[32:33], v[30:31] neg_lo:[0,1] neg_hi:[0,1]
	v_cmp_eq_f32_e32 vcc, s11, v42
	v_add_f32_e32 v13, v36, v13
	v_add_f32_e32 v12, v12, v13
	;; [unrolled: 1-line block ×3, first 2 shown]
	v_mul_f32_e32 v36, v35, v13
	v_mul_f32_e32 v14, v34, v36
	v_fma_f32 v30, v36, v34, -v14
	v_fmac_f32_e32 v30, v36, v29
	v_sub_f32_e32 v15, v15, v13
	v_add_f32_e32 v29, v12, v15
	v_add_f32_e32 v12, v14, v30
	v_sub_f32_e32 v15, v13, v12
	v_pk_add_f32 v[32:33], v[12:13], v[14:15] neg_lo:[0,1] neg_hi:[0,1]
	v_mov_b32_e32 v31, v12
	v_pk_add_f32 v[12:13], v[32:33], v[30:31] neg_lo:[0,1] neg_hi:[0,1]
	s_or_b64 vcc, s[60:61], vcc
	v_add_f32_e32 v13, v29, v13
	v_add_f32_e32 v12, v12, v13
	;; [unrolled: 1-line block ×4, first 2 shown]
	v_sub_f32_e32 v14, v13, v37
	v_mul_f32_e32 v12, v35, v12
	v_sub_f32_e32 v14, v36, v14
	v_add_f32_e32 v14, v14, v12
	v_add_f32_e32 v30, v13, v14
	v_mul_f32_e32 v31, v30, v30
	v_fmamk_f32 v12, v31, 0x3e9b6dac, v139
	v_fmaak_f32 v29, v31, v12, 0x3f2aaada
	v_cvt_f32_i32_e32 v12, v27
	v_sub_f32_e32 v13, v30, v13
	v_sub_f32_e32 v13, v14, v13
	v_ldexp_f32 v27, v13, 1
	v_mul_f32_e32 v13, v30, v31
	v_ldexp_f32 v15, v30, 1
	v_pk_mul_f32 v[30:31], v[12:13], v[28:29]
	s_nop 0
	v_fma_f32 v14, v12, s13, -v30
	v_fmac_f32_e32 v14, 0xb102e308, v12
	v_pk_add_f32 v[12:13], v[30:31], v[14:15]
	v_mov_b32_e32 v32, v30
	v_sub_f32_e32 v15, v13, v15
	v_sub_f32_e32 v15, v31, v15
	v_add_f32_e32 v33, v27, v15
	v_pk_add_f32 v[30:31], v[12:13], v[30:31] neg_lo:[0,1] neg_hi:[0,1]
	v_pk_add_f32 v[34:35], v[12:13], v[32:33]
	v_mov_b32_e32 v15, v12
	v_mov_b32_e32 v31, v35
	v_pk_add_f32 v[36:37], v[14:15], v[30:31] neg_lo:[0,1] neg_hi:[0,1]
	v_pk_add_f32 v[14:15], v[14:15], v[30:31]
	v_mov_b32_e32 v32, v33
	v_mov_b32_e32 v30, v15
	v_pk_add_f32 v[38:39], v[30:31], v[12:13] neg_lo:[0,1] neg_hi:[0,1]
	v_mov_b32_e32 v14, v35
	v_mov_b32_e32 v27, v38
	v_pk_add_f32 v[40:41], v[34:35], v[26:27] neg_lo:[0,1] neg_hi:[0,1]
	v_mov_b32_e32 v34, v13
	v_mov_b32_e32 v35, v38
	;; [unrolled: 1-line block ×3, first 2 shown]
	v_pk_add_f32 v[14:15], v[14:15], v[34:35] neg_lo:[0,1] neg_hi:[0,1]
	v_mov_b32_e32 v33, v12
	v_pk_add_f32 v[12:13], v[32:33], v[14:15] neg_lo:[0,1] neg_hi:[0,1]
	v_mov_b32_e32 v40, v36
	v_pk_add_f32 v[14:15], v[40:41], v[12:13]
	s_nop 0
	v_mov_b32_e32 v32, v15
	v_pk_add_f32 v[32:33], v[14:15], v[32:33]
	s_nop 0
	v_pk_add_f32 v[30:31], v[30:31], v[32:33]
	v_mov_b32_e32 v13, v32
	v_mov_b32_e32 v15, v30
	v_pk_add_f32 v[34:35], v[14:15], v[36:37] neg_lo:[0,1] neg_hi:[0,1]
	s_nop 0
	v_sub_f32_e32 v14, v14, v34
	v_pk_add_f32 v[12:13], v[12:13], v[34:35] neg_lo:[0,1] neg_hi:[0,1]
	v_sub_f32_e32 v14, v36, v14
	v_add_f32_e32 v12, v12, v14
	v_add_f32_e32 v12, v12, v13
	v_add_f32_e32 v12, v30, v12
	v_cndmask_b32_e32 v150, v12, v42, vcc
.LBB93_91:                              ;   in Loop: Header=BB93_13 Depth=1
	s_or_b64 exec, exec, s[4:5]
	s_waitcnt lgkmcnt(0)
	v_cvt_f32_f16_e32 v12, v8
	v_readlane_b32 s2, v166, 2
	s_nop 1
	v_add_f32_e32 v151, s2, v12
	v_readlane_b32 s2, v166, 23
	v_cmp_ge_f32_e32 vcc, s6, v151
	v_readlane_b32 s3, v166, 24
	s_and_b64 s[2:3], s[2:3], vcc
	s_and_saveexec_b64 s[4:5], s[2:3]
	s_cbranch_execz .LBB93_93
; %bb.92:                               ;   in Loop: Header=BB93_13 Depth=1
	v_mul_f32_e32 v12, 0x3fb8aa3b, v151
	v_rndne_f32_e32 v13, v12
	v_sub_f32_e32 v14, v12, v13
	v_fma_f32 v12, v151, s8, -v12
	v_fmac_f32_e32 v12, 0x32a5705f, v151
	v_add_f32_e32 v12, v14, v12
	v_cvt_i32_f32_e32 v13, v13
	v_exp_f32_e32 v12, v12
	v_cmp_ngt_f32_e32 vcc, s9, v151
	v_ldexp_f32 v12, v12, v13
	s_nop 0
	v_cndmask_b32_e32 v12, 0, v12, vcc
	v_cmp_nlt_f32_e32 vcc, s10, v151
	s_nop 1
	v_cndmask_b32_e32 v42, v140, v12, vcc
	v_add_f32_e32 v14, 1.0, v42
	v_add_f32_e32 v12, -1.0, v14
	v_sub_f32_e32 v13, v12, v14
	v_add_f32_e32 v13, 1.0, v13
	v_sub_f32_e32 v12, v42, v12
	v_add_f32_e32 v15, v12, v13
	v_frexp_mant_f32_e32 v27, v14
	v_cvt_f64_f32_e32 v[12:13], v14
	v_frexp_exp_i32_f64_e32 v12, v[12:13]
	v_cmp_gt_f32_e32 vcc, s12, v27
	v_cmp_gt_f32_e64 s[60:61], s14, v42
	s_nop 0
	v_subbrev_co_u32_e32 v27, vcc, 0, v12, vcc
	v_sub_u32_e32 v12, 0, v27
	v_ldexp_f32 v13, v14, v12
	v_add_f32_e32 v14, -1.0, v13
	v_add_f32_e32 v29, 1.0, v13
	v_ldexp_f32 v12, v15, v12
	v_add_f32_e32 v15, 1.0, v14
	v_add_f32_e32 v30, -1.0, v29
	v_sub_f32_e32 v15, v13, v15
	v_sub_f32_e32 v13, v13, v30
	v_add_f32_e32 v15, v12, v15
	v_add_f32_e32 v12, v12, v13
	;; [unrolled: 1-line block ×3, first 2 shown]
	v_rcp_f32_e32 v35, v34
	v_sub_f32_e32 v13, v29, v34
	v_add_f32_e32 v29, v12, v13
	v_add_f32_e32 v13, v14, v15
	v_mul_f32_e32 v37, v13, v35
	v_sub_f32_e32 v12, v14, v13
	v_mul_f32_e32 v14, v34, v37
	v_fma_f32 v30, v37, v34, -v14
	v_fmac_f32_e32 v30, v37, v29
	v_add_f32_e32 v36, v15, v12
	v_add_f32_e32 v12, v14, v30
	v_sub_f32_e32 v15, v13, v12
	v_pk_add_f32 v[32:33], v[12:13], v[14:15] neg_lo:[0,1] neg_hi:[0,1]
	v_mov_b32_e32 v31, v12
	v_pk_add_f32 v[12:13], v[32:33], v[30:31] neg_lo:[0,1] neg_hi:[0,1]
	v_cmp_eq_f32_e32 vcc, s11, v42
	v_add_f32_e32 v13, v36, v13
	v_add_f32_e32 v12, v12, v13
	;; [unrolled: 1-line block ×3, first 2 shown]
	v_mul_f32_e32 v36, v35, v13
	v_mul_f32_e32 v14, v34, v36
	v_fma_f32 v30, v36, v34, -v14
	v_fmac_f32_e32 v30, v36, v29
	v_sub_f32_e32 v15, v15, v13
	v_add_f32_e32 v29, v12, v15
	v_add_f32_e32 v12, v14, v30
	v_sub_f32_e32 v15, v13, v12
	v_pk_add_f32 v[32:33], v[12:13], v[14:15] neg_lo:[0,1] neg_hi:[0,1]
	v_mov_b32_e32 v31, v12
	v_pk_add_f32 v[12:13], v[32:33], v[30:31] neg_lo:[0,1] neg_hi:[0,1]
	s_or_b64 vcc, s[60:61], vcc
	v_add_f32_e32 v13, v29, v13
	v_add_f32_e32 v12, v12, v13
	v_add_f32_e32 v13, v37, v36
	v_add_f32_e32 v12, v15, v12
	v_sub_f32_e32 v14, v13, v37
	v_mul_f32_e32 v12, v35, v12
	v_sub_f32_e32 v14, v36, v14
	v_add_f32_e32 v14, v14, v12
	v_add_f32_e32 v30, v13, v14
	v_mul_f32_e32 v31, v30, v30
	v_fmamk_f32 v12, v31, 0x3e9b6dac, v139
	v_fmaak_f32 v29, v31, v12, 0x3f2aaada
	v_cvt_f32_i32_e32 v12, v27
	v_sub_f32_e32 v13, v30, v13
	v_sub_f32_e32 v13, v14, v13
	v_ldexp_f32 v27, v13, 1
	v_mul_f32_e32 v13, v30, v31
	v_ldexp_f32 v15, v30, 1
	v_pk_mul_f32 v[30:31], v[12:13], v[28:29]
	s_nop 0
	v_fma_f32 v14, v12, s13, -v30
	v_fmac_f32_e32 v14, 0xb102e308, v12
	v_pk_add_f32 v[12:13], v[30:31], v[14:15]
	v_mov_b32_e32 v32, v30
	v_sub_f32_e32 v15, v13, v15
	v_sub_f32_e32 v15, v31, v15
	v_add_f32_e32 v33, v27, v15
	v_pk_add_f32 v[30:31], v[12:13], v[30:31] neg_lo:[0,1] neg_hi:[0,1]
	v_pk_add_f32 v[34:35], v[12:13], v[32:33]
	v_mov_b32_e32 v15, v12
	v_mov_b32_e32 v31, v35
	v_pk_add_f32 v[36:37], v[14:15], v[30:31] neg_lo:[0,1] neg_hi:[0,1]
	v_pk_add_f32 v[14:15], v[14:15], v[30:31]
	v_mov_b32_e32 v32, v33
	v_mov_b32_e32 v30, v15
	v_pk_add_f32 v[38:39], v[30:31], v[12:13] neg_lo:[0,1] neg_hi:[0,1]
	v_mov_b32_e32 v14, v35
	v_mov_b32_e32 v27, v38
	v_pk_add_f32 v[40:41], v[34:35], v[26:27] neg_lo:[0,1] neg_hi:[0,1]
	v_mov_b32_e32 v34, v13
	v_mov_b32_e32 v35, v38
	v_mov_b32_e32 v37, v15
	v_pk_add_f32 v[14:15], v[14:15], v[34:35] neg_lo:[0,1] neg_hi:[0,1]
	v_mov_b32_e32 v33, v12
	v_pk_add_f32 v[12:13], v[32:33], v[14:15] neg_lo:[0,1] neg_hi:[0,1]
	v_mov_b32_e32 v40, v36
	v_pk_add_f32 v[14:15], v[40:41], v[12:13]
	s_nop 0
	v_mov_b32_e32 v32, v15
	v_pk_add_f32 v[32:33], v[14:15], v[32:33]
	s_nop 0
	v_pk_add_f32 v[30:31], v[30:31], v[32:33]
	v_mov_b32_e32 v13, v32
	v_mov_b32_e32 v15, v30
	v_pk_add_f32 v[34:35], v[14:15], v[36:37] neg_lo:[0,1] neg_hi:[0,1]
	s_nop 0
	v_sub_f32_e32 v14, v14, v34
	v_pk_add_f32 v[12:13], v[12:13], v[34:35] neg_lo:[0,1] neg_hi:[0,1]
	v_sub_f32_e32 v14, v36, v14
	v_add_f32_e32 v12, v12, v14
	v_add_f32_e32 v12, v12, v13
	;; [unrolled: 1-line block ×3, first 2 shown]
	v_cndmask_b32_e32 v151, v12, v42, vcc
.LBB93_93:                              ;   in Loop: Header=BB93_13 Depth=1
	s_or_b64 exec, exec, s[4:5]
	v_cvt_f32_f16_sdwa v8, v8 dst_sel:DWORD dst_unused:UNUSED_PAD src0_sel:WORD_1
	v_readlane_b32 s2, v166, 2
	s_nop 1
	v_add_f32_e32 v152, s2, v8
	v_readlane_b32 s2, v166, 23
	v_cmp_ge_f32_e32 vcc, s6, v152
	v_readlane_b32 s3, v166, 24
	s_and_b64 s[2:3], s[2:3], vcc
	s_and_saveexec_b64 s[4:5], s[2:3]
	s_cbranch_execz .LBB93_95
; %bb.94:                               ;   in Loop: Header=BB93_13 Depth=1
	v_mul_f32_e32 v8, 0x3fb8aa3b, v152
	v_rndne_f32_e32 v12, v8
	v_sub_f32_e32 v13, v8, v12
	v_fma_f32 v8, v152, s8, -v8
	v_fmac_f32_e32 v8, 0x32a5705f, v152
	v_add_f32_e32 v8, v13, v8
	v_cvt_i32_f32_e32 v12, v12
	v_exp_f32_e32 v8, v8
	v_cmp_ngt_f32_e32 vcc, s9, v152
	v_ldexp_f32 v8, v8, v12
	s_nop 0
	v_cndmask_b32_e32 v8, 0, v8, vcc
	v_cmp_nlt_f32_e32 vcc, s10, v152
	s_nop 1
	v_cndmask_b32_e32 v40, v140, v8, vcc
	v_add_f32_e32 v8, 1.0, v40
	v_add_f32_e32 v12, -1.0, v8
	v_sub_f32_e32 v13, v12, v8
	v_add_f32_e32 v13, 1.0, v13
	v_sub_f32_e32 v12, v40, v12
	v_add_f32_e32 v14, v12, v13
	v_frexp_mant_f32_e32 v15, v8
	v_cvt_f64_f32_e32 v[12:13], v8
	v_frexp_exp_i32_f64_e32 v12, v[12:13]
	v_cmp_gt_f32_e32 vcc, s12, v15
	v_cmp_gt_f32_e64 s[60:61], s14, v40
	s_nop 0
	v_subbrev_co_u32_e32 v27, vcc, 0, v12, vcc
	v_sub_u32_e32 v12, 0, v27
	v_ldexp_f32 v8, v8, v12
	v_ldexp_f32 v12, v14, v12
	v_add_f32_e32 v14, -1.0, v8
	v_add_f32_e32 v13, 1.0, v14
	v_sub_f32_e32 v13, v8, v13
	v_add_f32_e32 v15, v12, v13
	v_add_f32_e32 v13, 1.0, v8
	v_add_f32_e32 v29, -1.0, v13
	v_sub_f32_e32 v8, v8, v29
	v_add_f32_e32 v8, v12, v8
	v_add_f32_e32 v29, v13, v8
	v_rcp_f32_e32 v34, v29
	v_sub_f32_e32 v12, v13, v29
	v_add_f32_e32 v13, v14, v15
	v_add_f32_e32 v8, v8, v12
	v_mul_f32_e32 v36, v13, v34
	v_sub_f32_e32 v12, v14, v13
	v_mul_f32_e32 v14, v29, v36
	v_fma_f32 v30, v36, v29, -v14
	v_fmac_f32_e32 v30, v36, v8
	v_add_f32_e32 v35, v15, v12
	v_add_f32_e32 v12, v14, v30
	v_sub_f32_e32 v15, v13, v12
	v_pk_add_f32 v[32:33], v[12:13], v[14:15] neg_lo:[0,1] neg_hi:[0,1]
	v_mov_b32_e32 v31, v12
	v_pk_add_f32 v[12:13], v[32:33], v[30:31] neg_lo:[0,1] neg_hi:[0,1]
	v_cmp_eq_f32_e32 vcc, s11, v40
	v_add_f32_e32 v13, v35, v13
	v_add_f32_e32 v12, v12, v13
	;; [unrolled: 1-line block ×3, first 2 shown]
	v_mul_f32_e32 v35, v34, v13
	v_mul_f32_e32 v14, v29, v35
	v_fma_f32 v30, v35, v29, -v14
	v_fmac_f32_e32 v30, v35, v8
	v_sub_f32_e32 v8, v15, v13
	v_add_f32_e32 v8, v12, v8
	v_add_f32_e32 v12, v14, v30
	v_sub_f32_e32 v15, v13, v12
	v_pk_add_f32 v[32:33], v[12:13], v[14:15] neg_lo:[0,1] neg_hi:[0,1]
	v_mov_b32_e32 v31, v12
	v_pk_add_f32 v[12:13], v[32:33], v[30:31] neg_lo:[0,1] neg_hi:[0,1]
	s_or_b64 vcc, s[60:61], vcc
	v_add_f32_e32 v8, v8, v13
	v_add_f32_e32 v8, v12, v8
	;; [unrolled: 1-line block ×4, first 2 shown]
	v_sub_f32_e32 v12, v13, v36
	v_mul_f32_e32 v8, v34, v8
	v_sub_f32_e32 v12, v35, v12
	v_add_f32_e32 v8, v12, v8
	v_add_f32_e32 v14, v13, v8
	v_mul_f32_e32 v30, v14, v14
	v_fmamk_f32 v12, v30, 0x3e9b6dac, v139
	v_fmaak_f32 v29, v30, v12, 0x3f2aaada
	v_cvt_f32_i32_e32 v12, v27
	v_sub_f32_e32 v13, v14, v13
	v_sub_f32_e32 v8, v8, v13
	v_mul_f32_e32 v13, v14, v30
	v_pk_mul_f32 v[30:31], v[12:13], v[28:29]
	v_ldexp_f32 v15, v14, 1
	v_fma_f32 v14, v12, s13, -v30
	v_fmac_f32_e32 v14, 0xb102e308, v12
	v_pk_add_f32 v[12:13], v[30:31], v[14:15]
	v_ldexp_f32 v8, v8, 1
	v_sub_f32_e32 v15, v13, v15
	v_sub_f32_e32 v15, v31, v15
	v_add_f32_e32 v33, v8, v15
	v_mov_b32_e32 v32, v30
	v_pk_add_f32 v[30:31], v[12:13], v[30:31] neg_lo:[0,1] neg_hi:[0,1]
	v_pk_add_f32 v[34:35], v[12:13], v[32:33]
	v_mov_b32_e32 v15, v12
	v_mov_b32_e32 v31, v35
	v_pk_add_f32 v[36:37], v[14:15], v[30:31] neg_lo:[0,1] neg_hi:[0,1]
	v_pk_add_f32 v[14:15], v[14:15], v[30:31]
	s_nop 0
	v_mov_b32_e32 v8, v15
	v_pk_add_f32 v[30:31], v[8:9], v[12:13] neg_lo:[0,1] neg_hi:[0,1]
	v_mov_b32_e32 v14, v35
	v_mov_b32_e32 v27, v30
	v_pk_add_f32 v[38:39], v[34:35], v[26:27] neg_lo:[0,1] neg_hi:[0,1]
	v_mov_b32_e32 v34, v13
	v_mov_b32_e32 v35, v30
	;; [unrolled: 1-line block ×3, first 2 shown]
	v_pk_add_f32 v[14:15], v[14:15], v[34:35] neg_lo:[0,1] neg_hi:[0,1]
	v_mov_b32_e32 v30, v33
	v_mov_b32_e32 v31, v12
	v_pk_add_f32 v[12:13], v[30:31], v[14:15] neg_lo:[0,1] neg_hi:[0,1]
	v_mov_b32_e32 v38, v36
	v_pk_add_f32 v[14:15], v[38:39], v[12:13]
	s_nop 0
	v_mov_b32_e32 v30, v15
	v_pk_add_f32 v[30:31], v[14:15], v[30:31]
	s_nop 0
	v_pk_add_f32 v[32:33], v[8:9], v[30:31]
	v_mov_b32_e32 v13, v30
	v_mov_b32_e32 v15, v32
	v_pk_add_f32 v[34:35], v[14:15], v[36:37] neg_lo:[0,1] neg_hi:[0,1]
	s_nop 0
	v_sub_f32_e32 v8, v14, v34
	v_pk_add_f32 v[12:13], v[12:13], v[34:35] neg_lo:[0,1] neg_hi:[0,1]
	v_sub_f32_e32 v8, v36, v8
	v_add_f32_e32 v8, v12, v8
	v_add_f32_e32 v8, v8, v13
	;; [unrolled: 1-line block ×3, first 2 shown]
	v_cndmask_b32_e32 v152, v8, v40, vcc
.LBB93_95:                              ;   in Loop: Header=BB93_13 Depth=1
	s_or_b64 exec, exec, s[4:5]
	v_cvt_f32_f16_e32 v8, v9
	v_readlane_b32 s2, v166, 2
	s_nop 1
	v_add_f32_e32 v153, s2, v8
	v_readlane_b32 s2, v166, 23
	v_cmp_ge_f32_e32 vcc, s6, v153
	v_readlane_b32 s3, v166, 24
	s_and_b64 s[2:3], s[2:3], vcc
	s_and_saveexec_b64 s[4:5], s[2:3]
	s_cbranch_execz .LBB93_97
; %bb.96:                               ;   in Loop: Header=BB93_13 Depth=1
	v_mul_f32_e32 v8, 0x3fb8aa3b, v153
	v_rndne_f32_e32 v12, v8
	v_sub_f32_e32 v13, v8, v12
	v_fma_f32 v8, v153, s8, -v8
	v_fmac_f32_e32 v8, 0x32a5705f, v153
	v_add_f32_e32 v8, v13, v8
	v_cvt_i32_f32_e32 v12, v12
	v_exp_f32_e32 v8, v8
	v_cmp_ngt_f32_e32 vcc, s9, v153
	v_ldexp_f32 v8, v8, v12
	s_nop 0
	v_cndmask_b32_e32 v8, 0, v8, vcc
	v_cmp_nlt_f32_e32 vcc, s10, v153
	s_nop 1
	v_cndmask_b32_e32 v40, v140, v8, vcc
	v_add_f32_e32 v8, 1.0, v40
	v_add_f32_e32 v12, -1.0, v8
	v_sub_f32_e32 v13, v12, v8
	v_add_f32_e32 v13, 1.0, v13
	v_sub_f32_e32 v12, v40, v12
	v_add_f32_e32 v14, v12, v13
	v_frexp_mant_f32_e32 v15, v8
	v_cvt_f64_f32_e32 v[12:13], v8
	v_frexp_exp_i32_f64_e32 v12, v[12:13]
	v_cmp_gt_f32_e32 vcc, s12, v15
	v_cmp_gt_f32_e64 s[60:61], s14, v40
	s_nop 0
	v_subbrev_co_u32_e32 v27, vcc, 0, v12, vcc
	v_sub_u32_e32 v12, 0, v27
	v_ldexp_f32 v8, v8, v12
	v_ldexp_f32 v12, v14, v12
	v_add_f32_e32 v14, -1.0, v8
	v_add_f32_e32 v13, 1.0, v14
	v_sub_f32_e32 v13, v8, v13
	v_add_f32_e32 v15, v12, v13
	v_add_f32_e32 v13, 1.0, v8
	v_add_f32_e32 v29, -1.0, v13
	v_sub_f32_e32 v8, v8, v29
	v_add_f32_e32 v8, v12, v8
	v_add_f32_e32 v29, v13, v8
	v_rcp_f32_e32 v34, v29
	v_sub_f32_e32 v12, v13, v29
	v_add_f32_e32 v13, v14, v15
	v_add_f32_e32 v8, v8, v12
	v_mul_f32_e32 v36, v13, v34
	v_sub_f32_e32 v12, v14, v13
	v_mul_f32_e32 v14, v29, v36
	v_fma_f32 v30, v36, v29, -v14
	v_fmac_f32_e32 v30, v36, v8
	v_add_f32_e32 v35, v15, v12
	v_add_f32_e32 v12, v14, v30
	v_sub_f32_e32 v15, v13, v12
	v_pk_add_f32 v[32:33], v[12:13], v[14:15] neg_lo:[0,1] neg_hi:[0,1]
	v_mov_b32_e32 v31, v12
	v_pk_add_f32 v[12:13], v[32:33], v[30:31] neg_lo:[0,1] neg_hi:[0,1]
	v_cmp_eq_f32_e32 vcc, s11, v40
	v_add_f32_e32 v13, v35, v13
	v_add_f32_e32 v12, v12, v13
	;; [unrolled: 1-line block ×3, first 2 shown]
	v_mul_f32_e32 v35, v34, v13
	v_mul_f32_e32 v14, v29, v35
	v_fma_f32 v30, v35, v29, -v14
	v_fmac_f32_e32 v30, v35, v8
	v_sub_f32_e32 v8, v15, v13
	v_add_f32_e32 v8, v12, v8
	v_add_f32_e32 v12, v14, v30
	v_sub_f32_e32 v15, v13, v12
	v_pk_add_f32 v[32:33], v[12:13], v[14:15] neg_lo:[0,1] neg_hi:[0,1]
	v_mov_b32_e32 v31, v12
	v_pk_add_f32 v[12:13], v[32:33], v[30:31] neg_lo:[0,1] neg_hi:[0,1]
	s_or_b64 vcc, s[60:61], vcc
	v_add_f32_e32 v8, v8, v13
	v_add_f32_e32 v8, v12, v8
	;; [unrolled: 1-line block ×4, first 2 shown]
	v_sub_f32_e32 v12, v13, v36
	v_mul_f32_e32 v8, v34, v8
	v_sub_f32_e32 v12, v35, v12
	v_add_f32_e32 v8, v12, v8
	v_add_f32_e32 v14, v13, v8
	v_mul_f32_e32 v30, v14, v14
	v_fmamk_f32 v12, v30, 0x3e9b6dac, v139
	v_fmaak_f32 v29, v30, v12, 0x3f2aaada
	v_cvt_f32_i32_e32 v12, v27
	v_sub_f32_e32 v13, v14, v13
	v_sub_f32_e32 v8, v8, v13
	v_mul_f32_e32 v13, v14, v30
	v_pk_mul_f32 v[30:31], v[12:13], v[28:29]
	v_ldexp_f32 v15, v14, 1
	v_fma_f32 v14, v12, s13, -v30
	v_fmac_f32_e32 v14, 0xb102e308, v12
	v_pk_add_f32 v[12:13], v[30:31], v[14:15]
	v_ldexp_f32 v8, v8, 1
	v_sub_f32_e32 v15, v13, v15
	v_sub_f32_e32 v15, v31, v15
	v_add_f32_e32 v33, v8, v15
	v_mov_b32_e32 v32, v30
	v_pk_add_f32 v[30:31], v[12:13], v[30:31] neg_lo:[0,1] neg_hi:[0,1]
	v_pk_add_f32 v[34:35], v[12:13], v[32:33]
	v_mov_b32_e32 v15, v12
	v_mov_b32_e32 v31, v35
	v_pk_add_f32 v[36:37], v[14:15], v[30:31] neg_lo:[0,1] neg_hi:[0,1]
	v_pk_add_f32 v[14:15], v[14:15], v[30:31]
	s_nop 0
	v_mov_b32_e32 v8, v15
	v_pk_add_f32 v[30:31], v[8:9], v[12:13] neg_lo:[0,1] neg_hi:[0,1]
	v_mov_b32_e32 v14, v35
	v_mov_b32_e32 v27, v30
	v_pk_add_f32 v[38:39], v[34:35], v[26:27] neg_lo:[0,1] neg_hi:[0,1]
	v_mov_b32_e32 v34, v13
	v_mov_b32_e32 v35, v30
	;; [unrolled: 1-line block ×3, first 2 shown]
	v_pk_add_f32 v[14:15], v[14:15], v[34:35] neg_lo:[0,1] neg_hi:[0,1]
	v_mov_b32_e32 v30, v33
	v_mov_b32_e32 v31, v12
	v_pk_add_f32 v[12:13], v[30:31], v[14:15] neg_lo:[0,1] neg_hi:[0,1]
	v_mov_b32_e32 v38, v36
	v_pk_add_f32 v[14:15], v[38:39], v[12:13]
	s_nop 0
	v_mov_b32_e32 v30, v15
	v_pk_add_f32 v[30:31], v[14:15], v[30:31]
	s_nop 0
	v_pk_add_f32 v[32:33], v[8:9], v[30:31]
	v_mov_b32_e32 v13, v30
	v_mov_b32_e32 v15, v32
	v_pk_add_f32 v[34:35], v[14:15], v[36:37] neg_lo:[0,1] neg_hi:[0,1]
	s_nop 0
	v_sub_f32_e32 v8, v14, v34
	v_pk_add_f32 v[12:13], v[12:13], v[34:35] neg_lo:[0,1] neg_hi:[0,1]
	v_sub_f32_e32 v8, v36, v8
	v_add_f32_e32 v8, v12, v8
	v_add_f32_e32 v8, v8, v13
	;; [unrolled: 1-line block ×3, first 2 shown]
	v_cndmask_b32_e32 v153, v8, v40, vcc
.LBB93_97:                              ;   in Loop: Header=BB93_13 Depth=1
	s_or_b64 exec, exec, s[4:5]
	v_cvt_f32_f16_sdwa v8, v9 dst_sel:DWORD dst_unused:UNUSED_PAD src0_sel:WORD_1
	v_readlane_b32 s2, v166, 2
	s_nop 1
	v_add_f32_e32 v154, s2, v8
	v_readlane_b32 s2, v166, 23
	v_cmp_ge_f32_e32 vcc, s6, v154
	v_readlane_b32 s3, v166, 24
	s_and_b64 s[2:3], s[2:3], vcc
	s_and_saveexec_b64 s[4:5], s[2:3]
	s_cbranch_execz .LBB93_99
; %bb.98:                               ;   in Loop: Header=BB93_13 Depth=1
	v_mul_f32_e32 v8, 0x3fb8aa3b, v154
	v_rndne_f32_e32 v9, v8
	v_sub_f32_e32 v12, v8, v9
	v_fma_f32 v8, v154, s8, -v8
	v_fmac_f32_e32 v8, 0x32a5705f, v154
	v_add_f32_e32 v8, v12, v8
	v_cvt_i32_f32_e32 v9, v9
	v_exp_f32_e32 v8, v8
	v_cmp_ngt_f32_e32 vcc, s9, v154
	v_ldexp_f32 v8, v8, v9
	s_nop 0
	v_cndmask_b32_e32 v8, 0, v8, vcc
	v_cmp_nlt_f32_e32 vcc, s10, v154
	s_nop 1
	v_cndmask_b32_e32 v27, v140, v8, vcc
	v_add_f32_e32 v12, 1.0, v27
	v_add_f32_e32 v8, -1.0, v12
	v_sub_f32_e32 v9, v8, v12
	v_add_f32_e32 v9, 1.0, v9
	v_sub_f32_e32 v8, v27, v8
	v_add_f32_e32 v13, v8, v9
	v_frexp_mant_f32_e32 v14, v12
	v_cvt_f64_f32_e32 v[8:9], v12
	v_frexp_exp_i32_f64_e32 v8, v[8:9]
	v_cmp_gt_f32_e32 vcc, s12, v14
	v_cmp_gt_f32_e64 s[60:61], s14, v27
	s_nop 0
	v_subbrev_co_u32_e32 v32, vcc, 0, v8, vcc
	v_sub_u32_e32 v8, 0, v32
	v_ldexp_f32 v9, v12, v8
	v_add_f32_e32 v12, -1.0, v9
	v_add_f32_e32 v14, 1.0, v9
	v_ldexp_f32 v8, v13, v8
	v_add_f32_e32 v13, 1.0, v12
	v_add_f32_e32 v15, -1.0, v14
	v_sub_f32_e32 v13, v9, v13
	v_sub_f32_e32 v9, v9, v15
	v_add_f32_e32 v13, v8, v13
	v_add_f32_e32 v8, v8, v9
	;; [unrolled: 1-line block ×3, first 2 shown]
	v_rcp_f32_e32 v34, v29
	v_sub_f32_e32 v9, v14, v29
	v_add_f32_e32 v33, v8, v9
	v_add_f32_e32 v9, v12, v13
	v_mul_f32_e32 v36, v9, v34
	v_sub_f32_e32 v8, v12, v9
	v_mul_f32_e32 v12, v29, v36
	v_fma_f32 v14, v36, v29, -v12
	v_fmac_f32_e32 v14, v36, v33
	v_add_f32_e32 v35, v13, v8
	v_add_f32_e32 v8, v12, v14
	v_sub_f32_e32 v13, v9, v8
	v_pk_add_f32 v[30:31], v[8:9], v[12:13] neg_lo:[0,1] neg_hi:[0,1]
	v_mov_b32_e32 v15, v8
	v_pk_add_f32 v[8:9], v[30:31], v[14:15] neg_lo:[0,1] neg_hi:[0,1]
	v_cmp_eq_f32_e32 vcc, s11, v27
	v_add_f32_e32 v9, v35, v9
	v_add_f32_e32 v8, v8, v9
	v_add_f32_e32 v9, v13, v8
	v_mul_f32_e32 v35, v34, v9
	v_mul_f32_e32 v12, v29, v35
	v_fma_f32 v14, v35, v29, -v12
	v_fmac_f32_e32 v14, v35, v33
	v_sub_f32_e32 v13, v13, v9
	v_add_f32_e32 v29, v8, v13
	v_add_f32_e32 v8, v12, v14
	v_sub_f32_e32 v13, v9, v8
	v_pk_add_f32 v[30:31], v[8:9], v[12:13] neg_lo:[0,1] neg_hi:[0,1]
	v_mov_b32_e32 v15, v8
	v_pk_add_f32 v[8:9], v[30:31], v[14:15] neg_lo:[0,1] neg_hi:[0,1]
	s_or_b64 vcc, s[60:61], vcc
	v_add_f32_e32 v9, v29, v9
	v_add_f32_e32 v8, v8, v9
	;; [unrolled: 1-line block ×4, first 2 shown]
	v_sub_f32_e32 v12, v9, v36
	v_mul_f32_e32 v8, v34, v8
	v_sub_f32_e32 v12, v35, v12
	v_add_f32_e32 v12, v12, v8
	v_add_f32_e32 v14, v9, v12
	v_mul_f32_e32 v15, v14, v14
	v_fmamk_f32 v8, v15, 0x3e9b6dac, v139
	v_fmaak_f32 v29, v15, v8, 0x3f2aaada
	v_cvt_f32_i32_e32 v8, v32
	v_sub_f32_e32 v9, v14, v9
	v_sub_f32_e32 v9, v12, v9
	v_ldexp_f32 v30, v9, 1
	v_mul_f32_e32 v9, v14, v15
	v_ldexp_f32 v13, v14, 1
	v_pk_mul_f32 v[14:15], v[8:9], v[28:29]
	s_nop 0
	v_fma_f32 v12, v8, s13, -v14
	v_fmac_f32_e32 v12, 0xb102e308, v8
	v_pk_add_f32 v[8:9], v[14:15], v[12:13]
	s_nop 0
	v_sub_f32_e32 v13, v9, v13
	v_sub_f32_e32 v13, v15, v13
	v_add_f32_e32 v31, v30, v13
	v_mov_b32_e32 v30, v14
	v_pk_add_f32 v[14:15], v[8:9], v[14:15] neg_lo:[0,1] neg_hi:[0,1]
	v_pk_add_f32 v[32:33], v[8:9], v[30:31]
	v_mov_b32_e32 v13, v8
	v_mov_b32_e32 v15, v33
	v_pk_add_f32 v[34:35], v[12:13], v[14:15] neg_lo:[0,1] neg_hi:[0,1]
	v_pk_add_f32 v[12:13], v[12:13], v[14:15]
	v_mov_b32_e32 v30, v31
	v_mov_b32_e32 v14, v13
	v_pk_add_f32 v[36:37], v[14:15], v[8:9] neg_lo:[0,1] neg_hi:[0,1]
	v_mov_b32_e32 v12, v33
	v_mov_b32_e32 v15, v36
	v_pk_add_f32 v[38:39], v[32:33], v[14:15] neg_lo:[0,1] neg_hi:[0,1]
	v_mov_b32_e32 v32, v9
	v_mov_b32_e32 v33, v36
	;; [unrolled: 1-line block ×3, first 2 shown]
	v_pk_add_f32 v[12:13], v[12:13], v[32:33] neg_lo:[0,1] neg_hi:[0,1]
	v_mov_b32_e32 v31, v8
	v_pk_add_f32 v[8:9], v[30:31], v[12:13] neg_lo:[0,1] neg_hi:[0,1]
	v_mov_b32_e32 v38, v34
	v_pk_add_f32 v[12:13], v[38:39], v[8:9]
	s_nop 0
	v_mov_b32_e32 v30, v13
	v_pk_add_f32 v[30:31], v[12:13], v[30:31]
	s_nop 0
	v_pk_add_f32 v[14:15], v[14:15], v[30:31]
	v_mov_b32_e32 v9, v30
	v_mov_b32_e32 v13, v14
	v_pk_add_f32 v[32:33], v[12:13], v[34:35] neg_lo:[0,1] neg_hi:[0,1]
	s_nop 0
	v_sub_f32_e32 v12, v12, v32
	v_pk_add_f32 v[8:9], v[8:9], v[32:33] neg_lo:[0,1] neg_hi:[0,1]
	v_sub_f32_e32 v12, v34, v12
	v_add_f32_e32 v8, v8, v12
	v_add_f32_e32 v8, v8, v9
	;; [unrolled: 1-line block ×3, first 2 shown]
	v_cndmask_b32_e32 v154, v8, v27, vcc
.LBB93_99:                              ;   in Loop: Header=BB93_13 Depth=1
	s_or_b64 exec, exec, s[4:5]
	v_cvt_f32_f16_e32 v8, v10
	v_readlane_b32 s2, v166, 2
	s_nop 1
	v_add_f32_e32 v155, s2, v8
	v_readlane_b32 s2, v166, 23
	v_cmp_ge_f32_e32 vcc, s6, v155
	v_readlane_b32 s3, v166, 24
	s_and_b64 s[2:3], s[2:3], vcc
	s_and_saveexec_b64 s[4:5], s[2:3]
	s_cbranch_execz .LBB93_101
; %bb.100:                              ;   in Loop: Header=BB93_13 Depth=1
	v_mul_f32_e32 v8, 0x3fb8aa3b, v155
	v_rndne_f32_e32 v9, v8
	v_sub_f32_e32 v12, v8, v9
	v_fma_f32 v8, v155, s8, -v8
	v_fmac_f32_e32 v8, 0x32a5705f, v155
	v_add_f32_e32 v8, v12, v8
	v_cvt_i32_f32_e32 v9, v9
	v_exp_f32_e32 v8, v8
	v_cmp_ngt_f32_e32 vcc, s9, v155
	v_ldexp_f32 v8, v8, v9
	s_nop 0
	v_cndmask_b32_e32 v8, 0, v8, vcc
	v_cmp_nlt_f32_e32 vcc, s10, v155
	s_nop 1
	v_cndmask_b32_e32 v27, v140, v8, vcc
	v_add_f32_e32 v12, 1.0, v27
	v_add_f32_e32 v8, -1.0, v12
	v_sub_f32_e32 v9, v8, v12
	v_add_f32_e32 v9, 1.0, v9
	v_sub_f32_e32 v8, v27, v8
	v_add_f32_e32 v13, v8, v9
	v_frexp_mant_f32_e32 v14, v12
	v_cvt_f64_f32_e32 v[8:9], v12
	v_frexp_exp_i32_f64_e32 v8, v[8:9]
	v_cmp_gt_f32_e32 vcc, s12, v14
	v_cmp_gt_f32_e64 s[60:61], s14, v27
	s_nop 0
	v_subbrev_co_u32_e32 v32, vcc, 0, v8, vcc
	v_sub_u32_e32 v8, 0, v32
	v_ldexp_f32 v9, v12, v8
	v_add_f32_e32 v12, -1.0, v9
	v_add_f32_e32 v14, 1.0, v9
	v_ldexp_f32 v8, v13, v8
	v_add_f32_e32 v13, 1.0, v12
	v_add_f32_e32 v15, -1.0, v14
	v_sub_f32_e32 v13, v9, v13
	v_sub_f32_e32 v9, v9, v15
	v_add_f32_e32 v13, v8, v13
	v_add_f32_e32 v8, v8, v9
	;; [unrolled: 1-line block ×3, first 2 shown]
	v_rcp_f32_e32 v34, v29
	v_sub_f32_e32 v9, v14, v29
	v_add_f32_e32 v33, v8, v9
	v_add_f32_e32 v9, v12, v13
	v_mul_f32_e32 v36, v9, v34
	v_sub_f32_e32 v8, v12, v9
	v_mul_f32_e32 v12, v29, v36
	v_fma_f32 v14, v36, v29, -v12
	v_fmac_f32_e32 v14, v36, v33
	v_add_f32_e32 v35, v13, v8
	v_add_f32_e32 v8, v12, v14
	v_sub_f32_e32 v13, v9, v8
	v_pk_add_f32 v[30:31], v[8:9], v[12:13] neg_lo:[0,1] neg_hi:[0,1]
	v_mov_b32_e32 v15, v8
	v_pk_add_f32 v[8:9], v[30:31], v[14:15] neg_lo:[0,1] neg_hi:[0,1]
	v_cmp_eq_f32_e32 vcc, s11, v27
	v_add_f32_e32 v9, v35, v9
	v_add_f32_e32 v8, v8, v9
	;; [unrolled: 1-line block ×3, first 2 shown]
	v_mul_f32_e32 v35, v34, v9
	v_mul_f32_e32 v12, v29, v35
	v_fma_f32 v14, v35, v29, -v12
	v_fmac_f32_e32 v14, v35, v33
	v_sub_f32_e32 v13, v13, v9
	v_add_f32_e32 v29, v8, v13
	v_add_f32_e32 v8, v12, v14
	v_sub_f32_e32 v13, v9, v8
	v_pk_add_f32 v[30:31], v[8:9], v[12:13] neg_lo:[0,1] neg_hi:[0,1]
	v_mov_b32_e32 v15, v8
	v_pk_add_f32 v[8:9], v[30:31], v[14:15] neg_lo:[0,1] neg_hi:[0,1]
	s_or_b64 vcc, s[60:61], vcc
	v_add_f32_e32 v9, v29, v9
	v_add_f32_e32 v8, v8, v9
	;; [unrolled: 1-line block ×4, first 2 shown]
	v_sub_f32_e32 v12, v9, v36
	v_mul_f32_e32 v8, v34, v8
	v_sub_f32_e32 v12, v35, v12
	v_add_f32_e32 v12, v12, v8
	v_add_f32_e32 v14, v9, v12
	v_mul_f32_e32 v15, v14, v14
	v_fmamk_f32 v8, v15, 0x3e9b6dac, v139
	v_fmaak_f32 v29, v15, v8, 0x3f2aaada
	v_cvt_f32_i32_e32 v8, v32
	v_sub_f32_e32 v9, v14, v9
	v_sub_f32_e32 v9, v12, v9
	v_ldexp_f32 v30, v9, 1
	v_mul_f32_e32 v9, v14, v15
	v_ldexp_f32 v13, v14, 1
	v_pk_mul_f32 v[14:15], v[8:9], v[28:29]
	s_nop 0
	v_fma_f32 v12, v8, s13, -v14
	v_fmac_f32_e32 v12, 0xb102e308, v8
	v_pk_add_f32 v[8:9], v[14:15], v[12:13]
	s_nop 0
	v_sub_f32_e32 v13, v9, v13
	v_sub_f32_e32 v13, v15, v13
	v_add_f32_e32 v31, v30, v13
	v_mov_b32_e32 v30, v14
	v_pk_add_f32 v[14:15], v[8:9], v[14:15] neg_lo:[0,1] neg_hi:[0,1]
	v_pk_add_f32 v[32:33], v[8:9], v[30:31]
	v_mov_b32_e32 v13, v8
	v_mov_b32_e32 v15, v33
	v_pk_add_f32 v[34:35], v[12:13], v[14:15] neg_lo:[0,1] neg_hi:[0,1]
	v_pk_add_f32 v[12:13], v[12:13], v[14:15]
	v_mov_b32_e32 v30, v31
	v_mov_b32_e32 v14, v13
	v_pk_add_f32 v[36:37], v[14:15], v[8:9] neg_lo:[0,1] neg_hi:[0,1]
	v_mov_b32_e32 v12, v33
	v_mov_b32_e32 v15, v36
	v_pk_add_f32 v[38:39], v[32:33], v[14:15] neg_lo:[0,1] neg_hi:[0,1]
	v_mov_b32_e32 v32, v9
	v_mov_b32_e32 v33, v36
	;; [unrolled: 1-line block ×3, first 2 shown]
	v_pk_add_f32 v[12:13], v[12:13], v[32:33] neg_lo:[0,1] neg_hi:[0,1]
	v_mov_b32_e32 v31, v8
	v_pk_add_f32 v[8:9], v[30:31], v[12:13] neg_lo:[0,1] neg_hi:[0,1]
	v_mov_b32_e32 v38, v34
	v_pk_add_f32 v[12:13], v[38:39], v[8:9]
	s_nop 0
	v_mov_b32_e32 v30, v13
	v_pk_add_f32 v[30:31], v[12:13], v[30:31]
	s_nop 0
	v_pk_add_f32 v[14:15], v[14:15], v[30:31]
	v_mov_b32_e32 v9, v30
	v_mov_b32_e32 v13, v14
	v_pk_add_f32 v[32:33], v[12:13], v[34:35] neg_lo:[0,1] neg_hi:[0,1]
	s_nop 0
	v_sub_f32_e32 v12, v12, v32
	v_pk_add_f32 v[8:9], v[8:9], v[32:33] neg_lo:[0,1] neg_hi:[0,1]
	v_sub_f32_e32 v12, v34, v12
	v_add_f32_e32 v8, v8, v12
	v_add_f32_e32 v8, v8, v9
	;; [unrolled: 1-line block ×3, first 2 shown]
	v_cndmask_b32_e32 v155, v8, v27, vcc
.LBB93_101:                             ;   in Loop: Header=BB93_13 Depth=1
	s_or_b64 exec, exec, s[4:5]
	v_cvt_f32_f16_sdwa v8, v10 dst_sel:DWORD dst_unused:UNUSED_PAD src0_sel:WORD_1
	v_readlane_b32 s2, v166, 2
	s_nop 1
	v_add_f32_e32 v156, s2, v8
	v_readlane_b32 s2, v166, 23
	v_cmp_ge_f32_e32 vcc, s6, v156
	v_readlane_b32 s3, v166, 24
	s_and_b64 s[2:3], s[2:3], vcc
	s_and_saveexec_b64 s[4:5], s[2:3]
	s_cbranch_execz .LBB93_103
; %bb.102:                              ;   in Loop: Header=BB93_13 Depth=1
	v_mul_f32_e32 v8, 0x3fb8aa3b, v156
	v_rndne_f32_e32 v9, v8
	v_sub_f32_e32 v10, v8, v9
	v_fma_f32 v8, v156, s8, -v8
	v_fmac_f32_e32 v8, 0x32a5705f, v156
	v_add_f32_e32 v8, v10, v8
	v_cvt_i32_f32_e32 v9, v9
	v_exp_f32_e32 v8, v8
	v_cmp_ngt_f32_e32 vcc, s9, v156
	v_ldexp_f32 v8, v8, v9
	s_nop 0
	v_cndmask_b32_e32 v8, 0, v8, vcc
	v_cmp_nlt_f32_e32 vcc, s10, v156
	s_nop 1
	v_cndmask_b32_e32 v27, v140, v8, vcc
	v_add_f32_e32 v10, 1.0, v27
	v_add_f32_e32 v8, -1.0, v10
	v_sub_f32_e32 v9, v8, v10
	v_add_f32_e32 v9, 1.0, v9
	v_sub_f32_e32 v8, v27, v8
	v_add_f32_e32 v12, v8, v9
	v_frexp_mant_f32_e32 v13, v10
	v_cvt_f64_f32_e32 v[8:9], v10
	v_frexp_exp_i32_f64_e32 v8, v[8:9]
	v_cmp_gt_f32_e32 vcc, s12, v13
	v_cmp_gt_f32_e64 s[60:61], s14, v27
	s_nop 0
	v_subbrev_co_u32_e32 v32, vcc, 0, v8, vcc
	v_sub_u32_e32 v8, 0, v32
	v_ldexp_f32 v9, v10, v8
	v_add_f32_e32 v10, -1.0, v9
	v_add_f32_e32 v13, 1.0, v9
	v_ldexp_f32 v8, v12, v8
	v_add_f32_e32 v12, 1.0, v10
	v_add_f32_e32 v14, -1.0, v13
	v_sub_f32_e32 v12, v9, v12
	v_sub_f32_e32 v9, v9, v14
	v_add_f32_e32 v12, v8, v12
	v_add_f32_e32 v8, v8, v9
	;; [unrolled: 1-line block ×3, first 2 shown]
	v_rcp_f32_e32 v34, v29
	v_sub_f32_e32 v9, v13, v29
	v_add_f32_e32 v33, v8, v9
	v_add_f32_e32 v9, v10, v12
	v_sub_f32_e32 v8, v10, v9
	v_mul_f32_e32 v35, v9, v34
	v_add_f32_e32 v10, v12, v8
	v_mul_f32_e32 v12, v29, v35
	v_fma_f32 v14, v35, v29, -v12
	v_fmac_f32_e32 v14, v35, v33
	v_add_f32_e32 v8, v12, v14
	v_sub_f32_e32 v13, v9, v8
	v_pk_add_f32 v[30:31], v[8:9], v[12:13] neg_lo:[0,1] neg_hi:[0,1]
	v_mov_b32_e32 v15, v8
	v_pk_add_f32 v[8:9], v[30:31], v[14:15] neg_lo:[0,1] neg_hi:[0,1]
	v_cmp_eq_f32_e32 vcc, s11, v27
	v_add_f32_e32 v9, v10, v9
	v_add_f32_e32 v8, v8, v9
	;; [unrolled: 1-line block ×3, first 2 shown]
	v_mul_f32_e32 v10, v34, v9
	v_mul_f32_e32 v12, v29, v10
	v_fma_f32 v14, v10, v29, -v12
	v_fmac_f32_e32 v14, v10, v33
	v_sub_f32_e32 v13, v13, v9
	v_add_f32_e32 v29, v8, v13
	v_add_f32_e32 v8, v12, v14
	v_sub_f32_e32 v13, v9, v8
	v_pk_add_f32 v[30:31], v[8:9], v[12:13] neg_lo:[0,1] neg_hi:[0,1]
	v_mov_b32_e32 v15, v8
	v_pk_add_f32 v[8:9], v[30:31], v[14:15] neg_lo:[0,1] neg_hi:[0,1]
	s_or_b64 vcc, s[60:61], vcc
	v_add_f32_e32 v9, v29, v9
	v_add_f32_e32 v8, v8, v9
	;; [unrolled: 1-line block ×4, first 2 shown]
	v_sub_f32_e32 v12, v9, v35
	v_mul_f32_e32 v8, v34, v8
	v_sub_f32_e32 v10, v10, v12
	v_add_f32_e32 v10, v10, v8
	v_add_f32_e32 v12, v9, v10
	v_mul_f32_e32 v14, v12, v12
	v_fmamk_f32 v8, v14, 0x3e9b6dac, v139
	v_fmaak_f32 v29, v14, v8, 0x3f2aaada
	v_cvt_f32_i32_e32 v8, v32
	v_sub_f32_e32 v9, v12, v9
	v_sub_f32_e32 v9, v10, v9
	v_ldexp_f32 v10, v9, 1
	v_mul_f32_e32 v9, v12, v14
	v_pk_mul_f32 v[14:15], v[8:9], v[28:29]
	v_ldexp_f32 v13, v12, 1
	v_fma_f32 v12, v8, s13, -v14
	v_fmac_f32_e32 v12, 0xb102e308, v8
	v_pk_add_f32 v[8:9], v[14:15], v[12:13]
	v_mov_b32_e32 v30, v14
	v_sub_f32_e32 v13, v9, v13
	v_sub_f32_e32 v13, v15, v13
	v_add_f32_e32 v31, v10, v13
	v_pk_add_f32 v[14:15], v[8:9], v[14:15] neg_lo:[0,1] neg_hi:[0,1]
	v_pk_add_f32 v[32:33], v[8:9], v[30:31]
	v_mov_b32_e32 v13, v8
	v_mov_b32_e32 v15, v33
	v_pk_add_f32 v[34:35], v[12:13], v[14:15] neg_lo:[0,1] neg_hi:[0,1]
	v_pk_add_f32 v[12:13], v[12:13], v[14:15]
	s_nop 0
	v_mov_b32_e32 v10, v13
	v_pk_add_f32 v[14:15], v[10:11], v[8:9] neg_lo:[0,1] neg_hi:[0,1]
	v_mov_b32_e32 v12, v33
	v_mov_b32_e32 v15, v14
	v_pk_add_f32 v[36:37], v[32:33], v[14:15] neg_lo:[0,1] neg_hi:[0,1]
	v_mov_b32_e32 v32, v9
	v_mov_b32_e32 v33, v14
	;; [unrolled: 1-line block ×3, first 2 shown]
	v_pk_add_f32 v[12:13], v[12:13], v[32:33] neg_lo:[0,1] neg_hi:[0,1]
	v_mov_b32_e32 v14, v31
	v_mov_b32_e32 v15, v8
	v_pk_add_f32 v[8:9], v[14:15], v[12:13] neg_lo:[0,1] neg_hi:[0,1]
	v_mov_b32_e32 v36, v34
	v_pk_add_f32 v[12:13], v[36:37], v[8:9]
	s_nop 0
	v_mov_b32_e32 v14, v13
	v_pk_add_f32 v[14:15], v[12:13], v[14:15]
	s_nop 0
	v_pk_add_f32 v[30:31], v[10:11], v[14:15]
	v_mov_b32_e32 v9, v14
	v_mov_b32_e32 v13, v30
	v_pk_add_f32 v[32:33], v[12:13], v[34:35] neg_lo:[0,1] neg_hi:[0,1]
	s_nop 0
	v_sub_f32_e32 v10, v12, v32
	v_pk_add_f32 v[8:9], v[8:9], v[32:33] neg_lo:[0,1] neg_hi:[0,1]
	v_sub_f32_e32 v10, v34, v10
	v_add_f32_e32 v8, v8, v10
	v_add_f32_e32 v8, v8, v9
	v_add_f32_e32 v8, v30, v8
	v_cndmask_b32_e32 v156, v8, v27, vcc
.LBB93_103:                             ;   in Loop: Header=BB93_13 Depth=1
	s_or_b64 exec, exec, s[4:5]
	v_cvt_f32_f16_e32 v8, v11
	v_readlane_b32 s2, v166, 2
	s_nop 1
	v_add_f32_e32 v46, s2, v8
	v_readlane_b32 s2, v166, 23
	v_cmp_ge_f32_e32 vcc, s6, v46
	v_readlane_b32 s3, v166, 24
	s_and_b64 s[2:3], s[2:3], vcc
	s_and_saveexec_b64 s[4:5], s[2:3]
	s_cbranch_execz .LBB93_105
; %bb.104:                              ;   in Loop: Header=BB93_13 Depth=1
	v_mul_f32_e32 v8, 0x3fb8aa3b, v46
	v_rndne_f32_e32 v9, v8
	v_sub_f32_e32 v10, v8, v9
	v_fma_f32 v8, v46, s8, -v8
	v_fmac_f32_e32 v8, 0x32a5705f, v46
	v_add_f32_e32 v8, v10, v8
	v_cvt_i32_f32_e32 v9, v9
	v_exp_f32_e32 v8, v8
	v_cmp_ngt_f32_e32 vcc, s9, v46
	v_ldexp_f32 v8, v8, v9
	s_nop 0
	v_cndmask_b32_e32 v8, 0, v8, vcc
	v_cmp_nlt_f32_e32 vcc, s10, v46
	s_nop 1
	v_cndmask_b32_e32 v27, v140, v8, vcc
	v_add_f32_e32 v10, 1.0, v27
	v_add_f32_e32 v8, -1.0, v10
	v_sub_f32_e32 v9, v8, v10
	v_add_f32_e32 v9, 1.0, v9
	v_sub_f32_e32 v8, v27, v8
	v_add_f32_e32 v12, v8, v9
	v_frexp_mant_f32_e32 v13, v10
	v_cvt_f64_f32_e32 v[8:9], v10
	v_frexp_exp_i32_f64_e32 v8, v[8:9]
	v_cmp_gt_f32_e32 vcc, s12, v13
	v_cmp_gt_f32_e64 s[60:61], s14, v27
	s_nop 0
	v_subbrev_co_u32_e32 v32, vcc, 0, v8, vcc
	v_sub_u32_e32 v8, 0, v32
	v_ldexp_f32 v9, v10, v8
	v_add_f32_e32 v10, -1.0, v9
	v_add_f32_e32 v13, 1.0, v9
	v_ldexp_f32 v8, v12, v8
	v_add_f32_e32 v12, 1.0, v10
	v_add_f32_e32 v14, -1.0, v13
	v_sub_f32_e32 v12, v9, v12
	v_sub_f32_e32 v9, v9, v14
	v_add_f32_e32 v12, v8, v12
	v_add_f32_e32 v8, v8, v9
	;; [unrolled: 1-line block ×3, first 2 shown]
	v_rcp_f32_e32 v34, v29
	v_sub_f32_e32 v9, v13, v29
	v_add_f32_e32 v33, v8, v9
	v_add_f32_e32 v9, v10, v12
	v_sub_f32_e32 v8, v10, v9
	v_mul_f32_e32 v35, v9, v34
	v_add_f32_e32 v10, v12, v8
	v_mul_f32_e32 v12, v29, v35
	v_fma_f32 v14, v35, v29, -v12
	v_fmac_f32_e32 v14, v35, v33
	v_add_f32_e32 v8, v12, v14
	v_sub_f32_e32 v13, v9, v8
	v_pk_add_f32 v[30:31], v[8:9], v[12:13] neg_lo:[0,1] neg_hi:[0,1]
	v_mov_b32_e32 v15, v8
	v_pk_add_f32 v[8:9], v[30:31], v[14:15] neg_lo:[0,1] neg_hi:[0,1]
	v_cmp_eq_f32_e32 vcc, s11, v27
	v_add_f32_e32 v9, v10, v9
	v_add_f32_e32 v8, v8, v9
	;; [unrolled: 1-line block ×3, first 2 shown]
	v_mul_f32_e32 v10, v34, v9
	v_mul_f32_e32 v12, v29, v10
	v_fma_f32 v14, v10, v29, -v12
	v_fmac_f32_e32 v14, v10, v33
	v_sub_f32_e32 v13, v13, v9
	v_add_f32_e32 v29, v8, v13
	v_add_f32_e32 v8, v12, v14
	v_sub_f32_e32 v13, v9, v8
	v_pk_add_f32 v[30:31], v[8:9], v[12:13] neg_lo:[0,1] neg_hi:[0,1]
	v_mov_b32_e32 v15, v8
	v_pk_add_f32 v[8:9], v[30:31], v[14:15] neg_lo:[0,1] neg_hi:[0,1]
	s_or_b64 vcc, s[60:61], vcc
	v_add_f32_e32 v9, v29, v9
	v_add_f32_e32 v8, v8, v9
	;; [unrolled: 1-line block ×4, first 2 shown]
	v_sub_f32_e32 v12, v9, v35
	v_mul_f32_e32 v8, v34, v8
	v_sub_f32_e32 v10, v10, v12
	v_add_f32_e32 v10, v10, v8
	v_add_f32_e32 v12, v9, v10
	v_mul_f32_e32 v14, v12, v12
	v_fmamk_f32 v8, v14, 0x3e9b6dac, v139
	v_fmaak_f32 v29, v14, v8, 0x3f2aaada
	v_cvt_f32_i32_e32 v8, v32
	v_sub_f32_e32 v9, v12, v9
	v_sub_f32_e32 v9, v10, v9
	v_ldexp_f32 v10, v9, 1
	v_mul_f32_e32 v9, v12, v14
	v_pk_mul_f32 v[14:15], v[8:9], v[28:29]
	v_ldexp_f32 v13, v12, 1
	v_fma_f32 v12, v8, s13, -v14
	v_fmac_f32_e32 v12, 0xb102e308, v8
	v_pk_add_f32 v[8:9], v[14:15], v[12:13]
	v_mov_b32_e32 v30, v14
	v_sub_f32_e32 v13, v9, v13
	v_sub_f32_e32 v13, v15, v13
	v_add_f32_e32 v31, v10, v13
	v_pk_add_f32 v[14:15], v[8:9], v[14:15] neg_lo:[0,1] neg_hi:[0,1]
	v_pk_add_f32 v[32:33], v[8:9], v[30:31]
	v_mov_b32_e32 v13, v8
	v_mov_b32_e32 v15, v33
	v_pk_add_f32 v[34:35], v[12:13], v[14:15] neg_lo:[0,1] neg_hi:[0,1]
	v_pk_add_f32 v[12:13], v[12:13], v[14:15]
	s_nop 0
	v_mov_b32_e32 v10, v13
	v_pk_add_f32 v[14:15], v[10:11], v[8:9] neg_lo:[0,1] neg_hi:[0,1]
	v_mov_b32_e32 v12, v33
	v_mov_b32_e32 v15, v14
	v_pk_add_f32 v[36:37], v[32:33], v[14:15] neg_lo:[0,1] neg_hi:[0,1]
	v_mov_b32_e32 v32, v9
	v_mov_b32_e32 v33, v14
	v_mov_b32_e32 v35, v13
	v_pk_add_f32 v[12:13], v[12:13], v[32:33] neg_lo:[0,1] neg_hi:[0,1]
	v_mov_b32_e32 v14, v31
	v_mov_b32_e32 v15, v8
	v_pk_add_f32 v[8:9], v[14:15], v[12:13] neg_lo:[0,1] neg_hi:[0,1]
	v_mov_b32_e32 v36, v34
	v_pk_add_f32 v[12:13], v[36:37], v[8:9]
	s_nop 0
	v_mov_b32_e32 v14, v13
	v_pk_add_f32 v[14:15], v[12:13], v[14:15]
	s_nop 0
	v_pk_add_f32 v[30:31], v[10:11], v[14:15]
	v_mov_b32_e32 v9, v14
	v_mov_b32_e32 v13, v30
	v_pk_add_f32 v[32:33], v[12:13], v[34:35] neg_lo:[0,1] neg_hi:[0,1]
	s_nop 0
	v_sub_f32_e32 v10, v12, v32
	v_pk_add_f32 v[8:9], v[8:9], v[32:33] neg_lo:[0,1] neg_hi:[0,1]
	v_sub_f32_e32 v10, v34, v10
	v_add_f32_e32 v8, v8, v10
	v_add_f32_e32 v8, v8, v9
	v_add_f32_e32 v8, v30, v8
	v_cndmask_b32_e32 v46, v8, v27, vcc
.LBB93_105:                             ;   in Loop: Header=BB93_13 Depth=1
	s_or_b64 exec, exec, s[4:5]
	v_cvt_f32_f16_sdwa v8, v11 dst_sel:DWORD dst_unused:UNUSED_PAD src0_sel:WORD_1
	v_readlane_b32 s2, v166, 2
	s_nop 1
	v_add_f32_e32 v47, s2, v8
	v_readlane_b32 s2, v166, 23
	v_cmp_ge_f32_e32 vcc, s6, v47
	v_readlane_b32 s3, v166, 24
	s_and_b64 s[2:3], s[2:3], vcc
	s_and_saveexec_b64 s[4:5], s[2:3]
	s_cbranch_execz .LBB93_107
; %bb.106:                              ;   in Loop: Header=BB93_13 Depth=1
	v_mul_f32_e32 v8, 0x3fb8aa3b, v47
	v_rndne_f32_e32 v9, v8
	v_sub_f32_e32 v10, v8, v9
	v_fma_f32 v8, v47, s8, -v8
	v_fmac_f32_e32 v8, 0x32a5705f, v47
	v_add_f32_e32 v8, v10, v8
	v_cvt_i32_f32_e32 v9, v9
	v_exp_f32_e32 v8, v8
	v_cmp_ngt_f32_e32 vcc, s9, v47
	v_ldexp_f32 v8, v8, v9
	s_nop 0
	v_cndmask_b32_e32 v8, 0, v8, vcc
	v_cmp_nlt_f32_e32 vcc, s10, v47
	s_nop 1
	v_cndmask_b32_e32 v27, v140, v8, vcc
	v_add_f32_e32 v10, 1.0, v27
	v_add_f32_e32 v8, -1.0, v10
	v_sub_f32_e32 v9, v8, v10
	v_add_f32_e32 v9, 1.0, v9
	v_sub_f32_e32 v8, v27, v8
	v_add_f32_e32 v11, v8, v9
	v_frexp_mant_f32_e32 v12, v10
	v_cvt_f64_f32_e32 v[8:9], v10
	v_frexp_exp_i32_f64_e32 v8, v[8:9]
	v_cmp_gt_f32_e32 vcc, s12, v12
	v_cmp_gt_f32_e64 s[60:61], s14, v27
	s_nop 0
	v_subbrev_co_u32_e32 v30, vcc, 0, v8, vcc
	v_sub_u32_e32 v8, 0, v30
	v_ldexp_f32 v9, v10, v8
	v_add_f32_e32 v10, -1.0, v9
	v_add_f32_e32 v12, 1.0, v9
	v_ldexp_f32 v8, v11, v8
	v_add_f32_e32 v11, 1.0, v10
	v_add_f32_e32 v13, -1.0, v12
	v_sub_f32_e32 v11, v9, v11
	v_sub_f32_e32 v9, v9, v13
	v_add_f32_e32 v11, v8, v11
	v_add_f32_e32 v8, v8, v9
	;; [unrolled: 1-line block ×3, first 2 shown]
	v_rcp_f32_e32 v32, v29
	v_sub_f32_e32 v9, v12, v29
	v_add_f32_e32 v31, v8, v9
	v_add_f32_e32 v9, v10, v11
	v_mul_f32_e32 v34, v9, v32
	v_sub_f32_e32 v8, v10, v9
	v_mul_f32_e32 v10, v29, v34
	v_fma_f32 v12, v34, v29, -v10
	v_fmac_f32_e32 v12, v34, v31
	v_add_f32_e32 v33, v11, v8
	v_add_f32_e32 v8, v10, v12
	v_sub_f32_e32 v11, v9, v8
	v_pk_add_f32 v[14:15], v[8:9], v[10:11] neg_lo:[0,1] neg_hi:[0,1]
	v_mov_b32_e32 v13, v8
	v_pk_add_f32 v[8:9], v[14:15], v[12:13] neg_lo:[0,1] neg_hi:[0,1]
	v_cmp_eq_f32_e32 vcc, s11, v27
	v_add_f32_e32 v9, v33, v9
	v_add_f32_e32 v8, v8, v9
	;; [unrolled: 1-line block ×3, first 2 shown]
	v_mul_f32_e32 v33, v32, v9
	v_mul_f32_e32 v10, v29, v33
	v_fma_f32 v12, v33, v29, -v10
	v_fmac_f32_e32 v12, v33, v31
	v_sub_f32_e32 v11, v11, v9
	v_add_f32_e32 v29, v8, v11
	v_add_f32_e32 v8, v10, v12
	v_sub_f32_e32 v11, v9, v8
	v_pk_add_f32 v[14:15], v[8:9], v[10:11] neg_lo:[0,1] neg_hi:[0,1]
	v_mov_b32_e32 v13, v8
	v_pk_add_f32 v[8:9], v[14:15], v[12:13] neg_lo:[0,1] neg_hi:[0,1]
	s_or_b64 vcc, s[60:61], vcc
	v_add_f32_e32 v9, v29, v9
	v_add_f32_e32 v8, v8, v9
	;; [unrolled: 1-line block ×4, first 2 shown]
	v_sub_f32_e32 v10, v9, v34
	v_mul_f32_e32 v8, v32, v8
	v_sub_f32_e32 v10, v33, v10
	v_add_f32_e32 v10, v10, v8
	v_add_f32_e32 v12, v9, v10
	v_mul_f32_e32 v13, v12, v12
	v_fmamk_f32 v8, v13, 0x3e9b6dac, v139
	v_fmaak_f32 v29, v13, v8, 0x3f2aaada
	v_cvt_f32_i32_e32 v8, v30
	v_sub_f32_e32 v9, v12, v9
	v_sub_f32_e32 v9, v10, v9
	v_ldexp_f32 v14, v9, 1
	v_mul_f32_e32 v9, v12, v13
	v_ldexp_f32 v11, v12, 1
	v_pk_mul_f32 v[12:13], v[8:9], v[28:29]
	s_nop 0
	v_fma_f32 v10, v8, s13, -v12
	v_fmac_f32_e32 v10, 0xb102e308, v8
	v_pk_add_f32 v[8:9], v[12:13], v[10:11]
	s_nop 0
	v_sub_f32_e32 v11, v9, v11
	v_sub_f32_e32 v11, v13, v11
	v_add_f32_e32 v15, v14, v11
	v_mov_b32_e32 v14, v12
	v_pk_add_f32 v[12:13], v[8:9], v[12:13] neg_lo:[0,1] neg_hi:[0,1]
	v_pk_add_f32 v[30:31], v[8:9], v[14:15]
	v_mov_b32_e32 v11, v8
	v_mov_b32_e32 v13, v31
	v_pk_add_f32 v[32:33], v[10:11], v[12:13] neg_lo:[0,1] neg_hi:[0,1]
	v_pk_add_f32 v[10:11], v[10:11], v[12:13]
	v_mov_b32_e32 v14, v15
	v_mov_b32_e32 v12, v11
	v_pk_add_f32 v[34:35], v[12:13], v[8:9] neg_lo:[0,1] neg_hi:[0,1]
	v_mov_b32_e32 v10, v31
	v_mov_b32_e32 v13, v34
	v_pk_add_f32 v[36:37], v[30:31], v[12:13] neg_lo:[0,1] neg_hi:[0,1]
	v_mov_b32_e32 v30, v9
	v_mov_b32_e32 v31, v34
	;; [unrolled: 1-line block ×3, first 2 shown]
	v_pk_add_f32 v[10:11], v[10:11], v[30:31] neg_lo:[0,1] neg_hi:[0,1]
	v_mov_b32_e32 v15, v8
	v_pk_add_f32 v[8:9], v[14:15], v[10:11] neg_lo:[0,1] neg_hi:[0,1]
	v_mov_b32_e32 v36, v32
	v_pk_add_f32 v[10:11], v[36:37], v[8:9]
	s_nop 0
	v_mov_b32_e32 v14, v11
	v_pk_add_f32 v[14:15], v[10:11], v[14:15]
	s_nop 0
	v_pk_add_f32 v[12:13], v[12:13], v[14:15]
	v_mov_b32_e32 v9, v14
	v_mov_b32_e32 v11, v12
	v_pk_add_f32 v[30:31], v[10:11], v[32:33] neg_lo:[0,1] neg_hi:[0,1]
	s_nop 0
	v_sub_f32_e32 v10, v10, v30
	v_pk_add_f32 v[8:9], v[8:9], v[30:31] neg_lo:[0,1] neg_hi:[0,1]
	v_sub_f32_e32 v10, v32, v10
	v_add_f32_e32 v8, v8, v10
	v_add_f32_e32 v8, v8, v9
	;; [unrolled: 1-line block ×3, first 2 shown]
	v_cndmask_b32_e32 v47, v8, v27, vcc
.LBB93_107:                             ;   in Loop: Header=BB93_13 Depth=1
	s_or_b64 exec, exec, s[4:5]
	v_cvt_f32_f16_e32 v8, v7
	v_cvt_f32_f16_sdwa v9, v6 dst_sel:DWORD dst_unused:UNUSED_PAD src0_sel:WORD_1
	v_cvt_f32_f16_e32 v6, v6
	v_cvt_f32_f16_sdwa v13, v7 dst_sel:DWORD dst_unused:UNUSED_PAD src0_sel:WORD_1
	v_cvt_f32_f16_sdwa v7, v5 dst_sel:DWORD dst_unused:UNUSED_PAD src0_sel:WORD_1
	v_cvt_f32_f16_e32 v5, v5
	v_cvt_f32_f16_sdwa v10, v4 dst_sel:DWORD dst_unused:UNUSED_PAD src0_sel:WORD_1
	v_cvt_f32_f16_e32 v4, v4
	;; [unrolled: 2-line block ×6, first 2 shown]
	v_readlane_b32 s2, v166, 3
	s_barrier
	s_nop 0
	v_mul_f32_e32 v32, s2, v8
	v_mul_f32_e32 v31, s2, v9
	;; [unrolled: 1-line block ×16, first 2 shown]
	v_readlane_b32 s2, v166, 25
	v_readlane_b32 s3, v166, 26
	s_and_b64 vcc, exec, s[2:3]
	s_cbranch_vccz .LBB93_204
; %bb.108:                              ;   in Loop: Header=BB93_13 Depth=1
	v_readlane_b32 s2, v166, 9
	v_readlane_b32 s3, v166, 10
	v_mul_f32_e32 v127, v143, v0
	v_cmp_gt_u32_e32 vcc, s88, v19
	v_lshl_add_u64 v[48:49], s[2:3], 0, v[16:17]
	v_readlane_b32 s2, v166, 19
	v_readlane_b32 s3, v166, 20
	v_or_b32_e32 v0, 1, v19
	v_mov_b32_e32 v27, v17
	v_lshl_add_u64 v[50:51], s[2:3], 0, v[16:17]
	v_readlane_b32 s3, v166, 60
	s_cmp_lg_u32 s3, 0
	v_readlane_b32 s2, v166, 30
	s_cselect_b64 s[94:95], -1, 0
	s_cmp_eq_u32 s3, s2
	v_readlane_b32 s2, v166, 51
	v_readlane_b32 s3, v166, 52
	s_cselect_b64 s[96:97], -1, 0
	s_or_b64 s[60:61], s[2:3], vcc
	v_cmp_gt_u32_e32 vcc, s88, v0
	v_or_b32_e32 v0, 2, v19
	s_or_b64 s[62:63], s[2:3], vcc
	v_cmp_gt_u32_e32 vcc, s88, v0
	v_or_b32_e32 v0, 3, v19
	;; [unrolled: 3-line block ×14, first 2 shown]
	v_cmp_gt_u32_e64 s[88:89], s88, v0
	s_or_b64 s[88:89], s[2:3], s[88:89]
	s_or_b64 s[90:91], s[2:3], vcc
	v_readlane_b32 s2, v166, 27
	s_mov_b32 s6, 0
	v_readlane_b32 s3, v166, 28
	v_mul_f32_e32 v29, v47, v13
	v_lshl_add_u64 v[48:49], v[48:49], 0, v[26:27]
	v_lshl_add_u64 v[50:51], v[50:51], 0, v[26:27]
	v_mul_f32_e32 v16, v46, v8
	v_mul_f32_e32 v27, v156, v9
	v_mul_f32_e32 v157, v155, v6
	v_mul_f32_e32 v158, v154, v7
	v_mul_f32_e32 v159, v153, v5
	v_mul_f32_e32 v160, v152, v10
	v_mul_f32_e32 v161, v151, v4
	v_mul_f32_e32 v162, v150, v11
	v_mul_f32_e32 v163, v149, v3
	v_mul_f32_e32 v164, v148, v12
	v_mul_f32_e32 v165, v147, v2
	v_mul_f32_e32 v124, v146, v14
	v_mul_f32_e32 v125, v145, v1
	v_mul_f32_e32 v126, v144, v15
	s_mov_b32 s92, s6
	s_mov_b32 s98, s6
	;; [unrolled: 1-line block ×4, first 2 shown]
	v_readlane_b32 s9, v166, 59
	s_branch .LBB93_110
.LBB93_109:                             ;   in Loop: Header=BB93_110 Depth=2
	s_or_b64 exec, exec, s[2:3]
	v_cndmask_b32_e64 v8, v8, v71, s[24:25]
	v_cndmask_b32_e64 v52, v62, v70, s[24:25]
	v_mul_f32_e32 v52, v52, v129
	v_fma_f32 v8, v8, v129, v128
	v_cndmask_b32_e64 v8, v8, v128, s[22:23]
	v_cndmask_b32_e64 v52, v52, v129, s[22:23]
	s_waitcnt lgkmcnt(0)
	v_fmac_f32_e32 v8, v65, v52
	v_fmac_f32_e32 v9, v8, v130
	;; [unrolled: 1-line block ×15, first 2 shown]
	v_readlane_b32 s12, v166, 31
	v_fmac_f32_e32 v63, v61, v67
	v_cvt_f32_f16_sdwa v53, v4 dst_sel:DWORD dst_unused:UNUSED_PAD src0_sel:WORD_1
	v_cvt_f32_f16_sdwa v65, v5 dst_sel:DWORD dst_unused:UNUSED_PAD src0_sel:WORD_1
	v_cvt_f32_f16_e32 v52, v4
	v_cvt_f32_f16_e32 v64, v5
	v_cvt_f32_f16_sdwa v5, v6 dst_sel:DWORD dst_unused:UNUSED_PAD src0_sel:WORD_1
	v_cvt_f32_f16_sdwa v67, v7 dst_sel:DWORD dst_unused:UNUSED_PAD src0_sel:WORD_1
	v_cvt_f32_f16_e32 v4, v6
	v_cvt_f32_f16_e32 v66, v7
	;; [unrolled: 4-line block ×4, first 2 shown]
	v_readlane_b32 s13, v166, 32
	v_readlane_b32 s14, v166, 33
	v_readlane_b32 s15, v166, 34
	v_readlane_b32 s16, v166, 35
	v_readlane_b32 s17, v166, 36
	v_readlane_b32 s18, v166, 37
	v_readlane_b32 s19, v166, 38
	s_add_i32 s98, s98, s12
	v_readlane_b32 s12, v166, 11
	v_readlane_b32 s2, v166, 4
	;; [unrolled: 1-line block ×4, first 2 shown]
	v_mov_b32_e32 v62, v61
	s_add_i32 s9, s9, 8
	s_add_i32 s8, s8, -1
	s_add_i32 s4, s4, s2
	s_add_i32 s92, s92, s16
	;; [unrolled: 1-line block ×3, first 2 shown]
	v_pk_fma_f32 v[44:45], v[10:11], v[64:65], v[44:45]
	v_pk_fma_f32 v[42:43], v[8:9], v[52:53], v[42:43]
	;; [unrolled: 1-line block ×7, first 2 shown]
	s_cmp_eq_u32 s8, 0
	v_pk_fma_f32 v[30:31], v[56:57], v[0:1], v[30:31]
	v_readlane_b32 s14, v166, 13
	v_readlane_b32 s15, v166, 14
	;; [unrolled: 1-line block ×5, first 2 shown]
	s_cbranch_scc1 .LBB93_203
.LBB93_110:                             ;   Parent Loop BB93_13 Depth=1
                                        ; =>  This Inner Loop Header: Depth=2
	s_lshl_b64 s[2:3], s[6:7], 2
	v_readlane_b32 s5, v166, 7
	s_add_u32 s2, s5, s2
	v_readlane_b32 s5, v166, 8
	s_addc_u32 s3, s5, s3
	global_load_dword v54, v17, s[2:3]
	s_mov_b32 s93, s7
	v_lshl_add_u64 v[0:1], s[92:93], 1, v[48:49]
	v_mov_b32_e32 v2, 0
	v_mov_b32_e32 v3, 0
	s_and_saveexec_b64 s[2:3], s[26:27]
	s_cbranch_execnz .LBB93_146
; %bb.111:                              ;   in Loop: Header=BB93_110 Depth=2
	s_or_b64 exec, exec, s[2:3]
	s_and_saveexec_b64 s[2:3], s[28:29]
	s_cbranch_execnz .LBB93_147
.LBB93_112:                             ;   in Loop: Header=BB93_110 Depth=2
	s_or_b64 exec, exec, s[2:3]
	v_mov_b32_e32 v4, 0
	s_and_saveexec_b64 s[2:3], s[30:31]
	s_cbranch_execnz .LBB93_148
.LBB93_113:                             ;   in Loop: Header=BB93_110 Depth=2
	s_or_b64 exec, exec, s[2:3]
	s_and_saveexec_b64 s[2:3], s[34:35]
	s_cbranch_execnz .LBB93_149
.LBB93_114:                             ;   in Loop: Header=BB93_110 Depth=2
	s_or_b64 exec, exec, s[2:3]
	v_mov_b32_e32 v5, 0
	s_and_saveexec_b64 s[2:3], s[36:37]
	s_cbranch_execnz .LBB93_150
.LBB93_115:                             ;   in Loop: Header=BB93_110 Depth=2
	s_or_b64 exec, exec, s[2:3]
	s_and_saveexec_b64 s[2:3], s[38:39]
	s_cbranch_execnz .LBB93_151
.LBB93_116:                             ;   in Loop: Header=BB93_110 Depth=2
	s_or_b64 exec, exec, s[2:3]
	v_mov_b32_e32 v6, 0
	s_and_saveexec_b64 s[2:3], s[40:41]
	s_cbranch_execnz .LBB93_152
.LBB93_117:                             ;   in Loop: Header=BB93_110 Depth=2
	s_or_b64 exec, exec, s[2:3]
	s_and_saveexec_b64 s[2:3], s[42:43]
	s_cbranch_execnz .LBB93_153
.LBB93_118:                             ;   in Loop: Header=BB93_110 Depth=2
	s_or_b64 exec, exec, s[2:3]
	v_mov_b32_e32 v7, 0
	s_and_saveexec_b64 s[2:3], s[44:45]
	s_cbranch_execnz .LBB93_154
.LBB93_119:                             ;   in Loop: Header=BB93_110 Depth=2
	s_or_b64 exec, exec, s[2:3]
	s_and_saveexec_b64 s[2:3], s[46:47]
	s_cbranch_execnz .LBB93_155
.LBB93_120:                             ;   in Loop: Header=BB93_110 Depth=2
	s_or_b64 exec, exec, s[2:3]
	v_mov_b32_e32 v8, 0
	s_and_saveexec_b64 s[2:3], s[48:49]
	s_cbranch_execnz .LBB93_156
.LBB93_121:                             ;   in Loop: Header=BB93_110 Depth=2
	s_or_b64 exec, exec, s[2:3]
	s_and_saveexec_b64 s[2:3], s[50:51]
	s_cbranch_execnz .LBB93_157
.LBB93_122:                             ;   in Loop: Header=BB93_110 Depth=2
	s_or_b64 exec, exec, s[2:3]
	v_mov_b32_e32 v9, 0
	s_and_saveexec_b64 s[2:3], s[52:53]
	s_cbranch_execnz .LBB93_158
.LBB93_123:                             ;   in Loop: Header=BB93_110 Depth=2
	s_or_b64 exec, exec, s[2:3]
	s_and_saveexec_b64 s[2:3], s[54:55]
	s_cbranch_execnz .LBB93_159
.LBB93_124:                             ;   in Loop: Header=BB93_110 Depth=2
	s_or_b64 exec, exec, s[2:3]
	v_mov_b32_e32 v10, 0
	s_and_saveexec_b64 s[2:3], s[56:57]
	s_cbranch_execnz .LBB93_160
.LBB93_125:                             ;   in Loop: Header=BB93_110 Depth=2
	s_or_b64 exec, exec, s[2:3]
	s_and_saveexec_b64 s[2:3], s[58:59]
	s_cbranch_execz .LBB93_127
.LBB93_126:                             ;   in Loop: Header=BB93_110 Depth=2
	global_load_ushort v0, v[0:1], off offset:1920
	s_waitcnt vmcnt(0)
	v_lshl_or_b32 v10, v0, 16, v10
.LBB93_127:                             ;   in Loop: Header=BB93_110 Depth=2
	s_or_b64 exec, exec, s[2:3]
	s_waitcnt vmcnt(0)
	ds_write_b16 v88, v3
	ds_write_b16 v89, v2 offset:128
	ds_write_b16 v90, v4 offset:256
	ds_write_b16_d16_hi v91, v4 offset:384
	ds_write_b16 v92, v5 offset:512
	ds_write_b16_d16_hi v93, v5 offset:640
	;; [unrolled: 2-line block ×7, first 2 shown]
	; wave barrier
	ds_read_b128 v[12:15], v119
	ds_read_b128 v[8:11], v119 offset:16
	s_mov_b32 s99, s7
	v_lshl_add_u64 v[0:1], s[98:99], 1, v[50:51]
	v_mov_b32_e32 v2, 0
	v_mov_b32_e32 v3, 0
	s_and_saveexec_b64 s[2:3], s[26:27]
	s_cbranch_execnz .LBB93_161
; %bb.128:                              ;   in Loop: Header=BB93_110 Depth=2
	s_or_b64 exec, exec, s[2:3]
	s_and_saveexec_b64 s[2:3], s[28:29]
	s_cbranch_execnz .LBB93_162
.LBB93_129:                             ;   in Loop: Header=BB93_110 Depth=2
	s_or_b64 exec, exec, s[2:3]
	v_mov_b32_e32 v4, 0
	s_and_saveexec_b64 s[2:3], s[30:31]
	s_cbranch_execnz .LBB93_163
.LBB93_130:                             ;   in Loop: Header=BB93_110 Depth=2
	s_or_b64 exec, exec, s[2:3]
	s_and_saveexec_b64 s[2:3], s[34:35]
	s_cbranch_execnz .LBB93_164
.LBB93_131:                             ;   in Loop: Header=BB93_110 Depth=2
	s_or_b64 exec, exec, s[2:3]
	v_mov_b32_e32 v5, 0
	s_and_saveexec_b64 s[2:3], s[36:37]
	s_cbranch_execnz .LBB93_165
.LBB93_132:                             ;   in Loop: Header=BB93_110 Depth=2
	s_or_b64 exec, exec, s[2:3]
	s_and_saveexec_b64 s[2:3], s[38:39]
	s_cbranch_execnz .LBB93_166
.LBB93_133:                             ;   in Loop: Header=BB93_110 Depth=2
	s_or_b64 exec, exec, s[2:3]
	v_mov_b32_e32 v6, 0
	s_and_saveexec_b64 s[2:3], s[40:41]
	s_cbranch_execnz .LBB93_167
.LBB93_134:                             ;   in Loop: Header=BB93_110 Depth=2
	s_or_b64 exec, exec, s[2:3]
	s_and_saveexec_b64 s[2:3], s[42:43]
	s_cbranch_execnz .LBB93_168
.LBB93_135:                             ;   in Loop: Header=BB93_110 Depth=2
	s_or_b64 exec, exec, s[2:3]
	v_mov_b32_e32 v7, 0
	s_and_saveexec_b64 s[2:3], s[44:45]
	s_cbranch_execnz .LBB93_169
.LBB93_136:                             ;   in Loop: Header=BB93_110 Depth=2
	s_or_b64 exec, exec, s[2:3]
	s_and_saveexec_b64 s[2:3], s[46:47]
	s_cbranch_execnz .LBB93_170
.LBB93_137:                             ;   in Loop: Header=BB93_110 Depth=2
	s_or_b64 exec, exec, s[2:3]
	v_mov_b32_e32 v52, 0
	s_and_saveexec_b64 s[2:3], s[48:49]
	s_cbranch_execnz .LBB93_171
.LBB93_138:                             ;   in Loop: Header=BB93_110 Depth=2
	s_or_b64 exec, exec, s[2:3]
	s_and_saveexec_b64 s[2:3], s[50:51]
	s_cbranch_execnz .LBB93_172
.LBB93_139:                             ;   in Loop: Header=BB93_110 Depth=2
	s_or_b64 exec, exec, s[2:3]
	v_mov_b32_e32 v53, 0
	s_and_saveexec_b64 s[2:3], s[52:53]
	s_cbranch_execnz .LBB93_173
.LBB93_140:                             ;   in Loop: Header=BB93_110 Depth=2
	s_or_b64 exec, exec, s[2:3]
	s_and_saveexec_b64 s[2:3], s[54:55]
	s_cbranch_execnz .LBB93_174
.LBB93_141:                             ;   in Loop: Header=BB93_110 Depth=2
	s_or_b64 exec, exec, s[2:3]
	v_mov_b32_e32 v55, 0
	s_and_saveexec_b64 s[2:3], s[56:57]
	s_cbranch_execnz .LBB93_175
.LBB93_142:                             ;   in Loop: Header=BB93_110 Depth=2
	s_or_b64 exec, exec, s[2:3]
	s_and_saveexec_b64 s[2:3], s[58:59]
	s_cbranch_execz .LBB93_144
.LBB93_143:                             ;   in Loop: Header=BB93_110 Depth=2
	global_load_ushort v0, v[0:1], off offset:1920
	s_waitcnt vmcnt(0)
	v_lshl_or_b32 v55, v0, 16, v55
.LBB93_144:                             ;   in Loop: Header=BB93_110 Depth=2
	s_or_b64 exec, exec, s[2:3]
	s_waitcnt vmcnt(0)
	ds_write_b16 v88, v3 offset:4224
	ds_write_b16 v101, v2 offset:128
	;; [unrolled: 1-line block ×3, first 2 shown]
	ds_write_b16_d16_hi v103, v4 offset:384
	ds_write_b16 v104, v5 offset:512
	ds_write_b16_d16_hi v105, v5 offset:640
	ds_write_b16 v106, v6 offset:768
	;; [unrolled: 2-line block ×6, first 2 shown]
	ds_write_b16_d16_hi v118, v55 offset:1920
	; wave barrier
	ds_read_b128 v[4:7], v119 offset:4224
	ds_read_b128 v[0:3], v120 offset:16
	s_andn2_b64 vcc, exec, s[94:95]
	s_cbranch_vccnz .LBB93_176
; %bb.145:                              ;   in Loop: Header=BB93_110 Depth=2
	v_mov_b32_e32 v52, s9
	ds_read_b64 v[52:53], v52
	s_cbranch_execz .LBB93_177
	s_branch .LBB93_180
.LBB93_146:                             ;   in Loop: Header=BB93_110 Depth=2
	global_load_ushort v3, v[0:1], off
	s_or_b64 exec, exec, s[2:3]
	s_and_saveexec_b64 s[2:3], s[28:29]
	s_cbranch_execz .LBB93_112
.LBB93_147:                             ;   in Loop: Header=BB93_110 Depth=2
	global_load_ushort v2, v[0:1], off offset:128
	s_or_b64 exec, exec, s[2:3]
	v_mov_b32_e32 v4, 0
	s_and_saveexec_b64 s[2:3], s[30:31]
	s_cbranch_execz .LBB93_113
.LBB93_148:                             ;   in Loop: Header=BB93_110 Depth=2
	global_load_ushort v4, v[0:1], off offset:256
	s_or_b64 exec, exec, s[2:3]
	s_and_saveexec_b64 s[2:3], s[34:35]
	s_cbranch_execz .LBB93_114
.LBB93_149:                             ;   in Loop: Header=BB93_110 Depth=2
	global_load_ushort v5, v[0:1], off offset:384
	s_waitcnt vmcnt(0)
	v_lshl_or_b32 v4, v5, 16, v4
	s_or_b64 exec, exec, s[2:3]
	v_mov_b32_e32 v5, 0
	s_and_saveexec_b64 s[2:3], s[36:37]
	s_cbranch_execz .LBB93_115
.LBB93_150:                             ;   in Loop: Header=BB93_110 Depth=2
	global_load_ushort v5, v[0:1], off offset:512
	s_or_b64 exec, exec, s[2:3]
	s_and_saveexec_b64 s[2:3], s[38:39]
	s_cbranch_execz .LBB93_116
.LBB93_151:                             ;   in Loop: Header=BB93_110 Depth=2
	global_load_ushort v6, v[0:1], off offset:640
	s_waitcnt vmcnt(0)
	v_lshl_or_b32 v5, v6, 16, v5
	s_or_b64 exec, exec, s[2:3]
	v_mov_b32_e32 v6, 0
	s_and_saveexec_b64 s[2:3], s[40:41]
	s_cbranch_execz .LBB93_117
.LBB93_152:                             ;   in Loop: Header=BB93_110 Depth=2
	global_load_ushort v6, v[0:1], off offset:768
	s_or_b64 exec, exec, s[2:3]
	s_and_saveexec_b64 s[2:3], s[42:43]
	s_cbranch_execz .LBB93_118
.LBB93_153:                             ;   in Loop: Header=BB93_110 Depth=2
	global_load_ushort v7, v[0:1], off offset:896
	s_waitcnt vmcnt(0)
	v_lshl_or_b32 v6, v7, 16, v6
	s_or_b64 exec, exec, s[2:3]
	v_mov_b32_e32 v7, 0
	s_and_saveexec_b64 s[2:3], s[44:45]
	s_cbranch_execz .LBB93_119
.LBB93_154:                             ;   in Loop: Header=BB93_110 Depth=2
	global_load_ushort v7, v[0:1], off offset:1024
	s_or_b64 exec, exec, s[2:3]
	s_and_saveexec_b64 s[2:3], s[46:47]
	s_cbranch_execz .LBB93_120
.LBB93_155:                             ;   in Loop: Header=BB93_110 Depth=2
	global_load_ushort v8, v[0:1], off offset:1152
	s_waitcnt vmcnt(0)
	v_lshl_or_b32 v7, v8, 16, v7
	s_or_b64 exec, exec, s[2:3]
	v_mov_b32_e32 v8, 0
	s_and_saveexec_b64 s[2:3], s[48:49]
	s_cbranch_execz .LBB93_121
.LBB93_156:                             ;   in Loop: Header=BB93_110 Depth=2
	global_load_ushort v8, v[0:1], off offset:1280
	s_or_b64 exec, exec, s[2:3]
	s_and_saveexec_b64 s[2:3], s[50:51]
	s_cbranch_execz .LBB93_122
.LBB93_157:                             ;   in Loop: Header=BB93_110 Depth=2
	global_load_ushort v9, v[0:1], off offset:1408
	s_waitcnt vmcnt(0)
	v_lshl_or_b32 v8, v9, 16, v8
	s_or_b64 exec, exec, s[2:3]
	v_mov_b32_e32 v9, 0
	s_and_saveexec_b64 s[2:3], s[52:53]
	s_cbranch_execz .LBB93_123
.LBB93_158:                             ;   in Loop: Header=BB93_110 Depth=2
	global_load_ushort v9, v[0:1], off offset:1536
	s_or_b64 exec, exec, s[2:3]
	s_and_saveexec_b64 s[2:3], s[54:55]
	s_cbranch_execz .LBB93_124
.LBB93_159:                             ;   in Loop: Header=BB93_110 Depth=2
	global_load_ushort v10, v[0:1], off offset:1664
	s_waitcnt vmcnt(0)
	v_lshl_or_b32 v9, v10, 16, v9
	s_or_b64 exec, exec, s[2:3]
	v_mov_b32_e32 v10, 0
	s_and_saveexec_b64 s[2:3], s[56:57]
	s_cbranch_execz .LBB93_125
.LBB93_160:                             ;   in Loop: Header=BB93_110 Depth=2
	global_load_ushort v10, v[0:1], off offset:1792
	s_or_b64 exec, exec, s[2:3]
	s_and_saveexec_b64 s[2:3], s[58:59]
	s_cbranch_execnz .LBB93_126
	s_branch .LBB93_127
.LBB93_161:                             ;   in Loop: Header=BB93_110 Depth=2
	global_load_ushort v3, v[0:1], off
	s_or_b64 exec, exec, s[2:3]
	s_and_saveexec_b64 s[2:3], s[28:29]
	s_cbranch_execz .LBB93_129
.LBB93_162:                             ;   in Loop: Header=BB93_110 Depth=2
	global_load_ushort v2, v[0:1], off offset:128
	s_or_b64 exec, exec, s[2:3]
	v_mov_b32_e32 v4, 0
	s_and_saveexec_b64 s[2:3], s[30:31]
	s_cbranch_execz .LBB93_130
.LBB93_163:                             ;   in Loop: Header=BB93_110 Depth=2
	global_load_ushort v4, v[0:1], off offset:256
	s_or_b64 exec, exec, s[2:3]
	s_and_saveexec_b64 s[2:3], s[34:35]
	s_cbranch_execz .LBB93_131
.LBB93_164:                             ;   in Loop: Header=BB93_110 Depth=2
	global_load_ushort v5, v[0:1], off offset:384
	s_waitcnt vmcnt(0)
	v_lshl_or_b32 v4, v5, 16, v4
	s_or_b64 exec, exec, s[2:3]
	v_mov_b32_e32 v5, 0
	s_and_saveexec_b64 s[2:3], s[36:37]
	s_cbranch_execz .LBB93_132
.LBB93_165:                             ;   in Loop: Header=BB93_110 Depth=2
	global_load_ushort v5, v[0:1], off offset:512
	s_or_b64 exec, exec, s[2:3]
	s_and_saveexec_b64 s[2:3], s[38:39]
	s_cbranch_execz .LBB93_133
.LBB93_166:                             ;   in Loop: Header=BB93_110 Depth=2
	global_load_ushort v6, v[0:1], off offset:640
	s_waitcnt vmcnt(0)
	v_lshl_or_b32 v5, v6, 16, v5
	s_or_b64 exec, exec, s[2:3]
	v_mov_b32_e32 v6, 0
	s_and_saveexec_b64 s[2:3], s[40:41]
	s_cbranch_execz .LBB93_134
.LBB93_167:                             ;   in Loop: Header=BB93_110 Depth=2
	global_load_ushort v6, v[0:1], off offset:768
	s_or_b64 exec, exec, s[2:3]
	s_and_saveexec_b64 s[2:3], s[42:43]
	s_cbranch_execz .LBB93_135
.LBB93_168:                             ;   in Loop: Header=BB93_110 Depth=2
	global_load_ushort v7, v[0:1], off offset:896
	s_waitcnt vmcnt(0)
	v_lshl_or_b32 v6, v7, 16, v6
	s_or_b64 exec, exec, s[2:3]
	v_mov_b32_e32 v7, 0
	s_and_saveexec_b64 s[2:3], s[44:45]
	s_cbranch_execz .LBB93_136
.LBB93_169:                             ;   in Loop: Header=BB93_110 Depth=2
	global_load_ushort v7, v[0:1], off offset:1024
	s_or_b64 exec, exec, s[2:3]
	s_and_saveexec_b64 s[2:3], s[46:47]
	s_cbranch_execz .LBB93_137
.LBB93_170:                             ;   in Loop: Header=BB93_110 Depth=2
	global_load_ushort v52, v[0:1], off offset:1152
	s_waitcnt vmcnt(0)
	v_lshl_or_b32 v7, v52, 16, v7
	s_or_b64 exec, exec, s[2:3]
	v_mov_b32_e32 v52, 0
	s_and_saveexec_b64 s[2:3], s[48:49]
	s_cbranch_execz .LBB93_138
.LBB93_171:                             ;   in Loop: Header=BB93_110 Depth=2
	global_load_ushort v52, v[0:1], off offset:1280
	s_or_b64 exec, exec, s[2:3]
	s_and_saveexec_b64 s[2:3], s[50:51]
	s_cbranch_execz .LBB93_139
.LBB93_172:                             ;   in Loop: Header=BB93_110 Depth=2
	global_load_ushort v53, v[0:1], off offset:1408
	s_waitcnt vmcnt(0)
	v_lshl_or_b32 v52, v53, 16, v52
	s_or_b64 exec, exec, s[2:3]
	v_mov_b32_e32 v53, 0
	s_and_saveexec_b64 s[2:3], s[52:53]
	s_cbranch_execz .LBB93_140
.LBB93_173:                             ;   in Loop: Header=BB93_110 Depth=2
	global_load_ushort v53, v[0:1], off offset:1536
	s_or_b64 exec, exec, s[2:3]
	s_and_saveexec_b64 s[2:3], s[54:55]
	s_cbranch_execz .LBB93_141
.LBB93_174:                             ;   in Loop: Header=BB93_110 Depth=2
	global_load_ushort v55, v[0:1], off offset:1664
	s_waitcnt vmcnt(0)
	v_lshl_or_b32 v53, v55, 16, v53
	s_or_b64 exec, exec, s[2:3]
	v_mov_b32_e32 v55, 0
	s_and_saveexec_b64 s[2:3], s[56:57]
	s_cbranch_execz .LBB93_142
.LBB93_175:                             ;   in Loop: Header=BB93_110 Depth=2
	global_load_ushort v55, v[0:1], off offset:1792
	s_or_b64 exec, exec, s[2:3]
	s_and_saveexec_b64 s[2:3], s[58:59]
	s_cbranch_execnz .LBB93_143
	s_branch .LBB93_144
.LBB93_176:                             ;   in Loop: Header=BB93_110 Depth=2
                                        ; implicit-def: $vgpr53
.LBB93_177:                             ;   in Loop: Header=BB93_110 Depth=2
	v_readlane_b32 s2, v166, 0
	v_readlane_b32 s3, v166, 1
	s_andn2_b64 vcc, exec, s[2:3]
	s_waitcnt lgkmcnt(0)
	v_mov_b32_e32 v53, 0
	s_cbranch_vccnz .LBB93_179
; %bb.178:                              ;   in Loop: Header=BB93_110 Depth=2
	s_mov_b32 s5, s7
	s_lshl_b64 s[2:3], s[4:5], 1
	v_readlane_b32 s5, v166, 21
	s_add_u32 s2, s5, s2
	v_readlane_b32 s5, v166, 22
	s_addc_u32 s3, s5, s3
	global_load_ushort v52, v17, s[2:3]
	s_waitcnt vmcnt(0)
	v_cvt_f32_f16_e32 v53, v52
.LBB93_179:                             ;   in Loop: Header=BB93_110 Depth=2
	v_mov_b32_e32 v52, 1.0
.LBB93_180:                             ;   in Loop: Header=BB93_110 Depth=2
	s_waitcnt lgkmcnt(14)
	v_cvt_f32_f16_e32 v59, v8
	v_cvt_f32_f16_sdwa v60, v8 dst_sel:DWORD dst_unused:UNUSED_PAD src0_sel:WORD_1
	v_mul_f32_e32 v8, 0x3fb8aa3b, v54
	v_cvt_f32_f16_e32 v61, v9
	v_cvt_f32_f16_sdwa v63, v9 dst_sel:DWORD dst_unused:UNUSED_PAD src0_sel:WORD_1
	v_mul_f32_e32 v9, v8, v143
	v_cmp_gt_f32_e32 vcc, s33, v9
	v_cvt_f32_f16_e32 v64, v10
	v_cvt_f32_f16_sdwa v65, v10 dst_sel:DWORD dst_unused:UNUSED_PAD src0_sel:WORD_1
	v_cndmask_b32_e32 v9, 0, v141, vcc
	v_fmac_f32_e32 v9, v8, v143
	v_exp_f32_e32 v9, v9
	v_cndmask_b32_e32 v10, 1.0, v142, vcc
	v_cvt_f32_f16_e32 v55, v12
	v_cvt_f32_f16_e32 v68, v11
	v_mul_f32_e32 v9, v9, v10
	v_cndmask_b32_e64 v129, 1.0, v9, s[60:61]
	v_mul_f32_e32 v9, v8, v144
	v_cmp_gt_f32_e32 vcc, s33, v9
	v_mul_f32_e32 v10, v127, v55
	v_cndmask_b32_e64 v128, 0, v10, s[60:61]
	v_cndmask_b32_e32 v9, 0, v141, vcc
	v_fmac_f32_e32 v9, v8, v144
	v_exp_f32_e32 v9, v9
	v_cndmask_b32_e32 v10, 1.0, v142, vcc
	v_cvt_f32_f16_sdwa v62, v11 dst_sel:DWORD dst_unused:UNUSED_PAD src0_sel:WORD_1
	v_cvt_f32_f16_sdwa v12, v12 dst_sel:DWORD dst_unused:UNUSED_PAD src0_sel:WORD_1
	v_mul_f32_e32 v10, v9, v10
	v_cndmask_b32_e64 v130, 1.0, v10, s[62:63]
	v_mul_f32_e32 v10, v8, v145
	v_cmp_gt_f32_e32 vcc, s33, v10
	v_mul_f32_e32 v9, v126, v12
	v_cvt_f32_f16_e32 v56, v13
	v_cndmask_b32_e32 v10, 0, v141, vcc
	v_fmac_f32_e32 v10, v8, v145
	v_exp_f32_e32 v10, v10
	v_cndmask_b32_e32 v11, 1.0, v142, vcc
	v_cvt_f32_f16_sdwa v13, v13 dst_sel:DWORD dst_unused:UNUSED_PAD src0_sel:WORD_1
	v_cvt_f32_f16_e32 v57, v14
	v_mul_f32_e32 v11, v10, v11
	v_cndmask_b32_e64 v131, 1.0, v11, s[64:65]
	v_mul_f32_e32 v11, v8, v146
	v_cmp_gt_f32_e32 vcc, s33, v11
	v_cvt_f32_f16_sdwa v14, v14 dst_sel:DWORD dst_unused:UNUSED_PAD src0_sel:WORD_1
	v_mul_f32_e32 v10, v125, v56
	v_cndmask_b32_e32 v11, 0, v141, vcc
	v_fmac_f32_e32 v11, v8, v146
	v_exp_f32_e32 v11, v11
	v_cndmask_b32_e32 v12, 1.0, v142, vcc
	v_cvt_f32_f16_e32 v58, v15
	v_cndmask_b32_e64 v9, 0, v9, s[62:63]
	v_mul_f32_e32 v12, v11, v12
	v_cndmask_b32_e64 v132, 1.0, v12, s[66:67]
	v_mul_f32_e32 v12, v8, v147
	v_cmp_gt_f32_e32 vcc, s33, v12
	v_mul_f32_e32 v11, v124, v13
	v_pk_mul_f32 v[66:67], v[8:9], v[46:47] op_sel_hi:[0,1]
	v_cndmask_b32_e32 v12, 0, v141, vcc
	v_fmac_f32_e32 v12, v8, v147
	v_exp_f32_e32 v12, v12
	v_cndmask_b32_e32 v13, 1.0, v142, vcc
	v_mul_f32_e32 v62, v29, v62
	v_cvt_f32_f16_sdwa v15, v15 dst_sel:DWORD dst_unused:UNUSED_PAD src0_sel:WORD_1
	v_mul_f32_e32 v13, v12, v13
	v_cndmask_b32_e64 v133, 1.0, v13, s[68:69]
	v_mul_f32_e32 v13, v8, v148
	v_cmp_gt_f32_e32 vcc, s33, v13
	v_mul_f32_e32 v12, v165, v57
	v_cndmask_b32_e64 v10, 0, v10, s[64:65]
	v_cndmask_b32_e32 v13, 0, v141, vcc
	v_fmac_f32_e32 v13, v8, v148
	v_exp_f32_e32 v13, v13
	v_cndmask_b32_e32 v54, 1.0, v142, vcc
	v_cndmask_b32_e64 v11, 0, v11, s[66:67]
	v_cndmask_b32_e64 v12, 0, v12, s[68:69]
	v_mul_f32_e32 v54, v13, v54
	v_mul_f32_e32 v13, v164, v14
	;; [unrolled: 1-line block ×3, first 2 shown]
	v_cmp_gt_f32_e32 vcc, s33, v14
	v_cndmask_b32_e64 v134, 1.0, v54, s[70:71]
	v_cndmask_b32_e64 v13, 0, v13, s[70:71]
	v_cndmask_b32_e32 v14, 0, v141, vcc
	v_fmac_f32_e32 v14, v8, v149
	v_exp_f32_e32 v14, v14
	v_cndmask_b32_e32 v54, 1.0, v142, vcc
	v_mul_f32_e32 v15, v162, v15
	v_cndmask_b32_e64 v15, 0, v15, s[74:75]
	v_mul_f32_e32 v54, v14, v54
	v_cndmask_b32_e64 v135, 1.0, v54, s[72:73]
	v_mul_f32_e32 v54, v8, v150
	v_cmp_gt_f32_e32 vcc, s33, v54
	v_mul_f32_e32 v14, v163, v58
	v_cndmask_b32_e64 v14, 0, v14, s[72:73]
	v_cndmask_b32_e32 v54, 0, v141, vcc
	v_fmac_f32_e32 v54, v8, v150
	v_exp_f32_e32 v54, v54
	v_cndmask_b32_e32 v55, 1.0, v142, vcc
	v_readlane_b32 s10, v166, 39
	v_readlane_b32 s11, v166, 40
	v_mul_f32_e32 v54, v54, v55
	v_cndmask_b32_e64 v136, 1.0, v54, s[74:75]
	v_mul_f32_e32 v54, v8, v151
	v_cmp_gt_f32_e32 vcc, s33, v54
	s_nop 1
	v_cndmask_b32_e32 v54, 0, v141, vcc
	v_fmac_f32_e32 v54, v8, v151
	v_exp_f32_e32 v54, v54
	v_cndmask_b32_e32 v55, 1.0, v142, vcc
	v_mul_f32_e32 v55, v54, v55
	v_cndmask_b32_e64 v137, 1.0, v55, s[76:77]
	v_mul_f32_e32 v55, v8, v152
	v_cmp_gt_f32_e32 vcc, s33, v55
	v_mul_f32_e32 v54, v161, v59
	v_cndmask_b32_e64 v54, 0, v54, s[76:77]
	v_cndmask_b32_e32 v55, 0, v141, vcc
	v_fmac_f32_e32 v55, v8, v152
	v_exp_f32_e32 v55, v55
	v_cndmask_b32_e32 v56, 1.0, v142, vcc
	v_mul_f32_e32 v56, v55, v56
	v_cndmask_b32_e64 v138, 1.0, v56, s[78:79]
	v_mul_f32_e32 v56, v8, v153
	v_cmp_gt_f32_e32 vcc, s33, v56
	v_mul_f32_e32 v55, v160, v60
	v_cndmask_b32_e64 v55, 0, v55, s[78:79]
	;; [unrolled: 10-line block ×4, first 2 shown]
	v_cndmask_b32_e32 v56, 0, v141, vcc
	v_fmac_f32_e32 v56, v8, v155
	v_exp_f32_e32 v56, v56
	v_cndmask_b32_e32 v57, 1.0, v142, vcc
	v_mul_f32_e32 v57, v56, v57
	v_mul_f32_e32 v56, v157, v64
	v_cndmask_b32_e64 v64, 1.0, v57, s[84:85]
	v_mul_f32_e32 v57, v8, v156
	v_cmp_gt_f32_e32 vcc, s33, v57
	v_cndmask_b32_e64 v56, 0, v56, s[84:85]
	s_nop 0
	v_cndmask_b32_e32 v57, 0, v141, vcc
	v_fmac_f32_e32 v57, v8, v156
	v_cndmask_b32_e32 v60, 1.0, v142, vcc
	v_mul_f32_e32 v8, v16, v68
	v_cmp_gt_f32_e32 vcc, s33, v66
	v_cndmask_b32_e64 v61, 0, v8, s[90:91]
	v_exp_f32_e32 v57, v57
	v_cndmask_b32_e32 v8, 0, v141, vcc
	v_add_f32_e32 v8, v66, v8
	v_exp_f32_e32 v8, v8
	v_cndmask_b32_e32 v63, 1.0, v142, vcc
	v_cmp_gt_f32_e32 vcc, s33, v67
	v_mul_f32_e32 v60, v57, v60
	v_mul_f32_e32 v8, v8, v63
	v_cndmask_b32_e32 v63, 0, v141, vcc
	v_add_f32_e32 v63, v67, v63
	v_exp_f32_e32 v63, v63
	v_mul_f32_e32 v57, v27, v65
	v_cndmask_b32_e32 v65, 1.0, v142, vcc
	v_cndmask_b32_e64 v66, 1.0, v8, s[90:91]
	v_mul_f32_e32 v65, v63, v65
	v_cndmask_b32_e64 v63, 0, v62, s[88:89]
	v_mul_f32_e32 v8, v130, v129
	v_fma_f32 v62, v130, v128, v9
	v_mul_f32_e32 v8, v8, v131
	v_fma_f32 v62, v62, v131, v10
	;; [unrolled: 2-line block ×11, first 2 shown]
	v_cndmask_b32_e64 v57, 0, v57, s[86:87]
	v_cndmask_b32_e64 v60, 1.0, v60, s[86:87]
	v_fma_f32 v8, v8, v64, v56
	v_cndmask_b32_e64 v67, 1.0, v65, s[88:89]
	v_fma_f32 v69, v8, v60, v57
	v_mov_b32_e32 v65, v66
	v_pk_mul_f32 v[76:77], v[68:69], v[64:65]
	v_pk_fma_f32 v[68:69], v[68:69], v[64:65], v[60:61]
	v_pk_mul_f32 v[76:77], v[76:77], v[60:61]
	v_mov_b32_e32 v70, v67
	v_mov_b32_e32 v77, v69
	;; [unrolled: 1-line block ×3, first 2 shown]
	v_pk_mul_f32 v[68:69], v[76:77], v[66:67]
	v_mov_b32_e32 v62, v67
	v_pk_mul_f32 v[70:71], v[68:69], v[70:71]
	v_pk_fma_f32 v[68:69], v[76:77], v[66:67], v[62:63]
	s_nop 0
	v_mov_b32_dpp v8, v70 row_shr:1 row_mask:0xf bank_mask:0xf
	v_mov_b32_dpp v62, v69 row_shr:1 row_mask:0xf bank_mask:0xf
	v_mul_f32_e32 v65, v70, v8
	v_fma_f32 v62, v70, v62, v69
	v_cndmask_b32_e64 v68, v65, v70, s[0:1]
	v_cndmask_b32_e64 v71, v62, v69, s[0:1]
	;; [unrolled: 1-line block ×4, first 2 shown]
	v_mov_b32_dpp v65, v71 row_shr:2 row_mask:0xf bank_mask:0xf
	v_mov_b32_dpp v62, v70 row_shr:2 row_mask:0xf bank_mask:0xf
	s_and_saveexec_b64 s[2:3], s[10:11]
; %bb.181:                              ;   in Loop: Header=BB93_110 Depth=2
	v_fmac_f32_e32 v71, v70, v65
	v_mul_f32_e32 v70, v70, v62
	v_mov_b32_e32 v68, v70
	v_mov_b32_e32 v8, v71
; %bb.182:                              ;   in Loop: Header=BB93_110 Depth=2
	s_or_b64 exec, exec, s[2:3]
	v_readlane_b32 s10, v166, 41
	v_mov_b32_dpp v62, v70 row_shr:4 row_mask:0xf bank_mask:0xf
	v_mov_b32_dpp v65, v71 row_shr:4 row_mask:0xf bank_mask:0xf
	v_readlane_b32 s11, v166, 42
	s_and_saveexec_b64 s[2:3], s[10:11]
; %bb.183:                              ;   in Loop: Header=BB93_110 Depth=2
	v_fmac_f32_e32 v71, v70, v65
	v_mul_f32_e32 v70, v70, v62
	v_mov_b32_e32 v68, v70
	v_mov_b32_e32 v8, v71
; %bb.184:                              ;   in Loop: Header=BB93_110 Depth=2
	s_or_b64 exec, exec, s[2:3]
	v_readlane_b32 s10, v166, 43
	v_mov_b32_dpp v62, v70 row_shr:8 row_mask:0xf bank_mask:0xf
	v_mov_b32_dpp v65, v71 row_shr:8 row_mask:0xf bank_mask:0xf
	v_readlane_b32 s11, v166, 44
	s_and_saveexec_b64 s[2:3], s[10:11]
; %bb.185:                              ;   in Loop: Header=BB93_110 Depth=2
	v_fmac_f32_e32 v71, v70, v65
	v_mul_f32_e32 v70, v70, v62
	v_mov_b32_e32 v68, v70
	v_mov_b32_e32 v8, v71
; %bb.186:                              ;   in Loop: Header=BB93_110 Depth=2
	s_or_b64 exec, exec, s[2:3]
	v_readlane_b32 s10, v166, 45
	v_mov_b32_dpp v62, v70 row_bcast:15 row_mask:0xf bank_mask:0xf
	v_mov_b32_dpp v65, v71 row_bcast:15 row_mask:0xf bank_mask:0xf
	v_readlane_b32 s11, v166, 46
	s_and_saveexec_b64 s[2:3], s[10:11]
; %bb.187:                              ;   in Loop: Header=BB93_110 Depth=2
	v_fmac_f32_e32 v71, v70, v65
	v_mul_f32_e32 v70, v70, v62
	v_mov_b32_e32 v68, v70
	v_mov_b32_e32 v8, v71
; %bb.188:                              ;   in Loop: Header=BB93_110 Depth=2
	s_or_b64 exec, exec, s[2:3]
	v_readlane_b32 s10, v166, 53
	v_mov_b32_dpp v65, v70 row_bcast:31 row_mask:0xf bank_mask:0xf
	v_mov_b32_dpp v62, v71 row_bcast:31 row_mask:0xf bank_mask:0xf
	v_readlane_b32 s11, v166, 54
	s_and_saveexec_b64 s[2:3], s[10:11]
; %bb.189:                              ;   in Loop: Header=BB93_110 Depth=2
	v_fmac_f32_e32 v71, v70, v62
	v_mul_f32_e32 v68, v70, v65
	v_mov_b32_e32 v69, v71
	v_mov_b32_e32 v8, v71
	v_mov_b64_e32 v[70:71], v[68:69]
; %bb.190:                              ;   in Loop: Header=BB93_110 Depth=2
	s_or_b64 exec, exec, s[2:3]
	v_readlane_b32 s10, v166, 47
	v_readlane_b32 s11, v166, 48
	s_and_saveexec_b64 s[2:3], s[10:11]
	s_cbranch_execz .LBB93_192
; %bb.191:                              ;   in Loop: Header=BB93_110 Depth=2
	ds_write_b64 v121, v[70:71] offset:8448
.LBB93_192:                             ;   in Loop: Header=BB93_110 Depth=2
	s_or_b64 exec, exec, s[2:3]
	v_readlane_b32 s10, v166, 55
	v_readlane_b32 s11, v166, 56
	s_waitcnt lgkmcnt(0)
	s_barrier
	s_and_saveexec_b64 s[2:3], s[10:11]
	s_cbranch_execz .LBB93_194
; %bb.193:                              ;   in Loop: Header=BB93_110 Depth=2
	ds_read_b64 v[70:71], v122 offset:8448
	v_readlane_b32 s10, v166, 49
	v_readlane_b32 s11, v166, 50
	s_waitcnt lgkmcnt(0)
	v_mov_b32_dpp v62, v70 row_shr:1 row_mask:0xf bank_mask:0xf
	v_mov_b32_dpp v65, v71 row_shr:1 row_mask:0xf bank_mask:0xf
	v_fma_f32 v65, v70, v65, v71
	v_mul_f32_e32 v62, v70, v62
	v_cndmask_b32_e64 v70, v62, v70, s[10:11]
	v_cndmask_b32_e64 v71, v65, v71, s[10:11]
	ds_write_b64 v122, v[70:71] offset:8448
.LBB93_194:                             ;   in Loop: Header=BB93_110 Depth=2
	s_or_b64 exec, exec, s[2:3]
	s_waitcnt lgkmcnt(0)
	s_barrier
	s_waitcnt lgkmcnt(0)
                                        ; implicit-def: $vgpr70
	s_and_saveexec_b64 s[2:3], s[20:21]
	s_cbranch_execz .LBB93_196
; %bb.195:                              ;   in Loop: Header=BB93_110 Depth=2
	ds_read_b64 v[70:71], v121 offset:8440
	s_waitcnt lgkmcnt(0)
	v_mul_f32_e32 v62, v68, v70
	v_fmac_f32_e32 v8, v68, v71
	v_mov_b32_e32 v68, v62
.LBB93_196:                             ;   in Loop: Header=BB93_110 Depth=2
	s_or_b64 exec, exec, s[2:3]
	ds_bpermute_b32 v62, v123, v68
	ds_bpermute_b32 v8, v123, v8
	v_readlane_b32 s10, v166, 57
	v_mov_b32_e32 v69, v53
	v_readlane_b32 s11, v166, 58
	s_and_saveexec_b64 s[2:3], s[10:11]
	s_cbranch_execz .LBB93_200
; %bb.197:                              ;   in Loop: Header=BB93_110 Depth=2
	ds_read_b64 v[68:69], v17 offset:8456
	s_and_saveexec_b64 vcc, s[22:23]
	s_cbranch_execz .LBB93_199
; %bb.198:                              ;   in Loop: Header=BB93_110 Depth=2
	ds_write_b64 v17, v[52:53] offset:8456
.LBB93_199:                             ;   in Loop: Header=BB93_110 Depth=2
	s_or_b64 exec, exec, vcc
	s_waitcnt lgkmcnt(0)
	v_fmac_f32_e32 v69, v53, v68
	v_mul_f32_e32 v52, v52, v68
	v_mov_b32_e32 v53, v69
.LBB93_200:                             ;   in Loop: Header=BB93_110 Depth=2
	s_or_b64 exec, exec, s[2:3]
	s_waitcnt lgkmcnt(0)
	s_barrier
	ds_read_b32 v65, v17 offset:8460
	s_and_saveexec_b64 s[2:3], s[22:23]
	s_cbranch_execz .LBB93_109
; %bb.201:                              ;   in Loop: Header=BB93_110 Depth=2
	v_mov_b32_e32 v68, s9
	s_andn2_b64 vcc, exec, s[96:97]
	ds_write_b64 v68, v[52:53]
	s_cbranch_vccnz .LBB93_109
; %bb.202:                              ;   in Loop: Header=BB93_110 Depth=2
	s_mov_b32 s5, s7
	v_cvt_f16_f32_e32 v52, v69
	s_lshl_b64 s[10:11], s[4:5], 1
	v_readlane_b32 s5, v166, 21
	s_add_u32 s10, s5, s10
	v_readlane_b32 s5, v166, 22
	s_addc_u32 s11, s5, s11
	global_store_short v17, v52, s[10:11]
	s_branch .LBB93_109
.LBB93_203:                             ;   in Loop: Header=BB93_13 Depth=1
	s_mov_b32 s6, 0x41a00000
	s_mov_b32 s8, 0x3fb8aa3b
	;; [unrolled: 1-line block ×8, first 2 shown]
.LBB93_204:                             ;   in Loop: Header=BB93_13 Depth=1
	v_cvt_f16_f32_e32 v0, v42
	v_cvt_f16_f32_e32 v4, v43
	;; [unrolled: 1-line block ×16, first 2 shown]
	v_pack_b32_f16 v3, v3, v7
	v_pack_b32_f16 v2, v2, v6
	;; [unrolled: 1-line block ×4, first 2 shown]
	s_barrier
	ds_write_b128 v119, v[0:3]
	v_pack_b32_f16 v3, v14, v15
	v_pack_b32_f16 v2, v12, v13
	;; [unrolled: 1-line block ×4, first 2 shown]
	ds_write_b128 v119, v[0:3] offset:16
	; wave barrier
	ds_read_u16 v16, v89 offset:128
	ds_read_u16 v15, v90 offset:256
	;; [unrolled: 1-line block ×15, first 2 shown]
	v_readlane_b32 s2, v166, 61
	v_readlane_b32 s3, v166, 62
	s_mov_b32 s3, s7
	s_mov_b64 s[18:19], s[2:3]
	v_lshl_add_u64 v[0:1], s[2:3], 1, v[20:21]
	s_and_saveexec_b64 s[2:3], s[26:27]
	s_cbranch_execnz .LBB93_271
; %bb.205:                              ;   in Loop: Header=BB93_13 Depth=1
	s_or_b64 exec, exec, s[2:3]
	s_and_saveexec_b64 s[2:3], s[28:29]
	s_cbranch_execnz .LBB93_272
.LBB93_206:                             ;   in Loop: Header=BB93_13 Depth=1
	s_or_b64 exec, exec, s[2:3]
	s_and_saveexec_b64 s[2:3], s[30:31]
	s_cbranch_execnz .LBB93_273
.LBB93_207:                             ;   in Loop: Header=BB93_13 Depth=1
	s_or_b64 exec, exec, s[2:3]
	s_and_saveexec_b64 s[2:3], s[34:35]
	s_cbranch_execnz .LBB93_274
.LBB93_208:                             ;   in Loop: Header=BB93_13 Depth=1
	s_or_b64 exec, exec, s[2:3]
	s_and_saveexec_b64 s[2:3], s[36:37]
	s_cbranch_execnz .LBB93_275
.LBB93_209:                             ;   in Loop: Header=BB93_13 Depth=1
	s_or_b64 exec, exec, s[2:3]
	s_and_saveexec_b64 s[2:3], s[38:39]
	s_cbranch_execnz .LBB93_276
.LBB93_210:                             ;   in Loop: Header=BB93_13 Depth=1
	s_or_b64 exec, exec, s[2:3]
	s_and_saveexec_b64 s[2:3], s[40:41]
	s_cbranch_execnz .LBB93_277
.LBB93_211:                             ;   in Loop: Header=BB93_13 Depth=1
	s_or_b64 exec, exec, s[2:3]
	s_and_saveexec_b64 s[2:3], s[42:43]
	s_cbranch_execnz .LBB93_278
.LBB93_212:                             ;   in Loop: Header=BB93_13 Depth=1
	s_or_b64 exec, exec, s[2:3]
	s_and_saveexec_b64 s[2:3], s[44:45]
	s_cbranch_execnz .LBB93_279
.LBB93_213:                             ;   in Loop: Header=BB93_13 Depth=1
	s_or_b64 exec, exec, s[2:3]
	s_and_saveexec_b64 s[2:3], s[46:47]
	s_cbranch_execnz .LBB93_280
.LBB93_214:                             ;   in Loop: Header=BB93_13 Depth=1
	s_or_b64 exec, exec, s[2:3]
	s_and_saveexec_b64 s[2:3], s[48:49]
	s_cbranch_execnz .LBB93_281
.LBB93_215:                             ;   in Loop: Header=BB93_13 Depth=1
	s_or_b64 exec, exec, s[2:3]
	s_and_saveexec_b64 s[2:3], s[50:51]
	s_cbranch_execnz .LBB93_282
.LBB93_216:                             ;   in Loop: Header=BB93_13 Depth=1
	s_or_b64 exec, exec, s[2:3]
	s_and_saveexec_b64 s[2:3], s[52:53]
	s_cbranch_execnz .LBB93_283
.LBB93_217:                             ;   in Loop: Header=BB93_13 Depth=1
	s_or_b64 exec, exec, s[2:3]
	s_and_saveexec_b64 s[2:3], s[54:55]
	s_cbranch_execnz .LBB93_284
.LBB93_218:                             ;   in Loop: Header=BB93_13 Depth=1
	s_or_b64 exec, exec, s[2:3]
	s_and_saveexec_b64 s[2:3], s[56:57]
	s_cbranch_execnz .LBB93_285
.LBB93_219:                             ;   in Loop: Header=BB93_13 Depth=1
	s_or_b64 exec, exec, s[2:3]
	s_and_saveexec_b64 s[2:3], s[58:59]
	s_cbranch_execz .LBB93_221
.LBB93_220:                             ;   in Loop: Header=BB93_13 Depth=1
	s_waitcnt lgkmcnt(0)
	global_store_short v[0:1], v2, off offset:1920
.LBB93_221:                             ;   in Loop: Header=BB93_13 Depth=1
	s_or_b64 exec, exec, s[2:3]
	v_lshl_add_u64 v[0:1], s[18:19], 1, v[22:23]
	s_waitcnt lgkmcnt(0)
	v_mov_b32_e32 v2, 0
	v_mov_b32_e32 v3, 0
	s_barrier
	s_and_saveexec_b64 s[2:3], s[26:27]
	s_cbranch_execz .LBB93_223
; %bb.222:                              ;   in Loop: Header=BB93_13 Depth=1
	global_load_ushort v3, v[0:1], off
.LBB93_223:                             ;   in Loop: Header=BB93_13 Depth=1
	s_or_b64 exec, exec, s[2:3]
	s_and_saveexec_b64 s[2:3], s[28:29]
	s_cbranch_execz .LBB93_225
; %bb.224:                              ;   in Loop: Header=BB93_13 Depth=1
	global_load_ushort v2, v[0:1], off offset:128
.LBB93_225:                             ;   in Loop: Header=BB93_13 Depth=1
	s_or_b64 exec, exec, s[2:3]
	v_mov_b32_e32 v4, 0
	v_mov_b32_e32 v5, 0
	s_and_saveexec_b64 s[2:3], s[30:31]
	s_cbranch_execz .LBB93_227
; %bb.226:                              ;   in Loop: Header=BB93_13 Depth=1
	global_load_ushort v5, v[0:1], off offset:256
.LBB93_227:                             ;   in Loop: Header=BB93_13 Depth=1
	s_or_b64 exec, exec, s[2:3]
	s_and_saveexec_b64 s[2:3], s[34:35]
	s_cbranch_execz .LBB93_229
; %bb.228:                              ;   in Loop: Header=BB93_13 Depth=1
	global_load_ushort v4, v[0:1], off offset:384
.LBB93_229:                             ;   in Loop: Header=BB93_13 Depth=1
	s_or_b64 exec, exec, s[2:3]
	v_mov_b32_e32 v6, 0
	v_mov_b32_e32 v7, 0
	s_and_saveexec_b64 s[2:3], s[36:37]
	s_cbranch_execz .LBB93_231
; %bb.230:                              ;   in Loop: Header=BB93_13 Depth=1
	global_load_ushort v7, v[0:1], off offset:512
.LBB93_231:                             ;   in Loop: Header=BB93_13 Depth=1
	;; [unrolled: 14-line block ×7, first 2 shown]
	s_or_b64 exec, exec, s[2:3]
	s_and_saveexec_b64 s[2:3], s[58:59]
	s_cbranch_execz .LBB93_253
; %bb.252:                              ;   in Loop: Header=BB93_13 Depth=1
	global_load_ushort v16, v[0:1], off offset:1920
.LBB93_253:                             ;   in Loop: Header=BB93_13 Depth=1
	s_or_b64 exec, exec, s[2:3]
	s_waitcnt vmcnt(0)
	ds_write_b16 v88, v3
	ds_write_b16 v89, v2 offset:128
	ds_write_b16 v90, v5 offset:256
	;; [unrolled: 1-line block ×15, first 2 shown]
	; wave barrier
	ds_read_b128 v[4:7], v119
	ds_read_b128 v[0:3], v119 offset:16
	s_mov_b32 s4, 0xbfb8aa3b
	s_mov_b32 s5, 0xb2a5705f
	;; [unrolled: 1-line block ×3, first 2 shown]
	s_waitcnt lgkmcnt(1)
	v_cvt_f32_f16_e32 v13, v4
	v_cvt_f32_f16_sdwa v11, v4 dst_sel:DWORD dst_unused:UNUSED_PAD src0_sel:WORD_1
	v_cvt_f32_f16_e32 v12, v5
	s_mov_b32 s16, 0xc2b17218
	v_mul_f32_e32 v8, 0xbfb8aa3b, v13
	v_rndne_f32_e32 v9, v8
	v_sub_f32_e32 v14, v8, v9
	v_fma_mix_f32 v8, v4, s4, -v8 op_sel_hi:[1,0,0]
	v_cvt_i32_f32_e32 v9, v9
	v_fma_mix_f32 v8, v4, s5, v8 op_sel_hi:[1,0,0]
	v_cmp_nlt_f32_e32 vcc, s15, v13
	v_add_f32_e32 v8, v14, v8
	v_exp_f32_e32 v8, v8
	v_cvt_f32_f16_sdwa v10, v5 dst_sel:DWORD dst_unused:UNUSED_PAD src0_sel:WORD_1
	s_waitcnt lgkmcnt(0)
	s_barrier
	v_ldexp_f32 v8, v8, v9
	v_mul_f32_e32 v9, 0xbfb8aa3b, v11
	v_rndne_f32_e32 v14, v9
	v_sub_f32_e32 v15, v9, v14
	v_fma_mix_f32 v9, v4, s4, -v9 op_sel:[1,0,0] op_sel_hi:[1,0,0]
	v_cndmask_b32_e32 v8, 0, v8, vcc
	v_fma_mix_f32 v4, v4, s5, v9 op_sel:[1,0,0] op_sel_hi:[1,0,0]
	v_cvt_i32_f32_e32 v9, v14
	v_add_f32_e32 v4, v15, v4
	v_exp_f32_e32 v4, v4
	v_cmp_ngt_f32_e32 vcc, s16, v13
	v_ldexp_f32 v4, v4, v9
	s_nop 0
	v_cndmask_b32_e32 v8, v140, v8, vcc
	v_cmp_nlt_f32_e32 vcc, s15, v11
	s_nop 1
	v_cndmask_b32_e32 v4, 0, v4, vcc
	v_cmp_ngt_f32_e32 vcc, s16, v11
	s_nop 1
	v_cndmask_b32_e32 v9, v140, v4, vcc
	v_mul_f32_e32 v4, 0xbfb8aa3b, v12
	v_rndne_f32_e32 v14, v4
	v_sub_f32_e32 v15, v4, v14
	v_fma_mix_f32 v4, v5, s4, -v4 op_sel_hi:[1,0,0]
	v_cvt_i32_f32_e32 v14, v14
	v_fma_mix_f32 v4, v5, s5, v4 op_sel_hi:[1,0,0]
	v_pk_add_f32 v[8:9], v[8:9], 1.0 op_sel_hi:[1,0]
	v_add_f32_e32 v4, v15, v4
	v_exp_f32_e32 v4, v4
	v_cmp_nlt_f32_e32 vcc, s15, v12
	v_ldexp_f32 v4, v4, v14
	v_mul_f32_e32 v14, 0xbfb8aa3b, v10
	v_rndne_f32_e32 v15, v14
	v_sub_f32_e32 v16, v14, v15
	v_fma_mix_f32 v14, v5, s4, -v14 op_sel:[1,0,0] op_sel_hi:[1,0,0]
	v_cndmask_b32_e32 v4, 0, v4, vcc
	v_fma_mix_f32 v5, v5, s5, v14 op_sel:[1,0,0] op_sel_hi:[1,0,0]
	v_cvt_i32_f32_e32 v14, v15
	v_add_f32_e32 v5, v16, v5
	v_exp_f32_e32 v5, v5
	v_cmp_ngt_f32_e32 vcc, s16, v12
	v_ldexp_f32 v5, v5, v14
	v_div_scale_f32 v14, s[2:3], v9, v9, v11
	v_rcp_f32_e32 v15, v14
	v_cndmask_b32_e32 v4, v140, v4, vcc
	v_cmp_nlt_f32_e32 vcc, s15, v10
	v_fma_f32 v16, -v14, v15, 1.0
	s_nop 0
	v_cndmask_b32_e32 v5, 0, v5, vcc
	v_cmp_ngt_f32_e32 vcc, s16, v10
	v_fmac_f32_e32 v15, v16, v15
	s_nop 0
	v_cndmask_b32_e32 v5, v140, v5, vcc
	v_div_scale_f32 v16, vcc, v11, v9, v11
	v_mul_f32_e32 v27, v16, v15
	v_fma_f32 v29, -v14, v27, v16
	v_fmac_f32_e32 v27, v29, v15
	v_fma_f32 v14, -v14, v27, v16
	v_div_fmas_f32 v14, v14, v15, v27
	v_div_fixup_f32 v9, v14, v9, v11
	v_div_scale_f32 v11, s[2:3], v8, v8, v13
	v_rcp_f32_e32 v14, v11
	v_pk_add_f32 v[4:5], v[4:5], 1.0 op_sel_hi:[1,0]
	v_fma_f32 v15, -v11, v14, 1.0
	v_fmac_f32_e32 v14, v15, v14
	v_div_scale_f32 v15, vcc, v13, v8, v13
	v_mul_f32_e32 v16, v15, v14
	v_fma_f32 v27, -v11, v16, v15
	v_fmac_f32_e32 v16, v27, v14
	v_fma_f32 v11, -v11, v16, v15
	v_div_fmas_f32 v11, v11, v14, v16
	v_div_fixup_f32 v8, v11, v8, v13
	v_div_scale_f32 v11, s[2:3], v5, v5, v10
	v_rcp_f32_e32 v13, v11
	v_pk_mul_f32 v[8:9], v[42:43], v[8:9]
	v_fma_f32 v14, -v11, v13, 1.0
	v_fmac_f32_e32 v13, v14, v13
	v_div_scale_f32 v14, vcc, v10, v5, v10
	v_mul_f32_e32 v15, v14, v13
	v_fma_f32 v16, -v11, v15, v14
	v_fmac_f32_e32 v15, v16, v13
	v_fma_f32 v11, -v11, v15, v14
	v_div_fmas_f32 v11, v11, v13, v15
	v_div_fixup_f32 v5, v11, v5, v10
	v_div_scale_f32 v10, s[2:3], v4, v4, v12
	v_rcp_f32_e32 v11, v10
	s_nop 0
	v_fma_f32 v13, -v10, v11, 1.0
	v_fmac_f32_e32 v11, v13, v11
	v_div_scale_f32 v13, vcc, v12, v4, v12
	v_mul_f32_e32 v14, v13, v11
	v_fma_f32 v15, -v10, v14, v13
	v_fmac_f32_e32 v14, v15, v11
	v_fma_f32 v10, -v10, v14, v13
	v_cvt_f32_f16_e32 v15, v6
	v_div_fmas_f32 v10, v10, v11, v14
	v_div_fixup_f32 v4, v10, v4, v12
	v_pk_mul_f32 v[10:11], v[44:45], v[4:5]
	v_cvt_f16_f32_e32 v4, v9
	v_cvt_f16_f32_e32 v9, v10
	v_mul_f32_e32 v10, 0xbfb8aa3b, v15
	v_cvt_f16_f32_e32 v5, v8
	v_cvt_f16_f32_e32 v8, v11
	v_rndne_f32_e32 v11, v10
	v_sub_f32_e32 v16, v10, v11
	v_fma_mix_f32 v10, v6, s4, -v10 op_sel_hi:[1,0,0]
	v_cvt_f32_f16_sdwa v13, v6 dst_sel:DWORD dst_unused:UNUSED_PAD src0_sel:WORD_1
	v_fma_mix_f32 v10, v6, s5, v10 op_sel_hi:[1,0,0]
	v_cvt_i32_f32_e32 v11, v11
	v_add_f32_e32 v10, v16, v10
	v_exp_f32_e32 v10, v10
	v_cvt_f32_f16_e32 v14, v7
	v_cmp_nlt_f32_e32 vcc, s15, v15
	v_cvt_f32_f16_sdwa v12, v7 dst_sel:DWORD dst_unused:UNUSED_PAD src0_sel:WORD_1
	v_ldexp_f32 v10, v10, v11
	v_mul_f32_e32 v11, 0xbfb8aa3b, v13
	v_rndne_f32_e32 v16, v11
	v_sub_f32_e32 v27, v11, v16
	v_fma_mix_f32 v11, v6, s4, -v11 op_sel:[1,0,0] op_sel_hi:[1,0,0]
	v_cndmask_b32_e32 v10, 0, v10, vcc
	v_fma_mix_f32 v6, v6, s5, v11 op_sel:[1,0,0] op_sel_hi:[1,0,0]
	v_cvt_i32_f32_e32 v11, v16
	v_add_f32_e32 v6, v27, v6
	v_exp_f32_e32 v6, v6
	v_cmp_ngt_f32_e32 vcc, s16, v15
	v_ldexp_f32 v6, v6, v11
	s_nop 0
	v_cndmask_b32_e32 v10, v140, v10, vcc
	v_cmp_nlt_f32_e32 vcc, s15, v13
	s_nop 1
	v_cndmask_b32_e32 v6, 0, v6, vcc
	v_cmp_ngt_f32_e32 vcc, s16, v13
	s_nop 1
	v_cndmask_b32_e32 v11, v140, v6, vcc
	v_mul_f32_e32 v6, 0xbfb8aa3b, v14
	v_rndne_f32_e32 v16, v6
	v_sub_f32_e32 v27, v6, v16
	v_fma_mix_f32 v6, v7, s4, -v6 op_sel_hi:[1,0,0]
	v_cvt_i32_f32_e32 v16, v16
	v_fma_mix_f32 v6, v7, s5, v6 op_sel_hi:[1,0,0]
	v_pk_add_f32 v[10:11], v[10:11], 1.0 op_sel_hi:[1,0]
	v_add_f32_e32 v6, v27, v6
	v_exp_f32_e32 v6, v6
	v_cmp_nlt_f32_e32 vcc, s15, v14
	v_ldexp_f32 v6, v6, v16
	v_mul_f32_e32 v16, 0xbfb8aa3b, v12
	v_rndne_f32_e32 v27, v16
	v_sub_f32_e32 v29, v16, v27
	v_fma_mix_f32 v16, v7, s4, -v16 op_sel:[1,0,0] op_sel_hi:[1,0,0]
	v_cndmask_b32_e32 v6, 0, v6, vcc
	v_fma_mix_f32 v7, v7, s5, v16 op_sel:[1,0,0] op_sel_hi:[1,0,0]
	v_cvt_i32_f32_e32 v16, v27
	v_add_f32_e32 v7, v29, v7
	v_exp_f32_e32 v7, v7
	v_cmp_ngt_f32_e32 vcc, s16, v14
	v_ldexp_f32 v7, v7, v16
	v_div_scale_f32 v16, s[2:3], v11, v11, v13
	v_rcp_f32_e32 v27, v16
	v_cndmask_b32_e32 v6, v140, v6, vcc
	v_cmp_nlt_f32_e32 vcc, s15, v12
	v_fma_f32 v29, -v16, v27, 1.0
	s_nop 0
	v_cndmask_b32_e32 v7, 0, v7, vcc
	v_cmp_ngt_f32_e32 vcc, s16, v12
	v_fmac_f32_e32 v27, v29, v27
	s_nop 0
	v_cndmask_b32_e32 v7, v140, v7, vcc
	v_div_scale_f32 v29, vcc, v13, v11, v13
	v_mul_f32_e32 v42, v29, v27
	v_fma_f32 v43, -v16, v42, v29
	v_fmac_f32_e32 v42, v43, v27
	v_fma_f32 v16, -v16, v42, v29
	v_div_fmas_f32 v16, v16, v27, v42
	v_div_fixup_f32 v11, v16, v11, v13
	v_div_scale_f32 v13, s[2:3], v10, v10, v15
	v_rcp_f32_e32 v16, v13
	v_pk_add_f32 v[6:7], v[6:7], 1.0 op_sel_hi:[1,0]
	v_fma_f32 v27, -v13, v16, 1.0
	v_fmac_f32_e32 v16, v27, v16
	v_div_scale_f32 v27, vcc, v15, v10, v15
	v_mul_f32_e32 v29, v27, v16
	v_fma_f32 v42, -v13, v29, v27
	v_fmac_f32_e32 v29, v42, v16
	v_fma_f32 v13, -v13, v29, v27
	v_div_fmas_f32 v13, v13, v16, v29
	v_div_fixup_f32 v10, v13, v10, v15
	v_div_scale_f32 v13, s[2:3], v7, v7, v12
	v_rcp_f32_e32 v15, v13
	v_pk_mul_f32 v[10:11], v[38:39], v[10:11]
	v_fma_f32 v16, -v13, v15, 1.0
	v_fmac_f32_e32 v15, v16, v15
	v_div_scale_f32 v16, vcc, v12, v7, v12
	v_mul_f32_e32 v27, v16, v15
	v_fma_f32 v29, -v13, v27, v16
	v_fmac_f32_e32 v27, v29, v15
	v_fma_f32 v13, -v13, v27, v16
	v_div_fmas_f32 v13, v13, v15, v27
	v_div_fixup_f32 v7, v13, v7, v12
	v_div_scale_f32 v12, s[2:3], v6, v6, v14
	v_rcp_f32_e32 v13, v12
	s_nop 0
	v_fma_f32 v15, -v12, v13, 1.0
	v_fmac_f32_e32 v13, v15, v13
	v_div_scale_f32 v15, vcc, v14, v6, v14
	v_mul_f32_e32 v16, v15, v13
	v_fma_f32 v27, -v12, v16, v15
	v_fmac_f32_e32 v16, v27, v13
	v_fma_f32 v12, -v12, v16, v15
	v_cvt_f32_f16_e32 v27, v0
	v_div_fmas_f32 v12, v12, v13, v16
	v_div_fixup_f32 v6, v12, v6, v14
	v_pk_mul_f32 v[12:13], v[40:41], v[6:7]
	v_cvt_f16_f32_e32 v6, v11
	v_cvt_f16_f32_e32 v11, v12
	v_mul_f32_e32 v12, 0xbfb8aa3b, v27
	v_cvt_f16_f32_e32 v7, v10
	v_cvt_f16_f32_e32 v10, v13
	v_rndne_f32_e32 v13, v12
	v_sub_f32_e32 v29, v12, v13
	v_fma_mix_f32 v12, v0, s4, -v12 op_sel_hi:[1,0,0]
	v_cvt_f32_f16_sdwa v15, v0 dst_sel:DWORD dst_unused:UNUSED_PAD src0_sel:WORD_1
	v_fma_mix_f32 v12, v0, s5, v12 op_sel_hi:[1,0,0]
	v_cvt_i32_f32_e32 v13, v13
	v_add_f32_e32 v12, v29, v12
	v_exp_f32_e32 v12, v12
	v_cvt_f32_f16_e32 v16, v1
	v_cmp_nlt_f32_e32 vcc, s15, v27
	v_cvt_f32_f16_sdwa v14, v1 dst_sel:DWORD dst_unused:UNUSED_PAD src0_sel:WORD_1
	v_ldexp_f32 v12, v12, v13
	v_mul_f32_e32 v13, 0xbfb8aa3b, v15
	v_rndne_f32_e32 v29, v13
	v_sub_f32_e32 v38, v13, v29
	v_fma_mix_f32 v13, v0, s4, -v13 op_sel:[1,0,0] op_sel_hi:[1,0,0]
	v_cndmask_b32_e32 v12, 0, v12, vcc
	v_fma_mix_f32 v0, v0, s5, v13 op_sel:[1,0,0] op_sel_hi:[1,0,0]
	v_cvt_i32_f32_e32 v13, v29
	v_add_f32_e32 v0, v38, v0
	v_exp_f32_e32 v0, v0
	v_cmp_ngt_f32_e32 vcc, s16, v27
	v_ldexp_f32 v0, v0, v13
	s_nop 0
	v_cndmask_b32_e32 v12, v140, v12, vcc
	v_cmp_nlt_f32_e32 vcc, s15, v15
	s_nop 1
	v_cndmask_b32_e32 v0, 0, v0, vcc
	v_cmp_ngt_f32_e32 vcc, s16, v15
	s_nop 1
	v_cndmask_b32_e32 v13, v140, v0, vcc
	v_mul_f32_e32 v0, 0xbfb8aa3b, v16
	v_rndne_f32_e32 v29, v0
	v_sub_f32_e32 v38, v0, v29
	v_fma_mix_f32 v0, v1, s4, -v0 op_sel_hi:[1,0,0]
	v_cvt_i32_f32_e32 v29, v29
	v_fma_mix_f32 v0, v1, s5, v0 op_sel_hi:[1,0,0]
	v_pk_add_f32 v[12:13], v[12:13], 1.0 op_sel_hi:[1,0]
	v_add_f32_e32 v0, v38, v0
	v_exp_f32_e32 v0, v0
	v_cmp_nlt_f32_e32 vcc, s15, v16
	v_ldexp_f32 v0, v0, v29
	v_mul_f32_e32 v29, 0xbfb8aa3b, v14
	v_rndne_f32_e32 v38, v29
	v_sub_f32_e32 v39, v29, v38
	v_fma_mix_f32 v29, v1, s4, -v29 op_sel:[1,0,0] op_sel_hi:[1,0,0]
	v_cndmask_b32_e32 v0, 0, v0, vcc
	v_fma_mix_f32 v1, v1, s5, v29 op_sel:[1,0,0] op_sel_hi:[1,0,0]
	v_cvt_i32_f32_e32 v29, v38
	v_add_f32_e32 v1, v39, v1
	v_exp_f32_e32 v1, v1
	v_cmp_ngt_f32_e32 vcc, s16, v16
	v_ldexp_f32 v1, v1, v29
	v_div_scale_f32 v29, s[2:3], v13, v13, v15
	v_rcp_f32_e32 v38, v29
	v_cndmask_b32_e32 v0, v140, v0, vcc
	v_cmp_nlt_f32_e32 vcc, s15, v14
	v_fma_f32 v39, -v29, v38, 1.0
	s_nop 0
	v_cndmask_b32_e32 v1, 0, v1, vcc
	v_cmp_ngt_f32_e32 vcc, s16, v14
	v_fmac_f32_e32 v38, v39, v38
	s_nop 0
	v_cndmask_b32_e32 v1, v140, v1, vcc
	v_div_scale_f32 v39, vcc, v15, v13, v15
	v_mul_f32_e32 v40, v39, v38
	v_fma_f32 v41, -v29, v40, v39
	v_fmac_f32_e32 v40, v41, v38
	v_fma_f32 v29, -v29, v40, v39
	v_div_fmas_f32 v29, v29, v38, v40
	v_div_fixup_f32 v13, v29, v13, v15
	v_div_scale_f32 v15, s[2:3], v12, v12, v27
	v_rcp_f32_e32 v29, v15
	v_pk_add_f32 v[0:1], v[0:1], 1.0 op_sel_hi:[1,0]
	v_fma_f32 v38, -v15, v29, 1.0
	v_fmac_f32_e32 v29, v38, v29
	v_div_scale_f32 v38, vcc, v27, v12, v27
	v_mul_f32_e32 v39, v38, v29
	v_fma_f32 v40, -v15, v39, v38
	v_fmac_f32_e32 v39, v40, v29
	v_fma_f32 v15, -v15, v39, v38
	v_div_fmas_f32 v15, v15, v29, v39
	v_div_fixup_f32 v12, v15, v12, v27
	v_div_scale_f32 v15, s[2:3], v1, v1, v14
	v_rcp_f32_e32 v27, v15
	v_pk_mul_f32 v[12:13], v[34:35], v[12:13]
	v_cvt_f32_f16_e32 v34, v2
	v_cvt_f16_f32_e32 v13, v13
	v_fma_f32 v29, -v15, v27, 1.0
	v_fmac_f32_e32 v27, v29, v27
	v_div_scale_f32 v29, vcc, v14, v1, v14
	v_mul_f32_e32 v38, v29, v27
	v_fma_f32 v39, -v15, v38, v29
	v_fmac_f32_e32 v38, v39, v27
	v_fma_f32 v15, -v15, v38, v29
	v_div_fmas_f32 v15, v15, v27, v38
	v_div_fixup_f32 v1, v15, v1, v14
	v_div_scale_f32 v14, s[2:3], v0, v0, v16
	v_rcp_f32_e32 v15, v14
	v_cvt_f16_f32_e32 v12, v12
	v_fma_f32 v27, -v14, v15, 1.0
	v_fmac_f32_e32 v15, v27, v15
	v_div_scale_f32 v27, vcc, v16, v0, v16
	v_mul_f32_e32 v29, v27, v15
	v_fma_f32 v38, -v14, v29, v27
	v_fmac_f32_e32 v29, v38, v15
	v_fma_f32 v14, -v14, v29, v27
	v_div_fmas_f32 v14, v14, v15, v29
	v_div_fixup_f32 v0, v14, v0, v16
	v_pk_mul_f32 v[0:1], v[36:37], v[0:1]
	v_cvt_f32_f16_sdwa v27, v2 dst_sel:DWORD dst_unused:UNUSED_PAD src0_sel:WORD_1
	v_cvt_f16_f32_e32 v15, v0
	v_mul_f32_e32 v0, 0xbfb8aa3b, v34
	v_cvt_f16_f32_e32 v14, v1
	v_rndne_f32_e32 v1, v0
	v_sub_f32_e32 v35, v0, v1
	v_fma_mix_f32 v0, v2, s4, -v0 op_sel_hi:[1,0,0]
	v_cvt_i32_f32_e32 v1, v1
	v_fma_mix_f32 v0, v2, s5, v0 op_sel_hi:[1,0,0]
	v_cvt_f32_f16_e32 v29, v3
	v_add_f32_e32 v0, v35, v0
	v_exp_f32_e32 v0, v0
	v_cvt_f32_f16_sdwa v16, v3 dst_sel:DWORD dst_unused:UNUSED_PAD src0_sel:WORD_1
	v_cmp_nlt_f32_e32 vcc, s15, v34
	v_ldexp_f32 v0, v0, v1
	v_mul_f32_e32 v1, 0xbfb8aa3b, v27
	v_rndne_f32_e32 v35, v1
	v_sub_f32_e32 v36, v1, v35
	v_fma_mix_f32 v1, v2, s4, -v1 op_sel:[1,0,0] op_sel_hi:[1,0,0]
	v_cndmask_b32_e32 v0, 0, v0, vcc
	v_fma_mix_f32 v1, v2, s5, v1 op_sel:[1,0,0] op_sel_hi:[1,0,0]
	v_cvt_i32_f32_e32 v2, v35
	v_add_f32_e32 v1, v36, v1
	v_exp_f32_e32 v1, v1
	v_cmp_ngt_f32_e32 vcc, s16, v34
	v_ldexp_f32 v1, v1, v2
	v_mul_f32_e32 v2, 0xbfb8aa3b, v29
	v_rndne_f32_e32 v35, v2
	v_sub_f32_e32 v36, v2, v35
	v_fma_mix_f32 v2, v3, s4, -v2 op_sel_hi:[1,0,0]
	v_cvt_i32_f32_e32 v35, v35
	v_fma_mix_f32 v2, v3, s5, v2 op_sel_hi:[1,0,0]
	v_cndmask_b32_e32 v0, v140, v0, vcc
	v_add_f32_e32 v2, v36, v2
	v_exp_f32_e32 v2, v2
	v_cmp_nlt_f32_e32 vcc, s15, v27
	v_ldexp_f32 v2, v2, v35
	v_mul_f32_e32 v35, 0xbfb8aa3b, v16
	v_rndne_f32_e32 v36, v35
	v_sub_f32_e32 v37, v35, v36
	v_fma_mix_f32 v35, v3, s4, -v35 op_sel:[1,0,0] op_sel_hi:[1,0,0]
	v_cndmask_b32_e32 v1, 0, v1, vcc
	v_fma_mix_f32 v3, v3, s5, v35 op_sel:[1,0,0] op_sel_hi:[1,0,0]
	v_cvt_i32_f32_e32 v35, v36
	v_add_f32_e32 v3, v37, v3
	v_exp_f32_e32 v3, v3
	v_cmp_ngt_f32_e32 vcc, s16, v27
	v_ldexp_f32 v3, v3, v35
	s_nop 0
	v_cndmask_b32_e32 v1, v140, v1, vcc
	v_pk_add_f32 v[0:1], v[0:1], 1.0 op_sel_hi:[1,0]
	v_cmp_nlt_f32_e32 vcc, s15, v29
	v_div_scale_f32 v35, s[2:3], v1, v1, v27
	v_rcp_f32_e32 v36, v35
	v_cndmask_b32_e32 v2, 0, v2, vcc
	v_cmp_ngt_f32_e32 vcc, s16, v29
	v_fma_f32 v37, -v35, v36, 1.0
	s_nop 0
	v_cndmask_b32_e32 v2, v140, v2, vcc
	v_cmp_nlt_f32_e32 vcc, s15, v16
	v_fmac_f32_e32 v36, v37, v36
	s_nop 0
	v_cndmask_b32_e32 v3, 0, v3, vcc
	v_cmp_ngt_f32_e32 vcc, s16, v16
	s_nop 1
	v_cndmask_b32_e32 v3, v140, v3, vcc
	v_div_scale_f32 v37, vcc, v27, v1, v27
	v_mul_f32_e32 v38, v37, v36
	v_fma_f32 v39, -v35, v38, v37
	v_fmac_f32_e32 v38, v39, v36
	v_fma_f32 v35, -v35, v38, v37
	v_div_fmas_f32 v35, v35, v36, v38
	v_div_fixup_f32 v1, v35, v1, v27
	v_div_scale_f32 v27, s[2:3], v0, v0, v34
	v_rcp_f32_e32 v35, v27
	v_pk_add_f32 v[2:3], v[2:3], 1.0 op_sel_hi:[1,0]
	v_fma_f32 v36, -v27, v35, 1.0
	v_fmac_f32_e32 v35, v36, v35
	v_div_scale_f32 v36, vcc, v34, v0, v34
	v_mul_f32_e32 v37, v36, v35
	v_fma_f32 v38, -v27, v37, v36
	v_fmac_f32_e32 v37, v38, v35
	v_fma_f32 v27, -v27, v37, v36
	v_div_fmas_f32 v27, v27, v35, v37
	v_div_fixup_f32 v0, v27, v0, v34
	v_div_scale_f32 v27, s[2:3], v3, v3, v16
	v_rcp_f32_e32 v34, v27
	v_pk_mul_f32 v[0:1], v[30:31], v[0:1]
	v_fma_f32 v35, -v27, v34, 1.0
	v_fmac_f32_e32 v34, v35, v34
	v_div_scale_f32 v35, vcc, v16, v3, v16
	v_mul_f32_e32 v36, v35, v34
	v_fma_f32 v37, -v27, v36, v35
	v_fmac_f32_e32 v36, v37, v34
	v_fma_f32 v27, -v27, v36, v35
	v_div_fmas_f32 v27, v27, v34, v36
	v_div_fixup_f32 v3, v27, v3, v16
	v_div_scale_f32 v16, s[2:3], v2, v2, v29
	v_rcp_f32_e32 v27, v16
	s_nop 0
	v_fma_f32 v34, -v16, v27, 1.0
	v_fmac_f32_e32 v27, v34, v27
	v_div_scale_f32 v34, vcc, v29, v2, v29
	v_mul_f32_e32 v35, v34, v27
	v_fma_f32 v36, -v16, v35, v34
	v_fmac_f32_e32 v35, v36, v27
	v_fma_f32 v16, -v16, v35, v34
	v_div_fmas_f32 v16, v16, v27, v35
	v_div_fixup_f32 v2, v16, v2, v29
	v_pk_mul_f32 v[2:3], v[32:33], v[2:3]
	v_cvt_f16_f32_e32 v16, v1
	v_cvt_f16_f32_e32 v27, v0
	;; [unrolled: 1-line block ×4, first 2 shown]
	v_pack_b32_f16 v3, v11, v10
	v_pack_b32_f16 v2, v7, v6
	;; [unrolled: 1-line block ×4, first 2 shown]
	ds_write_b128 v119, v[0:3]
	v_pack_b32_f16 v3, v30, v29
	v_pack_b32_f16 v2, v27, v16
	;; [unrolled: 1-line block ×4, first 2 shown]
	ds_write_b128 v119, v[0:3] offset:16
	; wave barrier
	ds_read_u16 v16, v89 offset:128
	ds_read_u16 v15, v90 offset:256
	;; [unrolled: 1-line block ×15, first 2 shown]
	v_lshl_add_u64 v[0:1], s[18:19], 1, v[24:25]
	s_and_saveexec_b64 s[2:3], s[26:27]
	s_cbranch_execnz .LBB93_286
; %bb.254:                              ;   in Loop: Header=BB93_13 Depth=1
	s_or_b64 exec, exec, s[2:3]
	s_and_saveexec_b64 s[2:3], s[28:29]
	s_cbranch_execnz .LBB93_287
.LBB93_255:                             ;   in Loop: Header=BB93_13 Depth=1
	s_or_b64 exec, exec, s[2:3]
	s_and_saveexec_b64 s[2:3], s[30:31]
	s_cbranch_execnz .LBB93_288
.LBB93_256:                             ;   in Loop: Header=BB93_13 Depth=1
	s_or_b64 exec, exec, s[2:3]
	s_and_saveexec_b64 s[2:3], s[34:35]
	s_cbranch_execnz .LBB93_289
.LBB93_257:                             ;   in Loop: Header=BB93_13 Depth=1
	s_or_b64 exec, exec, s[2:3]
	s_and_saveexec_b64 s[2:3], s[36:37]
	s_cbranch_execnz .LBB93_290
.LBB93_258:                             ;   in Loop: Header=BB93_13 Depth=1
	s_or_b64 exec, exec, s[2:3]
	s_and_saveexec_b64 s[2:3], s[38:39]
	s_cbranch_execnz .LBB93_291
.LBB93_259:                             ;   in Loop: Header=BB93_13 Depth=1
	s_or_b64 exec, exec, s[2:3]
	s_and_saveexec_b64 s[2:3], s[40:41]
	s_cbranch_execnz .LBB93_292
.LBB93_260:                             ;   in Loop: Header=BB93_13 Depth=1
	s_or_b64 exec, exec, s[2:3]
	s_and_saveexec_b64 s[2:3], s[42:43]
	s_cbranch_execnz .LBB93_293
.LBB93_261:                             ;   in Loop: Header=BB93_13 Depth=1
	s_or_b64 exec, exec, s[2:3]
	s_and_saveexec_b64 s[2:3], s[44:45]
	s_cbranch_execnz .LBB93_294
.LBB93_262:                             ;   in Loop: Header=BB93_13 Depth=1
	s_or_b64 exec, exec, s[2:3]
	s_and_saveexec_b64 s[2:3], s[46:47]
	s_cbranch_execnz .LBB93_295
.LBB93_263:                             ;   in Loop: Header=BB93_13 Depth=1
	s_or_b64 exec, exec, s[2:3]
	s_and_saveexec_b64 s[2:3], s[48:49]
	s_cbranch_execnz .LBB93_296
.LBB93_264:                             ;   in Loop: Header=BB93_13 Depth=1
	s_or_b64 exec, exec, s[2:3]
	s_and_saveexec_b64 s[2:3], s[50:51]
	s_cbranch_execnz .LBB93_297
.LBB93_265:                             ;   in Loop: Header=BB93_13 Depth=1
	s_or_b64 exec, exec, s[2:3]
	s_and_saveexec_b64 s[2:3], s[52:53]
	s_cbranch_execnz .LBB93_298
.LBB93_266:                             ;   in Loop: Header=BB93_13 Depth=1
	s_or_b64 exec, exec, s[2:3]
	s_and_saveexec_b64 s[2:3], s[54:55]
	s_cbranch_execnz .LBB93_299
.LBB93_267:                             ;   in Loop: Header=BB93_13 Depth=1
	s_or_b64 exec, exec, s[2:3]
	s_and_saveexec_b64 s[2:3], s[56:57]
	s_cbranch_execnz .LBB93_300
.LBB93_268:                             ;   in Loop: Header=BB93_13 Depth=1
	s_or_b64 exec, exec, s[2:3]
	s_and_saveexec_b64 s[2:3], s[58:59]
	s_cbranch_execz .LBB93_12
	s_branch .LBB93_301
.LBB93_269:                             ;   in Loop: Header=BB93_13 Depth=1
	global_load_ushort v36, v[8:9], off offset:1664
	s_or_b64 exec, exec, s[2:3]
	s_and_saveexec_b64 s[2:3], s[56:57]
	s_cbranch_execz .LBB93_73
.LBB93_270:                             ;   in Loop: Header=BB93_13 Depth=1
	global_load_ushort v35, v[8:9], off offset:1792
	s_or_b64 exec, exec, s[2:3]
	v_mov_b32_e32 v37, 0
	s_and_saveexec_b64 s[2:3], s[58:59]
	s_cbranch_execnz .LBB93_74
	s_branch .LBB93_75
.LBB93_271:                             ;   in Loop: Header=BB93_13 Depth=1
	ds_read_u16 v27, v88
	s_waitcnt lgkmcnt(0)
	global_store_short v[0:1], v27, off
	s_or_b64 exec, exec, s[2:3]
	s_and_saveexec_b64 s[2:3], s[28:29]
	s_cbranch_execz .LBB93_206
.LBB93_272:                             ;   in Loop: Header=BB93_13 Depth=1
	s_waitcnt lgkmcnt(14)
	global_store_short v[0:1], v16, off offset:128
	s_or_b64 exec, exec, s[2:3]
	s_and_saveexec_b64 s[2:3], s[30:31]
	s_cbranch_execz .LBB93_207
.LBB93_273:                             ;   in Loop: Header=BB93_13 Depth=1
	s_waitcnt lgkmcnt(13)
	global_store_short v[0:1], v15, off offset:256
	s_or_b64 exec, exec, s[2:3]
	s_and_saveexec_b64 s[2:3], s[34:35]
	s_cbranch_execz .LBB93_208
.LBB93_274:                             ;   in Loop: Header=BB93_13 Depth=1
	s_waitcnt lgkmcnt(12)
	global_store_short v[0:1], v14, off offset:384
	s_or_b64 exec, exec, s[2:3]
	s_and_saveexec_b64 s[2:3], s[36:37]
	s_cbranch_execz .LBB93_209
.LBB93_275:                             ;   in Loop: Header=BB93_13 Depth=1
	s_waitcnt lgkmcnt(11)
	global_store_short v[0:1], v13, off offset:512
	s_or_b64 exec, exec, s[2:3]
	s_and_saveexec_b64 s[2:3], s[38:39]
	s_cbranch_execz .LBB93_210
.LBB93_276:                             ;   in Loop: Header=BB93_13 Depth=1
	s_waitcnt lgkmcnt(10)
	global_store_short v[0:1], v12, off offset:640
	s_or_b64 exec, exec, s[2:3]
	s_and_saveexec_b64 s[2:3], s[40:41]
	s_cbranch_execz .LBB93_211
.LBB93_277:                             ;   in Loop: Header=BB93_13 Depth=1
	s_waitcnt lgkmcnt(9)
	global_store_short v[0:1], v11, off offset:768
	s_or_b64 exec, exec, s[2:3]
	s_and_saveexec_b64 s[2:3], s[42:43]
	s_cbranch_execz .LBB93_212
.LBB93_278:                             ;   in Loop: Header=BB93_13 Depth=1
	s_waitcnt lgkmcnt(8)
	global_store_short v[0:1], v10, off offset:896
	s_or_b64 exec, exec, s[2:3]
	s_and_saveexec_b64 s[2:3], s[44:45]
	s_cbranch_execz .LBB93_213
.LBB93_279:                             ;   in Loop: Header=BB93_13 Depth=1
	s_waitcnt lgkmcnt(7)
	global_store_short v[0:1], v9, off offset:1024
	s_or_b64 exec, exec, s[2:3]
	s_and_saveexec_b64 s[2:3], s[46:47]
	s_cbranch_execz .LBB93_214
.LBB93_280:                             ;   in Loop: Header=BB93_13 Depth=1
	s_waitcnt lgkmcnt(6)
	global_store_short v[0:1], v8, off offset:1152
	s_or_b64 exec, exec, s[2:3]
	s_and_saveexec_b64 s[2:3], s[48:49]
	s_cbranch_execz .LBB93_215
.LBB93_281:                             ;   in Loop: Header=BB93_13 Depth=1
	s_waitcnt lgkmcnt(5)
	global_store_short v[0:1], v7, off offset:1280
	s_or_b64 exec, exec, s[2:3]
	s_and_saveexec_b64 s[2:3], s[50:51]
	s_cbranch_execz .LBB93_216
.LBB93_282:                             ;   in Loop: Header=BB93_13 Depth=1
	s_waitcnt lgkmcnt(4)
	global_store_short v[0:1], v6, off offset:1408
	s_or_b64 exec, exec, s[2:3]
	s_and_saveexec_b64 s[2:3], s[52:53]
	s_cbranch_execz .LBB93_217
.LBB93_283:                             ;   in Loop: Header=BB93_13 Depth=1
	s_waitcnt lgkmcnt(3)
	global_store_short v[0:1], v5, off offset:1536
	s_or_b64 exec, exec, s[2:3]
	s_and_saveexec_b64 s[2:3], s[54:55]
	s_cbranch_execz .LBB93_218
.LBB93_284:                             ;   in Loop: Header=BB93_13 Depth=1
	s_waitcnt lgkmcnt(2)
	global_store_short v[0:1], v4, off offset:1664
	s_or_b64 exec, exec, s[2:3]
	s_and_saveexec_b64 s[2:3], s[56:57]
	s_cbranch_execz .LBB93_219
.LBB93_285:                             ;   in Loop: Header=BB93_13 Depth=1
	s_waitcnt lgkmcnt(1)
	global_store_short v[0:1], v3, off offset:1792
	s_or_b64 exec, exec, s[2:3]
	s_and_saveexec_b64 s[2:3], s[58:59]
	s_cbranch_execnz .LBB93_220
	s_branch .LBB93_221
.LBB93_286:                             ;   in Loop: Header=BB93_13 Depth=1
	ds_read_u16 v27, v88
	s_waitcnt lgkmcnt(0)
	global_store_short v[0:1], v27, off
	s_or_b64 exec, exec, s[2:3]
	s_and_saveexec_b64 s[2:3], s[28:29]
	s_cbranch_execz .LBB93_255
.LBB93_287:                             ;   in Loop: Header=BB93_13 Depth=1
	s_waitcnt lgkmcnt(14)
	global_store_short v[0:1], v16, off offset:128
	s_or_b64 exec, exec, s[2:3]
	s_and_saveexec_b64 s[2:3], s[30:31]
	s_cbranch_execz .LBB93_256
.LBB93_288:                             ;   in Loop: Header=BB93_13 Depth=1
	s_waitcnt lgkmcnt(13)
	global_store_short v[0:1], v15, off offset:256
	s_or_b64 exec, exec, s[2:3]
	s_and_saveexec_b64 s[2:3], s[34:35]
	s_cbranch_execz .LBB93_257
.LBB93_289:                             ;   in Loop: Header=BB93_13 Depth=1
	s_waitcnt lgkmcnt(12)
	global_store_short v[0:1], v14, off offset:384
	s_or_b64 exec, exec, s[2:3]
	s_and_saveexec_b64 s[2:3], s[36:37]
	s_cbranch_execz .LBB93_258
.LBB93_290:                             ;   in Loop: Header=BB93_13 Depth=1
	s_waitcnt lgkmcnt(11)
	global_store_short v[0:1], v13, off offset:512
	s_or_b64 exec, exec, s[2:3]
	s_and_saveexec_b64 s[2:3], s[38:39]
	s_cbranch_execz .LBB93_259
.LBB93_291:                             ;   in Loop: Header=BB93_13 Depth=1
	s_waitcnt lgkmcnt(10)
	global_store_short v[0:1], v12, off offset:640
	s_or_b64 exec, exec, s[2:3]
	s_and_saveexec_b64 s[2:3], s[40:41]
	s_cbranch_execz .LBB93_260
.LBB93_292:                             ;   in Loop: Header=BB93_13 Depth=1
	s_waitcnt lgkmcnt(9)
	global_store_short v[0:1], v11, off offset:768
	s_or_b64 exec, exec, s[2:3]
	s_and_saveexec_b64 s[2:3], s[42:43]
	s_cbranch_execz .LBB93_261
.LBB93_293:                             ;   in Loop: Header=BB93_13 Depth=1
	s_waitcnt lgkmcnt(8)
	global_store_short v[0:1], v10, off offset:896
	s_or_b64 exec, exec, s[2:3]
	s_and_saveexec_b64 s[2:3], s[44:45]
	s_cbranch_execz .LBB93_262
.LBB93_294:                             ;   in Loop: Header=BB93_13 Depth=1
	s_waitcnt lgkmcnt(7)
	global_store_short v[0:1], v9, off offset:1024
	s_or_b64 exec, exec, s[2:3]
	s_and_saveexec_b64 s[2:3], s[46:47]
	s_cbranch_execz .LBB93_263
.LBB93_295:                             ;   in Loop: Header=BB93_13 Depth=1
	s_waitcnt lgkmcnt(6)
	global_store_short v[0:1], v8, off offset:1152
	s_or_b64 exec, exec, s[2:3]
	s_and_saveexec_b64 s[2:3], s[48:49]
	s_cbranch_execz .LBB93_264
.LBB93_296:                             ;   in Loop: Header=BB93_13 Depth=1
	s_waitcnt lgkmcnt(5)
	global_store_short v[0:1], v7, off offset:1280
	s_or_b64 exec, exec, s[2:3]
	s_and_saveexec_b64 s[2:3], s[50:51]
	s_cbranch_execz .LBB93_265
.LBB93_297:                             ;   in Loop: Header=BB93_13 Depth=1
	s_waitcnt lgkmcnt(4)
	global_store_short v[0:1], v6, off offset:1408
	s_or_b64 exec, exec, s[2:3]
	s_and_saveexec_b64 s[2:3], s[52:53]
	s_cbranch_execz .LBB93_266
.LBB93_298:                             ;   in Loop: Header=BB93_13 Depth=1
	s_waitcnt lgkmcnt(3)
	global_store_short v[0:1], v5, off offset:1536
	s_or_b64 exec, exec, s[2:3]
	s_and_saveexec_b64 s[2:3], s[54:55]
	s_cbranch_execz .LBB93_267
.LBB93_299:                             ;   in Loop: Header=BB93_13 Depth=1
	s_waitcnt lgkmcnt(2)
	global_store_short v[0:1], v4, off offset:1664
	s_or_b64 exec, exec, s[2:3]
	s_and_saveexec_b64 s[2:3], s[56:57]
	s_cbranch_execz .LBB93_268
.LBB93_300:                             ;   in Loop: Header=BB93_13 Depth=1
	s_waitcnt lgkmcnt(1)
	global_store_short v[0:1], v3, off offset:1792
	s_or_b64 exec, exec, s[2:3]
	s_and_saveexec_b64 s[2:3], s[58:59]
	s_cbranch_execz .LBB93_12
.LBB93_301:                             ;   in Loop: Header=BB93_13 Depth=1
	s_waitcnt lgkmcnt(0)
	global_store_short v[0:1], v2, off offset:1920
	s_branch .LBB93_12
.LBB93_302:
	s_endpgm
	.section	.rodata,"a",@progbits
	.p2align	6, 0x0
	.amdhsa_kernel _Z25selective_scan_fwd_kernelI32Selective_Scan_fwd_kernel_traitsILi128ELi16ELi1ELb0ELb1ELb1ELb1ELb0EN3c104HalfEfS2_EEv13SSMParamsBase
		.amdhsa_group_segment_fixed_size 0
		.amdhsa_private_segment_fixed_size 0
		.amdhsa_kernarg_size 248
		.amdhsa_user_sgpr_count 2
		.amdhsa_user_sgpr_dispatch_ptr 0
		.amdhsa_user_sgpr_queue_ptr 0
		.amdhsa_user_sgpr_kernarg_segment_ptr 1
		.amdhsa_user_sgpr_dispatch_id 0
		.amdhsa_user_sgpr_kernarg_preload_length 0
		.amdhsa_user_sgpr_kernarg_preload_offset 0
		.amdhsa_user_sgpr_private_segment_size 0
		.amdhsa_uses_dynamic_stack 0
		.amdhsa_enable_private_segment 0
		.amdhsa_system_sgpr_workgroup_id_x 1
		.amdhsa_system_sgpr_workgroup_id_y 1
		.amdhsa_system_sgpr_workgroup_id_z 0
		.amdhsa_system_sgpr_workgroup_info 0
		.amdhsa_system_vgpr_workitem_id 0
		.amdhsa_next_free_vgpr 168
		.amdhsa_next_free_sgpr 100
		.amdhsa_accum_offset 168
		.amdhsa_reserve_vcc 1
		.amdhsa_float_round_mode_32 0
		.amdhsa_float_round_mode_16_64 0
		.amdhsa_float_denorm_mode_32 3
		.amdhsa_float_denorm_mode_16_64 3
		.amdhsa_dx10_clamp 1
		.amdhsa_ieee_mode 1
		.amdhsa_fp16_overflow 0
		.amdhsa_tg_split 0
		.amdhsa_exception_fp_ieee_invalid_op 0
		.amdhsa_exception_fp_denorm_src 0
		.amdhsa_exception_fp_ieee_div_zero 0
		.amdhsa_exception_fp_ieee_overflow 0
		.amdhsa_exception_fp_ieee_underflow 0
		.amdhsa_exception_fp_ieee_inexact 0
		.amdhsa_exception_int_div_zero 0
	.end_amdhsa_kernel
	.section	.text._Z25selective_scan_fwd_kernelI32Selective_Scan_fwd_kernel_traitsILi128ELi16ELi1ELb0ELb1ELb1ELb1ELb0EN3c104HalfEfS2_EEv13SSMParamsBase,"axG",@progbits,_Z25selective_scan_fwd_kernelI32Selective_Scan_fwd_kernel_traitsILi128ELi16ELi1ELb0ELb1ELb1ELb1ELb0EN3c104HalfEfS2_EEv13SSMParamsBase,comdat
.Lfunc_end93:
	.size	_Z25selective_scan_fwd_kernelI32Selective_Scan_fwd_kernel_traitsILi128ELi16ELi1ELb0ELb1ELb1ELb1ELb0EN3c104HalfEfS2_EEv13SSMParamsBase, .Lfunc_end93-_Z25selective_scan_fwd_kernelI32Selective_Scan_fwd_kernel_traitsILi128ELi16ELi1ELb0ELb1ELb1ELb1ELb0EN3c104HalfEfS2_EEv13SSMParamsBase
                                        ; -- End function
	.section	.AMDGPU.csdata,"",@progbits
; Kernel info:
; codeLenInByte = 25120
; NumSgprs: 106
; NumVgprs: 168
; NumAgprs: 0
; TotalNumVgprs: 168
; ScratchSize: 0
; MemoryBound: 0
; FloatMode: 240
; IeeeMode: 1
; LDSByteSize: 0 bytes/workgroup (compile time only)
; SGPRBlocks: 13
; VGPRBlocks: 20
; NumSGPRsForWavesPerEU: 106
; NumVGPRsForWavesPerEU: 168
; AccumOffset: 168
; Occupancy: 3
; WaveLimiterHint : 0
; COMPUTE_PGM_RSRC2:SCRATCH_EN: 0
; COMPUTE_PGM_RSRC2:USER_SGPR: 2
; COMPUTE_PGM_RSRC2:TRAP_HANDLER: 0
; COMPUTE_PGM_RSRC2:TGID_X_EN: 1
; COMPUTE_PGM_RSRC2:TGID_Y_EN: 1
; COMPUTE_PGM_RSRC2:TGID_Z_EN: 0
; COMPUTE_PGM_RSRC2:TIDIG_COMP_CNT: 0
; COMPUTE_PGM_RSRC3_GFX90A:ACCUM_OFFSET: 41
; COMPUTE_PGM_RSRC3_GFX90A:TG_SPLIT: 0
	.section	.text._Z25selective_scan_fwd_kernelI32Selective_Scan_fwd_kernel_traitsILi128ELi16ELi1ELb0ELb1ELb1ELb0ELb1EN3c104HalfEfS2_EEv13SSMParamsBase,"axG",@progbits,_Z25selective_scan_fwd_kernelI32Selective_Scan_fwd_kernel_traitsILi128ELi16ELi1ELb0ELb1ELb1ELb0ELb1EN3c104HalfEfS2_EEv13SSMParamsBase,comdat
	.protected	_Z25selective_scan_fwd_kernelI32Selective_Scan_fwd_kernel_traitsILi128ELi16ELi1ELb0ELb1ELb1ELb0ELb1EN3c104HalfEfS2_EEv13SSMParamsBase ; -- Begin function _Z25selective_scan_fwd_kernelI32Selective_Scan_fwd_kernel_traitsILi128ELi16ELi1ELb0ELb1ELb1ELb0ELb1EN3c104HalfEfS2_EEv13SSMParamsBase
	.globl	_Z25selective_scan_fwd_kernelI32Selective_Scan_fwd_kernel_traitsILi128ELi16ELi1ELb0ELb1ELb1ELb0ELb1EN3c104HalfEfS2_EEv13SSMParamsBase
	.p2align	8
	.type	_Z25selective_scan_fwd_kernelI32Selective_Scan_fwd_kernel_traitsILi128ELi16ELi1ELb0ELb1ELb1ELb0ELb1EN3c104HalfEfS2_EEv13SSMParamsBase,@function
_Z25selective_scan_fwd_kernelI32Selective_Scan_fwd_kernel_traitsILi128ELi16ELi1ELb0ELb1ELb1ELb0ELb1EN3c104HalfEfS2_EEv13SSMParamsBase: ; @_Z25selective_scan_fwd_kernelI32Selective_Scan_fwd_kernel_traitsILi128ELi16ELi1ELb0ELb1ELb1ELb0ELb1EN3c104HalfEfS2_EEv13SSMParamsBase
; %bb.0:
	s_load_dword s29, s[0:1], 0x18
	s_load_dwordx4 s[4:7], s[0:1], 0xe0
	s_load_dwordx2 s[10:11], s[0:1], 0xf0
	s_mov_b32 s24, s3
	s_ashr_i32 s3, s2, 31
	s_waitcnt lgkmcnt(0)
	s_abs_i32 s28, s29
	v_cvt_f32_u32_e32 v1, s28
	s_lshl_b64 s[8:9], s[2:3], 2
	s_add_u32 s26, s4, s8
	s_addc_u32 s27, s5, s9
	v_rcp_iflag_f32_e32 v1, v1
	s_cmp_eq_u64 s[10:11], 0
                                        ; implicit-def: $vgpr167 : SGPR spill to VGPR lane
	v_mul_f32_e32 v1, 0x4f7ffffe, v1
	v_cvt_u32_f32_e32 v1, v1
	s_nop 0
	v_readfirstlane_b32 s30, v1
	s_cbranch_scc1 .LBB94_2
; %bb.1:
	s_add_u32 s4, s10, s2
	s_addc_u32 s5, s11, s3
	v_mov_b32_e32 v1, 0
	global_load_ubyte v1, v1, s[4:5]
	s_waitcnt vmcnt(0)
	v_and_b32_e32 v1, 1, v1
	v_cmp_eq_u32_e64 s[4:5], 1, v1
	s_branch .LBB94_3
.LBB94_2:
	s_mov_b64 s[4:5], 0
.LBB94_3:
	s_nop 0
	v_writelane_b32 v167, s4, 0
	s_cmp_eq_u64 s[6:7], 0
	s_nop 0
	v_writelane_b32 v167, s5, 1
	s_load_dwordx2 s[4:5], s[0:1], 0x20
	s_cbranch_scc1 .LBB94_5
; %bb.4:
	s_add_u32 s2, s6, s8
	s_addc_u32 s3, s7, s9
	s_load_dword s2, s[2:3], 0x0
	s_waitcnt lgkmcnt(0)
	s_ashr_i32 s3, s2, 31
.LBB94_5:
	s_waitcnt lgkmcnt(0)
	s_cmp_eq_u64 s[4:5], s[2:3]
	s_cbranch_scc1 .LBB94_238
; %bb.6:
	s_load_dwordx16 s[36:51], s[0:1], 0x88
	s_load_dwordx2 s[4:5], s[26:27], 0x0
	s_mov_b32 s3, 0
	v_writelane_b32 v167, s3, 2
	v_writelane_b32 v167, s3, 3
	s_waitcnt lgkmcnt(0)
	s_cmp_eq_u64 s[42:43], 0
	s_cbranch_scc1 .LBB94_8
; %bb.7:
	s_ashr_i32 s25, s24, 31
	s_lshl_b64 s[6:7], s[24:25], 2
	s_add_u32 s6, s42, s6
	s_addc_u32 s7, s43, s7
	s_load_dword s3, s[6:7], 0x0
	s_waitcnt lgkmcnt(0)
	v_writelane_b32 v167, s3, 3
.LBB94_8:
	s_cmp_eq_u64 s[48:49], 0
	s_cbranch_scc1 .LBB94_10
; %bb.9:
	s_ashr_i32 s25, s24, 31
	s_lshl_b64 s[6:7], s[24:25], 2
	s_add_u32 s6, s48, s6
	s_addc_u32 s7, s49, s7
	s_load_dword s3, s[6:7], 0x0
	s_waitcnt lgkmcnt(0)
	v_writelane_b32 v167, s3, 2
.LBB94_10:
	s_sub_i32 s31, s5, s4
	s_cmp_lt_i32 s31, 1
	s_cbranch_scc1 .LBB94_238
; %bb.11:
	s_sub_i32 s3, 0, s28
	s_mul_i32 s3, s3, s30
	s_mul_hi_u32 s3, s30, s3
	s_load_dwordx8 s[8:15], s[0:1], 0x2c
	s_load_dwordx2 s[20:21], s[0:1], 0x5c
	s_load_dwordx4 s[52:55], s[0:1], 0x4c
	s_abs_i32 s5, s24
	s_add_i32 s30, s30, s3
	s_load_dwordx4 s[56:59], s[0:1], 0x7c
	s_load_dwordx2 s[18:19], s[0:1], 0x6c
	s_load_dwordx2 s[26:27], s[0:1], 0xc8
	s_mul_hi_u32 s3, s5, s30
	s_waitcnt lgkmcnt(0)
	s_load_dword s11, s[0:1], 0xc
	s_load_dword s25, s[0:1], 0x28
	s_ashr_i32 s0, s24, 31
	s_ashr_i32 s1, s29, 31
	s_xor_b32 s0, s0, s1
	s_mul_i32 s1, s3, s28
	s_sub_i32 s1, s5, s1
	s_add_i32 s5, s3, 1
	s_sub_i32 s6, s1, s28
	s_cmp_ge_u32 s1, s28
	s_cselect_b32 s3, s5, s3
	s_cselect_b32 s1, s6, s1
	s_add_i32 s5, s3, 1
	s_cmp_ge_u32 s1, s28
	s_cselect_b32 s1, s5, s3
	s_xor_b32 s1, s1, s0
	s_mul_i32 s6, s4, s54
	s_mov_b32 s7, 0
	s_sub_i32 s3, s1, s0
	s_lshl_b64 s[0:1], s[6:7], 1
	s_add_u32 s5, s44, s0
	s_mul_i32 s6, s55, s24
	s_addc_u32 s16, s45, s1
	s_lshl_b64 s[0:1], s[6:7], 1
	s_add_u32 s22, s5, s0
	s_mul_i32 s6, s4, s20
	s_addc_u32 s23, s16, s1
	;; [unrolled: 4-line block ×3, first 2 shown]
	s_lshl_b64 s[0:1], s[6:7], 1
	s_add_u32 s0, s5, s0
	s_addc_u32 s1, s16, s1
	v_writelane_b32 v167, s0, 4
	s_mul_i32 s6, s8, s24
	v_mbcnt_lo_u32_b32 v1, -1, 0
	v_writelane_b32 v167, s1, 5
	s_lshl_b64 s[0:1], s[6:7], 2
	s_add_u32 s0, s36, s0
	v_writelane_b32 v167, s0, 6
	s_addc_u32 s0, s37, s1
	s_mul_i32 s6, s4, s10
	v_writelane_b32 v167, s0, 7
	s_lshl_b64 s[0:1], s[6:7], 1
	s_add_u32 s5, s38, s0
	s_mul_i32 s6, s3, s13
	s_addc_u32 s8, s39, s1
	s_lshl_b64 s[0:1], s[6:7], 1
	s_add_u32 s0, s5, s0
	s_addc_u32 s1, s8, s1
	v_writelane_b32 v167, s0, 8
	v_lshlrev_b32_e32 v19, 4, v0
	v_mbcnt_hi_u32_b32 v18, -1, v1
	v_writelane_b32 v167, s1, 9
	s_waitcnt lgkmcnt(0)
	v_writelane_b32 v167, s8, 10
	s_mul_i32 s6, s4, s14
	s_lshl_b64 s[0:1], s[6:7], 1
	v_writelane_b32 v167, s9, 11
	v_writelane_b32 v167, s10, 12
	;; [unrolled: 1-line block ×7, first 2 shown]
	s_add_u32 s5, s40, s0
	v_writelane_b32 v167, s52, 18
	s_mul_i32 s6, s3, s53
	s_addc_u32 s8, s41, s1
	v_writelane_b32 v167, s53, 19
	s_lshl_b64 s[0:1], s[6:7], 1
	v_writelane_b32 v167, s54, 20
	s_add_u32 s0, s5, s0
	v_writelane_b32 v167, s55, 21
	s_addc_u32 s1, s8, s1
	v_writelane_b32 v167, s0, 22
	s_mul_i32 s6, s2, s56
	v_and_b32_e32 v2, 0x400, v19
	v_writelane_b32 v167, s1, 23
	s_lshl_b64 s[0:1], s[6:7], 1
	v_writelane_b32 v167, s56, 24
	s_add_u32 s2, s26, s0
	s_mul_i32 s6, s57, s24
	v_writelane_b32 v167, s57, 25
	s_addc_u32 s3, s27, s1
	v_writelane_b32 v167, s58, 26
	s_lshl_b64 s[0:1], s[6:7], 1
	v_writelane_b32 v167, s59, 27
	s_add_u32 s0, s2, s0
	v_writelane_b32 v167, s0, 28
	s_addc_u32 s0, s3, s1
	v_writelane_b32 v167, s0, 29
	s_add_i32 s0, s31, 0x7ff
	s_lshr_b32 s1, s0, 11
	s_bitcmp1_b32 s25, 0
	v_or_b32_e32 v68, v18, v2
	s_cselect_b64 s[2:3], -1, 0
	v_lshrrev_b32_e32 v1, 5, v68
	v_writelane_b32 v167, s2, 30
	v_and_b32_e32 v1, 34, v1
	v_and_b32_e32 v20, 64, v0
	v_writelane_b32 v167, s3, 31
	s_cmp_gt_i32 s11, 0
	v_add_u32_e32 v69, 64, v68
	v_or_b32_e32 v70, 0x80, v68
	v_add_u32_e32 v71, 0xc0, v68
	v_or_b32_e32 v72, 0x100, v68
	;; [unrolled: 2-line block ×7, first 2 shown]
	v_add_u32_e32 v83, 0x3c0, v68
	v_add_u32_e32 v1, v1, v68
	v_add_u16_e32 v22, v18, v20
	v_writelane_b32 v167, s11, 32
	s_cselect_b64 s[2:3], -1, 0
	v_lshl_add_u32 v84, v1, 1, 0
	v_lshrrev_b32_e32 v1, 5, v69
	v_lshrrev_b32_e32 v3, 5, v70
	;; [unrolled: 1-line block ×15, first 2 shown]
	v_lshrrev_b16_e32 v22, 1, v22
	v_writelane_b32 v167, s2, 33
	v_and_b32_e32 v1, 38, v1
	v_and_b32_e32 v3, 38, v3
	v_and_b32_e32 v4, 46, v4
	v_and_b32_e32 v5, 42, v5
	v_and_b32_e32 v6, 46, v6
	v_and_b32_e32 v7, 46, v7
	v_and_b32_e32 v8, 62, v8
	v_and_b32_e32 v9, 50, v9
	v_and_b32_e32 v10, 54, v10
	v_and_b32_e32 v11, 54, v11
	v_and_b32_e32 v12, 62, v12
	v_and_b32_e32 v13, 58, v13
	v_and_b32_e32 v14, 62, v14
	v_and_b32_e32 v15, 62, v15
	v_and_b32_e32 v16, 0x7e, v16
	v_add_lshl_u32 v21, v18, v20, 4
	v_and_b32_e32 v22, 0x7e, v22
	v_writelane_b32 v167, s3, 34
	v_add_lshl_u32 v1, v1, v68, 1
	v_add_lshl_u32 v3, v3, v68, 1
	;; [unrolled: 1-line block ×16, first 2 shown]
	s_add_i32 s0, 0, 0x1080
	v_writelane_b32 v167, s31, 35
	v_add_u32_e32 v101, s0, v1
	v_add_u32_e32 v102, s0, v3
	v_add_u32_e32 v103, s0, v4
	v_add_u32_e32 v104, s0, v5
	v_add_u32_e32 v105, s0, v6
	v_add_u32_e32 v106, s0, v7
	v_add_u32_e32 v107, s0, v8
	v_add_u32_e32 v108, s0, v9
	v_add_u32_e32 v109, s0, v10
	v_add_u32_e32 v110, s0, v11
	v_add_u32_e32 v111, s0, v12
	v_add_u32_e32 v112, s0, v13
	v_add_u32_e32 v113, s0, v14
	v_add_u32_e32 v114, s0, v15
	v_add_u32_e32 v115, s0, v16
	v_add_u32_e32 v116, s0, v21
	v_writelane_b32 v167, s1, 36
	s_add_i32 s0, s1, -1
	s_mul_i32 s6, s4, s18
	s_and_b32 s5, s31, 0x7ff
	v_writelane_b32 v167, s0, 37
	s_lshl_b64 s[0:1], s[6:7], 1
	s_add_u32 s2, s50, s0
	s_mul_i32 s6, s19, s24
	s_addc_u32 s3, s51, s1
	s_lshl_b64 s[0:1], s[6:7], 1
	s_add_u32 s2, s2, s0
	s_addc_u32 s3, s3, s1
	s_cmp_eq_u32 s5, 0
	s_cselect_b64 s[0:1], -1, 0
	v_add_u32_e32 v85, 0, v1
	v_writelane_b32 v167, s0, 38
	v_and_b32_e32 v1, 15, v18
	v_cmp_lt_u32_e64 s[4:5], 1, v1
	v_writelane_b32 v167, s1, 39
	v_cmp_eq_u32_e64 s[0:1], 0, v1
	v_writelane_b32 v167, s4, 40
	v_add_u32_e32 v86, 0, v3
	v_and_b32_e32 v3, 64, v18
	v_writelane_b32 v167, s5, 41
	v_cmp_lt_u32_e64 s[4:5], 3, v1
	v_mov_b32_e32 v17, 0
	v_add_u32_e32 v99, 0, v16
	v_writelane_b32 v167, s4, 42
	v_lshlrev_b32_e32 v16, 1, v18
	s_mov_b64 s[8:9], s[22:23]
	v_writelane_b32 v167, s5, 43
	v_cmp_lt_u32_e64 s[4:5], 7, v1
	v_and_b32_e32 v1, 16, v18
	v_lshl_add_u32 v118, v0, 3, 0
	v_writelane_b32 v167, s4, 44
	v_cmp_lt_u32_e64 s[20:21], 63, v0
	v_cmp_eq_u32_e64 s[22:23], 0, v0
	v_writelane_b32 v167, s5, 45
	v_cmp_ne_u32_e64 s[4:5], 0, v1
	v_or_b32_e32 v1, 63, v20
	v_add_u32_e32 v87, 0, v4
	v_writelane_b32 v167, s4, 46
	v_add_u32_e32 v88, 0, v5
	v_add_u32_e32 v89, 0, v6
	v_writelane_b32 v167, s5, 47
	v_cmp_lt_u32_e64 s[4:5], 31, v18
	v_add_u32_e32 v90, 0, v7
	v_add_u32_e32 v91, 0, v8
	v_writelane_b32 v167, s4, 48
	v_add_u32_e32 v92, 0, v9
	v_add_u32_e32 v93, 0, v10
	v_writelane_b32 v167, s5, 49
	v_cmp_eq_u32_e64 s[4:5], v1, v0
	v_lshrrev_b32_e32 v1, 3, v0
	v_and_b32_e32 v1, 8, v1
	v_writelane_b32 v167, s4, 50
	v_add_u32_e32 v117, 0, v1
	v_and_b32_e32 v1, 1, v18
	v_writelane_b32 v167, s5, 51
	v_cmp_gt_u32_e64 s[4:5], 2, v0
	v_add_u32_e32 v94, 0, v11
	v_add_u32_e32 v95, 0, v12
	v_writelane_b32 v167, s4, 52
	v_add_u32_e32 v96, 0, v13
	v_add_u32_e32 v97, 0, v14
	v_writelane_b32 v167, s5, 53
	v_cmp_eq_u32_e64 s[4:5], 0, v1
	v_add_u32_e32 v1, -1, v18
	v_cmp_lt_i32_e32 vcc, v1, v3
	v_writelane_b32 v167, s4, 54
	v_add_u32_e32 v98, 0, v15
	v_cndmask_b32_e32 v1, v1, v18, vcc
	v_writelane_b32 v167, s5, 55
	v_cmp_gt_u32_e64 s[4:5], 64, v0
	v_lshlrev_b32_e32 v119, 2, v1
	v_lshl_add_u64 v[0:1], s[2:3], 0, v[16:17]
	v_writelane_b32 v167, s4, 56
	v_lshlrev_b32_e32 v16, 1, v2
	s_add_i32 s2, 0, 0x2110
	v_writelane_b32 v167, s5, 57
	v_add_u32_e32 v100, 0, v21
	v_cmp_eq_u32_e64 s[24:25], 0, v18
	v_lshl_add_u64 v[20:21], v[0:1], 0, v[16:17]
	v_lshlrev_b32_e32 v22, 1, v2
	s_mov_b32 s6, 0x41a00000
	s_mov_b32 s10, 0x3fb8aa3b
	s_mov_b32 s11, 0xc2ce8ed0
	s_mov_b32 s12, 0x42b17218
	s_mov_b32 s13, 0x7f800000
	s_mov_b32 s14, 0x3f2aaaab
	s_mov_b32 s15, 0x3f317218
	s_mov_b32 s16, 0x33800000
	v_writelane_b32 v167, s2, 58
	s_mov_b32 s33, 0xc2fc0000
	s_mov_b32 s3, 0
	v_or_b32_e32 v134, 15, v19
	v_mov_b32_e32 v135, 0x3ecc95a3
	v_mov_b32_e32 v136, 0x7f800000
	;; [unrolled: 1-line block ×5, first 2 shown]
                                        ; implicit-def: $vgpr0
	s_branch .LBB94_13
.LBB94_12:                              ;   in Loop: Header=BB94_13 Depth=1
	s_or_b64 exec, exec, s[2:3]
	v_readlane_b32 s2, v167, 4
	v_readlane_b32 s3, v167, 5
	s_add_u32 s2, s2, 0x1000
	s_addc_u32 s3, s3, 0
	v_writelane_b32 v167, s2, 4
	s_add_u32 s8, s8, 0x1000
	s_addc_u32 s9, s9, 0
	v_writelane_b32 v167, s3, 5
	s_nop 0
	v_readlane_b32 s2, v167, 8
	v_readlane_b32 s3, v167, 9
	s_add_u32 s2, s2, 0x1000
	s_addc_u32 s3, s3, 0
	v_writelane_b32 v167, s2, 8
	s_nop 1
	v_writelane_b32 v167, s3, 9
	s_nop 0
	v_readlane_b32 s2, v167, 22
	v_readlane_b32 s3, v167, 23
	s_add_u32 s2, s2, 0x1000
	s_addc_u32 s3, s3, 0
	v_writelane_b32 v167, s2, 22
	s_nop 1
	v_writelane_b32 v167, s3, 23
	s_nop 0
	v_readlane_b32 s3, v167, 59
	s_add_i32 s3, s3, 1
	v_readlane_b32 s2, v167, 36
	s_cmp_eq_u32 s3, s2
	s_cbranch_scc1 .LBB94_238
.LBB94_13:                              ; =>This Loop Header: Depth=1
                                        ;     Child Loop BB94_110 Depth 2
	s_lshl_b32 s18, s3, 11
	v_writelane_b32 v167, s3, 59
	s_mov_b32 s4, s18
	v_readlane_b32 s2, v167, 35
	v_writelane_b32 v167, s4, 60
	s_waitcnt lgkmcnt(14)
	v_lshlrev_b32_e32 v16, 1, v18
	s_sub_i32 s88, s2, s18
	v_writelane_b32 v167, s5, 61
	v_writelane_b32 v167, s8, 62
	v_mov_b32_e32 v23, v17
	v_cmp_gt_u32_e64 s[26:27], s88, v68
	v_lshl_add_u64 v[0:1], s[8:9], 0, v[16:17]
	v_writelane_b32 v167, s9, 63
	v_lshl_add_u64 v[0:1], v[0:1], 0, v[22:23]
	s_waitcnt lgkmcnt(0)
	v_mov_b32_e32 v2, 0
	s_barrier
	s_and_saveexec_b64 s[2:3], s[26:27]
	s_cbranch_execz .LBB94_15
; %bb.14:                               ;   in Loop: Header=BB94_13 Depth=1
	global_load_ushort v2, v[0:1], off
.LBB94_15:                              ;   in Loop: Header=BB94_13 Depth=1
	s_or_b64 exec, exec, s[2:3]
	v_cmp_gt_u32_e64 s[28:29], s88, v69
	v_mov_b32_e32 v3, 0
	v_mov_b32_e32 v4, 0
	s_and_saveexec_b64 s[2:3], s[28:29]
	s_cbranch_execz .LBB94_17
; %bb.16:                               ;   in Loop: Header=BB94_13 Depth=1
	global_load_ushort v4, v[0:1], off offset:128
.LBB94_17:                              ;   in Loop: Header=BB94_13 Depth=1
	s_or_b64 exec, exec, s[2:3]
	v_cmp_gt_u32_e64 s[30:31], s88, v70
	s_and_saveexec_b64 s[2:3], s[30:31]
	s_cbranch_execz .LBB94_19
; %bb.18:                               ;   in Loop: Header=BB94_13 Depth=1
	global_load_ushort v3, v[0:1], off offset:256
.LBB94_19:                              ;   in Loop: Header=BB94_13 Depth=1
	s_or_b64 exec, exec, s[2:3]
	v_cmp_gt_u32_e64 s[34:35], s88, v71
	v_mov_b32_e32 v5, 0
	v_mov_b32_e32 v6, 0
	s_and_saveexec_b64 s[2:3], s[34:35]
	s_cbranch_execz .LBB94_21
; %bb.20:                               ;   in Loop: Header=BB94_13 Depth=1
	global_load_ushort v6, v[0:1], off offset:384
.LBB94_21:                              ;   in Loop: Header=BB94_13 Depth=1
	s_or_b64 exec, exec, s[2:3]
	v_cmp_gt_u32_e64 s[36:37], s88, v72
	s_and_saveexec_b64 s[2:3], s[36:37]
	s_cbranch_execz .LBB94_23
; %bb.22:                               ;   in Loop: Header=BB94_13 Depth=1
	global_load_ushort v5, v[0:1], off offset:512
.LBB94_23:                              ;   in Loop: Header=BB94_13 Depth=1
	;; [unrolled: 16-line block ×7, first 2 shown]
	s_or_b64 exec, exec, s[2:3]
	v_cmp_gt_u32_e64 s[58:59], s88, v83
	v_mov_b32_e32 v10, 0
	v_mov_b32_e32 v26, 0
	s_and_saveexec_b64 s[2:3], s[58:59]
	s_cbranch_execz .LBB94_45
; %bb.44:                               ;   in Loop: Header=BB94_13 Depth=1
	global_load_ushort v26, v[0:1], off offset:1920
.LBB94_45:                              ;   in Loop: Header=BB94_13 Depth=1
	s_or_b64 exec, exec, s[2:3]
	s_waitcnt vmcnt(0)
	ds_write_b16 v84, v2
	ds_write_b16 v85, v4 offset:128
	ds_write_b16 v86, v3 offset:256
	;; [unrolled: 1-line block ×15, first 2 shown]
	; wave barrier
	ds_read_b128 v[0:3], v100
	ds_read_b128 v[4:7], v100 offset:16
	v_readlane_b32 s2, v167, 4
	v_readlane_b32 s3, v167, 5
	v_mov_b32_e32 v23, v17
	s_waitcnt lgkmcnt(0)
	v_lshl_add_u64 v[8:9], s[2:3], 0, v[16:17]
	v_lshl_add_u64 v[8:9], v[8:9], 0, v[22:23]
	s_barrier
	s_and_saveexec_b64 s[2:3], s[26:27]
	s_cbranch_execz .LBB94_47
; %bb.46:                               ;   in Loop: Header=BB94_13 Depth=1
	global_load_ushort v10, v[8:9], off
.LBB94_47:                              ;   in Loop: Header=BB94_13 Depth=1
	s_or_b64 exec, exec, s[2:3]
	v_mov_b32_e32 v11, 0
	v_mov_b32_e32 v12, 0
	s_and_saveexec_b64 s[2:3], s[28:29]
	s_cbranch_execz .LBB94_49
; %bb.48:                               ;   in Loop: Header=BB94_13 Depth=1
	global_load_ushort v12, v[8:9], off offset:128
.LBB94_49:                              ;   in Loop: Header=BB94_13 Depth=1
	s_or_b64 exec, exec, s[2:3]
	s_and_saveexec_b64 s[2:3], s[30:31]
	s_cbranch_execz .LBB94_51
; %bb.50:                               ;   in Loop: Header=BB94_13 Depth=1
	global_load_ushort v11, v[8:9], off offset:256
.LBB94_51:                              ;   in Loop: Header=BB94_13 Depth=1
	s_or_b64 exec, exec, s[2:3]
	v_mov_b32_e32 v13, 0
	v_mov_b32_e32 v14, 0
	s_and_saveexec_b64 s[2:3], s[34:35]
	s_cbranch_execz .LBB94_53
; %bb.52:                               ;   in Loop: Header=BB94_13 Depth=1
	global_load_ushort v14, v[8:9], off offset:384
.LBB94_53:                              ;   in Loop: Header=BB94_13 Depth=1
	s_or_b64 exec, exec, s[2:3]
	s_and_saveexec_b64 s[2:3], s[36:37]
	s_cbranch_execz .LBB94_55
; %bb.54:                               ;   in Loop: Header=BB94_13 Depth=1
	global_load_ushort v13, v[8:9], off offset:512
.LBB94_55:                              ;   in Loop: Header=BB94_13 Depth=1
	;; [unrolled: 14-line block ×6, first 2 shown]
	s_or_b64 exec, exec, s[2:3]
	v_mov_b32_e32 v31, 0
	v_mov_b32_e32 v32, 0
	s_and_saveexec_b64 s[2:3], s[54:55]
	s_cbranch_execnz .LBB94_221
; %bb.72:                               ;   in Loop: Header=BB94_13 Depth=1
	s_or_b64 exec, exec, s[2:3]
	s_and_saveexec_b64 s[2:3], s[56:57]
	s_cbranch_execnz .LBB94_222
.LBB94_73:                              ;   in Loop: Header=BB94_13 Depth=1
	s_or_b64 exec, exec, s[2:3]
	v_mov_b32_e32 v33, 0
	s_and_saveexec_b64 s[2:3], s[58:59]
	s_cbranch_execz .LBB94_75
.LBB94_74:                              ;   in Loop: Header=BB94_13 Depth=1
	global_load_ushort v33, v[8:9], off offset:1920
.LBB94_75:                              ;   in Loop: Header=BB94_13 Depth=1
	s_or_b64 exec, exec, s[2:3]
	s_waitcnt vmcnt(0)
	ds_write_b16 v84, v10
	ds_write_b16 v85, v12 offset:128
	ds_write_b16 v86, v11 offset:256
	;; [unrolled: 1-line block ×15, first 2 shown]
	; wave barrier
	ds_read_b128 v[12:15], v100
	ds_read_b128 v[8:11], v100 offset:16
	v_readlane_b32 s2, v167, 2
	s_waitcnt lgkmcnt(1)
	v_cvt_f32_f16_e32 v23, v12
	v_add_f32_e32 v139, s2, v23
	v_readlane_b32 s2, v167, 30
	v_cmp_ge_f32_e32 vcc, s6, v139
	v_readlane_b32 s3, v167, 31
	s_and_b64 s[2:3], s[2:3], vcc
	s_and_saveexec_b64 s[4:5], s[2:3]
	s_cbranch_execz .LBB94_77
; %bb.76:                               ;   in Loop: Header=BB94_13 Depth=1
	v_mul_f32_e32 v23, 0x3fb8aa3b, v139
	v_rndne_f32_e32 v25, v23
	v_sub_f32_e32 v26, v23, v25
	v_fma_f32 v23, v139, s10, -v23
	v_fmac_f32_e32 v23, 0x32a5705f, v139
	v_add_f32_e32 v23, v26, v23
	v_cvt_i32_f32_e32 v25, v25
	v_exp_f32_e32 v23, v23
	v_cmp_ngt_f32_e32 vcc, s11, v139
	v_ldexp_f32 v23, v23, v25
	s_nop 0
	v_cndmask_b32_e32 v23, 0, v23, vcc
	v_cmp_nlt_f32_e32 vcc, s12, v139
	s_nop 1
	v_cndmask_b32_e32 v42, v136, v23, vcc
	v_add_f32_e32 v23, 1.0, v42
	v_add_f32_e32 v25, -1.0, v23
	v_sub_f32_e32 v26, v25, v23
	v_add_f32_e32 v26, 1.0, v26
	v_sub_f32_e32 v25, v42, v25
	v_add_f32_e32 v25, v25, v26
	v_frexp_mant_f32_e32 v28, v23
	v_cvt_f64_f32_e32 v[26:27], v23
	v_frexp_exp_i32_f64_e32 v26, v[26:27]
	v_cmp_gt_f32_e32 vcc, s14, v28
	v_cmp_gt_f32_e64 s[60:61], s16, v42
	s_nop 0
	v_subbrev_co_u32_e32 v34, vcc, 0, v26, vcc
	v_sub_u32_e32 v26, 0, v34
	v_ldexp_f32 v23, v23, v26
	v_ldexp_f32 v25, v25, v26
	v_add_f32_e32 v26, -1.0, v23
	v_add_f32_e32 v27, 1.0, v26
	v_sub_f32_e32 v27, v23, v27
	v_add_f32_e32 v28, v25, v27
	v_add_f32_e32 v27, 1.0, v23
	v_add_f32_e32 v29, -1.0, v27
	v_sub_f32_e32 v23, v23, v29
	v_add_f32_e32 v23, v25, v23
	v_add_f32_e32 v25, v27, v23
	v_rcp_f32_e32 v35, v25
	v_sub_f32_e32 v27, v27, v25
	v_add_f32_e32 v23, v23, v27
	v_add_f32_e32 v27, v26, v28
	v_sub_f32_e32 v26, v26, v27
	v_mul_f32_e32 v37, v27, v35
	v_add_f32_e32 v36, v28, v26
	v_mul_f32_e32 v28, v25, v37
	v_fma_f32 v30, v37, v25, -v28
	v_fmac_f32_e32 v30, v37, v23
	v_add_f32_e32 v26, v28, v30
	v_sub_f32_e32 v29, v27, v26
	v_pk_add_f32 v[32:33], v[26:27], v[28:29] neg_lo:[0,1] neg_hi:[0,1]
	v_mov_b32_e32 v31, v26
	v_pk_add_f32 v[26:27], v[32:33], v[30:31] neg_lo:[0,1] neg_hi:[0,1]
	v_cmp_eq_f32_e32 vcc, s13, v42
	v_add_f32_e32 v27, v36, v27
	v_add_f32_e32 v26, v26, v27
	;; [unrolled: 1-line block ×3, first 2 shown]
	v_mul_f32_e32 v36, v35, v27
	v_mul_f32_e32 v28, v25, v36
	v_fma_f32 v30, v36, v25, -v28
	v_fmac_f32_e32 v30, v36, v23
	v_sub_f32_e32 v23, v29, v27
	v_add_f32_e32 v23, v26, v23
	v_add_f32_e32 v26, v28, v30
	v_sub_f32_e32 v29, v27, v26
	v_pk_add_f32 v[32:33], v[26:27], v[28:29] neg_lo:[0,1] neg_hi:[0,1]
	v_mov_b32_e32 v31, v26
	v_pk_add_f32 v[26:27], v[32:33], v[30:31] neg_lo:[0,1] neg_hi:[0,1]
	s_or_b64 vcc, s[60:61], vcc
	v_add_f32_e32 v23, v23, v27
	v_add_f32_e32 v23, v26, v23
	;; [unrolled: 1-line block ×4, first 2 shown]
	v_sub_f32_e32 v25, v27, v37
	v_mul_f32_e32 v23, v35, v23
	v_sub_f32_e32 v25, v36, v25
	v_add_f32_e32 v23, v25, v23
	v_add_f32_e32 v28, v27, v23
	v_cvt_f32_i32_e32 v26, v34
	v_mul_f32_e32 v30, v28, v28
	v_fmamk_f32 v25, v30, 0x3e9b6dac, v135
	v_sub_f32_e32 v27, v28, v27
	v_fmaak_f32 v25, v30, v25, 0x3f2aaada
	v_sub_f32_e32 v23, v23, v27
	v_mul_f32_e32 v27, v28, v30
	v_pk_mul_f32 v[30:31], v[26:27], v[24:25]
	v_ldexp_f32 v29, v28, 1
	v_fma_f32 v28, v26, s15, -v30
	v_fmac_f32_e32 v28, 0xb102e308, v26
	v_pk_add_f32 v[26:27], v[30:31], v[28:29]
	v_ldexp_f32 v23, v23, 1
	v_sub_f32_e32 v25, v27, v29
	v_sub_f32_e32 v25, v31, v25
	v_add_f32_e32 v33, v23, v25
	v_mov_b32_e32 v32, v30
	v_pk_add_f32 v[30:31], v[26:27], v[30:31] neg_lo:[0,1] neg_hi:[0,1]
	v_pk_add_f32 v[34:35], v[26:27], v[32:33]
	v_mov_b32_e32 v29, v26
	v_mov_b32_e32 v31, v35
	v_pk_add_f32 v[36:37], v[28:29], v[30:31] neg_lo:[0,1] neg_hi:[0,1]
	v_pk_add_f32 v[28:29], v[28:29], v[30:31]
	v_mov_b32_e32 v32, v33
	v_mov_b32_e32 v30, v29
	v_pk_add_f32 v[38:39], v[30:31], v[26:27] neg_lo:[0,1] neg_hi:[0,1]
	v_mov_b32_e32 v28, v35
	v_mov_b32_e32 v23, v38
	v_pk_add_f32 v[40:41], v[34:35], v[22:23] neg_lo:[0,1] neg_hi:[0,1]
	v_mov_b32_e32 v34, v27
	v_mov_b32_e32 v35, v38
	v_mov_b32_e32 v37, v29
	v_pk_add_f32 v[28:29], v[28:29], v[34:35] neg_lo:[0,1] neg_hi:[0,1]
	v_mov_b32_e32 v33, v26
	v_pk_add_f32 v[26:27], v[32:33], v[28:29] neg_lo:[0,1] neg_hi:[0,1]
	v_mov_b32_e32 v40, v36
	v_pk_add_f32 v[28:29], v[40:41], v[26:27]
	s_nop 0
	v_mov_b32_e32 v32, v29
	v_pk_add_f32 v[32:33], v[28:29], v[32:33]
	s_nop 0
	v_pk_add_f32 v[30:31], v[30:31], v[32:33]
	v_mov_b32_e32 v27, v32
	v_mov_b32_e32 v29, v30
	v_pk_add_f32 v[34:35], v[28:29], v[36:37] neg_lo:[0,1] neg_hi:[0,1]
	s_nop 0
	v_sub_f32_e32 v23, v28, v34
	v_pk_add_f32 v[26:27], v[26:27], v[34:35] neg_lo:[0,1] neg_hi:[0,1]
	v_sub_f32_e32 v23, v36, v23
	v_add_f32_e32 v23, v26, v23
	v_add_f32_e32 v23, v23, v27
	;; [unrolled: 1-line block ×3, first 2 shown]
	v_cndmask_b32_e32 v139, v23, v42, vcc
.LBB94_77:                              ;   in Loop: Header=BB94_13 Depth=1
	s_or_b64 exec, exec, s[4:5]
	v_cvt_f32_f16_sdwa v12, v12 dst_sel:DWORD dst_unused:UNUSED_PAD src0_sel:WORD_1
	v_readlane_b32 s2, v167, 2
	s_nop 1
	v_add_f32_e32 v140, s2, v12
	v_readlane_b32 s2, v167, 30
	v_cmp_ge_f32_e32 vcc, s6, v140
	v_readlane_b32 s3, v167, 31
	s_and_b64 s[2:3], s[2:3], vcc
	s_and_saveexec_b64 s[4:5], s[2:3]
	s_cbranch_execz .LBB94_79
; %bb.78:                               ;   in Loop: Header=BB94_13 Depth=1
	v_mul_f32_e32 v12, 0x3fb8aa3b, v140
	v_rndne_f32_e32 v23, v12
	v_sub_f32_e32 v25, v12, v23
	v_fma_f32 v12, v140, s10, -v12
	v_fmac_f32_e32 v12, 0x32a5705f, v140
	v_add_f32_e32 v12, v25, v12
	v_cvt_i32_f32_e32 v23, v23
	v_exp_f32_e32 v12, v12
	v_cmp_ngt_f32_e32 vcc, s11, v140
	v_ldexp_f32 v12, v12, v23
	s_nop 0
	v_cndmask_b32_e32 v12, 0, v12, vcc
	v_cmp_nlt_f32_e32 vcc, s12, v140
	s_nop 1
	v_cndmask_b32_e32 v40, v136, v12, vcc
	v_add_f32_e32 v12, 1.0, v40
	v_add_f32_e32 v23, -1.0, v12
	v_sub_f32_e32 v25, v23, v12
	v_add_f32_e32 v25, 1.0, v25
	v_sub_f32_e32 v23, v40, v23
	v_add_f32_e32 v23, v23, v25
	v_frexp_mant_f32_e32 v25, v12
	v_cvt_f64_f32_e32 v[26:27], v12
	v_frexp_exp_i32_f64_e32 v26, v[26:27]
	v_cmp_gt_f32_e32 vcc, s14, v25
	v_cmp_gt_f32_e64 s[60:61], s16, v40
	s_nop 0
	v_subbrev_co_u32_e32 v34, vcc, 0, v26, vcc
	v_sub_u32_e32 v25, 0, v34
	v_ldexp_f32 v12, v12, v25
	v_ldexp_f32 v23, v23, v25
	v_add_f32_e32 v25, -1.0, v12
	v_add_f32_e32 v27, 1.0, v12
	v_add_f32_e32 v26, 1.0, v25
	v_add_f32_e32 v28, -1.0, v27
	v_sub_f32_e32 v26, v12, v26
	v_sub_f32_e32 v12, v12, v28
	v_add_f32_e32 v12, v23, v12
	v_add_f32_e32 v26, v23, v26
	;; [unrolled: 1-line block ×3, first 2 shown]
	v_rcp_f32_e32 v35, v23
	v_sub_f32_e32 v27, v27, v23
	v_add_f32_e32 v12, v12, v27
	v_add_f32_e32 v27, v25, v26
	v_mul_f32_e32 v36, v27, v35
	v_mul_f32_e32 v28, v23, v36
	v_fma_f32 v30, v36, v23, -v28
	v_sub_f32_e32 v25, v25, v27
	v_fmac_f32_e32 v30, v36, v12
	v_add_f32_e32 v25, v26, v25
	v_add_f32_e32 v26, v28, v30
	v_sub_f32_e32 v29, v27, v26
	v_pk_add_f32 v[32:33], v[26:27], v[28:29] neg_lo:[0,1] neg_hi:[0,1]
	v_mov_b32_e32 v31, v26
	v_pk_add_f32 v[26:27], v[32:33], v[30:31] neg_lo:[0,1] neg_hi:[0,1]
	v_cmp_eq_f32_e32 vcc, s13, v40
	v_add_f32_e32 v25, v25, v27
	v_add_f32_e32 v25, v26, v25
	;; [unrolled: 1-line block ×3, first 2 shown]
	v_mul_f32_e32 v37, v35, v27
	v_mul_f32_e32 v28, v23, v37
	v_fma_f32 v30, v37, v23, -v28
	v_fmac_f32_e32 v30, v37, v12
	v_add_f32_e32 v26, v28, v30
	v_sub_f32_e32 v12, v29, v27
	v_sub_f32_e32 v29, v27, v26
	v_pk_add_f32 v[32:33], v[26:27], v[28:29] neg_lo:[0,1] neg_hi:[0,1]
	v_mov_b32_e32 v31, v26
	v_add_f32_e32 v12, v25, v12
	v_pk_add_f32 v[26:27], v[32:33], v[30:31] neg_lo:[0,1] neg_hi:[0,1]
	v_add_f32_e32 v23, v36, v37
	v_add_f32_e32 v12, v12, v27
	;; [unrolled: 1-line block ×4, first 2 shown]
	v_sub_f32_e32 v25, v23, v36
	v_mul_f32_e32 v12, v35, v12
	v_sub_f32_e32 v25, v37, v25
	v_add_f32_e32 v12, v25, v12
	v_add_f32_e32 v27, v23, v12
	v_cvt_f32_i32_e32 v26, v34
	v_mul_f32_e32 v28, v27, v27
	v_fmamk_f32 v25, v28, 0x3e9b6dac, v135
	v_fmaak_f32 v25, v28, v25, 0x3f2aaada
	v_sub_f32_e32 v23, v27, v23
	v_ldexp_f32 v29, v27, 1
	v_mul_f32_e32 v27, v27, v28
	v_pk_mul_f32 v[30:31], v[26:27], v[24:25]
	v_sub_f32_e32 v12, v12, v23
	v_fma_f32 v28, v26, s15, -v30
	v_fmac_f32_e32 v28, 0xb102e308, v26
	v_pk_add_f32 v[26:27], v[30:31], v[28:29]
	v_ldexp_f32 v12, v12, 1
	v_sub_f32_e32 v23, v27, v29
	v_sub_f32_e32 v23, v31, v23
	v_add_f32_e32 v33, v12, v23
	v_mov_b32_e32 v32, v30
	v_pk_add_f32 v[30:31], v[26:27], v[30:31] neg_lo:[0,1] neg_hi:[0,1]
	v_pk_add_f32 v[34:35], v[26:27], v[32:33]
	v_mov_b32_e32 v29, v26
	v_mov_b32_e32 v31, v35
	v_pk_add_f32 v[36:37], v[28:29], v[30:31] neg_lo:[0,1] neg_hi:[0,1]
	v_pk_add_f32 v[28:29], v[28:29], v[30:31]
	s_or_b64 vcc, s[60:61], vcc
	v_mov_b32_e32 v12, v29
	v_pk_add_f32 v[30:31], v[12:13], v[26:27] neg_lo:[0,1] neg_hi:[0,1]
	v_mov_b32_e32 v28, v35
	v_mov_b32_e32 v23, v30
	v_pk_add_f32 v[38:39], v[34:35], v[22:23] neg_lo:[0,1] neg_hi:[0,1]
	v_mov_b32_e32 v34, v27
	v_mov_b32_e32 v35, v30
	;; [unrolled: 1-line block ×3, first 2 shown]
	v_pk_add_f32 v[28:29], v[28:29], v[34:35] neg_lo:[0,1] neg_hi:[0,1]
	v_mov_b32_e32 v30, v33
	v_mov_b32_e32 v31, v26
	v_pk_add_f32 v[26:27], v[30:31], v[28:29] neg_lo:[0,1] neg_hi:[0,1]
	v_mov_b32_e32 v38, v36
	v_pk_add_f32 v[28:29], v[38:39], v[26:27]
	s_nop 0
	v_mov_b32_e32 v30, v29
	v_pk_add_f32 v[30:31], v[28:29], v[30:31]
	s_nop 0
	v_pk_add_f32 v[32:33], v[12:13], v[30:31]
	v_mov_b32_e32 v27, v30
	v_mov_b32_e32 v29, v32
	v_pk_add_f32 v[34:35], v[28:29], v[36:37] neg_lo:[0,1] neg_hi:[0,1]
	s_nop 0
	v_sub_f32_e32 v12, v28, v34
	v_pk_add_f32 v[26:27], v[26:27], v[34:35] neg_lo:[0,1] neg_hi:[0,1]
	v_sub_f32_e32 v12, v36, v12
	v_add_f32_e32 v12, v26, v12
	v_add_f32_e32 v12, v12, v27
	;; [unrolled: 1-line block ×3, first 2 shown]
	v_cndmask_b32_e32 v140, v12, v40, vcc
.LBB94_79:                              ;   in Loop: Header=BB94_13 Depth=1
	s_or_b64 exec, exec, s[4:5]
	v_cvt_f32_f16_e32 v12, v13
	v_readlane_b32 s2, v167, 2
	s_nop 1
	v_add_f32_e32 v141, s2, v12
	v_readlane_b32 s2, v167, 30
	v_cmp_ge_f32_e32 vcc, s6, v141
	v_readlane_b32 s3, v167, 31
	s_and_b64 s[2:3], s[2:3], vcc
	s_and_saveexec_b64 s[4:5], s[2:3]
	s_cbranch_execz .LBB94_81
; %bb.80:                               ;   in Loop: Header=BB94_13 Depth=1
	v_mul_f32_e32 v12, 0x3fb8aa3b, v141
	v_rndne_f32_e32 v23, v12
	v_sub_f32_e32 v25, v12, v23
	v_fma_f32 v12, v141, s10, -v12
	v_fmac_f32_e32 v12, 0x32a5705f, v141
	v_add_f32_e32 v12, v25, v12
	v_cvt_i32_f32_e32 v23, v23
	v_exp_f32_e32 v12, v12
	v_cmp_ngt_f32_e32 vcc, s11, v141
	v_ldexp_f32 v12, v12, v23
	s_nop 0
	v_cndmask_b32_e32 v12, 0, v12, vcc
	v_cmp_nlt_f32_e32 vcc, s12, v141
	s_nop 1
	v_cndmask_b32_e32 v40, v136, v12, vcc
	v_add_f32_e32 v12, 1.0, v40
	v_add_f32_e32 v23, -1.0, v12
	v_sub_f32_e32 v25, v23, v12
	v_add_f32_e32 v25, 1.0, v25
	v_sub_f32_e32 v23, v40, v23
	v_add_f32_e32 v23, v23, v25
	v_frexp_mant_f32_e32 v25, v12
	v_cvt_f64_f32_e32 v[26:27], v12
	v_frexp_exp_i32_f64_e32 v26, v[26:27]
	v_cmp_gt_f32_e32 vcc, s14, v25
	v_cmp_gt_f32_e64 s[60:61], s16, v40
	s_nop 0
	v_subbrev_co_u32_e32 v34, vcc, 0, v26, vcc
	v_sub_u32_e32 v25, 0, v34
	v_ldexp_f32 v12, v12, v25
	v_ldexp_f32 v23, v23, v25
	v_add_f32_e32 v25, -1.0, v12
	v_add_f32_e32 v27, 1.0, v12
	v_add_f32_e32 v26, 1.0, v25
	v_add_f32_e32 v28, -1.0, v27
	v_sub_f32_e32 v26, v12, v26
	v_sub_f32_e32 v12, v12, v28
	v_add_f32_e32 v12, v23, v12
	v_add_f32_e32 v26, v23, v26
	;; [unrolled: 1-line block ×3, first 2 shown]
	v_rcp_f32_e32 v35, v23
	v_sub_f32_e32 v27, v27, v23
	v_add_f32_e32 v12, v12, v27
	v_add_f32_e32 v27, v25, v26
	v_mul_f32_e32 v36, v27, v35
	v_mul_f32_e32 v28, v23, v36
	v_fma_f32 v30, v36, v23, -v28
	v_sub_f32_e32 v25, v25, v27
	v_fmac_f32_e32 v30, v36, v12
	v_add_f32_e32 v25, v26, v25
	v_add_f32_e32 v26, v28, v30
	v_sub_f32_e32 v29, v27, v26
	v_pk_add_f32 v[32:33], v[26:27], v[28:29] neg_lo:[0,1] neg_hi:[0,1]
	v_mov_b32_e32 v31, v26
	v_pk_add_f32 v[26:27], v[32:33], v[30:31] neg_lo:[0,1] neg_hi:[0,1]
	v_cmp_eq_f32_e32 vcc, s13, v40
	v_add_f32_e32 v25, v25, v27
	v_add_f32_e32 v25, v26, v25
	;; [unrolled: 1-line block ×3, first 2 shown]
	v_mul_f32_e32 v37, v35, v27
	v_mul_f32_e32 v28, v23, v37
	v_fma_f32 v30, v37, v23, -v28
	v_fmac_f32_e32 v30, v37, v12
	v_add_f32_e32 v26, v28, v30
	v_sub_f32_e32 v12, v29, v27
	v_sub_f32_e32 v29, v27, v26
	v_pk_add_f32 v[32:33], v[26:27], v[28:29] neg_lo:[0,1] neg_hi:[0,1]
	v_mov_b32_e32 v31, v26
	v_add_f32_e32 v12, v25, v12
	v_pk_add_f32 v[26:27], v[32:33], v[30:31] neg_lo:[0,1] neg_hi:[0,1]
	v_add_f32_e32 v23, v36, v37
	v_add_f32_e32 v12, v12, v27
	;; [unrolled: 1-line block ×4, first 2 shown]
	v_sub_f32_e32 v25, v23, v36
	v_mul_f32_e32 v12, v35, v12
	v_sub_f32_e32 v25, v37, v25
	v_add_f32_e32 v12, v25, v12
	v_add_f32_e32 v27, v23, v12
	v_cvt_f32_i32_e32 v26, v34
	v_mul_f32_e32 v28, v27, v27
	v_fmamk_f32 v25, v28, 0x3e9b6dac, v135
	v_fmaak_f32 v25, v28, v25, 0x3f2aaada
	v_sub_f32_e32 v23, v27, v23
	v_ldexp_f32 v29, v27, 1
	v_mul_f32_e32 v27, v27, v28
	v_pk_mul_f32 v[30:31], v[26:27], v[24:25]
	v_sub_f32_e32 v12, v12, v23
	v_fma_f32 v28, v26, s15, -v30
	v_fmac_f32_e32 v28, 0xb102e308, v26
	v_pk_add_f32 v[26:27], v[30:31], v[28:29]
	v_ldexp_f32 v12, v12, 1
	v_sub_f32_e32 v23, v27, v29
	v_sub_f32_e32 v23, v31, v23
	v_add_f32_e32 v33, v12, v23
	v_mov_b32_e32 v32, v30
	v_pk_add_f32 v[30:31], v[26:27], v[30:31] neg_lo:[0,1] neg_hi:[0,1]
	v_pk_add_f32 v[34:35], v[26:27], v[32:33]
	v_mov_b32_e32 v29, v26
	v_mov_b32_e32 v31, v35
	v_pk_add_f32 v[36:37], v[28:29], v[30:31] neg_lo:[0,1] neg_hi:[0,1]
	v_pk_add_f32 v[28:29], v[28:29], v[30:31]
	s_or_b64 vcc, s[60:61], vcc
	v_mov_b32_e32 v12, v29
	v_pk_add_f32 v[30:31], v[12:13], v[26:27] neg_lo:[0,1] neg_hi:[0,1]
	v_mov_b32_e32 v28, v35
	v_mov_b32_e32 v23, v30
	v_pk_add_f32 v[38:39], v[34:35], v[22:23] neg_lo:[0,1] neg_hi:[0,1]
	v_mov_b32_e32 v34, v27
	v_mov_b32_e32 v35, v30
	;; [unrolled: 1-line block ×3, first 2 shown]
	v_pk_add_f32 v[28:29], v[28:29], v[34:35] neg_lo:[0,1] neg_hi:[0,1]
	v_mov_b32_e32 v30, v33
	v_mov_b32_e32 v31, v26
	v_pk_add_f32 v[26:27], v[30:31], v[28:29] neg_lo:[0,1] neg_hi:[0,1]
	v_mov_b32_e32 v38, v36
	v_pk_add_f32 v[28:29], v[38:39], v[26:27]
	s_nop 0
	v_mov_b32_e32 v30, v29
	v_pk_add_f32 v[30:31], v[28:29], v[30:31]
	s_nop 0
	v_pk_add_f32 v[32:33], v[12:13], v[30:31]
	v_mov_b32_e32 v27, v30
	v_mov_b32_e32 v29, v32
	v_pk_add_f32 v[34:35], v[28:29], v[36:37] neg_lo:[0,1] neg_hi:[0,1]
	s_nop 0
	v_sub_f32_e32 v12, v28, v34
	v_pk_add_f32 v[26:27], v[26:27], v[34:35] neg_lo:[0,1] neg_hi:[0,1]
	v_sub_f32_e32 v12, v36, v12
	v_add_f32_e32 v12, v26, v12
	v_add_f32_e32 v12, v12, v27
	;; [unrolled: 1-line block ×3, first 2 shown]
	v_cndmask_b32_e32 v141, v12, v40, vcc
.LBB94_81:                              ;   in Loop: Header=BB94_13 Depth=1
	s_or_b64 exec, exec, s[4:5]
	v_cvt_f32_f16_sdwa v12, v13 dst_sel:DWORD dst_unused:UNUSED_PAD src0_sel:WORD_1
	v_readlane_b32 s2, v167, 2
	s_nop 1
	v_add_f32_e32 v142, s2, v12
	v_readlane_b32 s2, v167, 30
	v_cmp_ge_f32_e32 vcc, s6, v142
	v_readlane_b32 s3, v167, 31
	s_and_b64 s[2:3], s[2:3], vcc
	s_and_saveexec_b64 s[4:5], s[2:3]
	s_cbranch_execz .LBB94_83
; %bb.82:                               ;   in Loop: Header=BB94_13 Depth=1
	v_mul_f32_e32 v12, 0x3fb8aa3b, v142
	v_rndne_f32_e32 v13, v12
	v_sub_f32_e32 v23, v12, v13
	v_fma_f32 v12, v142, s10, -v12
	v_fmac_f32_e32 v12, 0x32a5705f, v142
	v_add_f32_e32 v12, v23, v12
	v_cvt_i32_f32_e32 v13, v13
	v_exp_f32_e32 v12, v12
	v_cmp_ngt_f32_e32 vcc, s11, v142
	v_ldexp_f32 v12, v12, v13
	s_nop 0
	v_cndmask_b32_e32 v12, 0, v12, vcc
	v_cmp_nlt_f32_e32 vcc, s12, v142
	s_nop 1
	v_cndmask_b32_e32 v40, v136, v12, vcc
	v_add_f32_e32 v23, 1.0, v40
	v_add_f32_e32 v12, -1.0, v23
	v_sub_f32_e32 v13, v12, v23
	v_add_f32_e32 v13, 1.0, v13
	v_sub_f32_e32 v12, v40, v12
	v_add_f32_e32 v25, v12, v13
	v_frexp_mant_f32_e32 v26, v23
	v_cvt_f64_f32_e32 v[12:13], v23
	v_frexp_exp_i32_f64_e32 v12, v[12:13]
	v_cmp_gt_f32_e32 vcc, s14, v26
	v_cmp_gt_f32_e64 s[60:61], s16, v40
	s_nop 0
	v_subbrev_co_u32_e32 v32, vcc, 0, v12, vcc
	v_sub_u32_e32 v12, 0, v32
	v_ldexp_f32 v13, v23, v12
	v_add_f32_e32 v23, -1.0, v13
	v_add_f32_e32 v26, 1.0, v13
	v_ldexp_f32 v12, v25, v12
	v_add_f32_e32 v25, 1.0, v23
	v_add_f32_e32 v27, -1.0, v26
	v_sub_f32_e32 v25, v13, v25
	v_sub_f32_e32 v13, v13, v27
	v_add_f32_e32 v25, v12, v25
	v_add_f32_e32 v12, v12, v13
	;; [unrolled: 1-line block ×3, first 2 shown]
	v_rcp_f32_e32 v35, v33
	v_sub_f32_e32 v13, v26, v33
	v_add_f32_e32 v34, v12, v13
	v_add_f32_e32 v13, v23, v25
	v_sub_f32_e32 v12, v23, v13
	v_add_f32_e32 v23, v25, v12
	v_mul_f32_e32 v25, v13, v35
	v_mul_f32_e32 v26, v33, v25
	v_fma_f32 v28, v25, v33, -v26
	v_fmac_f32_e32 v28, v25, v34
	v_add_f32_e32 v12, v26, v28
	v_sub_f32_e32 v27, v13, v12
	v_pk_add_f32 v[30:31], v[12:13], v[26:27] neg_lo:[0,1] neg_hi:[0,1]
	v_mov_b32_e32 v29, v12
	v_pk_add_f32 v[12:13], v[30:31], v[28:29] neg_lo:[0,1] neg_hi:[0,1]
	v_cmp_eq_f32_e32 vcc, s13, v40
	v_add_f32_e32 v13, v23, v13
	v_add_f32_e32 v12, v12, v13
	;; [unrolled: 1-line block ×3, first 2 shown]
	v_mul_f32_e32 v23, v35, v13
	v_mul_f32_e32 v26, v33, v23
	v_fma_f32 v28, v23, v33, -v26
	v_fmac_f32_e32 v28, v23, v34
	v_sub_f32_e32 v27, v27, v13
	v_add_f32_e32 v33, v12, v27
	v_add_f32_e32 v12, v26, v28
	v_sub_f32_e32 v27, v13, v12
	v_pk_add_f32 v[30:31], v[12:13], v[26:27] neg_lo:[0,1] neg_hi:[0,1]
	v_mov_b32_e32 v29, v12
	v_pk_add_f32 v[12:13], v[30:31], v[28:29] neg_lo:[0,1] neg_hi:[0,1]
	s_or_b64 vcc, s[60:61], vcc
	v_add_f32_e32 v13, v33, v13
	v_add_f32_e32 v12, v12, v13
	;; [unrolled: 1-line block ×4, first 2 shown]
	v_sub_f32_e32 v25, v13, v25
	v_mul_f32_e32 v12, v35, v12
	v_sub_f32_e32 v23, v23, v25
	v_add_f32_e32 v23, v23, v12
	v_add_f32_e32 v26, v13, v23
	v_mul_f32_e32 v28, v26, v26
	v_fmamk_f32 v12, v28, 0x3e9b6dac, v135
	v_fmaak_f32 v25, v28, v12, 0x3f2aaada
	v_cvt_f32_i32_e32 v12, v32
	v_sub_f32_e32 v13, v26, v13
	v_sub_f32_e32 v13, v23, v13
	v_ldexp_f32 v23, v13, 1
	v_mul_f32_e32 v13, v26, v28
	v_pk_mul_f32 v[28:29], v[12:13], v[24:25]
	v_ldexp_f32 v27, v26, 1
	v_fma_f32 v26, v12, s15, -v28
	v_fmac_f32_e32 v26, 0xb102e308, v12
	v_pk_add_f32 v[12:13], v[28:29], v[26:27]
	v_mov_b32_e32 v30, v28
	v_sub_f32_e32 v25, v13, v27
	v_sub_f32_e32 v25, v29, v25
	v_add_f32_e32 v31, v23, v25
	v_pk_add_f32 v[28:29], v[12:13], v[28:29] neg_lo:[0,1] neg_hi:[0,1]
	v_pk_add_f32 v[32:33], v[12:13], v[30:31]
	v_mov_b32_e32 v27, v12
	v_mov_b32_e32 v29, v33
	v_pk_add_f32 v[34:35], v[26:27], v[28:29] neg_lo:[0,1] neg_hi:[0,1]
	v_pk_add_f32 v[26:27], v[26:27], v[28:29]
	v_mov_b32_e32 v30, v31
	v_mov_b32_e32 v28, v27
	v_pk_add_f32 v[36:37], v[28:29], v[12:13] neg_lo:[0,1] neg_hi:[0,1]
	v_mov_b32_e32 v26, v33
	v_mov_b32_e32 v23, v36
	v_pk_add_f32 v[38:39], v[32:33], v[22:23] neg_lo:[0,1] neg_hi:[0,1]
	v_mov_b32_e32 v32, v13
	v_mov_b32_e32 v33, v36
	;; [unrolled: 1-line block ×3, first 2 shown]
	v_pk_add_f32 v[26:27], v[26:27], v[32:33] neg_lo:[0,1] neg_hi:[0,1]
	v_mov_b32_e32 v31, v12
	v_pk_add_f32 v[12:13], v[30:31], v[26:27] neg_lo:[0,1] neg_hi:[0,1]
	v_mov_b32_e32 v38, v34
	v_pk_add_f32 v[26:27], v[38:39], v[12:13]
	s_nop 0
	v_mov_b32_e32 v30, v27
	v_pk_add_f32 v[30:31], v[26:27], v[30:31]
	s_nop 0
	v_pk_add_f32 v[28:29], v[28:29], v[30:31]
	v_mov_b32_e32 v13, v30
	v_mov_b32_e32 v27, v28
	v_pk_add_f32 v[32:33], v[26:27], v[34:35] neg_lo:[0,1] neg_hi:[0,1]
	s_nop 0
	v_sub_f32_e32 v23, v26, v32
	v_pk_add_f32 v[12:13], v[12:13], v[32:33] neg_lo:[0,1] neg_hi:[0,1]
	v_sub_f32_e32 v23, v34, v23
	v_add_f32_e32 v12, v12, v23
	v_add_f32_e32 v12, v12, v13
	;; [unrolled: 1-line block ×3, first 2 shown]
	v_cndmask_b32_e32 v142, v12, v40, vcc
.LBB94_83:                              ;   in Loop: Header=BB94_13 Depth=1
	s_or_b64 exec, exec, s[4:5]
	v_cvt_f32_f16_e32 v12, v14
	v_readlane_b32 s2, v167, 2
	s_nop 1
	v_add_f32_e32 v143, s2, v12
	v_readlane_b32 s2, v167, 30
	v_cmp_ge_f32_e32 vcc, s6, v143
	v_readlane_b32 s3, v167, 31
	s_and_b64 s[2:3], s[2:3], vcc
	s_and_saveexec_b64 s[4:5], s[2:3]
	s_cbranch_execz .LBB94_85
; %bb.84:                               ;   in Loop: Header=BB94_13 Depth=1
	v_mul_f32_e32 v12, 0x3fb8aa3b, v143
	v_rndne_f32_e32 v13, v12
	v_sub_f32_e32 v23, v12, v13
	v_fma_f32 v12, v143, s10, -v12
	v_fmac_f32_e32 v12, 0x32a5705f, v143
	v_add_f32_e32 v12, v23, v12
	v_cvt_i32_f32_e32 v13, v13
	v_exp_f32_e32 v12, v12
	v_cmp_ngt_f32_e32 vcc, s11, v143
	v_ldexp_f32 v12, v12, v13
	s_nop 0
	v_cndmask_b32_e32 v12, 0, v12, vcc
	v_cmp_nlt_f32_e32 vcc, s12, v143
	s_nop 1
	v_cndmask_b32_e32 v40, v136, v12, vcc
	v_add_f32_e32 v23, 1.0, v40
	v_add_f32_e32 v12, -1.0, v23
	v_sub_f32_e32 v13, v12, v23
	v_add_f32_e32 v13, 1.0, v13
	v_sub_f32_e32 v12, v40, v12
	v_add_f32_e32 v25, v12, v13
	v_frexp_mant_f32_e32 v26, v23
	v_cvt_f64_f32_e32 v[12:13], v23
	v_frexp_exp_i32_f64_e32 v12, v[12:13]
	v_cmp_gt_f32_e32 vcc, s14, v26
	v_cmp_gt_f32_e64 s[60:61], s16, v40
	s_nop 0
	v_subbrev_co_u32_e32 v32, vcc, 0, v12, vcc
	v_sub_u32_e32 v12, 0, v32
	v_ldexp_f32 v13, v23, v12
	v_add_f32_e32 v23, -1.0, v13
	v_add_f32_e32 v26, 1.0, v13
	v_ldexp_f32 v12, v25, v12
	v_add_f32_e32 v25, 1.0, v23
	v_add_f32_e32 v27, -1.0, v26
	v_sub_f32_e32 v25, v13, v25
	v_sub_f32_e32 v13, v13, v27
	v_add_f32_e32 v25, v12, v25
	v_add_f32_e32 v12, v12, v13
	v_add_f32_e32 v33, v26, v12
	v_rcp_f32_e32 v35, v33
	v_sub_f32_e32 v13, v26, v33
	v_add_f32_e32 v34, v12, v13
	v_add_f32_e32 v13, v23, v25
	v_sub_f32_e32 v12, v23, v13
	v_add_f32_e32 v23, v25, v12
	v_mul_f32_e32 v25, v13, v35
	v_mul_f32_e32 v26, v33, v25
	v_fma_f32 v28, v25, v33, -v26
	v_fmac_f32_e32 v28, v25, v34
	v_add_f32_e32 v12, v26, v28
	v_sub_f32_e32 v27, v13, v12
	v_pk_add_f32 v[30:31], v[12:13], v[26:27] neg_lo:[0,1] neg_hi:[0,1]
	v_mov_b32_e32 v29, v12
	v_pk_add_f32 v[12:13], v[30:31], v[28:29] neg_lo:[0,1] neg_hi:[0,1]
	v_cmp_eq_f32_e32 vcc, s13, v40
	v_add_f32_e32 v13, v23, v13
	v_add_f32_e32 v12, v12, v13
	v_add_f32_e32 v13, v27, v12
	v_mul_f32_e32 v23, v35, v13
	v_mul_f32_e32 v26, v33, v23
	v_fma_f32 v28, v23, v33, -v26
	v_fmac_f32_e32 v28, v23, v34
	v_sub_f32_e32 v27, v27, v13
	v_add_f32_e32 v33, v12, v27
	v_add_f32_e32 v12, v26, v28
	v_sub_f32_e32 v27, v13, v12
	v_pk_add_f32 v[30:31], v[12:13], v[26:27] neg_lo:[0,1] neg_hi:[0,1]
	v_mov_b32_e32 v29, v12
	v_pk_add_f32 v[12:13], v[30:31], v[28:29] neg_lo:[0,1] neg_hi:[0,1]
	s_or_b64 vcc, s[60:61], vcc
	v_add_f32_e32 v13, v33, v13
	v_add_f32_e32 v12, v12, v13
	;; [unrolled: 1-line block ×4, first 2 shown]
	v_sub_f32_e32 v25, v13, v25
	v_mul_f32_e32 v12, v35, v12
	v_sub_f32_e32 v23, v23, v25
	v_add_f32_e32 v23, v23, v12
	v_add_f32_e32 v26, v13, v23
	v_mul_f32_e32 v28, v26, v26
	v_fmamk_f32 v12, v28, 0x3e9b6dac, v135
	v_fmaak_f32 v25, v28, v12, 0x3f2aaada
	v_cvt_f32_i32_e32 v12, v32
	v_sub_f32_e32 v13, v26, v13
	v_sub_f32_e32 v13, v23, v13
	v_ldexp_f32 v23, v13, 1
	v_mul_f32_e32 v13, v26, v28
	v_pk_mul_f32 v[28:29], v[12:13], v[24:25]
	v_ldexp_f32 v27, v26, 1
	v_fma_f32 v26, v12, s15, -v28
	v_fmac_f32_e32 v26, 0xb102e308, v12
	v_pk_add_f32 v[12:13], v[28:29], v[26:27]
	v_mov_b32_e32 v30, v28
	v_sub_f32_e32 v25, v13, v27
	v_sub_f32_e32 v25, v29, v25
	v_add_f32_e32 v31, v23, v25
	v_pk_add_f32 v[28:29], v[12:13], v[28:29] neg_lo:[0,1] neg_hi:[0,1]
	v_pk_add_f32 v[32:33], v[12:13], v[30:31]
	v_mov_b32_e32 v27, v12
	v_mov_b32_e32 v29, v33
	v_pk_add_f32 v[34:35], v[26:27], v[28:29] neg_lo:[0,1] neg_hi:[0,1]
	v_pk_add_f32 v[26:27], v[26:27], v[28:29]
	v_mov_b32_e32 v30, v31
	v_mov_b32_e32 v28, v27
	v_pk_add_f32 v[36:37], v[28:29], v[12:13] neg_lo:[0,1] neg_hi:[0,1]
	v_mov_b32_e32 v26, v33
	v_mov_b32_e32 v23, v36
	v_pk_add_f32 v[38:39], v[32:33], v[22:23] neg_lo:[0,1] neg_hi:[0,1]
	v_mov_b32_e32 v32, v13
	v_mov_b32_e32 v33, v36
	;; [unrolled: 1-line block ×3, first 2 shown]
	v_pk_add_f32 v[26:27], v[26:27], v[32:33] neg_lo:[0,1] neg_hi:[0,1]
	v_mov_b32_e32 v31, v12
	v_pk_add_f32 v[12:13], v[30:31], v[26:27] neg_lo:[0,1] neg_hi:[0,1]
	v_mov_b32_e32 v38, v34
	v_pk_add_f32 v[26:27], v[38:39], v[12:13]
	s_nop 0
	v_mov_b32_e32 v30, v27
	v_pk_add_f32 v[30:31], v[26:27], v[30:31]
	s_nop 0
	v_pk_add_f32 v[28:29], v[28:29], v[30:31]
	v_mov_b32_e32 v13, v30
	v_mov_b32_e32 v27, v28
	v_pk_add_f32 v[32:33], v[26:27], v[34:35] neg_lo:[0,1] neg_hi:[0,1]
	s_nop 0
	v_sub_f32_e32 v23, v26, v32
	v_pk_add_f32 v[12:13], v[12:13], v[32:33] neg_lo:[0,1] neg_hi:[0,1]
	v_sub_f32_e32 v23, v34, v23
	v_add_f32_e32 v12, v12, v23
	v_add_f32_e32 v12, v12, v13
	;; [unrolled: 1-line block ×3, first 2 shown]
	v_cndmask_b32_e32 v143, v12, v40, vcc
.LBB94_85:                              ;   in Loop: Header=BB94_13 Depth=1
	s_or_b64 exec, exec, s[4:5]
	v_cvt_f32_f16_sdwa v12, v14 dst_sel:DWORD dst_unused:UNUSED_PAD src0_sel:WORD_1
	v_readlane_b32 s2, v167, 2
	s_nop 1
	v_add_f32_e32 v144, s2, v12
	v_readlane_b32 s2, v167, 30
	v_cmp_ge_f32_e32 vcc, s6, v144
	v_readlane_b32 s3, v167, 31
	s_and_b64 s[2:3], s[2:3], vcc
	s_and_saveexec_b64 s[4:5], s[2:3]
	s_cbranch_execz .LBB94_87
; %bb.86:                               ;   in Loop: Header=BB94_13 Depth=1
	v_mul_f32_e32 v12, 0x3fb8aa3b, v144
	v_rndne_f32_e32 v13, v12
	v_sub_f32_e32 v14, v12, v13
	v_fma_f32 v12, v144, s10, -v12
	v_fmac_f32_e32 v12, 0x32a5705f, v144
	v_add_f32_e32 v12, v14, v12
	v_cvt_i32_f32_e32 v13, v13
	v_exp_f32_e32 v12, v12
	v_cmp_ngt_f32_e32 vcc, s11, v144
	v_ldexp_f32 v12, v12, v13
	s_nop 0
	v_cndmask_b32_e32 v12, 0, v12, vcc
	v_cmp_nlt_f32_e32 vcc, s12, v144
	s_nop 1
	v_cndmask_b32_e32 v38, v136, v12, vcc
	v_add_f32_e32 v14, 1.0, v38
	v_add_f32_e32 v12, -1.0, v14
	v_sub_f32_e32 v13, v12, v14
	v_add_f32_e32 v13, 1.0, v13
	v_sub_f32_e32 v12, v38, v12
	v_add_f32_e32 v23, v12, v13
	v_frexp_mant_f32_e32 v25, v14
	v_cvt_f64_f32_e32 v[12:13], v14
	v_frexp_exp_i32_f64_e32 v12, v[12:13]
	v_cmp_gt_f32_e32 vcc, s14, v25
	v_cmp_gt_f32_e64 s[60:61], s16, v38
	s_nop 0
	v_subbrev_co_u32_e32 v32, vcc, 0, v12, vcc
	v_sub_u32_e32 v12, 0, v32
	v_ldexp_f32 v13, v14, v12
	v_add_f32_e32 v14, -1.0, v13
	v_add_f32_e32 v25, 1.0, v13
	v_ldexp_f32 v12, v23, v12
	v_add_f32_e32 v23, 1.0, v14
	v_add_f32_e32 v26, -1.0, v25
	v_sub_f32_e32 v23, v13, v23
	v_sub_f32_e32 v13, v13, v26
	v_add_f32_e32 v23, v12, v23
	v_add_f32_e32 v12, v12, v13
	;; [unrolled: 1-line block ×3, first 2 shown]
	v_rcp_f32_e32 v34, v33
	v_sub_f32_e32 v13, v25, v33
	v_add_f32_e32 v25, v12, v13
	v_add_f32_e32 v13, v14, v23
	v_sub_f32_e32 v12, v14, v13
	v_add_f32_e32 v14, v23, v12
	v_mul_f32_e32 v23, v13, v34
	v_mul_f32_e32 v26, v33, v23
	v_fma_f32 v28, v23, v33, -v26
	v_fmac_f32_e32 v28, v23, v25
	v_add_f32_e32 v12, v26, v28
	v_sub_f32_e32 v27, v13, v12
	v_pk_add_f32 v[30:31], v[12:13], v[26:27] neg_lo:[0,1] neg_hi:[0,1]
	v_mov_b32_e32 v29, v12
	v_pk_add_f32 v[12:13], v[30:31], v[28:29] neg_lo:[0,1] neg_hi:[0,1]
	v_cmp_eq_f32_e32 vcc, s13, v38
	v_add_f32_e32 v13, v14, v13
	v_add_f32_e32 v12, v12, v13
	;; [unrolled: 1-line block ×3, first 2 shown]
	v_mul_f32_e32 v14, v34, v13
	v_mul_f32_e32 v26, v33, v14
	v_fma_f32 v28, v14, v33, -v26
	v_fmac_f32_e32 v28, v14, v25
	v_sub_f32_e32 v25, v27, v13
	v_add_f32_e32 v25, v12, v25
	v_add_f32_e32 v12, v26, v28
	v_sub_f32_e32 v27, v13, v12
	v_pk_add_f32 v[30:31], v[12:13], v[26:27] neg_lo:[0,1] neg_hi:[0,1]
	v_mov_b32_e32 v29, v12
	v_pk_add_f32 v[12:13], v[30:31], v[28:29] neg_lo:[0,1] neg_hi:[0,1]
	s_or_b64 vcc, s[60:61], vcc
	v_add_f32_e32 v13, v25, v13
	v_add_f32_e32 v12, v12, v13
	;; [unrolled: 1-line block ×4, first 2 shown]
	v_sub_f32_e32 v23, v13, v23
	v_mul_f32_e32 v12, v34, v12
	v_sub_f32_e32 v14, v14, v23
	v_add_f32_e32 v14, v14, v12
	v_add_f32_e32 v23, v13, v14
	v_mul_f32_e32 v26, v23, v23
	v_fmamk_f32 v12, v26, 0x3e9b6dac, v135
	v_fmaak_f32 v25, v26, v12, 0x3f2aaada
	v_cvt_f32_i32_e32 v12, v32
	v_sub_f32_e32 v13, v23, v13
	v_sub_f32_e32 v13, v14, v13
	v_ldexp_f32 v14, v13, 1
	v_mul_f32_e32 v13, v23, v26
	v_pk_mul_f32 v[28:29], v[12:13], v[24:25]
	v_ldexp_f32 v27, v23, 1
	v_fma_f32 v26, v12, s15, -v28
	v_fmac_f32_e32 v26, 0xb102e308, v12
	v_pk_add_f32 v[12:13], v[28:29], v[26:27]
	v_mov_b32_e32 v30, v28
	v_sub_f32_e32 v23, v13, v27
	v_sub_f32_e32 v23, v29, v23
	v_add_f32_e32 v31, v14, v23
	v_pk_add_f32 v[28:29], v[12:13], v[28:29] neg_lo:[0,1] neg_hi:[0,1]
	v_pk_add_f32 v[32:33], v[12:13], v[30:31]
	v_mov_b32_e32 v27, v12
	v_mov_b32_e32 v29, v33
	v_pk_add_f32 v[34:35], v[26:27], v[28:29] neg_lo:[0,1] neg_hi:[0,1]
	v_pk_add_f32 v[26:27], v[26:27], v[28:29]
	s_nop 0
	v_mov_b32_e32 v14, v27
	v_pk_add_f32 v[28:29], v[14:15], v[12:13] neg_lo:[0,1] neg_hi:[0,1]
	v_mov_b32_e32 v26, v33
	v_mov_b32_e32 v23, v28
	v_pk_add_f32 v[36:37], v[32:33], v[22:23] neg_lo:[0,1] neg_hi:[0,1]
	v_mov_b32_e32 v32, v13
	v_mov_b32_e32 v33, v28
	v_mov_b32_e32 v35, v27
	v_pk_add_f32 v[26:27], v[26:27], v[32:33] neg_lo:[0,1] neg_hi:[0,1]
	v_mov_b32_e32 v28, v31
	v_mov_b32_e32 v29, v12
	v_pk_add_f32 v[12:13], v[28:29], v[26:27] neg_lo:[0,1] neg_hi:[0,1]
	v_mov_b32_e32 v36, v34
	v_pk_add_f32 v[26:27], v[36:37], v[12:13]
	s_nop 0
	v_mov_b32_e32 v28, v27
	v_pk_add_f32 v[28:29], v[26:27], v[28:29]
	s_nop 0
	v_pk_add_f32 v[30:31], v[14:15], v[28:29]
	v_mov_b32_e32 v13, v28
	v_mov_b32_e32 v27, v30
	v_pk_add_f32 v[32:33], v[26:27], v[34:35] neg_lo:[0,1] neg_hi:[0,1]
	s_nop 0
	v_sub_f32_e32 v14, v26, v32
	v_pk_add_f32 v[12:13], v[12:13], v[32:33] neg_lo:[0,1] neg_hi:[0,1]
	v_sub_f32_e32 v14, v34, v14
	v_add_f32_e32 v12, v12, v14
	v_add_f32_e32 v12, v12, v13
	;; [unrolled: 1-line block ×3, first 2 shown]
	v_cndmask_b32_e32 v144, v12, v38, vcc
.LBB94_87:                              ;   in Loop: Header=BB94_13 Depth=1
	s_or_b64 exec, exec, s[4:5]
	v_cvt_f32_f16_e32 v12, v15
	v_readlane_b32 s2, v167, 2
	s_nop 1
	v_add_f32_e32 v145, s2, v12
	v_readlane_b32 s2, v167, 30
	v_cmp_ge_f32_e32 vcc, s6, v145
	v_readlane_b32 s3, v167, 31
	s_and_b64 s[2:3], s[2:3], vcc
	s_and_saveexec_b64 s[4:5], s[2:3]
	s_cbranch_execz .LBB94_89
; %bb.88:                               ;   in Loop: Header=BB94_13 Depth=1
	v_mul_f32_e32 v12, 0x3fb8aa3b, v145
	v_rndne_f32_e32 v13, v12
	v_sub_f32_e32 v14, v12, v13
	v_fma_f32 v12, v145, s10, -v12
	v_fmac_f32_e32 v12, 0x32a5705f, v145
	v_add_f32_e32 v12, v14, v12
	v_cvt_i32_f32_e32 v13, v13
	v_exp_f32_e32 v12, v12
	v_cmp_ngt_f32_e32 vcc, s11, v145
	v_ldexp_f32 v12, v12, v13
	s_nop 0
	v_cndmask_b32_e32 v12, 0, v12, vcc
	v_cmp_nlt_f32_e32 vcc, s12, v145
	s_nop 1
	v_cndmask_b32_e32 v38, v136, v12, vcc
	v_add_f32_e32 v14, 1.0, v38
	v_add_f32_e32 v12, -1.0, v14
	v_sub_f32_e32 v13, v12, v14
	v_add_f32_e32 v13, 1.0, v13
	v_sub_f32_e32 v12, v38, v12
	v_add_f32_e32 v23, v12, v13
	v_frexp_mant_f32_e32 v25, v14
	v_cvt_f64_f32_e32 v[12:13], v14
	v_frexp_exp_i32_f64_e32 v12, v[12:13]
	v_cmp_gt_f32_e32 vcc, s14, v25
	v_cmp_gt_f32_e64 s[60:61], s16, v38
	s_nop 0
	v_subbrev_co_u32_e32 v32, vcc, 0, v12, vcc
	v_sub_u32_e32 v12, 0, v32
	v_ldexp_f32 v13, v14, v12
	v_add_f32_e32 v14, -1.0, v13
	v_add_f32_e32 v25, 1.0, v13
	v_ldexp_f32 v12, v23, v12
	v_add_f32_e32 v23, 1.0, v14
	v_add_f32_e32 v26, -1.0, v25
	v_sub_f32_e32 v23, v13, v23
	v_sub_f32_e32 v13, v13, v26
	v_add_f32_e32 v23, v12, v23
	v_add_f32_e32 v12, v12, v13
	;; [unrolled: 1-line block ×3, first 2 shown]
	v_rcp_f32_e32 v34, v33
	v_sub_f32_e32 v13, v25, v33
	v_add_f32_e32 v25, v12, v13
	v_add_f32_e32 v13, v14, v23
	v_sub_f32_e32 v12, v14, v13
	v_add_f32_e32 v14, v23, v12
	v_mul_f32_e32 v23, v13, v34
	v_mul_f32_e32 v26, v33, v23
	v_fma_f32 v28, v23, v33, -v26
	v_fmac_f32_e32 v28, v23, v25
	v_add_f32_e32 v12, v26, v28
	v_sub_f32_e32 v27, v13, v12
	v_pk_add_f32 v[30:31], v[12:13], v[26:27] neg_lo:[0,1] neg_hi:[0,1]
	v_mov_b32_e32 v29, v12
	v_pk_add_f32 v[12:13], v[30:31], v[28:29] neg_lo:[0,1] neg_hi:[0,1]
	v_cmp_eq_f32_e32 vcc, s13, v38
	v_add_f32_e32 v13, v14, v13
	v_add_f32_e32 v12, v12, v13
	;; [unrolled: 1-line block ×3, first 2 shown]
	v_mul_f32_e32 v14, v34, v13
	v_mul_f32_e32 v26, v33, v14
	v_fma_f32 v28, v14, v33, -v26
	v_fmac_f32_e32 v28, v14, v25
	v_sub_f32_e32 v25, v27, v13
	v_add_f32_e32 v25, v12, v25
	v_add_f32_e32 v12, v26, v28
	v_sub_f32_e32 v27, v13, v12
	v_pk_add_f32 v[30:31], v[12:13], v[26:27] neg_lo:[0,1] neg_hi:[0,1]
	v_mov_b32_e32 v29, v12
	v_pk_add_f32 v[12:13], v[30:31], v[28:29] neg_lo:[0,1] neg_hi:[0,1]
	s_or_b64 vcc, s[60:61], vcc
	v_add_f32_e32 v13, v25, v13
	v_add_f32_e32 v12, v12, v13
	;; [unrolled: 1-line block ×4, first 2 shown]
	v_sub_f32_e32 v23, v13, v23
	v_mul_f32_e32 v12, v34, v12
	v_sub_f32_e32 v14, v14, v23
	v_add_f32_e32 v14, v14, v12
	v_add_f32_e32 v23, v13, v14
	v_mul_f32_e32 v26, v23, v23
	v_fmamk_f32 v12, v26, 0x3e9b6dac, v135
	v_fmaak_f32 v25, v26, v12, 0x3f2aaada
	v_cvt_f32_i32_e32 v12, v32
	v_sub_f32_e32 v13, v23, v13
	v_sub_f32_e32 v13, v14, v13
	v_ldexp_f32 v14, v13, 1
	v_mul_f32_e32 v13, v23, v26
	v_pk_mul_f32 v[28:29], v[12:13], v[24:25]
	v_ldexp_f32 v27, v23, 1
	v_fma_f32 v26, v12, s15, -v28
	v_fmac_f32_e32 v26, 0xb102e308, v12
	v_pk_add_f32 v[12:13], v[28:29], v[26:27]
	v_mov_b32_e32 v30, v28
	v_sub_f32_e32 v23, v13, v27
	v_sub_f32_e32 v23, v29, v23
	v_add_f32_e32 v31, v14, v23
	v_pk_add_f32 v[28:29], v[12:13], v[28:29] neg_lo:[0,1] neg_hi:[0,1]
	v_pk_add_f32 v[32:33], v[12:13], v[30:31]
	v_mov_b32_e32 v27, v12
	v_mov_b32_e32 v29, v33
	v_pk_add_f32 v[34:35], v[26:27], v[28:29] neg_lo:[0,1] neg_hi:[0,1]
	v_pk_add_f32 v[26:27], v[26:27], v[28:29]
	s_nop 0
	v_mov_b32_e32 v14, v27
	v_pk_add_f32 v[28:29], v[14:15], v[12:13] neg_lo:[0,1] neg_hi:[0,1]
	v_mov_b32_e32 v26, v33
	v_mov_b32_e32 v23, v28
	v_pk_add_f32 v[36:37], v[32:33], v[22:23] neg_lo:[0,1] neg_hi:[0,1]
	v_mov_b32_e32 v32, v13
	v_mov_b32_e32 v33, v28
	;; [unrolled: 1-line block ×3, first 2 shown]
	v_pk_add_f32 v[26:27], v[26:27], v[32:33] neg_lo:[0,1] neg_hi:[0,1]
	v_mov_b32_e32 v28, v31
	v_mov_b32_e32 v29, v12
	v_pk_add_f32 v[12:13], v[28:29], v[26:27] neg_lo:[0,1] neg_hi:[0,1]
	v_mov_b32_e32 v36, v34
	v_pk_add_f32 v[26:27], v[36:37], v[12:13]
	s_nop 0
	v_mov_b32_e32 v28, v27
	v_pk_add_f32 v[28:29], v[26:27], v[28:29]
	s_nop 0
	v_pk_add_f32 v[30:31], v[14:15], v[28:29]
	v_mov_b32_e32 v13, v28
	v_mov_b32_e32 v27, v30
	v_pk_add_f32 v[32:33], v[26:27], v[34:35] neg_lo:[0,1] neg_hi:[0,1]
	s_nop 0
	v_sub_f32_e32 v14, v26, v32
	v_pk_add_f32 v[12:13], v[12:13], v[32:33] neg_lo:[0,1] neg_hi:[0,1]
	v_sub_f32_e32 v14, v34, v14
	v_add_f32_e32 v12, v12, v14
	v_add_f32_e32 v12, v12, v13
	;; [unrolled: 1-line block ×3, first 2 shown]
	v_cndmask_b32_e32 v145, v12, v38, vcc
.LBB94_89:                              ;   in Loop: Header=BB94_13 Depth=1
	s_or_b64 exec, exec, s[4:5]
	v_cvt_f32_f16_sdwa v12, v15 dst_sel:DWORD dst_unused:UNUSED_PAD src0_sel:WORD_1
	v_readlane_b32 s2, v167, 2
	s_nop 1
	v_add_f32_e32 v146, s2, v12
	v_readlane_b32 s2, v167, 30
	v_cmp_ge_f32_e32 vcc, s6, v146
	v_readlane_b32 s3, v167, 31
	s_and_b64 s[2:3], s[2:3], vcc
	s_and_saveexec_b64 s[4:5], s[2:3]
	s_cbranch_execz .LBB94_91
; %bb.90:                               ;   in Loop: Header=BB94_13 Depth=1
	v_mul_f32_e32 v12, 0x3fb8aa3b, v146
	v_rndne_f32_e32 v13, v12
	v_sub_f32_e32 v14, v12, v13
	v_fma_f32 v12, v146, s10, -v12
	v_fmac_f32_e32 v12, 0x32a5705f, v146
	v_add_f32_e32 v12, v14, v12
	v_cvt_i32_f32_e32 v13, v13
	v_exp_f32_e32 v12, v12
	v_cmp_ngt_f32_e32 vcc, s11, v146
	v_ldexp_f32 v12, v12, v13
	s_nop 0
	v_cndmask_b32_e32 v12, 0, v12, vcc
	v_cmp_nlt_f32_e32 vcc, s12, v146
	s_nop 1
	v_cndmask_b32_e32 v38, v136, v12, vcc
	v_add_f32_e32 v14, 1.0, v38
	v_add_f32_e32 v12, -1.0, v14
	v_sub_f32_e32 v13, v12, v14
	v_add_f32_e32 v13, 1.0, v13
	v_sub_f32_e32 v12, v38, v12
	v_add_f32_e32 v15, v12, v13
	v_frexp_mant_f32_e32 v23, v14
	v_cvt_f64_f32_e32 v[12:13], v14
	v_frexp_exp_i32_f64_e32 v12, v[12:13]
	v_cmp_gt_f32_e32 vcc, s14, v23
	v_cmp_gt_f32_e64 s[60:61], s16, v38
	s_nop 0
	v_subbrev_co_u32_e32 v23, vcc, 0, v12, vcc
	v_sub_u32_e32 v12, 0, v23
	v_ldexp_f32 v13, v14, v12
	v_add_f32_e32 v14, -1.0, v13
	v_add_f32_e32 v25, 1.0, v13
	v_ldexp_f32 v12, v15, v12
	v_add_f32_e32 v15, 1.0, v14
	v_add_f32_e32 v26, -1.0, v25
	v_sub_f32_e32 v15, v13, v15
	v_sub_f32_e32 v13, v13, v26
	v_add_f32_e32 v15, v12, v15
	v_add_f32_e32 v12, v12, v13
	;; [unrolled: 1-line block ×3, first 2 shown]
	v_rcp_f32_e32 v31, v30
	v_sub_f32_e32 v13, v25, v30
	v_add_f32_e32 v25, v12, v13
	v_add_f32_e32 v13, v14, v15
	v_mul_f32_e32 v33, v13, v31
	v_sub_f32_e32 v12, v14, v13
	v_mul_f32_e32 v14, v30, v33
	v_fma_f32 v26, v33, v30, -v14
	v_fmac_f32_e32 v26, v33, v25
	v_add_f32_e32 v32, v15, v12
	v_add_f32_e32 v12, v14, v26
	v_sub_f32_e32 v15, v13, v12
	v_pk_add_f32 v[28:29], v[12:13], v[14:15] neg_lo:[0,1] neg_hi:[0,1]
	v_mov_b32_e32 v27, v12
	v_pk_add_f32 v[12:13], v[28:29], v[26:27] neg_lo:[0,1] neg_hi:[0,1]
	v_cmp_eq_f32_e32 vcc, s13, v38
	v_add_f32_e32 v13, v32, v13
	v_add_f32_e32 v12, v12, v13
	;; [unrolled: 1-line block ×3, first 2 shown]
	v_mul_f32_e32 v32, v31, v13
	v_mul_f32_e32 v14, v30, v32
	v_fma_f32 v26, v32, v30, -v14
	v_fmac_f32_e32 v26, v32, v25
	v_sub_f32_e32 v15, v15, v13
	v_add_f32_e32 v25, v12, v15
	v_add_f32_e32 v12, v14, v26
	v_sub_f32_e32 v15, v13, v12
	v_pk_add_f32 v[28:29], v[12:13], v[14:15] neg_lo:[0,1] neg_hi:[0,1]
	v_mov_b32_e32 v27, v12
	v_pk_add_f32 v[12:13], v[28:29], v[26:27] neg_lo:[0,1] neg_hi:[0,1]
	s_or_b64 vcc, s[60:61], vcc
	v_add_f32_e32 v13, v25, v13
	v_add_f32_e32 v12, v12, v13
	;; [unrolled: 1-line block ×4, first 2 shown]
	v_sub_f32_e32 v14, v13, v33
	v_mul_f32_e32 v12, v31, v12
	v_sub_f32_e32 v14, v32, v14
	v_add_f32_e32 v14, v14, v12
	v_add_f32_e32 v26, v13, v14
	v_mul_f32_e32 v27, v26, v26
	v_fmamk_f32 v12, v27, 0x3e9b6dac, v135
	v_fmaak_f32 v25, v27, v12, 0x3f2aaada
	v_cvt_f32_i32_e32 v12, v23
	v_sub_f32_e32 v13, v26, v13
	v_sub_f32_e32 v13, v14, v13
	v_ldexp_f32 v23, v13, 1
	v_mul_f32_e32 v13, v26, v27
	v_ldexp_f32 v15, v26, 1
	v_pk_mul_f32 v[26:27], v[12:13], v[24:25]
	s_nop 0
	v_fma_f32 v14, v12, s15, -v26
	v_fmac_f32_e32 v14, 0xb102e308, v12
	v_pk_add_f32 v[12:13], v[26:27], v[14:15]
	v_mov_b32_e32 v28, v26
	v_sub_f32_e32 v15, v13, v15
	v_sub_f32_e32 v15, v27, v15
	v_add_f32_e32 v29, v23, v15
	v_pk_add_f32 v[26:27], v[12:13], v[26:27] neg_lo:[0,1] neg_hi:[0,1]
	v_pk_add_f32 v[30:31], v[12:13], v[28:29]
	v_mov_b32_e32 v15, v12
	v_mov_b32_e32 v27, v31
	v_pk_add_f32 v[32:33], v[14:15], v[26:27] neg_lo:[0,1] neg_hi:[0,1]
	v_pk_add_f32 v[14:15], v[14:15], v[26:27]
	v_mov_b32_e32 v28, v29
	v_mov_b32_e32 v26, v15
	v_pk_add_f32 v[34:35], v[26:27], v[12:13] neg_lo:[0,1] neg_hi:[0,1]
	v_mov_b32_e32 v14, v31
	v_mov_b32_e32 v23, v34
	v_pk_add_f32 v[36:37], v[30:31], v[22:23] neg_lo:[0,1] neg_hi:[0,1]
	v_mov_b32_e32 v30, v13
	v_mov_b32_e32 v31, v34
	v_mov_b32_e32 v33, v15
	v_pk_add_f32 v[14:15], v[14:15], v[30:31] neg_lo:[0,1] neg_hi:[0,1]
	v_mov_b32_e32 v29, v12
	v_pk_add_f32 v[12:13], v[28:29], v[14:15] neg_lo:[0,1] neg_hi:[0,1]
	v_mov_b32_e32 v36, v32
	v_pk_add_f32 v[14:15], v[36:37], v[12:13]
	s_nop 0
	v_mov_b32_e32 v28, v15
	v_pk_add_f32 v[28:29], v[14:15], v[28:29]
	s_nop 0
	v_pk_add_f32 v[26:27], v[26:27], v[28:29]
	v_mov_b32_e32 v13, v28
	v_mov_b32_e32 v15, v26
	v_pk_add_f32 v[30:31], v[14:15], v[32:33] neg_lo:[0,1] neg_hi:[0,1]
	s_nop 0
	v_sub_f32_e32 v14, v14, v30
	v_pk_add_f32 v[12:13], v[12:13], v[30:31] neg_lo:[0,1] neg_hi:[0,1]
	v_sub_f32_e32 v14, v32, v14
	v_add_f32_e32 v12, v12, v14
	v_add_f32_e32 v12, v12, v13
	;; [unrolled: 1-line block ×3, first 2 shown]
	v_cndmask_b32_e32 v146, v12, v38, vcc
.LBB94_91:                              ;   in Loop: Header=BB94_13 Depth=1
	s_or_b64 exec, exec, s[4:5]
	s_waitcnt lgkmcnt(0)
	v_cvt_f32_f16_e32 v12, v8
	v_readlane_b32 s2, v167, 2
	s_nop 1
	v_add_f32_e32 v147, s2, v12
	v_readlane_b32 s2, v167, 30
	v_cmp_ge_f32_e32 vcc, s6, v147
	v_readlane_b32 s3, v167, 31
	s_and_b64 s[2:3], s[2:3], vcc
	s_and_saveexec_b64 s[4:5], s[2:3]
	s_cbranch_execz .LBB94_93
; %bb.92:                               ;   in Loop: Header=BB94_13 Depth=1
	v_mul_f32_e32 v12, 0x3fb8aa3b, v147
	v_rndne_f32_e32 v13, v12
	v_sub_f32_e32 v14, v12, v13
	v_fma_f32 v12, v147, s10, -v12
	v_fmac_f32_e32 v12, 0x32a5705f, v147
	v_add_f32_e32 v12, v14, v12
	v_cvt_i32_f32_e32 v13, v13
	v_exp_f32_e32 v12, v12
	v_cmp_ngt_f32_e32 vcc, s11, v147
	v_ldexp_f32 v12, v12, v13
	s_nop 0
	v_cndmask_b32_e32 v12, 0, v12, vcc
	v_cmp_nlt_f32_e32 vcc, s12, v147
	s_nop 1
	v_cndmask_b32_e32 v38, v136, v12, vcc
	v_add_f32_e32 v14, 1.0, v38
	v_add_f32_e32 v12, -1.0, v14
	v_sub_f32_e32 v13, v12, v14
	v_add_f32_e32 v13, 1.0, v13
	v_sub_f32_e32 v12, v38, v12
	v_add_f32_e32 v15, v12, v13
	v_frexp_mant_f32_e32 v23, v14
	v_cvt_f64_f32_e32 v[12:13], v14
	v_frexp_exp_i32_f64_e32 v12, v[12:13]
	v_cmp_gt_f32_e32 vcc, s14, v23
	v_cmp_gt_f32_e64 s[60:61], s16, v38
	s_nop 0
	v_subbrev_co_u32_e32 v23, vcc, 0, v12, vcc
	v_sub_u32_e32 v12, 0, v23
	v_ldexp_f32 v13, v14, v12
	v_add_f32_e32 v14, -1.0, v13
	v_add_f32_e32 v25, 1.0, v13
	v_ldexp_f32 v12, v15, v12
	v_add_f32_e32 v15, 1.0, v14
	v_add_f32_e32 v26, -1.0, v25
	v_sub_f32_e32 v15, v13, v15
	v_sub_f32_e32 v13, v13, v26
	v_add_f32_e32 v15, v12, v15
	v_add_f32_e32 v12, v12, v13
	;; [unrolled: 1-line block ×3, first 2 shown]
	v_rcp_f32_e32 v31, v30
	v_sub_f32_e32 v13, v25, v30
	v_add_f32_e32 v25, v12, v13
	v_add_f32_e32 v13, v14, v15
	v_mul_f32_e32 v33, v13, v31
	v_sub_f32_e32 v12, v14, v13
	v_mul_f32_e32 v14, v30, v33
	v_fma_f32 v26, v33, v30, -v14
	v_fmac_f32_e32 v26, v33, v25
	v_add_f32_e32 v32, v15, v12
	v_add_f32_e32 v12, v14, v26
	v_sub_f32_e32 v15, v13, v12
	v_pk_add_f32 v[28:29], v[12:13], v[14:15] neg_lo:[0,1] neg_hi:[0,1]
	v_mov_b32_e32 v27, v12
	v_pk_add_f32 v[12:13], v[28:29], v[26:27] neg_lo:[0,1] neg_hi:[0,1]
	v_cmp_eq_f32_e32 vcc, s13, v38
	v_add_f32_e32 v13, v32, v13
	v_add_f32_e32 v12, v12, v13
	;; [unrolled: 1-line block ×3, first 2 shown]
	v_mul_f32_e32 v32, v31, v13
	v_mul_f32_e32 v14, v30, v32
	v_fma_f32 v26, v32, v30, -v14
	v_fmac_f32_e32 v26, v32, v25
	v_sub_f32_e32 v15, v15, v13
	v_add_f32_e32 v25, v12, v15
	v_add_f32_e32 v12, v14, v26
	v_sub_f32_e32 v15, v13, v12
	v_pk_add_f32 v[28:29], v[12:13], v[14:15] neg_lo:[0,1] neg_hi:[0,1]
	v_mov_b32_e32 v27, v12
	v_pk_add_f32 v[12:13], v[28:29], v[26:27] neg_lo:[0,1] neg_hi:[0,1]
	s_or_b64 vcc, s[60:61], vcc
	v_add_f32_e32 v13, v25, v13
	v_add_f32_e32 v12, v12, v13
	;; [unrolled: 1-line block ×4, first 2 shown]
	v_sub_f32_e32 v14, v13, v33
	v_mul_f32_e32 v12, v31, v12
	v_sub_f32_e32 v14, v32, v14
	v_add_f32_e32 v14, v14, v12
	v_add_f32_e32 v26, v13, v14
	v_mul_f32_e32 v27, v26, v26
	v_fmamk_f32 v12, v27, 0x3e9b6dac, v135
	v_fmaak_f32 v25, v27, v12, 0x3f2aaada
	v_cvt_f32_i32_e32 v12, v23
	v_sub_f32_e32 v13, v26, v13
	v_sub_f32_e32 v13, v14, v13
	v_ldexp_f32 v23, v13, 1
	v_mul_f32_e32 v13, v26, v27
	v_ldexp_f32 v15, v26, 1
	v_pk_mul_f32 v[26:27], v[12:13], v[24:25]
	s_nop 0
	v_fma_f32 v14, v12, s15, -v26
	v_fmac_f32_e32 v14, 0xb102e308, v12
	v_pk_add_f32 v[12:13], v[26:27], v[14:15]
	v_mov_b32_e32 v28, v26
	v_sub_f32_e32 v15, v13, v15
	v_sub_f32_e32 v15, v27, v15
	v_add_f32_e32 v29, v23, v15
	v_pk_add_f32 v[26:27], v[12:13], v[26:27] neg_lo:[0,1] neg_hi:[0,1]
	v_pk_add_f32 v[30:31], v[12:13], v[28:29]
	v_mov_b32_e32 v15, v12
	v_mov_b32_e32 v27, v31
	v_pk_add_f32 v[32:33], v[14:15], v[26:27] neg_lo:[0,1] neg_hi:[0,1]
	v_pk_add_f32 v[14:15], v[14:15], v[26:27]
	v_mov_b32_e32 v28, v29
	v_mov_b32_e32 v26, v15
	v_pk_add_f32 v[34:35], v[26:27], v[12:13] neg_lo:[0,1] neg_hi:[0,1]
	v_mov_b32_e32 v14, v31
	v_mov_b32_e32 v23, v34
	v_pk_add_f32 v[36:37], v[30:31], v[22:23] neg_lo:[0,1] neg_hi:[0,1]
	v_mov_b32_e32 v30, v13
	v_mov_b32_e32 v31, v34
	;; [unrolled: 1-line block ×3, first 2 shown]
	v_pk_add_f32 v[14:15], v[14:15], v[30:31] neg_lo:[0,1] neg_hi:[0,1]
	v_mov_b32_e32 v29, v12
	v_pk_add_f32 v[12:13], v[28:29], v[14:15] neg_lo:[0,1] neg_hi:[0,1]
	v_mov_b32_e32 v36, v32
	v_pk_add_f32 v[14:15], v[36:37], v[12:13]
	s_nop 0
	v_mov_b32_e32 v28, v15
	v_pk_add_f32 v[28:29], v[14:15], v[28:29]
	s_nop 0
	v_pk_add_f32 v[26:27], v[26:27], v[28:29]
	v_mov_b32_e32 v13, v28
	v_mov_b32_e32 v15, v26
	v_pk_add_f32 v[30:31], v[14:15], v[32:33] neg_lo:[0,1] neg_hi:[0,1]
	s_nop 0
	v_sub_f32_e32 v14, v14, v30
	v_pk_add_f32 v[12:13], v[12:13], v[30:31] neg_lo:[0,1] neg_hi:[0,1]
	v_sub_f32_e32 v14, v32, v14
	v_add_f32_e32 v12, v12, v14
	v_add_f32_e32 v12, v12, v13
	;; [unrolled: 1-line block ×3, first 2 shown]
	v_cndmask_b32_e32 v147, v12, v38, vcc
.LBB94_93:                              ;   in Loop: Header=BB94_13 Depth=1
	s_or_b64 exec, exec, s[4:5]
	v_cvt_f32_f16_sdwa v8, v8 dst_sel:DWORD dst_unused:UNUSED_PAD src0_sel:WORD_1
	v_readlane_b32 s2, v167, 2
	s_nop 1
	v_add_f32_e32 v148, s2, v8
	v_readlane_b32 s2, v167, 30
	v_cmp_ge_f32_e32 vcc, s6, v148
	v_readlane_b32 s3, v167, 31
	s_and_b64 s[2:3], s[2:3], vcc
	s_and_saveexec_b64 s[4:5], s[2:3]
	s_cbranch_execz .LBB94_95
; %bb.94:                               ;   in Loop: Header=BB94_13 Depth=1
	v_mul_f32_e32 v8, 0x3fb8aa3b, v148
	v_rndne_f32_e32 v12, v8
	v_sub_f32_e32 v13, v8, v12
	v_fma_f32 v8, v148, s10, -v8
	v_fmac_f32_e32 v8, 0x32a5705f, v148
	v_add_f32_e32 v8, v13, v8
	v_cvt_i32_f32_e32 v12, v12
	v_exp_f32_e32 v8, v8
	v_cmp_ngt_f32_e32 vcc, s11, v148
	v_ldexp_f32 v8, v8, v12
	s_nop 0
	v_cndmask_b32_e32 v8, 0, v8, vcc
	v_cmp_nlt_f32_e32 vcc, s12, v148
	s_nop 1
	v_cndmask_b32_e32 v36, v136, v8, vcc
	v_add_f32_e32 v8, 1.0, v36
	v_add_f32_e32 v12, -1.0, v8
	v_sub_f32_e32 v13, v12, v8
	v_add_f32_e32 v13, 1.0, v13
	v_sub_f32_e32 v12, v36, v12
	v_add_f32_e32 v14, v12, v13
	v_frexp_mant_f32_e32 v15, v8
	v_cvt_f64_f32_e32 v[12:13], v8
	v_frexp_exp_i32_f64_e32 v12, v[12:13]
	v_cmp_gt_f32_e32 vcc, s14, v15
	v_cmp_gt_f32_e64 s[60:61], s16, v36
	s_nop 0
	v_subbrev_co_u32_e32 v23, vcc, 0, v12, vcc
	v_sub_u32_e32 v12, 0, v23
	v_ldexp_f32 v8, v8, v12
	v_ldexp_f32 v12, v14, v12
	v_add_f32_e32 v14, -1.0, v8
	v_add_f32_e32 v13, 1.0, v14
	v_sub_f32_e32 v13, v8, v13
	v_add_f32_e32 v15, v12, v13
	v_add_f32_e32 v13, 1.0, v8
	v_add_f32_e32 v25, -1.0, v13
	v_sub_f32_e32 v8, v8, v25
	v_add_f32_e32 v8, v12, v8
	v_add_f32_e32 v25, v13, v8
	v_rcp_f32_e32 v30, v25
	v_sub_f32_e32 v12, v13, v25
	v_add_f32_e32 v13, v14, v15
	v_add_f32_e32 v8, v8, v12
	v_mul_f32_e32 v32, v13, v30
	v_sub_f32_e32 v12, v14, v13
	v_mul_f32_e32 v14, v25, v32
	v_fma_f32 v26, v32, v25, -v14
	v_fmac_f32_e32 v26, v32, v8
	v_add_f32_e32 v31, v15, v12
	v_add_f32_e32 v12, v14, v26
	v_sub_f32_e32 v15, v13, v12
	v_pk_add_f32 v[28:29], v[12:13], v[14:15] neg_lo:[0,1] neg_hi:[0,1]
	v_mov_b32_e32 v27, v12
	v_pk_add_f32 v[12:13], v[28:29], v[26:27] neg_lo:[0,1] neg_hi:[0,1]
	v_cmp_eq_f32_e32 vcc, s13, v36
	v_add_f32_e32 v13, v31, v13
	v_add_f32_e32 v12, v12, v13
	;; [unrolled: 1-line block ×3, first 2 shown]
	v_mul_f32_e32 v31, v30, v13
	v_mul_f32_e32 v14, v25, v31
	v_fma_f32 v26, v31, v25, -v14
	v_fmac_f32_e32 v26, v31, v8
	v_sub_f32_e32 v8, v15, v13
	v_add_f32_e32 v8, v12, v8
	v_add_f32_e32 v12, v14, v26
	v_sub_f32_e32 v15, v13, v12
	v_pk_add_f32 v[28:29], v[12:13], v[14:15] neg_lo:[0,1] neg_hi:[0,1]
	v_mov_b32_e32 v27, v12
	v_pk_add_f32 v[12:13], v[28:29], v[26:27] neg_lo:[0,1] neg_hi:[0,1]
	s_or_b64 vcc, s[60:61], vcc
	v_add_f32_e32 v8, v8, v13
	v_add_f32_e32 v8, v12, v8
	;; [unrolled: 1-line block ×4, first 2 shown]
	v_sub_f32_e32 v12, v13, v32
	v_mul_f32_e32 v8, v30, v8
	v_sub_f32_e32 v12, v31, v12
	v_add_f32_e32 v8, v12, v8
	v_add_f32_e32 v14, v13, v8
	v_mul_f32_e32 v26, v14, v14
	v_fmamk_f32 v12, v26, 0x3e9b6dac, v135
	v_fmaak_f32 v25, v26, v12, 0x3f2aaada
	v_cvt_f32_i32_e32 v12, v23
	v_sub_f32_e32 v13, v14, v13
	v_sub_f32_e32 v8, v8, v13
	v_mul_f32_e32 v13, v14, v26
	v_pk_mul_f32 v[26:27], v[12:13], v[24:25]
	v_ldexp_f32 v15, v14, 1
	v_fma_f32 v14, v12, s15, -v26
	v_fmac_f32_e32 v14, 0xb102e308, v12
	v_pk_add_f32 v[12:13], v[26:27], v[14:15]
	v_ldexp_f32 v8, v8, 1
	v_sub_f32_e32 v15, v13, v15
	v_sub_f32_e32 v15, v27, v15
	v_add_f32_e32 v29, v8, v15
	v_mov_b32_e32 v28, v26
	v_pk_add_f32 v[26:27], v[12:13], v[26:27] neg_lo:[0,1] neg_hi:[0,1]
	v_pk_add_f32 v[30:31], v[12:13], v[28:29]
	v_mov_b32_e32 v15, v12
	v_mov_b32_e32 v27, v31
	v_pk_add_f32 v[32:33], v[14:15], v[26:27] neg_lo:[0,1] neg_hi:[0,1]
	v_pk_add_f32 v[14:15], v[14:15], v[26:27]
	s_nop 0
	v_mov_b32_e32 v8, v15
	v_pk_add_f32 v[26:27], v[8:9], v[12:13] neg_lo:[0,1] neg_hi:[0,1]
	v_mov_b32_e32 v14, v31
	v_mov_b32_e32 v23, v26
	v_pk_add_f32 v[34:35], v[30:31], v[22:23] neg_lo:[0,1] neg_hi:[0,1]
	v_mov_b32_e32 v30, v13
	v_mov_b32_e32 v31, v26
	;; [unrolled: 1-line block ×3, first 2 shown]
	v_pk_add_f32 v[14:15], v[14:15], v[30:31] neg_lo:[0,1] neg_hi:[0,1]
	v_mov_b32_e32 v26, v29
	v_mov_b32_e32 v27, v12
	v_pk_add_f32 v[12:13], v[26:27], v[14:15] neg_lo:[0,1] neg_hi:[0,1]
	v_mov_b32_e32 v34, v32
	v_pk_add_f32 v[14:15], v[34:35], v[12:13]
	s_nop 0
	v_mov_b32_e32 v26, v15
	v_pk_add_f32 v[26:27], v[14:15], v[26:27]
	s_nop 0
	v_pk_add_f32 v[28:29], v[8:9], v[26:27]
	v_mov_b32_e32 v13, v26
	v_mov_b32_e32 v15, v28
	v_pk_add_f32 v[30:31], v[14:15], v[32:33] neg_lo:[0,1] neg_hi:[0,1]
	s_nop 0
	v_sub_f32_e32 v8, v14, v30
	v_pk_add_f32 v[12:13], v[12:13], v[30:31] neg_lo:[0,1] neg_hi:[0,1]
	v_sub_f32_e32 v8, v32, v8
	v_add_f32_e32 v8, v12, v8
	v_add_f32_e32 v8, v8, v13
	;; [unrolled: 1-line block ×3, first 2 shown]
	v_cndmask_b32_e32 v148, v8, v36, vcc
.LBB94_95:                              ;   in Loop: Header=BB94_13 Depth=1
	s_or_b64 exec, exec, s[4:5]
	v_cvt_f32_f16_e32 v8, v9
	v_readlane_b32 s2, v167, 2
	s_nop 1
	v_add_f32_e32 v149, s2, v8
	v_readlane_b32 s2, v167, 30
	v_cmp_ge_f32_e32 vcc, s6, v149
	v_readlane_b32 s3, v167, 31
	s_and_b64 s[2:3], s[2:3], vcc
	s_and_saveexec_b64 s[4:5], s[2:3]
	s_cbranch_execz .LBB94_97
; %bb.96:                               ;   in Loop: Header=BB94_13 Depth=1
	v_mul_f32_e32 v8, 0x3fb8aa3b, v149
	v_rndne_f32_e32 v12, v8
	v_sub_f32_e32 v13, v8, v12
	v_fma_f32 v8, v149, s10, -v8
	v_fmac_f32_e32 v8, 0x32a5705f, v149
	v_add_f32_e32 v8, v13, v8
	v_cvt_i32_f32_e32 v12, v12
	v_exp_f32_e32 v8, v8
	v_cmp_ngt_f32_e32 vcc, s11, v149
	v_ldexp_f32 v8, v8, v12
	s_nop 0
	v_cndmask_b32_e32 v8, 0, v8, vcc
	v_cmp_nlt_f32_e32 vcc, s12, v149
	s_nop 1
	v_cndmask_b32_e32 v36, v136, v8, vcc
	v_add_f32_e32 v8, 1.0, v36
	v_add_f32_e32 v12, -1.0, v8
	v_sub_f32_e32 v13, v12, v8
	v_add_f32_e32 v13, 1.0, v13
	v_sub_f32_e32 v12, v36, v12
	v_add_f32_e32 v14, v12, v13
	v_frexp_mant_f32_e32 v15, v8
	v_cvt_f64_f32_e32 v[12:13], v8
	v_frexp_exp_i32_f64_e32 v12, v[12:13]
	v_cmp_gt_f32_e32 vcc, s14, v15
	v_cmp_gt_f32_e64 s[60:61], s16, v36
	s_nop 0
	v_subbrev_co_u32_e32 v23, vcc, 0, v12, vcc
	v_sub_u32_e32 v12, 0, v23
	v_ldexp_f32 v8, v8, v12
	v_ldexp_f32 v12, v14, v12
	v_add_f32_e32 v14, -1.0, v8
	v_add_f32_e32 v13, 1.0, v14
	v_sub_f32_e32 v13, v8, v13
	v_add_f32_e32 v15, v12, v13
	v_add_f32_e32 v13, 1.0, v8
	v_add_f32_e32 v25, -1.0, v13
	v_sub_f32_e32 v8, v8, v25
	v_add_f32_e32 v8, v12, v8
	v_add_f32_e32 v25, v13, v8
	v_rcp_f32_e32 v30, v25
	v_sub_f32_e32 v12, v13, v25
	v_add_f32_e32 v13, v14, v15
	v_add_f32_e32 v8, v8, v12
	v_mul_f32_e32 v32, v13, v30
	v_sub_f32_e32 v12, v14, v13
	v_mul_f32_e32 v14, v25, v32
	v_fma_f32 v26, v32, v25, -v14
	v_fmac_f32_e32 v26, v32, v8
	v_add_f32_e32 v31, v15, v12
	v_add_f32_e32 v12, v14, v26
	v_sub_f32_e32 v15, v13, v12
	v_pk_add_f32 v[28:29], v[12:13], v[14:15] neg_lo:[0,1] neg_hi:[0,1]
	v_mov_b32_e32 v27, v12
	v_pk_add_f32 v[12:13], v[28:29], v[26:27] neg_lo:[0,1] neg_hi:[0,1]
	v_cmp_eq_f32_e32 vcc, s13, v36
	v_add_f32_e32 v13, v31, v13
	v_add_f32_e32 v12, v12, v13
	;; [unrolled: 1-line block ×3, first 2 shown]
	v_mul_f32_e32 v31, v30, v13
	v_mul_f32_e32 v14, v25, v31
	v_fma_f32 v26, v31, v25, -v14
	v_fmac_f32_e32 v26, v31, v8
	v_sub_f32_e32 v8, v15, v13
	v_add_f32_e32 v8, v12, v8
	v_add_f32_e32 v12, v14, v26
	v_sub_f32_e32 v15, v13, v12
	v_pk_add_f32 v[28:29], v[12:13], v[14:15] neg_lo:[0,1] neg_hi:[0,1]
	v_mov_b32_e32 v27, v12
	v_pk_add_f32 v[12:13], v[28:29], v[26:27] neg_lo:[0,1] neg_hi:[0,1]
	s_or_b64 vcc, s[60:61], vcc
	v_add_f32_e32 v8, v8, v13
	v_add_f32_e32 v8, v12, v8
	;; [unrolled: 1-line block ×4, first 2 shown]
	v_sub_f32_e32 v12, v13, v32
	v_mul_f32_e32 v8, v30, v8
	v_sub_f32_e32 v12, v31, v12
	v_add_f32_e32 v8, v12, v8
	v_add_f32_e32 v14, v13, v8
	v_mul_f32_e32 v26, v14, v14
	v_fmamk_f32 v12, v26, 0x3e9b6dac, v135
	v_fmaak_f32 v25, v26, v12, 0x3f2aaada
	v_cvt_f32_i32_e32 v12, v23
	v_sub_f32_e32 v13, v14, v13
	v_sub_f32_e32 v8, v8, v13
	v_mul_f32_e32 v13, v14, v26
	v_pk_mul_f32 v[26:27], v[12:13], v[24:25]
	v_ldexp_f32 v15, v14, 1
	v_fma_f32 v14, v12, s15, -v26
	v_fmac_f32_e32 v14, 0xb102e308, v12
	v_pk_add_f32 v[12:13], v[26:27], v[14:15]
	v_ldexp_f32 v8, v8, 1
	v_sub_f32_e32 v15, v13, v15
	v_sub_f32_e32 v15, v27, v15
	v_add_f32_e32 v29, v8, v15
	v_mov_b32_e32 v28, v26
	v_pk_add_f32 v[26:27], v[12:13], v[26:27] neg_lo:[0,1] neg_hi:[0,1]
	v_pk_add_f32 v[30:31], v[12:13], v[28:29]
	v_mov_b32_e32 v15, v12
	v_mov_b32_e32 v27, v31
	v_pk_add_f32 v[32:33], v[14:15], v[26:27] neg_lo:[0,1] neg_hi:[0,1]
	v_pk_add_f32 v[14:15], v[14:15], v[26:27]
	s_nop 0
	v_mov_b32_e32 v8, v15
	v_pk_add_f32 v[26:27], v[8:9], v[12:13] neg_lo:[0,1] neg_hi:[0,1]
	v_mov_b32_e32 v14, v31
	v_mov_b32_e32 v23, v26
	v_pk_add_f32 v[34:35], v[30:31], v[22:23] neg_lo:[0,1] neg_hi:[0,1]
	v_mov_b32_e32 v30, v13
	v_mov_b32_e32 v31, v26
	;; [unrolled: 1-line block ×3, first 2 shown]
	v_pk_add_f32 v[14:15], v[14:15], v[30:31] neg_lo:[0,1] neg_hi:[0,1]
	v_mov_b32_e32 v26, v29
	v_mov_b32_e32 v27, v12
	v_pk_add_f32 v[12:13], v[26:27], v[14:15] neg_lo:[0,1] neg_hi:[0,1]
	v_mov_b32_e32 v34, v32
	v_pk_add_f32 v[14:15], v[34:35], v[12:13]
	s_nop 0
	v_mov_b32_e32 v26, v15
	v_pk_add_f32 v[26:27], v[14:15], v[26:27]
	s_nop 0
	v_pk_add_f32 v[28:29], v[8:9], v[26:27]
	v_mov_b32_e32 v13, v26
	v_mov_b32_e32 v15, v28
	v_pk_add_f32 v[30:31], v[14:15], v[32:33] neg_lo:[0,1] neg_hi:[0,1]
	s_nop 0
	v_sub_f32_e32 v8, v14, v30
	v_pk_add_f32 v[12:13], v[12:13], v[30:31] neg_lo:[0,1] neg_hi:[0,1]
	v_sub_f32_e32 v8, v32, v8
	v_add_f32_e32 v8, v12, v8
	v_add_f32_e32 v8, v8, v13
	;; [unrolled: 1-line block ×3, first 2 shown]
	v_cndmask_b32_e32 v149, v8, v36, vcc
.LBB94_97:                              ;   in Loop: Header=BB94_13 Depth=1
	s_or_b64 exec, exec, s[4:5]
	v_cvt_f32_f16_sdwa v8, v9 dst_sel:DWORD dst_unused:UNUSED_PAD src0_sel:WORD_1
	v_readlane_b32 s2, v167, 2
	s_nop 1
	v_add_f32_e32 v150, s2, v8
	v_readlane_b32 s2, v167, 30
	v_cmp_ge_f32_e32 vcc, s6, v150
	v_readlane_b32 s3, v167, 31
	s_and_b64 s[2:3], s[2:3], vcc
	s_and_saveexec_b64 s[4:5], s[2:3]
	s_cbranch_execz .LBB94_99
; %bb.98:                               ;   in Loop: Header=BB94_13 Depth=1
	v_mul_f32_e32 v8, 0x3fb8aa3b, v150
	v_rndne_f32_e32 v9, v8
	v_sub_f32_e32 v12, v8, v9
	v_fma_f32 v8, v150, s10, -v8
	v_fmac_f32_e32 v8, 0x32a5705f, v150
	v_add_f32_e32 v8, v12, v8
	v_cvt_i32_f32_e32 v9, v9
	v_exp_f32_e32 v8, v8
	v_cmp_ngt_f32_e32 vcc, s11, v150
	v_ldexp_f32 v8, v8, v9
	s_nop 0
	v_cndmask_b32_e32 v8, 0, v8, vcc
	v_cmp_nlt_f32_e32 vcc, s12, v150
	s_nop 1
	v_cndmask_b32_e32 v23, v136, v8, vcc
	v_add_f32_e32 v12, 1.0, v23
	v_add_f32_e32 v8, -1.0, v12
	v_sub_f32_e32 v9, v8, v12
	v_add_f32_e32 v9, 1.0, v9
	v_sub_f32_e32 v8, v23, v8
	v_add_f32_e32 v13, v8, v9
	v_frexp_mant_f32_e32 v14, v12
	v_cvt_f64_f32_e32 v[8:9], v12
	v_frexp_exp_i32_f64_e32 v8, v[8:9]
	v_cmp_gt_f32_e32 vcc, s14, v14
	v_cmp_gt_f32_e64 s[60:61], s16, v23
	s_nop 0
	v_subbrev_co_u32_e32 v28, vcc, 0, v8, vcc
	v_sub_u32_e32 v8, 0, v28
	v_ldexp_f32 v9, v12, v8
	v_add_f32_e32 v12, -1.0, v9
	v_add_f32_e32 v14, 1.0, v9
	v_ldexp_f32 v8, v13, v8
	v_add_f32_e32 v13, 1.0, v12
	v_add_f32_e32 v15, -1.0, v14
	v_sub_f32_e32 v13, v9, v13
	v_sub_f32_e32 v9, v9, v15
	v_add_f32_e32 v13, v8, v13
	v_add_f32_e32 v8, v8, v9
	;; [unrolled: 1-line block ×3, first 2 shown]
	v_rcp_f32_e32 v30, v25
	v_sub_f32_e32 v9, v14, v25
	v_add_f32_e32 v29, v8, v9
	v_add_f32_e32 v9, v12, v13
	v_mul_f32_e32 v32, v9, v30
	v_sub_f32_e32 v8, v12, v9
	v_mul_f32_e32 v12, v25, v32
	v_fma_f32 v14, v32, v25, -v12
	v_fmac_f32_e32 v14, v32, v29
	v_add_f32_e32 v31, v13, v8
	v_add_f32_e32 v8, v12, v14
	v_sub_f32_e32 v13, v9, v8
	v_pk_add_f32 v[26:27], v[8:9], v[12:13] neg_lo:[0,1] neg_hi:[0,1]
	v_mov_b32_e32 v15, v8
	v_pk_add_f32 v[8:9], v[26:27], v[14:15] neg_lo:[0,1] neg_hi:[0,1]
	v_cmp_eq_f32_e32 vcc, s13, v23
	v_add_f32_e32 v9, v31, v9
	v_add_f32_e32 v8, v8, v9
	;; [unrolled: 1-line block ×3, first 2 shown]
	v_mul_f32_e32 v31, v30, v9
	v_mul_f32_e32 v12, v25, v31
	v_fma_f32 v14, v31, v25, -v12
	v_fmac_f32_e32 v14, v31, v29
	v_sub_f32_e32 v13, v13, v9
	v_add_f32_e32 v25, v8, v13
	v_add_f32_e32 v8, v12, v14
	v_sub_f32_e32 v13, v9, v8
	v_pk_add_f32 v[26:27], v[8:9], v[12:13] neg_lo:[0,1] neg_hi:[0,1]
	v_mov_b32_e32 v15, v8
	v_pk_add_f32 v[8:9], v[26:27], v[14:15] neg_lo:[0,1] neg_hi:[0,1]
	s_or_b64 vcc, s[60:61], vcc
	v_add_f32_e32 v9, v25, v9
	v_add_f32_e32 v8, v8, v9
	;; [unrolled: 1-line block ×4, first 2 shown]
	v_sub_f32_e32 v12, v9, v32
	v_mul_f32_e32 v8, v30, v8
	v_sub_f32_e32 v12, v31, v12
	v_add_f32_e32 v12, v12, v8
	v_add_f32_e32 v14, v9, v12
	v_mul_f32_e32 v15, v14, v14
	v_fmamk_f32 v8, v15, 0x3e9b6dac, v135
	v_fmaak_f32 v25, v15, v8, 0x3f2aaada
	v_cvt_f32_i32_e32 v8, v28
	v_sub_f32_e32 v9, v14, v9
	v_sub_f32_e32 v9, v12, v9
	v_ldexp_f32 v26, v9, 1
	v_mul_f32_e32 v9, v14, v15
	v_ldexp_f32 v13, v14, 1
	v_pk_mul_f32 v[14:15], v[8:9], v[24:25]
	s_nop 0
	v_fma_f32 v12, v8, s15, -v14
	v_fmac_f32_e32 v12, 0xb102e308, v8
	v_pk_add_f32 v[8:9], v[14:15], v[12:13]
	s_nop 0
	v_sub_f32_e32 v13, v9, v13
	v_sub_f32_e32 v13, v15, v13
	v_add_f32_e32 v27, v26, v13
	v_mov_b32_e32 v26, v14
	v_pk_add_f32 v[14:15], v[8:9], v[14:15] neg_lo:[0,1] neg_hi:[0,1]
	v_pk_add_f32 v[28:29], v[8:9], v[26:27]
	v_mov_b32_e32 v13, v8
	v_mov_b32_e32 v15, v29
	v_pk_add_f32 v[30:31], v[12:13], v[14:15] neg_lo:[0,1] neg_hi:[0,1]
	v_pk_add_f32 v[12:13], v[12:13], v[14:15]
	v_mov_b32_e32 v26, v27
	v_mov_b32_e32 v14, v13
	v_pk_add_f32 v[32:33], v[14:15], v[8:9] neg_lo:[0,1] neg_hi:[0,1]
	v_mov_b32_e32 v12, v29
	v_mov_b32_e32 v15, v32
	v_pk_add_f32 v[34:35], v[28:29], v[14:15] neg_lo:[0,1] neg_hi:[0,1]
	v_mov_b32_e32 v28, v9
	v_mov_b32_e32 v29, v32
	;; [unrolled: 1-line block ×3, first 2 shown]
	v_pk_add_f32 v[12:13], v[12:13], v[28:29] neg_lo:[0,1] neg_hi:[0,1]
	v_mov_b32_e32 v27, v8
	v_pk_add_f32 v[8:9], v[26:27], v[12:13] neg_lo:[0,1] neg_hi:[0,1]
	v_mov_b32_e32 v34, v30
	v_pk_add_f32 v[12:13], v[34:35], v[8:9]
	s_nop 0
	v_mov_b32_e32 v26, v13
	v_pk_add_f32 v[26:27], v[12:13], v[26:27]
	s_nop 0
	v_pk_add_f32 v[14:15], v[14:15], v[26:27]
	v_mov_b32_e32 v9, v26
	v_mov_b32_e32 v13, v14
	v_pk_add_f32 v[28:29], v[12:13], v[30:31] neg_lo:[0,1] neg_hi:[0,1]
	s_nop 0
	v_sub_f32_e32 v12, v12, v28
	v_pk_add_f32 v[8:9], v[8:9], v[28:29] neg_lo:[0,1] neg_hi:[0,1]
	v_sub_f32_e32 v12, v30, v12
	v_add_f32_e32 v8, v8, v12
	v_add_f32_e32 v8, v8, v9
	;; [unrolled: 1-line block ×3, first 2 shown]
	v_cndmask_b32_e32 v150, v8, v23, vcc
.LBB94_99:                              ;   in Loop: Header=BB94_13 Depth=1
	s_or_b64 exec, exec, s[4:5]
	v_cvt_f32_f16_e32 v8, v10
	v_readlane_b32 s2, v167, 2
	s_nop 1
	v_add_f32_e32 v151, s2, v8
	v_readlane_b32 s2, v167, 30
	v_cmp_ge_f32_e32 vcc, s6, v151
	v_readlane_b32 s3, v167, 31
	s_and_b64 s[2:3], s[2:3], vcc
	s_and_saveexec_b64 s[4:5], s[2:3]
	s_cbranch_execz .LBB94_101
; %bb.100:                              ;   in Loop: Header=BB94_13 Depth=1
	v_mul_f32_e32 v8, 0x3fb8aa3b, v151
	v_rndne_f32_e32 v9, v8
	v_sub_f32_e32 v12, v8, v9
	v_fma_f32 v8, v151, s10, -v8
	v_fmac_f32_e32 v8, 0x32a5705f, v151
	v_add_f32_e32 v8, v12, v8
	v_cvt_i32_f32_e32 v9, v9
	v_exp_f32_e32 v8, v8
	v_cmp_ngt_f32_e32 vcc, s11, v151
	v_ldexp_f32 v8, v8, v9
	s_nop 0
	v_cndmask_b32_e32 v8, 0, v8, vcc
	v_cmp_nlt_f32_e32 vcc, s12, v151
	s_nop 1
	v_cndmask_b32_e32 v23, v136, v8, vcc
	v_add_f32_e32 v12, 1.0, v23
	v_add_f32_e32 v8, -1.0, v12
	v_sub_f32_e32 v9, v8, v12
	v_add_f32_e32 v9, 1.0, v9
	v_sub_f32_e32 v8, v23, v8
	v_add_f32_e32 v13, v8, v9
	v_frexp_mant_f32_e32 v14, v12
	v_cvt_f64_f32_e32 v[8:9], v12
	v_frexp_exp_i32_f64_e32 v8, v[8:9]
	v_cmp_gt_f32_e32 vcc, s14, v14
	v_cmp_gt_f32_e64 s[60:61], s16, v23
	s_nop 0
	v_subbrev_co_u32_e32 v28, vcc, 0, v8, vcc
	v_sub_u32_e32 v8, 0, v28
	v_ldexp_f32 v9, v12, v8
	v_add_f32_e32 v12, -1.0, v9
	v_add_f32_e32 v14, 1.0, v9
	v_ldexp_f32 v8, v13, v8
	v_add_f32_e32 v13, 1.0, v12
	v_add_f32_e32 v15, -1.0, v14
	v_sub_f32_e32 v13, v9, v13
	v_sub_f32_e32 v9, v9, v15
	v_add_f32_e32 v13, v8, v13
	v_add_f32_e32 v8, v8, v9
	;; [unrolled: 1-line block ×3, first 2 shown]
	v_rcp_f32_e32 v30, v25
	v_sub_f32_e32 v9, v14, v25
	v_add_f32_e32 v29, v8, v9
	v_add_f32_e32 v9, v12, v13
	v_mul_f32_e32 v32, v9, v30
	v_sub_f32_e32 v8, v12, v9
	v_mul_f32_e32 v12, v25, v32
	v_fma_f32 v14, v32, v25, -v12
	v_fmac_f32_e32 v14, v32, v29
	v_add_f32_e32 v31, v13, v8
	v_add_f32_e32 v8, v12, v14
	v_sub_f32_e32 v13, v9, v8
	v_pk_add_f32 v[26:27], v[8:9], v[12:13] neg_lo:[0,1] neg_hi:[0,1]
	v_mov_b32_e32 v15, v8
	v_pk_add_f32 v[8:9], v[26:27], v[14:15] neg_lo:[0,1] neg_hi:[0,1]
	v_cmp_eq_f32_e32 vcc, s13, v23
	v_add_f32_e32 v9, v31, v9
	v_add_f32_e32 v8, v8, v9
	;; [unrolled: 1-line block ×3, first 2 shown]
	v_mul_f32_e32 v31, v30, v9
	v_mul_f32_e32 v12, v25, v31
	v_fma_f32 v14, v31, v25, -v12
	v_fmac_f32_e32 v14, v31, v29
	v_sub_f32_e32 v13, v13, v9
	v_add_f32_e32 v25, v8, v13
	v_add_f32_e32 v8, v12, v14
	v_sub_f32_e32 v13, v9, v8
	v_pk_add_f32 v[26:27], v[8:9], v[12:13] neg_lo:[0,1] neg_hi:[0,1]
	v_mov_b32_e32 v15, v8
	v_pk_add_f32 v[8:9], v[26:27], v[14:15] neg_lo:[0,1] neg_hi:[0,1]
	s_or_b64 vcc, s[60:61], vcc
	v_add_f32_e32 v9, v25, v9
	v_add_f32_e32 v8, v8, v9
	;; [unrolled: 1-line block ×4, first 2 shown]
	v_sub_f32_e32 v12, v9, v32
	v_mul_f32_e32 v8, v30, v8
	v_sub_f32_e32 v12, v31, v12
	v_add_f32_e32 v12, v12, v8
	v_add_f32_e32 v14, v9, v12
	v_mul_f32_e32 v15, v14, v14
	v_fmamk_f32 v8, v15, 0x3e9b6dac, v135
	v_fmaak_f32 v25, v15, v8, 0x3f2aaada
	v_cvt_f32_i32_e32 v8, v28
	v_sub_f32_e32 v9, v14, v9
	v_sub_f32_e32 v9, v12, v9
	v_ldexp_f32 v26, v9, 1
	v_mul_f32_e32 v9, v14, v15
	v_ldexp_f32 v13, v14, 1
	v_pk_mul_f32 v[14:15], v[8:9], v[24:25]
	s_nop 0
	v_fma_f32 v12, v8, s15, -v14
	v_fmac_f32_e32 v12, 0xb102e308, v8
	v_pk_add_f32 v[8:9], v[14:15], v[12:13]
	s_nop 0
	v_sub_f32_e32 v13, v9, v13
	v_sub_f32_e32 v13, v15, v13
	v_add_f32_e32 v27, v26, v13
	v_mov_b32_e32 v26, v14
	v_pk_add_f32 v[14:15], v[8:9], v[14:15] neg_lo:[0,1] neg_hi:[0,1]
	v_pk_add_f32 v[28:29], v[8:9], v[26:27]
	v_mov_b32_e32 v13, v8
	v_mov_b32_e32 v15, v29
	v_pk_add_f32 v[30:31], v[12:13], v[14:15] neg_lo:[0,1] neg_hi:[0,1]
	v_pk_add_f32 v[12:13], v[12:13], v[14:15]
	v_mov_b32_e32 v26, v27
	v_mov_b32_e32 v14, v13
	v_pk_add_f32 v[32:33], v[14:15], v[8:9] neg_lo:[0,1] neg_hi:[0,1]
	v_mov_b32_e32 v12, v29
	v_mov_b32_e32 v15, v32
	v_pk_add_f32 v[34:35], v[28:29], v[14:15] neg_lo:[0,1] neg_hi:[0,1]
	v_mov_b32_e32 v28, v9
	v_mov_b32_e32 v29, v32
	;; [unrolled: 1-line block ×3, first 2 shown]
	v_pk_add_f32 v[12:13], v[12:13], v[28:29] neg_lo:[0,1] neg_hi:[0,1]
	v_mov_b32_e32 v27, v8
	v_pk_add_f32 v[8:9], v[26:27], v[12:13] neg_lo:[0,1] neg_hi:[0,1]
	v_mov_b32_e32 v34, v30
	v_pk_add_f32 v[12:13], v[34:35], v[8:9]
	s_nop 0
	v_mov_b32_e32 v26, v13
	v_pk_add_f32 v[26:27], v[12:13], v[26:27]
	s_nop 0
	v_pk_add_f32 v[14:15], v[14:15], v[26:27]
	v_mov_b32_e32 v9, v26
	v_mov_b32_e32 v13, v14
	v_pk_add_f32 v[28:29], v[12:13], v[30:31] neg_lo:[0,1] neg_hi:[0,1]
	s_nop 0
	v_sub_f32_e32 v12, v12, v28
	v_pk_add_f32 v[8:9], v[8:9], v[28:29] neg_lo:[0,1] neg_hi:[0,1]
	v_sub_f32_e32 v12, v30, v12
	v_add_f32_e32 v8, v8, v12
	v_add_f32_e32 v8, v8, v9
	;; [unrolled: 1-line block ×3, first 2 shown]
	v_cndmask_b32_e32 v151, v8, v23, vcc
.LBB94_101:                             ;   in Loop: Header=BB94_13 Depth=1
	s_or_b64 exec, exec, s[4:5]
	v_cvt_f32_f16_sdwa v8, v10 dst_sel:DWORD dst_unused:UNUSED_PAD src0_sel:WORD_1
	v_readlane_b32 s2, v167, 2
	s_nop 1
	v_add_f32_e32 v152, s2, v8
	v_readlane_b32 s2, v167, 30
	v_cmp_ge_f32_e32 vcc, s6, v152
	v_readlane_b32 s3, v167, 31
	s_and_b64 s[2:3], s[2:3], vcc
	s_and_saveexec_b64 s[4:5], s[2:3]
	s_cbranch_execz .LBB94_103
; %bb.102:                              ;   in Loop: Header=BB94_13 Depth=1
	v_mul_f32_e32 v8, 0x3fb8aa3b, v152
	v_rndne_f32_e32 v9, v8
	v_sub_f32_e32 v10, v8, v9
	v_fma_f32 v8, v152, s10, -v8
	v_fmac_f32_e32 v8, 0x32a5705f, v152
	v_add_f32_e32 v8, v10, v8
	v_cvt_i32_f32_e32 v9, v9
	v_exp_f32_e32 v8, v8
	v_cmp_ngt_f32_e32 vcc, s11, v152
	v_ldexp_f32 v8, v8, v9
	s_nop 0
	v_cndmask_b32_e32 v8, 0, v8, vcc
	v_cmp_nlt_f32_e32 vcc, s12, v152
	s_nop 1
	v_cndmask_b32_e32 v23, v136, v8, vcc
	v_add_f32_e32 v10, 1.0, v23
	v_add_f32_e32 v8, -1.0, v10
	v_sub_f32_e32 v9, v8, v10
	v_add_f32_e32 v9, 1.0, v9
	v_sub_f32_e32 v8, v23, v8
	v_add_f32_e32 v12, v8, v9
	v_frexp_mant_f32_e32 v13, v10
	v_cvt_f64_f32_e32 v[8:9], v10
	v_frexp_exp_i32_f64_e32 v8, v[8:9]
	v_cmp_gt_f32_e32 vcc, s14, v13
	v_cmp_gt_f32_e64 s[60:61], s16, v23
	s_nop 0
	v_subbrev_co_u32_e32 v28, vcc, 0, v8, vcc
	v_sub_u32_e32 v8, 0, v28
	v_ldexp_f32 v9, v10, v8
	v_add_f32_e32 v10, -1.0, v9
	v_add_f32_e32 v13, 1.0, v9
	v_ldexp_f32 v8, v12, v8
	v_add_f32_e32 v12, 1.0, v10
	v_add_f32_e32 v14, -1.0, v13
	v_sub_f32_e32 v12, v9, v12
	v_sub_f32_e32 v9, v9, v14
	v_add_f32_e32 v12, v8, v12
	v_add_f32_e32 v8, v8, v9
	;; [unrolled: 1-line block ×3, first 2 shown]
	v_rcp_f32_e32 v30, v25
	v_sub_f32_e32 v9, v13, v25
	v_add_f32_e32 v29, v8, v9
	v_add_f32_e32 v9, v10, v12
	v_sub_f32_e32 v8, v10, v9
	v_mul_f32_e32 v31, v9, v30
	v_add_f32_e32 v10, v12, v8
	v_mul_f32_e32 v12, v25, v31
	v_fma_f32 v14, v31, v25, -v12
	v_fmac_f32_e32 v14, v31, v29
	v_add_f32_e32 v8, v12, v14
	v_sub_f32_e32 v13, v9, v8
	v_pk_add_f32 v[26:27], v[8:9], v[12:13] neg_lo:[0,1] neg_hi:[0,1]
	v_mov_b32_e32 v15, v8
	v_pk_add_f32 v[8:9], v[26:27], v[14:15] neg_lo:[0,1] neg_hi:[0,1]
	v_cmp_eq_f32_e32 vcc, s13, v23
	v_add_f32_e32 v9, v10, v9
	v_add_f32_e32 v8, v8, v9
	;; [unrolled: 1-line block ×3, first 2 shown]
	v_mul_f32_e32 v10, v30, v9
	v_mul_f32_e32 v12, v25, v10
	v_fma_f32 v14, v10, v25, -v12
	v_fmac_f32_e32 v14, v10, v29
	v_sub_f32_e32 v13, v13, v9
	v_add_f32_e32 v25, v8, v13
	v_add_f32_e32 v8, v12, v14
	v_sub_f32_e32 v13, v9, v8
	v_pk_add_f32 v[26:27], v[8:9], v[12:13] neg_lo:[0,1] neg_hi:[0,1]
	v_mov_b32_e32 v15, v8
	v_pk_add_f32 v[8:9], v[26:27], v[14:15] neg_lo:[0,1] neg_hi:[0,1]
	s_or_b64 vcc, s[60:61], vcc
	v_add_f32_e32 v9, v25, v9
	v_add_f32_e32 v8, v8, v9
	;; [unrolled: 1-line block ×4, first 2 shown]
	v_sub_f32_e32 v12, v9, v31
	v_mul_f32_e32 v8, v30, v8
	v_sub_f32_e32 v10, v10, v12
	v_add_f32_e32 v10, v10, v8
	v_add_f32_e32 v12, v9, v10
	v_mul_f32_e32 v14, v12, v12
	v_fmamk_f32 v8, v14, 0x3e9b6dac, v135
	v_fmaak_f32 v25, v14, v8, 0x3f2aaada
	v_cvt_f32_i32_e32 v8, v28
	v_sub_f32_e32 v9, v12, v9
	v_sub_f32_e32 v9, v10, v9
	v_ldexp_f32 v10, v9, 1
	v_mul_f32_e32 v9, v12, v14
	v_pk_mul_f32 v[14:15], v[8:9], v[24:25]
	v_ldexp_f32 v13, v12, 1
	v_fma_f32 v12, v8, s15, -v14
	v_fmac_f32_e32 v12, 0xb102e308, v8
	v_pk_add_f32 v[8:9], v[14:15], v[12:13]
	v_mov_b32_e32 v26, v14
	v_sub_f32_e32 v13, v9, v13
	v_sub_f32_e32 v13, v15, v13
	v_add_f32_e32 v27, v10, v13
	v_pk_add_f32 v[14:15], v[8:9], v[14:15] neg_lo:[0,1] neg_hi:[0,1]
	v_pk_add_f32 v[28:29], v[8:9], v[26:27]
	v_mov_b32_e32 v13, v8
	v_mov_b32_e32 v15, v29
	v_pk_add_f32 v[30:31], v[12:13], v[14:15] neg_lo:[0,1] neg_hi:[0,1]
	v_pk_add_f32 v[12:13], v[12:13], v[14:15]
	s_nop 0
	v_mov_b32_e32 v10, v13
	v_pk_add_f32 v[14:15], v[10:11], v[8:9] neg_lo:[0,1] neg_hi:[0,1]
	v_mov_b32_e32 v12, v29
	v_mov_b32_e32 v15, v14
	v_pk_add_f32 v[32:33], v[28:29], v[14:15] neg_lo:[0,1] neg_hi:[0,1]
	v_mov_b32_e32 v28, v9
	v_mov_b32_e32 v29, v14
	;; [unrolled: 1-line block ×3, first 2 shown]
	v_pk_add_f32 v[12:13], v[12:13], v[28:29] neg_lo:[0,1] neg_hi:[0,1]
	v_mov_b32_e32 v14, v27
	v_mov_b32_e32 v15, v8
	v_pk_add_f32 v[8:9], v[14:15], v[12:13] neg_lo:[0,1] neg_hi:[0,1]
	v_mov_b32_e32 v32, v30
	v_pk_add_f32 v[12:13], v[32:33], v[8:9]
	s_nop 0
	v_mov_b32_e32 v14, v13
	v_pk_add_f32 v[14:15], v[12:13], v[14:15]
	s_nop 0
	v_pk_add_f32 v[26:27], v[10:11], v[14:15]
	v_mov_b32_e32 v9, v14
	v_mov_b32_e32 v13, v26
	v_pk_add_f32 v[28:29], v[12:13], v[30:31] neg_lo:[0,1] neg_hi:[0,1]
	s_nop 0
	v_sub_f32_e32 v10, v12, v28
	v_pk_add_f32 v[8:9], v[8:9], v[28:29] neg_lo:[0,1] neg_hi:[0,1]
	v_sub_f32_e32 v10, v30, v10
	v_add_f32_e32 v8, v8, v10
	v_add_f32_e32 v8, v8, v9
	;; [unrolled: 1-line block ×3, first 2 shown]
	v_cndmask_b32_e32 v152, v8, v23, vcc
.LBB94_103:                             ;   in Loop: Header=BB94_13 Depth=1
	s_or_b64 exec, exec, s[4:5]
	v_cvt_f32_f16_e32 v8, v11
	v_readlane_b32 s2, v167, 2
	s_nop 1
	v_add_f32_e32 v26, s2, v8
	v_readlane_b32 s2, v167, 30
	v_cmp_ge_f32_e32 vcc, s6, v26
	v_readlane_b32 s3, v167, 31
	s_and_b64 s[2:3], s[2:3], vcc
	s_and_saveexec_b64 s[4:5], s[2:3]
	s_cbranch_execz .LBB94_105
; %bb.104:                              ;   in Loop: Header=BB94_13 Depth=1
	v_mul_f32_e32 v8, 0x3fb8aa3b, v26
	v_rndne_f32_e32 v9, v8
	v_sub_f32_e32 v10, v8, v9
	v_fma_f32 v8, v26, s10, -v8
	v_fmac_f32_e32 v8, 0x32a5705f, v26
	v_add_f32_e32 v8, v10, v8
	v_cvt_i32_f32_e32 v9, v9
	v_exp_f32_e32 v8, v8
	v_cmp_ngt_f32_e32 vcc, s11, v26
	v_ldexp_f32 v8, v8, v9
	s_nop 0
	v_cndmask_b32_e32 v8, 0, v8, vcc
	v_cmp_nlt_f32_e32 vcc, s12, v26
	s_nop 1
	v_cndmask_b32_e32 v23, v136, v8, vcc
	v_add_f32_e32 v10, 1.0, v23
	v_add_f32_e32 v8, -1.0, v10
	v_sub_f32_e32 v9, v8, v10
	v_add_f32_e32 v9, 1.0, v9
	v_sub_f32_e32 v8, v23, v8
	v_add_f32_e32 v12, v8, v9
	v_frexp_mant_f32_e32 v13, v10
	v_cvt_f64_f32_e32 v[8:9], v10
	v_frexp_exp_i32_f64_e32 v8, v[8:9]
	v_cmp_gt_f32_e32 vcc, s14, v13
	v_cmp_gt_f32_e64 s[60:61], s16, v23
	s_nop 0
	v_subbrev_co_u32_e32 v28, vcc, 0, v8, vcc
	v_sub_u32_e32 v8, 0, v28
	v_ldexp_f32 v9, v10, v8
	v_add_f32_e32 v10, -1.0, v9
	v_add_f32_e32 v13, 1.0, v9
	v_ldexp_f32 v8, v12, v8
	v_add_f32_e32 v12, 1.0, v10
	v_add_f32_e32 v14, -1.0, v13
	v_sub_f32_e32 v12, v9, v12
	v_sub_f32_e32 v9, v9, v14
	v_add_f32_e32 v12, v8, v12
	v_add_f32_e32 v8, v8, v9
	;; [unrolled: 1-line block ×3, first 2 shown]
	v_rcp_f32_e32 v30, v25
	v_sub_f32_e32 v9, v13, v25
	v_add_f32_e32 v29, v8, v9
	v_add_f32_e32 v9, v10, v12
	v_sub_f32_e32 v8, v10, v9
	v_mul_f32_e32 v31, v9, v30
	v_add_f32_e32 v10, v12, v8
	v_mul_f32_e32 v12, v25, v31
	v_fma_f32 v14, v31, v25, -v12
	v_fmac_f32_e32 v14, v31, v29
	v_add_f32_e32 v8, v12, v14
	v_sub_f32_e32 v13, v9, v8
	v_pk_add_f32 v[26:27], v[8:9], v[12:13] neg_lo:[0,1] neg_hi:[0,1]
	v_mov_b32_e32 v15, v8
	v_pk_add_f32 v[8:9], v[26:27], v[14:15] neg_lo:[0,1] neg_hi:[0,1]
	v_cmp_eq_f32_e32 vcc, s13, v23
	v_add_f32_e32 v9, v10, v9
	v_add_f32_e32 v8, v8, v9
	;; [unrolled: 1-line block ×3, first 2 shown]
	v_mul_f32_e32 v10, v30, v9
	v_mul_f32_e32 v12, v25, v10
	v_fma_f32 v14, v10, v25, -v12
	v_fmac_f32_e32 v14, v10, v29
	v_sub_f32_e32 v13, v13, v9
	v_add_f32_e32 v25, v8, v13
	v_add_f32_e32 v8, v12, v14
	v_sub_f32_e32 v13, v9, v8
	v_pk_add_f32 v[26:27], v[8:9], v[12:13] neg_lo:[0,1] neg_hi:[0,1]
	v_mov_b32_e32 v15, v8
	v_pk_add_f32 v[8:9], v[26:27], v[14:15] neg_lo:[0,1] neg_hi:[0,1]
	s_or_b64 vcc, s[60:61], vcc
	v_add_f32_e32 v9, v25, v9
	v_add_f32_e32 v8, v8, v9
	;; [unrolled: 1-line block ×4, first 2 shown]
	v_sub_f32_e32 v12, v9, v31
	v_mul_f32_e32 v8, v30, v8
	v_sub_f32_e32 v10, v10, v12
	v_add_f32_e32 v10, v10, v8
	v_add_f32_e32 v12, v9, v10
	v_mul_f32_e32 v14, v12, v12
	v_fmamk_f32 v8, v14, 0x3e9b6dac, v135
	v_fmaak_f32 v25, v14, v8, 0x3f2aaada
	v_cvt_f32_i32_e32 v8, v28
	v_sub_f32_e32 v9, v12, v9
	v_sub_f32_e32 v9, v10, v9
	v_ldexp_f32 v10, v9, 1
	v_mul_f32_e32 v9, v12, v14
	v_pk_mul_f32 v[14:15], v[8:9], v[24:25]
	v_ldexp_f32 v13, v12, 1
	v_fma_f32 v12, v8, s15, -v14
	v_fmac_f32_e32 v12, 0xb102e308, v8
	v_pk_add_f32 v[8:9], v[14:15], v[12:13]
	v_mov_b32_e32 v26, v14
	v_sub_f32_e32 v13, v9, v13
	v_sub_f32_e32 v13, v15, v13
	v_add_f32_e32 v27, v10, v13
	v_pk_add_f32 v[14:15], v[8:9], v[14:15] neg_lo:[0,1] neg_hi:[0,1]
	v_pk_add_f32 v[28:29], v[8:9], v[26:27]
	v_mov_b32_e32 v13, v8
	v_mov_b32_e32 v15, v29
	v_pk_add_f32 v[30:31], v[12:13], v[14:15] neg_lo:[0,1] neg_hi:[0,1]
	v_pk_add_f32 v[12:13], v[12:13], v[14:15]
	s_nop 0
	v_mov_b32_e32 v10, v13
	v_pk_add_f32 v[14:15], v[10:11], v[8:9] neg_lo:[0,1] neg_hi:[0,1]
	v_mov_b32_e32 v12, v29
	v_mov_b32_e32 v15, v14
	v_pk_add_f32 v[32:33], v[28:29], v[14:15] neg_lo:[0,1] neg_hi:[0,1]
	v_mov_b32_e32 v28, v9
	v_mov_b32_e32 v29, v14
	;; [unrolled: 1-line block ×3, first 2 shown]
	v_pk_add_f32 v[12:13], v[12:13], v[28:29] neg_lo:[0,1] neg_hi:[0,1]
	v_mov_b32_e32 v14, v27
	v_mov_b32_e32 v15, v8
	v_pk_add_f32 v[8:9], v[14:15], v[12:13] neg_lo:[0,1] neg_hi:[0,1]
	v_mov_b32_e32 v32, v30
	v_pk_add_f32 v[12:13], v[32:33], v[8:9]
	s_nop 0
	v_mov_b32_e32 v14, v13
	v_pk_add_f32 v[14:15], v[12:13], v[14:15]
	s_nop 0
	v_pk_add_f32 v[26:27], v[10:11], v[14:15]
	v_mov_b32_e32 v9, v14
	v_mov_b32_e32 v13, v26
	v_pk_add_f32 v[28:29], v[12:13], v[30:31] neg_lo:[0,1] neg_hi:[0,1]
	s_nop 0
	v_sub_f32_e32 v10, v12, v28
	v_pk_add_f32 v[8:9], v[8:9], v[28:29] neg_lo:[0,1] neg_hi:[0,1]
	v_sub_f32_e32 v10, v30, v10
	v_add_f32_e32 v8, v8, v10
	v_add_f32_e32 v8, v8, v9
	;; [unrolled: 1-line block ×3, first 2 shown]
	v_cndmask_b32_e32 v26, v8, v23, vcc
.LBB94_105:                             ;   in Loop: Header=BB94_13 Depth=1
	s_or_b64 exec, exec, s[4:5]
	v_cvt_f32_f16_sdwa v8, v11 dst_sel:DWORD dst_unused:UNUSED_PAD src0_sel:WORD_1
	v_readlane_b32 s2, v167, 2
	s_nop 1
	v_add_f32_e32 v27, s2, v8
	v_readlane_b32 s2, v167, 30
	v_cmp_ge_f32_e32 vcc, s6, v27
	v_readlane_b32 s3, v167, 31
	s_and_b64 s[2:3], s[2:3], vcc
	s_and_saveexec_b64 s[4:5], s[2:3]
	s_cbranch_execz .LBB94_107
; %bb.106:                              ;   in Loop: Header=BB94_13 Depth=1
	v_mul_f32_e32 v8, 0x3fb8aa3b, v27
	v_rndne_f32_e32 v9, v8
	v_sub_f32_e32 v10, v8, v9
	v_fma_f32 v8, v27, s10, -v8
	v_fmac_f32_e32 v8, 0x32a5705f, v27
	v_add_f32_e32 v8, v10, v8
	v_cvt_i32_f32_e32 v9, v9
	v_exp_f32_e32 v8, v8
	v_cmp_ngt_f32_e32 vcc, s11, v27
	v_ldexp_f32 v8, v8, v9
	s_nop 0
	v_cndmask_b32_e32 v8, 0, v8, vcc
	v_cmp_nlt_f32_e32 vcc, s12, v27
	s_nop 1
	v_cndmask_b32_e32 v23, v136, v8, vcc
	v_add_f32_e32 v10, 1.0, v23
	v_add_f32_e32 v8, -1.0, v10
	v_sub_f32_e32 v9, v8, v10
	v_add_f32_e32 v9, 1.0, v9
	v_sub_f32_e32 v8, v23, v8
	v_add_f32_e32 v11, v8, v9
	v_frexp_mant_f32_e32 v12, v10
	v_cvt_f64_f32_e32 v[8:9], v10
	v_frexp_exp_i32_f64_e32 v8, v[8:9]
	v_cmp_gt_f32_e32 vcc, s14, v12
	v_cmp_gt_f32_e64 s[60:61], s16, v23
	s_nop 0
	v_subbrev_co_u32_e32 v27, vcc, 0, v8, vcc
	v_sub_u32_e32 v8, 0, v27
	v_ldexp_f32 v9, v10, v8
	v_add_f32_e32 v10, -1.0, v9
	v_add_f32_e32 v12, 1.0, v9
	v_ldexp_f32 v8, v11, v8
	v_add_f32_e32 v11, 1.0, v10
	v_add_f32_e32 v13, -1.0, v12
	v_sub_f32_e32 v11, v9, v11
	v_sub_f32_e32 v9, v9, v13
	v_add_f32_e32 v11, v8, v11
	v_add_f32_e32 v8, v8, v9
	;; [unrolled: 1-line block ×3, first 2 shown]
	v_rcp_f32_e32 v29, v25
	v_sub_f32_e32 v9, v12, v25
	v_add_f32_e32 v28, v8, v9
	v_add_f32_e32 v9, v10, v11
	v_mul_f32_e32 v31, v9, v29
	v_sub_f32_e32 v8, v10, v9
	v_mul_f32_e32 v10, v25, v31
	v_fma_f32 v12, v31, v25, -v10
	v_fmac_f32_e32 v12, v31, v28
	v_add_f32_e32 v30, v11, v8
	v_add_f32_e32 v8, v10, v12
	v_sub_f32_e32 v11, v9, v8
	v_pk_add_f32 v[14:15], v[8:9], v[10:11] neg_lo:[0,1] neg_hi:[0,1]
	v_mov_b32_e32 v13, v8
	v_pk_add_f32 v[8:9], v[14:15], v[12:13] neg_lo:[0,1] neg_hi:[0,1]
	v_cmp_eq_f32_e32 vcc, s13, v23
	v_add_f32_e32 v9, v30, v9
	v_add_f32_e32 v8, v8, v9
	;; [unrolled: 1-line block ×3, first 2 shown]
	v_mul_f32_e32 v30, v29, v9
	v_mul_f32_e32 v10, v25, v30
	v_fma_f32 v12, v30, v25, -v10
	v_fmac_f32_e32 v12, v30, v28
	v_sub_f32_e32 v11, v11, v9
	v_add_f32_e32 v25, v8, v11
	v_add_f32_e32 v8, v10, v12
	v_sub_f32_e32 v11, v9, v8
	v_pk_add_f32 v[14:15], v[8:9], v[10:11] neg_lo:[0,1] neg_hi:[0,1]
	v_mov_b32_e32 v13, v8
	v_pk_add_f32 v[8:9], v[14:15], v[12:13] neg_lo:[0,1] neg_hi:[0,1]
	s_or_b64 vcc, s[60:61], vcc
	v_add_f32_e32 v9, v25, v9
	v_add_f32_e32 v8, v8, v9
	;; [unrolled: 1-line block ×4, first 2 shown]
	v_sub_f32_e32 v10, v9, v31
	v_mul_f32_e32 v8, v29, v8
	v_sub_f32_e32 v10, v30, v10
	v_add_f32_e32 v10, v10, v8
	v_add_f32_e32 v12, v9, v10
	v_mul_f32_e32 v13, v12, v12
	v_fmamk_f32 v8, v13, 0x3e9b6dac, v135
	v_fmaak_f32 v25, v13, v8, 0x3f2aaada
	v_cvt_f32_i32_e32 v8, v27
	v_sub_f32_e32 v9, v12, v9
	v_sub_f32_e32 v9, v10, v9
	v_ldexp_f32 v14, v9, 1
	v_mul_f32_e32 v9, v12, v13
	v_ldexp_f32 v11, v12, 1
	v_pk_mul_f32 v[12:13], v[8:9], v[24:25]
	s_nop 0
	v_fma_f32 v10, v8, s15, -v12
	v_fmac_f32_e32 v10, 0xb102e308, v8
	v_pk_add_f32 v[8:9], v[12:13], v[10:11]
	s_nop 0
	v_sub_f32_e32 v11, v9, v11
	v_sub_f32_e32 v11, v13, v11
	v_add_f32_e32 v15, v14, v11
	v_mov_b32_e32 v14, v12
	v_pk_add_f32 v[12:13], v[8:9], v[12:13] neg_lo:[0,1] neg_hi:[0,1]
	v_pk_add_f32 v[28:29], v[8:9], v[14:15]
	v_mov_b32_e32 v11, v8
	v_mov_b32_e32 v13, v29
	v_pk_add_f32 v[30:31], v[10:11], v[12:13] neg_lo:[0,1] neg_hi:[0,1]
	v_pk_add_f32 v[10:11], v[10:11], v[12:13]
	v_mov_b32_e32 v14, v15
	v_mov_b32_e32 v12, v11
	v_pk_add_f32 v[32:33], v[12:13], v[8:9] neg_lo:[0,1] neg_hi:[0,1]
	v_mov_b32_e32 v10, v29
	v_mov_b32_e32 v13, v32
	v_pk_add_f32 v[34:35], v[28:29], v[12:13] neg_lo:[0,1] neg_hi:[0,1]
	v_mov_b32_e32 v28, v9
	v_mov_b32_e32 v29, v32
	;; [unrolled: 1-line block ×3, first 2 shown]
	v_pk_add_f32 v[10:11], v[10:11], v[28:29] neg_lo:[0,1] neg_hi:[0,1]
	v_mov_b32_e32 v15, v8
	v_pk_add_f32 v[8:9], v[14:15], v[10:11] neg_lo:[0,1] neg_hi:[0,1]
	v_mov_b32_e32 v34, v30
	v_pk_add_f32 v[10:11], v[34:35], v[8:9]
	s_nop 0
	v_mov_b32_e32 v14, v11
	v_pk_add_f32 v[14:15], v[10:11], v[14:15]
	s_nop 0
	v_pk_add_f32 v[12:13], v[12:13], v[14:15]
	v_mov_b32_e32 v9, v14
	v_mov_b32_e32 v11, v12
	v_pk_add_f32 v[28:29], v[10:11], v[30:31] neg_lo:[0,1] neg_hi:[0,1]
	s_nop 0
	v_sub_f32_e32 v10, v10, v28
	v_pk_add_f32 v[8:9], v[8:9], v[28:29] neg_lo:[0,1] neg_hi:[0,1]
	v_sub_f32_e32 v10, v30, v10
	v_add_f32_e32 v8, v8, v10
	v_add_f32_e32 v8, v8, v9
	;; [unrolled: 1-line block ×3, first 2 shown]
	v_cndmask_b32_e32 v27, v8, v23, vcc
.LBB94_107:                             ;   in Loop: Header=BB94_13 Depth=1
	s_or_b64 exec, exec, s[4:5]
	v_cvt_f32_f16_e32 v8, v7
	v_cvt_f32_f16_sdwa v9, v6 dst_sel:DWORD dst_unused:UNUSED_PAD src0_sel:WORD_1
	v_cvt_f32_f16_e32 v6, v6
	v_cvt_f32_f16_sdwa v13, v7 dst_sel:DWORD dst_unused:UNUSED_PAD src0_sel:WORD_1
	v_cvt_f32_f16_sdwa v7, v5 dst_sel:DWORD dst_unused:UNUSED_PAD src0_sel:WORD_1
	v_cvt_f32_f16_e32 v5, v5
	v_cvt_f32_f16_sdwa v10, v4 dst_sel:DWORD dst_unused:UNUSED_PAD src0_sel:WORD_1
	v_cvt_f32_f16_e32 v4, v4
	;; [unrolled: 2-line block ×6, first 2 shown]
	v_readlane_b32 s2, v167, 3
	s_barrier
	s_nop 0
	v_mul_f32_e32 v28, s2, v8
	v_mul_f32_e32 v31, s2, v9
	;; [unrolled: 1-line block ×16, first 2 shown]
	v_readlane_b32 s2, v167, 33
	v_readlane_b32 s3, v167, 34
	s_and_b64 vcc, exec, s[2:3]
	s_cbranch_vccz .LBB94_204
; %bb.108:                              ;   in Loop: Header=BB94_13 Depth=1
	v_readlane_b32 s2, v167, 8
	v_readlane_b32 s3, v167, 9
	v_mul_f32_e32 v165, v139, v0
	v_cmp_gt_u32_e32 vcc, s88, v19
	v_lshl_add_u64 v[44:45], s[2:3], 0, v[16:17]
	v_readlane_b32 s2, v167, 22
	v_readlane_b32 s3, v167, 23
	v_or_b32_e32 v0, 1, v19
	v_mov_b32_e32 v23, v17
	v_lshl_add_u64 v[46:47], s[2:3], 0, v[16:17]
	v_readlane_b32 s3, v167, 59
	s_cmp_lg_u32 s3, 0
	v_readlane_b32 s2, v167, 37
	s_cselect_b64 s[94:95], -1, 0
	s_cmp_eq_u32 s3, s2
	v_readlane_b32 s2, v167, 38
	v_readlane_b32 s3, v167, 39
	s_cselect_b64 s[96:97], -1, 0
	s_or_b64 s[60:61], s[2:3], vcc
	v_cmp_gt_u32_e32 vcc, s88, v0
	v_or_b32_e32 v0, 2, v19
	s_or_b64 s[62:63], s[2:3], vcc
	v_cmp_gt_u32_e32 vcc, s88, v0
	v_or_b32_e32 v0, 3, v19
	;; [unrolled: 3-line block ×13, first 2 shown]
	s_mov_b32 s6, 0
	s_or_b64 s[86:87], s[2:3], vcc
	v_cmp_gt_u32_e32 vcc, s88, v0
	v_cmp_gt_u32_e64 s[88:89], s88, v134
	v_mul_f32_e32 v25, v27, v13
	v_lshl_add_u64 v[44:45], v[44:45], 0, v[22:23]
	v_lshl_add_u64 v[46:47], v[46:47], 0, v[22:23]
	v_mul_f32_e32 v16, v26, v8
	v_mul_f32_e32 v23, v152, v9
	v_mul_f32_e32 v153, v151, v6
	v_mul_f32_e32 v154, v150, v7
	v_mul_f32_e32 v155, v149, v5
	v_mul_f32_e32 v156, v148, v10
	v_mul_f32_e32 v157, v147, v4
	v_mul_f32_e32 v158, v146, v11
	v_mul_f32_e32 v159, v145, v3
	v_mul_f32_e32 v160, v144, v12
	v_mul_f32_e32 v161, v143, v2
	v_mul_f32_e32 v162, v142, v14
	v_mul_f32_e32 v163, v141, v1
	v_mul_f32_e32 v164, v140, v15
	s_or_b64 s[88:89], s[2:3], s[88:89]
	s_or_b64 s[90:91], s[2:3], vcc
	s_mov_b32 s92, s6
	s_mov_b32 s98, s6
	;; [unrolled: 1-line block ×3, first 2 shown]
	v_readlane_b32 s8, v167, 32
	v_readlane_b32 s9, v167, 58
	s_branch .LBB94_110
.LBB94_109:                             ;   in Loop: Header=BB94_110 Depth=2
	s_or_b64 exec, exec, s[2:3]
	v_cndmask_b32_e64 v8, v8, v67, s[24:25]
	v_cndmask_b32_e64 v48, v58, v66, s[24:25]
	v_mul_f32_e32 v48, v48, v120
	v_fma_f32 v8, v8, v120, v166
	v_cndmask_b32_e64 v8, v8, v166, s[22:23]
	v_cndmask_b32_e64 v48, v48, v120, s[22:23]
	s_waitcnt lgkmcnt(0)
	v_fmac_f32_e32 v8, v61, v48
	v_fmac_f32_e32 v9, v8, v121
	;; [unrolled: 1-line block ×13, first 2 shown]
	v_readlane_b32 s12, v167, 24
	v_fmac_f32_e32 v53, v52, v56
	v_readlane_b32 s13, v167, 25
	v_readlane_b32 s14, v167, 26
	;; [unrolled: 1-line block ×3, first 2 shown]
	v_fmac_f32_e32 v57, v53, v62
	s_add_i32 s4, s4, s14
	v_readlane_b32 s12, v167, 18
	v_fmac_f32_e32 v59, v57, v63
	v_cvt_f32_f16_sdwa v49, v4 dst_sel:DWORD dst_unused:UNUSED_PAD src0_sel:WORD_1
	v_cvt_f32_f16_sdwa v61, v5 dst_sel:DWORD dst_unused:UNUSED_PAD src0_sel:WORD_1
	v_cvt_f32_f16_e32 v48, v4
	v_cvt_f32_f16_e32 v60, v5
	v_cvt_f32_f16_sdwa v5, v6 dst_sel:DWORD dst_unused:UNUSED_PAD src0_sel:WORD_1
	v_cvt_f32_f16_sdwa v63, v7 dst_sel:DWORD dst_unused:UNUSED_PAD src0_sel:WORD_1
	v_cvt_f32_f16_e32 v4, v6
	v_cvt_f32_f16_e32 v62, v7
	;; [unrolled: 4-line block ×4, first 2 shown]
	v_readlane_b32 s13, v167, 19
	v_readlane_b32 s14, v167, 20
	;; [unrolled: 1-line block ×3, first 2 shown]
	s_add_i32 s98, s98, s12
	v_readlane_b32 s12, v167, 10
	v_readlane_b32 s13, v167, 11
	;; [unrolled: 1-line block ×3, first 2 shown]
	v_mov_b32_e32 v58, v57
	s_add_i32 s9, s9, 8
	s_add_i32 s8, s8, -1
	s_add_i32 s92, s92, s16
	s_add_i32 s6, s6, s13
	v_pk_fma_f32 v[40:41], v[10:11], v[60:61], v[40:41]
	v_pk_fma_f32 v[42:43], v[8:9], v[48:49], v[42:43]
	;; [unrolled: 1-line block ×7, first 2 shown]
	s_cmp_eq_u32 s8, 0
	v_pk_fma_f32 v[30:31], v[52:53], v[0:1], v[30:31]
	v_readlane_b32 s14, v167, 12
	v_readlane_b32 s15, v167, 13
	;; [unrolled: 1-line block ×5, first 2 shown]
	s_cbranch_scc1 .LBB94_203
.LBB94_110:                             ;   Parent Loop BB94_13 Depth=1
                                        ; =>  This Inner Loop Header: Depth=2
	s_lshl_b64 s[2:3], s[6:7], 2
	v_readlane_b32 s5, v167, 6
	s_add_u32 s2, s5, s2
	v_readlane_b32 s5, v167, 7
	s_addc_u32 s3, s5, s3
	global_load_dword v50, v17, s[2:3]
	s_mov_b32 s93, s7
	v_lshl_add_u64 v[0:1], s[92:93], 1, v[44:45]
	v_mov_b32_e32 v2, 0
	v_mov_b32_e32 v3, 0
	s_and_saveexec_b64 s[2:3], s[26:27]
	s_cbranch_execnz .LBB94_146
; %bb.111:                              ;   in Loop: Header=BB94_110 Depth=2
	s_or_b64 exec, exec, s[2:3]
	s_and_saveexec_b64 s[2:3], s[28:29]
	s_cbranch_execnz .LBB94_147
.LBB94_112:                             ;   in Loop: Header=BB94_110 Depth=2
	s_or_b64 exec, exec, s[2:3]
	v_mov_b32_e32 v4, 0
	s_and_saveexec_b64 s[2:3], s[30:31]
	s_cbranch_execnz .LBB94_148
.LBB94_113:                             ;   in Loop: Header=BB94_110 Depth=2
	s_or_b64 exec, exec, s[2:3]
	s_and_saveexec_b64 s[2:3], s[34:35]
	s_cbranch_execnz .LBB94_149
.LBB94_114:                             ;   in Loop: Header=BB94_110 Depth=2
	s_or_b64 exec, exec, s[2:3]
	v_mov_b32_e32 v5, 0
	s_and_saveexec_b64 s[2:3], s[36:37]
	s_cbranch_execnz .LBB94_150
.LBB94_115:                             ;   in Loop: Header=BB94_110 Depth=2
	s_or_b64 exec, exec, s[2:3]
	s_and_saveexec_b64 s[2:3], s[38:39]
	s_cbranch_execnz .LBB94_151
.LBB94_116:                             ;   in Loop: Header=BB94_110 Depth=2
	s_or_b64 exec, exec, s[2:3]
	v_mov_b32_e32 v6, 0
	s_and_saveexec_b64 s[2:3], s[40:41]
	s_cbranch_execnz .LBB94_152
.LBB94_117:                             ;   in Loop: Header=BB94_110 Depth=2
	s_or_b64 exec, exec, s[2:3]
	s_and_saveexec_b64 s[2:3], s[42:43]
	s_cbranch_execnz .LBB94_153
.LBB94_118:                             ;   in Loop: Header=BB94_110 Depth=2
	s_or_b64 exec, exec, s[2:3]
	v_mov_b32_e32 v7, 0
	s_and_saveexec_b64 s[2:3], s[44:45]
	s_cbranch_execnz .LBB94_154
.LBB94_119:                             ;   in Loop: Header=BB94_110 Depth=2
	s_or_b64 exec, exec, s[2:3]
	s_and_saveexec_b64 s[2:3], s[46:47]
	s_cbranch_execnz .LBB94_155
.LBB94_120:                             ;   in Loop: Header=BB94_110 Depth=2
	s_or_b64 exec, exec, s[2:3]
	v_mov_b32_e32 v8, 0
	s_and_saveexec_b64 s[2:3], s[48:49]
	s_cbranch_execnz .LBB94_156
.LBB94_121:                             ;   in Loop: Header=BB94_110 Depth=2
	s_or_b64 exec, exec, s[2:3]
	s_and_saveexec_b64 s[2:3], s[50:51]
	s_cbranch_execnz .LBB94_157
.LBB94_122:                             ;   in Loop: Header=BB94_110 Depth=2
	s_or_b64 exec, exec, s[2:3]
	v_mov_b32_e32 v9, 0
	s_and_saveexec_b64 s[2:3], s[52:53]
	s_cbranch_execnz .LBB94_158
.LBB94_123:                             ;   in Loop: Header=BB94_110 Depth=2
	s_or_b64 exec, exec, s[2:3]
	s_and_saveexec_b64 s[2:3], s[54:55]
	s_cbranch_execnz .LBB94_159
.LBB94_124:                             ;   in Loop: Header=BB94_110 Depth=2
	s_or_b64 exec, exec, s[2:3]
	v_mov_b32_e32 v10, 0
	s_and_saveexec_b64 s[2:3], s[56:57]
	s_cbranch_execnz .LBB94_160
.LBB94_125:                             ;   in Loop: Header=BB94_110 Depth=2
	s_or_b64 exec, exec, s[2:3]
	s_and_saveexec_b64 s[2:3], s[58:59]
	s_cbranch_execz .LBB94_127
.LBB94_126:                             ;   in Loop: Header=BB94_110 Depth=2
	global_load_ushort v0, v[0:1], off offset:1920
	s_waitcnt vmcnt(0)
	v_lshl_or_b32 v10, v0, 16, v10
.LBB94_127:                             ;   in Loop: Header=BB94_110 Depth=2
	s_or_b64 exec, exec, s[2:3]
	s_waitcnt vmcnt(0)
	ds_write_b16 v84, v3
	ds_write_b16 v85, v2 offset:128
	ds_write_b16 v86, v4 offset:256
	ds_write_b16_d16_hi v87, v4 offset:384
	ds_write_b16 v88, v5 offset:512
	ds_write_b16_d16_hi v89, v5 offset:640
	;; [unrolled: 2-line block ×7, first 2 shown]
	; wave barrier
	ds_read_b128 v[12:15], v100
	ds_read_b128 v[8:11], v100 offset:16
	s_mov_b32 s99, s7
	v_lshl_add_u64 v[0:1], s[98:99], 1, v[46:47]
	v_mov_b32_e32 v2, 0
	v_mov_b32_e32 v3, 0
	s_and_saveexec_b64 s[2:3], s[26:27]
	s_cbranch_execnz .LBB94_161
; %bb.128:                              ;   in Loop: Header=BB94_110 Depth=2
	s_or_b64 exec, exec, s[2:3]
	s_and_saveexec_b64 s[2:3], s[28:29]
	s_cbranch_execnz .LBB94_162
.LBB94_129:                             ;   in Loop: Header=BB94_110 Depth=2
	s_or_b64 exec, exec, s[2:3]
	v_mov_b32_e32 v4, 0
	s_and_saveexec_b64 s[2:3], s[30:31]
	s_cbranch_execnz .LBB94_163
.LBB94_130:                             ;   in Loop: Header=BB94_110 Depth=2
	s_or_b64 exec, exec, s[2:3]
	s_and_saveexec_b64 s[2:3], s[34:35]
	s_cbranch_execnz .LBB94_164
.LBB94_131:                             ;   in Loop: Header=BB94_110 Depth=2
	s_or_b64 exec, exec, s[2:3]
	v_mov_b32_e32 v5, 0
	s_and_saveexec_b64 s[2:3], s[36:37]
	s_cbranch_execnz .LBB94_165
.LBB94_132:                             ;   in Loop: Header=BB94_110 Depth=2
	s_or_b64 exec, exec, s[2:3]
	s_and_saveexec_b64 s[2:3], s[38:39]
	s_cbranch_execnz .LBB94_166
.LBB94_133:                             ;   in Loop: Header=BB94_110 Depth=2
	s_or_b64 exec, exec, s[2:3]
	v_mov_b32_e32 v6, 0
	s_and_saveexec_b64 s[2:3], s[40:41]
	s_cbranch_execnz .LBB94_167
.LBB94_134:                             ;   in Loop: Header=BB94_110 Depth=2
	s_or_b64 exec, exec, s[2:3]
	s_and_saveexec_b64 s[2:3], s[42:43]
	s_cbranch_execnz .LBB94_168
.LBB94_135:                             ;   in Loop: Header=BB94_110 Depth=2
	s_or_b64 exec, exec, s[2:3]
	v_mov_b32_e32 v7, 0
	s_and_saveexec_b64 s[2:3], s[44:45]
	s_cbranch_execnz .LBB94_169
.LBB94_136:                             ;   in Loop: Header=BB94_110 Depth=2
	s_or_b64 exec, exec, s[2:3]
	s_and_saveexec_b64 s[2:3], s[46:47]
	s_cbranch_execnz .LBB94_170
.LBB94_137:                             ;   in Loop: Header=BB94_110 Depth=2
	s_or_b64 exec, exec, s[2:3]
	v_mov_b32_e32 v48, 0
	s_and_saveexec_b64 s[2:3], s[48:49]
	s_cbranch_execnz .LBB94_171
.LBB94_138:                             ;   in Loop: Header=BB94_110 Depth=2
	s_or_b64 exec, exec, s[2:3]
	s_and_saveexec_b64 s[2:3], s[50:51]
	s_cbranch_execnz .LBB94_172
.LBB94_139:                             ;   in Loop: Header=BB94_110 Depth=2
	s_or_b64 exec, exec, s[2:3]
	v_mov_b32_e32 v49, 0
	s_and_saveexec_b64 s[2:3], s[52:53]
	s_cbranch_execnz .LBB94_173
.LBB94_140:                             ;   in Loop: Header=BB94_110 Depth=2
	s_or_b64 exec, exec, s[2:3]
	s_and_saveexec_b64 s[2:3], s[54:55]
	s_cbranch_execnz .LBB94_174
.LBB94_141:                             ;   in Loop: Header=BB94_110 Depth=2
	s_or_b64 exec, exec, s[2:3]
	v_mov_b32_e32 v51, 0
	s_and_saveexec_b64 s[2:3], s[56:57]
	s_cbranch_execnz .LBB94_175
.LBB94_142:                             ;   in Loop: Header=BB94_110 Depth=2
	s_or_b64 exec, exec, s[2:3]
	s_and_saveexec_b64 s[2:3], s[58:59]
	s_cbranch_execz .LBB94_144
.LBB94_143:                             ;   in Loop: Header=BB94_110 Depth=2
	global_load_ushort v0, v[0:1], off offset:1920
	s_waitcnt vmcnt(0)
	v_lshl_or_b32 v51, v0, 16, v51
.LBB94_144:                             ;   in Loop: Header=BB94_110 Depth=2
	s_or_b64 exec, exec, s[2:3]
	s_waitcnt vmcnt(0)
	ds_write_b16 v84, v3 offset:4224
	ds_write_b16 v101, v2 offset:128
	;; [unrolled: 1-line block ×3, first 2 shown]
	ds_write_b16_d16_hi v103, v4 offset:384
	ds_write_b16 v104, v5 offset:512
	ds_write_b16_d16_hi v105, v5 offset:640
	ds_write_b16 v106, v6 offset:768
	;; [unrolled: 2-line block ×6, first 2 shown]
	ds_write_b16_d16_hi v115, v51 offset:1920
	; wave barrier
	ds_read_b128 v[4:7], v100 offset:4224
	ds_read_b128 v[0:3], v116 offset:16
	s_andn2_b64 vcc, exec, s[94:95]
	s_cbranch_vccnz .LBB94_176
; %bb.145:                              ;   in Loop: Header=BB94_110 Depth=2
	v_mov_b32_e32 v48, s9
	ds_read_b64 v[48:49], v48
	s_cbranch_execz .LBB94_177
	s_branch .LBB94_180
.LBB94_146:                             ;   in Loop: Header=BB94_110 Depth=2
	global_load_ushort v3, v[0:1], off
	s_or_b64 exec, exec, s[2:3]
	s_and_saveexec_b64 s[2:3], s[28:29]
	s_cbranch_execz .LBB94_112
.LBB94_147:                             ;   in Loop: Header=BB94_110 Depth=2
	global_load_ushort v2, v[0:1], off offset:128
	s_or_b64 exec, exec, s[2:3]
	v_mov_b32_e32 v4, 0
	s_and_saveexec_b64 s[2:3], s[30:31]
	s_cbranch_execz .LBB94_113
.LBB94_148:                             ;   in Loop: Header=BB94_110 Depth=2
	global_load_ushort v4, v[0:1], off offset:256
	s_or_b64 exec, exec, s[2:3]
	s_and_saveexec_b64 s[2:3], s[34:35]
	s_cbranch_execz .LBB94_114
.LBB94_149:                             ;   in Loop: Header=BB94_110 Depth=2
	global_load_ushort v5, v[0:1], off offset:384
	s_waitcnt vmcnt(0)
	v_lshl_or_b32 v4, v5, 16, v4
	s_or_b64 exec, exec, s[2:3]
	v_mov_b32_e32 v5, 0
	s_and_saveexec_b64 s[2:3], s[36:37]
	s_cbranch_execz .LBB94_115
.LBB94_150:                             ;   in Loop: Header=BB94_110 Depth=2
	global_load_ushort v5, v[0:1], off offset:512
	s_or_b64 exec, exec, s[2:3]
	s_and_saveexec_b64 s[2:3], s[38:39]
	s_cbranch_execz .LBB94_116
.LBB94_151:                             ;   in Loop: Header=BB94_110 Depth=2
	global_load_ushort v6, v[0:1], off offset:640
	s_waitcnt vmcnt(0)
	v_lshl_or_b32 v5, v6, 16, v5
	s_or_b64 exec, exec, s[2:3]
	v_mov_b32_e32 v6, 0
	s_and_saveexec_b64 s[2:3], s[40:41]
	s_cbranch_execz .LBB94_117
.LBB94_152:                             ;   in Loop: Header=BB94_110 Depth=2
	global_load_ushort v6, v[0:1], off offset:768
	s_or_b64 exec, exec, s[2:3]
	s_and_saveexec_b64 s[2:3], s[42:43]
	s_cbranch_execz .LBB94_118
.LBB94_153:                             ;   in Loop: Header=BB94_110 Depth=2
	global_load_ushort v7, v[0:1], off offset:896
	s_waitcnt vmcnt(0)
	v_lshl_or_b32 v6, v7, 16, v6
	s_or_b64 exec, exec, s[2:3]
	v_mov_b32_e32 v7, 0
	s_and_saveexec_b64 s[2:3], s[44:45]
	s_cbranch_execz .LBB94_119
.LBB94_154:                             ;   in Loop: Header=BB94_110 Depth=2
	global_load_ushort v7, v[0:1], off offset:1024
	s_or_b64 exec, exec, s[2:3]
	s_and_saveexec_b64 s[2:3], s[46:47]
	s_cbranch_execz .LBB94_120
.LBB94_155:                             ;   in Loop: Header=BB94_110 Depth=2
	global_load_ushort v8, v[0:1], off offset:1152
	s_waitcnt vmcnt(0)
	v_lshl_or_b32 v7, v8, 16, v7
	s_or_b64 exec, exec, s[2:3]
	v_mov_b32_e32 v8, 0
	s_and_saveexec_b64 s[2:3], s[48:49]
	s_cbranch_execz .LBB94_121
.LBB94_156:                             ;   in Loop: Header=BB94_110 Depth=2
	global_load_ushort v8, v[0:1], off offset:1280
	s_or_b64 exec, exec, s[2:3]
	s_and_saveexec_b64 s[2:3], s[50:51]
	s_cbranch_execz .LBB94_122
.LBB94_157:                             ;   in Loop: Header=BB94_110 Depth=2
	global_load_ushort v9, v[0:1], off offset:1408
	s_waitcnt vmcnt(0)
	v_lshl_or_b32 v8, v9, 16, v8
	s_or_b64 exec, exec, s[2:3]
	v_mov_b32_e32 v9, 0
	s_and_saveexec_b64 s[2:3], s[52:53]
	s_cbranch_execz .LBB94_123
.LBB94_158:                             ;   in Loop: Header=BB94_110 Depth=2
	global_load_ushort v9, v[0:1], off offset:1536
	s_or_b64 exec, exec, s[2:3]
	s_and_saveexec_b64 s[2:3], s[54:55]
	s_cbranch_execz .LBB94_124
.LBB94_159:                             ;   in Loop: Header=BB94_110 Depth=2
	global_load_ushort v10, v[0:1], off offset:1664
	s_waitcnt vmcnt(0)
	v_lshl_or_b32 v9, v10, 16, v9
	s_or_b64 exec, exec, s[2:3]
	v_mov_b32_e32 v10, 0
	s_and_saveexec_b64 s[2:3], s[56:57]
	s_cbranch_execz .LBB94_125
.LBB94_160:                             ;   in Loop: Header=BB94_110 Depth=2
	global_load_ushort v10, v[0:1], off offset:1792
	s_or_b64 exec, exec, s[2:3]
	s_and_saveexec_b64 s[2:3], s[58:59]
	s_cbranch_execnz .LBB94_126
	s_branch .LBB94_127
.LBB94_161:                             ;   in Loop: Header=BB94_110 Depth=2
	global_load_ushort v3, v[0:1], off
	s_or_b64 exec, exec, s[2:3]
	s_and_saveexec_b64 s[2:3], s[28:29]
	s_cbranch_execz .LBB94_129
.LBB94_162:                             ;   in Loop: Header=BB94_110 Depth=2
	global_load_ushort v2, v[0:1], off offset:128
	s_or_b64 exec, exec, s[2:3]
	v_mov_b32_e32 v4, 0
	s_and_saveexec_b64 s[2:3], s[30:31]
	s_cbranch_execz .LBB94_130
.LBB94_163:                             ;   in Loop: Header=BB94_110 Depth=2
	global_load_ushort v4, v[0:1], off offset:256
	s_or_b64 exec, exec, s[2:3]
	s_and_saveexec_b64 s[2:3], s[34:35]
	s_cbranch_execz .LBB94_131
.LBB94_164:                             ;   in Loop: Header=BB94_110 Depth=2
	global_load_ushort v5, v[0:1], off offset:384
	s_waitcnt vmcnt(0)
	v_lshl_or_b32 v4, v5, 16, v4
	s_or_b64 exec, exec, s[2:3]
	v_mov_b32_e32 v5, 0
	s_and_saveexec_b64 s[2:3], s[36:37]
	s_cbranch_execz .LBB94_132
.LBB94_165:                             ;   in Loop: Header=BB94_110 Depth=2
	global_load_ushort v5, v[0:1], off offset:512
	s_or_b64 exec, exec, s[2:3]
	s_and_saveexec_b64 s[2:3], s[38:39]
	s_cbranch_execz .LBB94_133
.LBB94_166:                             ;   in Loop: Header=BB94_110 Depth=2
	global_load_ushort v6, v[0:1], off offset:640
	s_waitcnt vmcnt(0)
	v_lshl_or_b32 v5, v6, 16, v5
	s_or_b64 exec, exec, s[2:3]
	v_mov_b32_e32 v6, 0
	s_and_saveexec_b64 s[2:3], s[40:41]
	s_cbranch_execz .LBB94_134
.LBB94_167:                             ;   in Loop: Header=BB94_110 Depth=2
	global_load_ushort v6, v[0:1], off offset:768
	s_or_b64 exec, exec, s[2:3]
	s_and_saveexec_b64 s[2:3], s[42:43]
	s_cbranch_execz .LBB94_135
.LBB94_168:                             ;   in Loop: Header=BB94_110 Depth=2
	global_load_ushort v7, v[0:1], off offset:896
	s_waitcnt vmcnt(0)
	v_lshl_or_b32 v6, v7, 16, v6
	s_or_b64 exec, exec, s[2:3]
	v_mov_b32_e32 v7, 0
	s_and_saveexec_b64 s[2:3], s[44:45]
	s_cbranch_execz .LBB94_136
.LBB94_169:                             ;   in Loop: Header=BB94_110 Depth=2
	global_load_ushort v7, v[0:1], off offset:1024
	s_or_b64 exec, exec, s[2:3]
	s_and_saveexec_b64 s[2:3], s[46:47]
	s_cbranch_execz .LBB94_137
.LBB94_170:                             ;   in Loop: Header=BB94_110 Depth=2
	global_load_ushort v48, v[0:1], off offset:1152
	s_waitcnt vmcnt(0)
	v_lshl_or_b32 v7, v48, 16, v7
	s_or_b64 exec, exec, s[2:3]
	v_mov_b32_e32 v48, 0
	s_and_saveexec_b64 s[2:3], s[48:49]
	s_cbranch_execz .LBB94_138
.LBB94_171:                             ;   in Loop: Header=BB94_110 Depth=2
	global_load_ushort v48, v[0:1], off offset:1280
	s_or_b64 exec, exec, s[2:3]
	s_and_saveexec_b64 s[2:3], s[50:51]
	s_cbranch_execz .LBB94_139
.LBB94_172:                             ;   in Loop: Header=BB94_110 Depth=2
	global_load_ushort v49, v[0:1], off offset:1408
	s_waitcnt vmcnt(0)
	v_lshl_or_b32 v48, v49, 16, v48
	s_or_b64 exec, exec, s[2:3]
	v_mov_b32_e32 v49, 0
	s_and_saveexec_b64 s[2:3], s[52:53]
	s_cbranch_execz .LBB94_140
.LBB94_173:                             ;   in Loop: Header=BB94_110 Depth=2
	global_load_ushort v49, v[0:1], off offset:1536
	s_or_b64 exec, exec, s[2:3]
	s_and_saveexec_b64 s[2:3], s[54:55]
	s_cbranch_execz .LBB94_141
.LBB94_174:                             ;   in Loop: Header=BB94_110 Depth=2
	global_load_ushort v51, v[0:1], off offset:1664
	s_waitcnt vmcnt(0)
	v_lshl_or_b32 v49, v51, 16, v49
	s_or_b64 exec, exec, s[2:3]
	v_mov_b32_e32 v51, 0
	s_and_saveexec_b64 s[2:3], s[56:57]
	s_cbranch_execz .LBB94_142
.LBB94_175:                             ;   in Loop: Header=BB94_110 Depth=2
	global_load_ushort v51, v[0:1], off offset:1792
	s_or_b64 exec, exec, s[2:3]
	s_and_saveexec_b64 s[2:3], s[58:59]
	s_cbranch_execnz .LBB94_143
	s_branch .LBB94_144
.LBB94_176:                             ;   in Loop: Header=BB94_110 Depth=2
                                        ; implicit-def: $vgpr49
.LBB94_177:                             ;   in Loop: Header=BB94_110 Depth=2
	v_readlane_b32 s2, v167, 0
	v_readlane_b32 s3, v167, 1
	s_andn2_b64 vcc, exec, s[2:3]
	s_waitcnt lgkmcnt(0)
	v_mov_b32_e32 v49, 0
	s_cbranch_vccnz .LBB94_179
; %bb.178:                              ;   in Loop: Header=BB94_110 Depth=2
	s_mov_b32 s5, s7
	s_lshl_b64 s[2:3], s[4:5], 1
	v_readlane_b32 s5, v167, 28
	s_add_u32 s2, s5, s2
	v_readlane_b32 s5, v167, 29
	s_addc_u32 s3, s5, s3
	global_load_ushort v48, v17, s[2:3]
	s_waitcnt vmcnt(0)
	v_cvt_f32_f16_e32 v49, v48
.LBB94_179:                             ;   in Loop: Header=BB94_110 Depth=2
	v_mov_b32_e32 v48, 1.0
.LBB94_180:                             ;   in Loop: Header=BB94_110 Depth=2
	s_waitcnt lgkmcnt(14)
	v_cvt_f32_f16_e32 v55, v8
	v_cvt_f32_f16_sdwa v56, v8 dst_sel:DWORD dst_unused:UNUSED_PAD src0_sel:WORD_1
	v_mul_f32_e32 v8, 0x3fb8aa3b, v50
	v_cvt_f32_f16_e32 v57, v9
	v_cvt_f32_f16_sdwa v59, v9 dst_sel:DWORD dst_unused:UNUSED_PAD src0_sel:WORD_1
	v_mul_f32_e32 v9, v8, v139
	v_cmp_gt_f32_e32 vcc, s33, v9
	v_cvt_f32_f16_e32 v60, v10
	v_cvt_f32_f16_sdwa v61, v10 dst_sel:DWORD dst_unused:UNUSED_PAD src0_sel:WORD_1
	v_cndmask_b32_e32 v9, 0, v137, vcc
	v_fmac_f32_e32 v9, v8, v139
	v_exp_f32_e32 v9, v9
	v_cndmask_b32_e32 v10, 1.0, v138, vcc
	v_cvt_f32_f16_e32 v51, v12
	v_cvt_f32_f16_e32 v64, v11
	v_mul_f32_e32 v9, v9, v10
	v_cndmask_b32_e64 v120, 1.0, v9, s[60:61]
	v_mul_f32_e32 v9, v8, v140
	v_cmp_gt_f32_e32 vcc, s33, v9
	v_mul_f32_e32 v10, v165, v51
	v_cndmask_b32_e64 v166, 0, v10, s[60:61]
	v_cndmask_b32_e32 v9, 0, v137, vcc
	v_fmac_f32_e32 v9, v8, v140
	v_exp_f32_e32 v9, v9
	v_cndmask_b32_e32 v10, 1.0, v138, vcc
	v_cvt_f32_f16_sdwa v58, v11 dst_sel:DWORD dst_unused:UNUSED_PAD src0_sel:WORD_1
	v_cvt_f32_f16_sdwa v12, v12 dst_sel:DWORD dst_unused:UNUSED_PAD src0_sel:WORD_1
	v_mul_f32_e32 v10, v9, v10
	v_cndmask_b32_e64 v121, 1.0, v10, s[62:63]
	v_mul_f32_e32 v10, v8, v141
	v_cmp_gt_f32_e32 vcc, s33, v10
	v_mul_f32_e32 v9, v164, v12
	v_cvt_f32_f16_e32 v52, v13
	v_cndmask_b32_e32 v10, 0, v137, vcc
	v_fmac_f32_e32 v10, v8, v141
	v_exp_f32_e32 v10, v10
	v_cndmask_b32_e32 v11, 1.0, v138, vcc
	v_cvt_f32_f16_sdwa v13, v13 dst_sel:DWORD dst_unused:UNUSED_PAD src0_sel:WORD_1
	v_cvt_f32_f16_e32 v53, v14
	v_mul_f32_e32 v11, v10, v11
	v_cndmask_b32_e64 v122, 1.0, v11, s[64:65]
	v_mul_f32_e32 v11, v8, v142
	v_cmp_gt_f32_e32 vcc, s33, v11
	v_cvt_f32_f16_sdwa v14, v14 dst_sel:DWORD dst_unused:UNUSED_PAD src0_sel:WORD_1
	v_mul_f32_e32 v10, v163, v52
	v_cndmask_b32_e32 v11, 0, v137, vcc
	v_fmac_f32_e32 v11, v8, v142
	v_exp_f32_e32 v11, v11
	v_cndmask_b32_e32 v12, 1.0, v138, vcc
	v_cvt_f32_f16_e32 v54, v15
	v_cndmask_b32_e64 v9, 0, v9, s[62:63]
	v_mul_f32_e32 v12, v11, v12
	v_cndmask_b32_e64 v123, 1.0, v12, s[66:67]
	v_mul_f32_e32 v12, v8, v143
	v_cmp_gt_f32_e32 vcc, s33, v12
	v_mul_f32_e32 v11, v162, v13
	v_pk_mul_f32 v[62:63], v[8:9], v[26:27] op_sel_hi:[0,1]
	v_cndmask_b32_e32 v12, 0, v137, vcc
	v_fmac_f32_e32 v12, v8, v143
	v_exp_f32_e32 v12, v12
	v_cndmask_b32_e32 v13, 1.0, v138, vcc
	v_mul_f32_e32 v58, v25, v58
	v_cvt_f32_f16_sdwa v15, v15 dst_sel:DWORD dst_unused:UNUSED_PAD src0_sel:WORD_1
	v_mul_f32_e32 v13, v12, v13
	v_cndmask_b32_e64 v124, 1.0, v13, s[68:69]
	v_mul_f32_e32 v13, v8, v144
	v_cmp_gt_f32_e32 vcc, s33, v13
	v_mul_f32_e32 v12, v161, v53
	v_cndmask_b32_e64 v10, 0, v10, s[64:65]
	v_cndmask_b32_e32 v13, 0, v137, vcc
	v_fmac_f32_e32 v13, v8, v144
	v_exp_f32_e32 v13, v13
	v_cndmask_b32_e32 v50, 1.0, v138, vcc
	v_cndmask_b32_e64 v11, 0, v11, s[66:67]
	v_cndmask_b32_e64 v12, 0, v12, s[68:69]
	v_mul_f32_e32 v50, v13, v50
	v_mul_f32_e32 v13, v160, v14
	;; [unrolled: 1-line block ×3, first 2 shown]
	v_cmp_gt_f32_e32 vcc, s33, v14
	v_cndmask_b32_e64 v125, 1.0, v50, s[70:71]
	v_cndmask_b32_e64 v13, 0, v13, s[70:71]
	v_cndmask_b32_e32 v14, 0, v137, vcc
	v_fmac_f32_e32 v14, v8, v145
	v_exp_f32_e32 v14, v14
	v_cndmask_b32_e32 v50, 1.0, v138, vcc
	v_mul_f32_e32 v15, v158, v15
	v_cndmask_b32_e64 v15, 0, v15, s[74:75]
	v_mul_f32_e32 v50, v14, v50
	v_cndmask_b32_e64 v126, 1.0, v50, s[72:73]
	v_mul_f32_e32 v50, v8, v146
	v_cmp_gt_f32_e32 vcc, s33, v50
	v_mul_f32_e32 v14, v159, v54
	v_cndmask_b32_e64 v14, 0, v14, s[72:73]
	v_cndmask_b32_e32 v50, 0, v137, vcc
	v_fmac_f32_e32 v50, v8, v146
	v_exp_f32_e32 v50, v50
	v_cndmask_b32_e32 v51, 1.0, v138, vcc
	v_readlane_b32 s10, v167, 40
	v_readlane_b32 s11, v167, 41
	v_mul_f32_e32 v50, v50, v51
	v_cndmask_b32_e64 v127, 1.0, v50, s[74:75]
	v_mul_f32_e32 v50, v8, v147
	v_cmp_gt_f32_e32 vcc, s33, v50
	s_nop 1
	v_cndmask_b32_e32 v50, 0, v137, vcc
	v_fmac_f32_e32 v50, v8, v147
	v_exp_f32_e32 v50, v50
	v_cndmask_b32_e32 v51, 1.0, v138, vcc
	v_mul_f32_e32 v51, v50, v51
	v_cndmask_b32_e64 v128, 1.0, v51, s[76:77]
	v_mul_f32_e32 v51, v8, v148
	v_cmp_gt_f32_e32 vcc, s33, v51
	v_mul_f32_e32 v50, v157, v55
	v_cndmask_b32_e64 v50, 0, v50, s[76:77]
	v_cndmask_b32_e32 v51, 0, v137, vcc
	v_fmac_f32_e32 v51, v8, v148
	v_exp_f32_e32 v51, v51
	v_cndmask_b32_e32 v52, 1.0, v138, vcc
	v_mul_f32_e32 v52, v51, v52
	v_cndmask_b32_e64 v129, 1.0, v52, s[78:79]
	v_mul_f32_e32 v52, v8, v149
	v_cmp_gt_f32_e32 vcc, s33, v52
	v_mul_f32_e32 v51, v156, v56
	v_cndmask_b32_e64 v51, 0, v51, s[78:79]
	v_cndmask_b32_e32 v52, 0, v137, vcc
	v_fmac_f32_e32 v52, v8, v149
	v_exp_f32_e32 v52, v52
	v_cndmask_b32_e32 v53, 1.0, v138, vcc
	v_mul_f32_e32 v52, v52, v53
	v_cndmask_b32_e64 v130, 1.0, v52, s[80:81]
	v_mul_f32_e32 v52, v8, v150
	v_cmp_gt_f32_e32 vcc, s33, v52
	v_mul_f32_e32 v53, v155, v57
	v_cndmask_b32_e64 v54, 0, v53, s[80:81]
	v_cndmask_b32_e32 v52, 0, v137, vcc
	v_fmac_f32_e32 v52, v8, v150
	v_exp_f32_e32 v52, v52
	v_cndmask_b32_e32 v53, 1.0, v138, vcc
	v_mul_f32_e32 v52, v52, v53
	v_cndmask_b32_e64 v131, 1.0, v52, s[82:83]
	v_mul_f32_e32 v52, v8, v151
	v_cmp_gt_f32_e32 vcc, s33, v52
	v_mul_f32_e32 v53, v154, v59
	v_cndmask_b32_e64 v55, 0, v53, s[82:83]
	v_cndmask_b32_e32 v52, 0, v137, vcc
	v_fmac_f32_e32 v52, v8, v151
	v_exp_f32_e32 v52, v52
	v_cndmask_b32_e32 v53, 1.0, v138, vcc
	v_mul_f32_e32 v53, v52, v53
	v_mul_f32_e32 v52, v153, v60
	v_cndmask_b32_e64 v60, 1.0, v53, s[84:85]
	v_mul_f32_e32 v53, v8, v152
	v_cmp_gt_f32_e32 vcc, s33, v53
	v_cndmask_b32_e64 v52, 0, v52, s[84:85]
	s_nop 0
	v_cndmask_b32_e32 v53, 0, v137, vcc
	v_fmac_f32_e32 v53, v8, v152
	v_cndmask_b32_e32 v56, 1.0, v138, vcc
	v_mul_f32_e32 v8, v16, v64
	v_cmp_gt_f32_e32 vcc, s33, v62
	v_cndmask_b32_e64 v57, 0, v8, s[90:91]
	v_exp_f32_e32 v53, v53
	v_cndmask_b32_e32 v8, 0, v137, vcc
	v_add_f32_e32 v8, v62, v8
	v_exp_f32_e32 v8, v8
	v_cndmask_b32_e32 v59, 1.0, v138, vcc
	v_cmp_gt_f32_e32 vcc, s33, v63
	v_mul_f32_e32 v56, v53, v56
	v_mul_f32_e32 v8, v8, v59
	v_cndmask_b32_e32 v59, 0, v137, vcc
	v_add_f32_e32 v59, v63, v59
	v_exp_f32_e32 v59, v59
	v_mul_f32_e32 v53, v23, v61
	v_cndmask_b32_e32 v61, 1.0, v138, vcc
	v_cndmask_b32_e64 v62, 1.0, v8, s[90:91]
	v_mul_f32_e32 v61, v59, v61
	v_cndmask_b32_e64 v59, 0, v58, s[88:89]
	v_mul_f32_e32 v8, v121, v120
	v_fma_f32 v58, v121, v166, v9
	v_mul_f32_e32 v8, v8, v122
	v_fma_f32 v58, v58, v122, v10
	v_mul_f32_e32 v8, v8, v123
	v_fma_f32 v58, v58, v123, v11
	v_mul_f32_e32 v8, v8, v124
	v_fma_f32 v58, v58, v124, v12
	v_mul_f32_e32 v8, v8, v125
	v_fma_f32 v58, v58, v125, v13
	v_mul_f32_e32 v8, v8, v126
	v_fma_f32 v58, v58, v126, v14
	v_mul_f32_e32 v8, v8, v127
	v_fma_f32 v58, v58, v127, v15
	v_mul_f32_e32 v8, v8, v128
	v_fma_f32 v58, v58, v128, v50
	v_mul_f32_e32 v8, v8, v129
	v_fma_f32 v58, v58, v129, v51
	v_mul_f32_e32 v8, v8, v130
	v_fma_f32 v58, v58, v130, v54
	v_mul_f32_e32 v64, v8, v131
	v_fma_f32 v8, v58, v131, v55
	v_cndmask_b32_e64 v53, 0, v53, s[86:87]
	v_cndmask_b32_e64 v56, 1.0, v56, s[86:87]
	v_fma_f32 v8, v8, v60, v52
	v_cndmask_b32_e64 v63, 1.0, v61, s[88:89]
	v_fma_f32 v65, v8, v56, v53
	v_mov_b32_e32 v61, v62
	v_pk_mul_f32 v[132:133], v[64:65], v[60:61]
	v_pk_fma_f32 v[64:65], v[64:65], v[60:61], v[56:57]
	v_pk_mul_f32 v[132:133], v[132:133], v[56:57]
	v_mov_b32_e32 v66, v63
	v_mov_b32_e32 v133, v65
	;; [unrolled: 1-line block ×3, first 2 shown]
	v_pk_mul_f32 v[64:65], v[132:133], v[62:63]
	v_mov_b32_e32 v58, v63
	v_pk_mul_f32 v[66:67], v[64:65], v[66:67]
	v_pk_fma_f32 v[64:65], v[132:133], v[62:63], v[58:59]
	s_nop 0
	v_mov_b32_dpp v8, v66 row_shr:1 row_mask:0xf bank_mask:0xf
	v_mov_b32_dpp v58, v65 row_shr:1 row_mask:0xf bank_mask:0xf
	v_mul_f32_e32 v61, v66, v8
	v_fma_f32 v58, v66, v58, v65
	v_cndmask_b32_e64 v64, v61, v66, s[0:1]
	v_cndmask_b32_e64 v67, v58, v65, s[0:1]
	;; [unrolled: 1-line block ×4, first 2 shown]
	v_mov_b32_dpp v61, v67 row_shr:2 row_mask:0xf bank_mask:0xf
	v_mov_b32_dpp v58, v66 row_shr:2 row_mask:0xf bank_mask:0xf
	s_and_saveexec_b64 s[2:3], s[10:11]
; %bb.181:                              ;   in Loop: Header=BB94_110 Depth=2
	v_fmac_f32_e32 v67, v66, v61
	v_mul_f32_e32 v66, v66, v58
	v_mov_b32_e32 v64, v66
	v_mov_b32_e32 v8, v67
; %bb.182:                              ;   in Loop: Header=BB94_110 Depth=2
	s_or_b64 exec, exec, s[2:3]
	v_readlane_b32 s10, v167, 42
	v_mov_b32_dpp v58, v66 row_shr:4 row_mask:0xf bank_mask:0xf
	v_mov_b32_dpp v61, v67 row_shr:4 row_mask:0xf bank_mask:0xf
	v_readlane_b32 s11, v167, 43
	s_and_saveexec_b64 s[2:3], s[10:11]
; %bb.183:                              ;   in Loop: Header=BB94_110 Depth=2
	v_fmac_f32_e32 v67, v66, v61
	v_mul_f32_e32 v66, v66, v58
	v_mov_b32_e32 v64, v66
	v_mov_b32_e32 v8, v67
; %bb.184:                              ;   in Loop: Header=BB94_110 Depth=2
	s_or_b64 exec, exec, s[2:3]
	v_readlane_b32 s10, v167, 44
	v_mov_b32_dpp v58, v66 row_shr:8 row_mask:0xf bank_mask:0xf
	v_mov_b32_dpp v61, v67 row_shr:8 row_mask:0xf bank_mask:0xf
	v_readlane_b32 s11, v167, 45
	s_and_saveexec_b64 s[2:3], s[10:11]
; %bb.185:                              ;   in Loop: Header=BB94_110 Depth=2
	v_fmac_f32_e32 v67, v66, v61
	v_mul_f32_e32 v66, v66, v58
	v_mov_b32_e32 v64, v66
	v_mov_b32_e32 v8, v67
; %bb.186:                              ;   in Loop: Header=BB94_110 Depth=2
	s_or_b64 exec, exec, s[2:3]
	v_readlane_b32 s10, v167, 46
	v_mov_b32_dpp v58, v66 row_bcast:15 row_mask:0xf bank_mask:0xf
	v_mov_b32_dpp v61, v67 row_bcast:15 row_mask:0xf bank_mask:0xf
	v_readlane_b32 s11, v167, 47
	s_and_saveexec_b64 s[2:3], s[10:11]
; %bb.187:                              ;   in Loop: Header=BB94_110 Depth=2
	v_fmac_f32_e32 v67, v66, v61
	v_mul_f32_e32 v66, v66, v58
	v_mov_b32_e32 v64, v66
	v_mov_b32_e32 v8, v67
; %bb.188:                              ;   in Loop: Header=BB94_110 Depth=2
	s_or_b64 exec, exec, s[2:3]
	v_readlane_b32 s10, v167, 48
	v_mov_b32_dpp v61, v66 row_bcast:31 row_mask:0xf bank_mask:0xf
	v_mov_b32_dpp v58, v67 row_bcast:31 row_mask:0xf bank_mask:0xf
	v_readlane_b32 s11, v167, 49
	s_and_saveexec_b64 s[2:3], s[10:11]
; %bb.189:                              ;   in Loop: Header=BB94_110 Depth=2
	v_fmac_f32_e32 v67, v66, v58
	v_mul_f32_e32 v64, v66, v61
	v_mov_b32_e32 v65, v67
	v_mov_b32_e32 v8, v67
	v_mov_b64_e32 v[66:67], v[64:65]
; %bb.190:                              ;   in Loop: Header=BB94_110 Depth=2
	s_or_b64 exec, exec, s[2:3]
	v_readlane_b32 s10, v167, 50
	v_readlane_b32 s11, v167, 51
	s_and_saveexec_b64 s[2:3], s[10:11]
	s_cbranch_execz .LBB94_192
; %bb.191:                              ;   in Loop: Header=BB94_110 Depth=2
	ds_write_b64 v117, v[66:67] offset:8448
.LBB94_192:                             ;   in Loop: Header=BB94_110 Depth=2
	s_or_b64 exec, exec, s[2:3]
	v_readlane_b32 s10, v167, 52
	v_readlane_b32 s11, v167, 53
	s_waitcnt lgkmcnt(0)
	s_barrier
	s_and_saveexec_b64 s[2:3], s[10:11]
	s_cbranch_execz .LBB94_194
; %bb.193:                              ;   in Loop: Header=BB94_110 Depth=2
	ds_read_b64 v[66:67], v118 offset:8448
	v_readlane_b32 s10, v167, 54
	v_readlane_b32 s11, v167, 55
	s_waitcnt lgkmcnt(0)
	v_mov_b32_dpp v58, v66 row_shr:1 row_mask:0xf bank_mask:0xf
	v_mov_b32_dpp v61, v67 row_shr:1 row_mask:0xf bank_mask:0xf
	v_fma_f32 v61, v66, v61, v67
	v_mul_f32_e32 v58, v66, v58
	v_cndmask_b32_e64 v66, v58, v66, s[10:11]
	v_cndmask_b32_e64 v67, v61, v67, s[10:11]
	ds_write_b64 v118, v[66:67] offset:8448
.LBB94_194:                             ;   in Loop: Header=BB94_110 Depth=2
	s_or_b64 exec, exec, s[2:3]
	s_waitcnt lgkmcnt(0)
	s_barrier
	s_waitcnt lgkmcnt(0)
                                        ; implicit-def: $vgpr66
	s_and_saveexec_b64 s[2:3], s[20:21]
	s_cbranch_execz .LBB94_196
; %bb.195:                              ;   in Loop: Header=BB94_110 Depth=2
	ds_read_b64 v[66:67], v117 offset:8440
	s_waitcnt lgkmcnt(0)
	v_mul_f32_e32 v58, v64, v66
	v_fmac_f32_e32 v8, v64, v67
	v_mov_b32_e32 v64, v58
.LBB94_196:                             ;   in Loop: Header=BB94_110 Depth=2
	s_or_b64 exec, exec, s[2:3]
	ds_bpermute_b32 v58, v119, v64
	ds_bpermute_b32 v8, v119, v8
	v_readlane_b32 s10, v167, 56
	v_mov_b32_e32 v65, v49
	v_readlane_b32 s11, v167, 57
	s_and_saveexec_b64 s[2:3], s[10:11]
	s_cbranch_execz .LBB94_200
; %bb.197:                              ;   in Loop: Header=BB94_110 Depth=2
	ds_read_b64 v[64:65], v17 offset:8456
	s_and_saveexec_b64 vcc, s[22:23]
	s_cbranch_execz .LBB94_199
; %bb.198:                              ;   in Loop: Header=BB94_110 Depth=2
	ds_write_b64 v17, v[48:49] offset:8456
.LBB94_199:                             ;   in Loop: Header=BB94_110 Depth=2
	s_or_b64 exec, exec, vcc
	s_waitcnt lgkmcnt(0)
	v_fmac_f32_e32 v65, v49, v64
	v_mul_f32_e32 v48, v48, v64
	v_mov_b32_e32 v49, v65
.LBB94_200:                             ;   in Loop: Header=BB94_110 Depth=2
	s_or_b64 exec, exec, s[2:3]
	s_waitcnt lgkmcnt(0)
	s_barrier
	ds_read_b32 v61, v17 offset:8460
	s_and_saveexec_b64 s[2:3], s[22:23]
	s_cbranch_execz .LBB94_109
; %bb.201:                              ;   in Loop: Header=BB94_110 Depth=2
	v_mov_b32_e32 v64, s9
	s_andn2_b64 vcc, exec, s[96:97]
	ds_write_b64 v64, v[48:49]
	s_cbranch_vccnz .LBB94_109
; %bb.202:                              ;   in Loop: Header=BB94_110 Depth=2
	s_mov_b32 s5, s7
	v_cvt_f16_f32_e32 v48, v65
	s_lshl_b64 s[10:11], s[4:5], 1
	v_readlane_b32 s5, v167, 28
	s_add_u32 s10, s5, s10
	v_readlane_b32 s5, v167, 29
	s_addc_u32 s11, s5, s11
	global_store_short v17, v48, s[10:11]
	s_branch .LBB94_109
.LBB94_203:                             ;   in Loop: Header=BB94_13 Depth=1
	s_mov_b32 s6, 0x41a00000
	s_mov_b32 s10, 0x3fb8aa3b
	s_mov_b32 s11, 0xc2ce8ed0
	s_mov_b32 s12, 0x42b17218
	s_mov_b32 s13, 0x7f800000
	s_mov_b32 s14, 0x3f2aaaab
	s_mov_b32 s15, 0x3f317218
	s_mov_b32 s16, 0x33800000
.LBB94_204:                             ;   in Loop: Header=BB94_13 Depth=1
	v_cvt_f16_f32_e32 v0, v43
	v_cvt_f16_f32_e32 v4, v42
	;; [unrolled: 1-line block ×16, first 2 shown]
	v_pack_b32_f16 v3, v7, v3
	v_pack_b32_f16 v2, v6, v2
	;; [unrolled: 1-line block ×4, first 2 shown]
	s_barrier
	ds_write_b128 v100, v[0:3]
	v_pack_b32_f16 v3, v15, v14
	v_pack_b32_f16 v2, v13, v12
	v_pack_b32_f16 v1, v11, v10
	v_pack_b32_f16 v0, v9, v8
	ds_write_b128 v100, v[0:3] offset:16
	; wave barrier
	ds_read_u16 v16, v85 offset:128
	ds_read_u16 v15, v86 offset:256
	;; [unrolled: 1-line block ×15, first 2 shown]
	v_readlane_b32 s2, v167, 60
	v_readlane_b32 s3, v167, 61
	s_mov_b32 s3, s7
	s_nop 0
	v_lshl_add_u64 v[0:1], s[2:3], 1, v[20:21]
	s_and_saveexec_b64 s[2:3], s[26:27]
	s_cbranch_execz .LBB94_206
; %bb.205:                              ;   in Loop: Header=BB94_13 Depth=1
	ds_read_u16 v23, v84
	s_waitcnt lgkmcnt(0)
	global_store_short v[0:1], v23, off
.LBB94_206:                             ;   in Loop: Header=BB94_13 Depth=1
	s_or_b64 exec, exec, s[2:3]
	s_and_saveexec_b64 s[2:3], s[28:29]
	v_readlane_b32 s8, v167, 62
	v_readlane_b32 s9, v167, 63
	s_cbranch_execnz .LBB94_223
; %bb.207:                              ;   in Loop: Header=BB94_13 Depth=1
	s_or_b64 exec, exec, s[2:3]
	s_and_saveexec_b64 s[2:3], s[30:31]
	s_cbranch_execnz .LBB94_224
.LBB94_208:                             ;   in Loop: Header=BB94_13 Depth=1
	s_or_b64 exec, exec, s[2:3]
	s_and_saveexec_b64 s[2:3], s[34:35]
	s_cbranch_execnz .LBB94_225
.LBB94_209:                             ;   in Loop: Header=BB94_13 Depth=1
	s_or_b64 exec, exec, s[2:3]
	s_and_saveexec_b64 s[2:3], s[36:37]
	s_cbranch_execnz .LBB94_226
.LBB94_210:                             ;   in Loop: Header=BB94_13 Depth=1
	s_or_b64 exec, exec, s[2:3]
	s_and_saveexec_b64 s[2:3], s[38:39]
	s_cbranch_execnz .LBB94_227
.LBB94_211:                             ;   in Loop: Header=BB94_13 Depth=1
	s_or_b64 exec, exec, s[2:3]
	s_and_saveexec_b64 s[2:3], s[40:41]
	s_cbranch_execnz .LBB94_228
.LBB94_212:                             ;   in Loop: Header=BB94_13 Depth=1
	s_or_b64 exec, exec, s[2:3]
	s_and_saveexec_b64 s[2:3], s[42:43]
	s_cbranch_execnz .LBB94_229
.LBB94_213:                             ;   in Loop: Header=BB94_13 Depth=1
	s_or_b64 exec, exec, s[2:3]
	s_and_saveexec_b64 s[2:3], s[44:45]
	s_cbranch_execnz .LBB94_230
.LBB94_214:                             ;   in Loop: Header=BB94_13 Depth=1
	s_or_b64 exec, exec, s[2:3]
	s_and_saveexec_b64 s[2:3], s[46:47]
	s_cbranch_execnz .LBB94_231
.LBB94_215:                             ;   in Loop: Header=BB94_13 Depth=1
	s_or_b64 exec, exec, s[2:3]
	s_and_saveexec_b64 s[2:3], s[48:49]
	s_cbranch_execnz .LBB94_232
.LBB94_216:                             ;   in Loop: Header=BB94_13 Depth=1
	s_or_b64 exec, exec, s[2:3]
	s_and_saveexec_b64 s[2:3], s[50:51]
	s_cbranch_execnz .LBB94_233
.LBB94_217:                             ;   in Loop: Header=BB94_13 Depth=1
	s_or_b64 exec, exec, s[2:3]
	s_and_saveexec_b64 s[2:3], s[52:53]
	s_cbranch_execnz .LBB94_234
.LBB94_218:                             ;   in Loop: Header=BB94_13 Depth=1
	s_or_b64 exec, exec, s[2:3]
	s_and_saveexec_b64 s[2:3], s[54:55]
	s_cbranch_execnz .LBB94_235
.LBB94_219:                             ;   in Loop: Header=BB94_13 Depth=1
	s_or_b64 exec, exec, s[2:3]
	s_and_saveexec_b64 s[2:3], s[56:57]
	s_cbranch_execnz .LBB94_236
.LBB94_220:                             ;   in Loop: Header=BB94_13 Depth=1
	s_or_b64 exec, exec, s[2:3]
	s_and_saveexec_b64 s[2:3], s[58:59]
	s_cbranch_execz .LBB94_12
	s_branch .LBB94_237
.LBB94_221:                             ;   in Loop: Header=BB94_13 Depth=1
	global_load_ushort v32, v[8:9], off offset:1664
	s_or_b64 exec, exec, s[2:3]
	s_and_saveexec_b64 s[2:3], s[56:57]
	s_cbranch_execz .LBB94_73
.LBB94_222:                             ;   in Loop: Header=BB94_13 Depth=1
	global_load_ushort v31, v[8:9], off offset:1792
	s_or_b64 exec, exec, s[2:3]
	v_mov_b32_e32 v33, 0
	s_and_saveexec_b64 s[2:3], s[58:59]
	s_cbranch_execnz .LBB94_74
	s_branch .LBB94_75
.LBB94_223:                             ;   in Loop: Header=BB94_13 Depth=1
	s_waitcnt lgkmcnt(14)
	global_store_short v[0:1], v16, off offset:128
	s_or_b64 exec, exec, s[2:3]
	s_and_saveexec_b64 s[2:3], s[30:31]
	s_cbranch_execz .LBB94_208
.LBB94_224:                             ;   in Loop: Header=BB94_13 Depth=1
	s_waitcnt lgkmcnt(13)
	global_store_short v[0:1], v15, off offset:256
	s_or_b64 exec, exec, s[2:3]
	s_and_saveexec_b64 s[2:3], s[34:35]
	s_cbranch_execz .LBB94_209
.LBB94_225:                             ;   in Loop: Header=BB94_13 Depth=1
	s_waitcnt lgkmcnt(12)
	global_store_short v[0:1], v14, off offset:384
	s_or_b64 exec, exec, s[2:3]
	s_and_saveexec_b64 s[2:3], s[36:37]
	s_cbranch_execz .LBB94_210
.LBB94_226:                             ;   in Loop: Header=BB94_13 Depth=1
	s_waitcnt lgkmcnt(11)
	global_store_short v[0:1], v13, off offset:512
	s_or_b64 exec, exec, s[2:3]
	s_and_saveexec_b64 s[2:3], s[38:39]
	s_cbranch_execz .LBB94_211
.LBB94_227:                             ;   in Loop: Header=BB94_13 Depth=1
	s_waitcnt lgkmcnt(10)
	global_store_short v[0:1], v12, off offset:640
	s_or_b64 exec, exec, s[2:3]
	s_and_saveexec_b64 s[2:3], s[40:41]
	s_cbranch_execz .LBB94_212
.LBB94_228:                             ;   in Loop: Header=BB94_13 Depth=1
	s_waitcnt lgkmcnt(9)
	global_store_short v[0:1], v11, off offset:768
	s_or_b64 exec, exec, s[2:3]
	s_and_saveexec_b64 s[2:3], s[42:43]
	s_cbranch_execz .LBB94_213
.LBB94_229:                             ;   in Loop: Header=BB94_13 Depth=1
	s_waitcnt lgkmcnt(8)
	global_store_short v[0:1], v10, off offset:896
	s_or_b64 exec, exec, s[2:3]
	s_and_saveexec_b64 s[2:3], s[44:45]
	s_cbranch_execz .LBB94_214
.LBB94_230:                             ;   in Loop: Header=BB94_13 Depth=1
	s_waitcnt lgkmcnt(7)
	global_store_short v[0:1], v9, off offset:1024
	s_or_b64 exec, exec, s[2:3]
	s_and_saveexec_b64 s[2:3], s[46:47]
	s_cbranch_execz .LBB94_215
.LBB94_231:                             ;   in Loop: Header=BB94_13 Depth=1
	s_waitcnt lgkmcnt(6)
	global_store_short v[0:1], v8, off offset:1152
	s_or_b64 exec, exec, s[2:3]
	s_and_saveexec_b64 s[2:3], s[48:49]
	s_cbranch_execz .LBB94_216
.LBB94_232:                             ;   in Loop: Header=BB94_13 Depth=1
	s_waitcnt lgkmcnt(5)
	global_store_short v[0:1], v7, off offset:1280
	s_or_b64 exec, exec, s[2:3]
	s_and_saveexec_b64 s[2:3], s[50:51]
	s_cbranch_execz .LBB94_217
.LBB94_233:                             ;   in Loop: Header=BB94_13 Depth=1
	s_waitcnt lgkmcnt(4)
	global_store_short v[0:1], v6, off offset:1408
	s_or_b64 exec, exec, s[2:3]
	s_and_saveexec_b64 s[2:3], s[52:53]
	s_cbranch_execz .LBB94_218
.LBB94_234:                             ;   in Loop: Header=BB94_13 Depth=1
	s_waitcnt lgkmcnt(3)
	global_store_short v[0:1], v5, off offset:1536
	s_or_b64 exec, exec, s[2:3]
	s_and_saveexec_b64 s[2:3], s[54:55]
	s_cbranch_execz .LBB94_219
.LBB94_235:                             ;   in Loop: Header=BB94_13 Depth=1
	s_waitcnt lgkmcnt(2)
	global_store_short v[0:1], v4, off offset:1664
	s_or_b64 exec, exec, s[2:3]
	s_and_saveexec_b64 s[2:3], s[56:57]
	s_cbranch_execz .LBB94_220
.LBB94_236:                             ;   in Loop: Header=BB94_13 Depth=1
	s_waitcnt lgkmcnt(1)
	global_store_short v[0:1], v3, off offset:1792
	s_or_b64 exec, exec, s[2:3]
	s_and_saveexec_b64 s[2:3], s[58:59]
	s_cbranch_execz .LBB94_12
.LBB94_237:                             ;   in Loop: Header=BB94_13 Depth=1
	s_waitcnt lgkmcnt(0)
	global_store_short v[0:1], v2, off offset:1920
	s_branch .LBB94_12
.LBB94_238:
	s_endpgm
	.section	.rodata,"a",@progbits
	.p2align	6, 0x0
	.amdhsa_kernel _Z25selective_scan_fwd_kernelI32Selective_Scan_fwd_kernel_traitsILi128ELi16ELi1ELb0ELb1ELb1ELb0ELb1EN3c104HalfEfS2_EEv13SSMParamsBase
		.amdhsa_group_segment_fixed_size 0
		.amdhsa_private_segment_fixed_size 0
		.amdhsa_kernarg_size 248
		.amdhsa_user_sgpr_count 2
		.amdhsa_user_sgpr_dispatch_ptr 0
		.amdhsa_user_sgpr_queue_ptr 0
		.amdhsa_user_sgpr_kernarg_segment_ptr 1
		.amdhsa_user_sgpr_dispatch_id 0
		.amdhsa_user_sgpr_kernarg_preload_length 0
		.amdhsa_user_sgpr_kernarg_preload_offset 0
		.amdhsa_user_sgpr_private_segment_size 0
		.amdhsa_uses_dynamic_stack 0
		.amdhsa_enable_private_segment 0
		.amdhsa_system_sgpr_workgroup_id_x 1
		.amdhsa_system_sgpr_workgroup_id_y 1
		.amdhsa_system_sgpr_workgroup_id_z 0
		.amdhsa_system_sgpr_workgroup_info 0
		.amdhsa_system_vgpr_workitem_id 0
		.amdhsa_next_free_vgpr 168
		.amdhsa_next_free_sgpr 100
		.amdhsa_accum_offset 168
		.amdhsa_reserve_vcc 1
		.amdhsa_float_round_mode_32 0
		.amdhsa_float_round_mode_16_64 0
		.amdhsa_float_denorm_mode_32 3
		.amdhsa_float_denorm_mode_16_64 3
		.amdhsa_dx10_clamp 1
		.amdhsa_ieee_mode 1
		.amdhsa_fp16_overflow 0
		.amdhsa_tg_split 0
		.amdhsa_exception_fp_ieee_invalid_op 0
		.amdhsa_exception_fp_denorm_src 0
		.amdhsa_exception_fp_ieee_div_zero 0
		.amdhsa_exception_fp_ieee_overflow 0
		.amdhsa_exception_fp_ieee_underflow 0
		.amdhsa_exception_fp_ieee_inexact 0
		.amdhsa_exception_int_div_zero 0
	.end_amdhsa_kernel
	.section	.text._Z25selective_scan_fwd_kernelI32Selective_Scan_fwd_kernel_traitsILi128ELi16ELi1ELb0ELb1ELb1ELb0ELb1EN3c104HalfEfS2_EEv13SSMParamsBase,"axG",@progbits,_Z25selective_scan_fwd_kernelI32Selective_Scan_fwd_kernel_traitsILi128ELi16ELi1ELb0ELb1ELb1ELb0ELb1EN3c104HalfEfS2_EEv13SSMParamsBase,comdat
.Lfunc_end94:
	.size	_Z25selective_scan_fwd_kernelI32Selective_Scan_fwd_kernel_traitsILi128ELi16ELi1ELb0ELb1ELb1ELb0ELb1EN3c104HalfEfS2_EEv13SSMParamsBase, .Lfunc_end94-_Z25selective_scan_fwd_kernelI32Selective_Scan_fwd_kernel_traitsILi128ELi16ELi1ELb0ELb1ELb1ELb0ELb1EN3c104HalfEfS2_EEv13SSMParamsBase
                                        ; -- End function
	.section	.AMDGPU.csdata,"",@progbits
; Kernel info:
; codeLenInByte = 20948
; NumSgprs: 106
; NumVgprs: 168
; NumAgprs: 0
; TotalNumVgprs: 168
; ScratchSize: 0
; MemoryBound: 0
; FloatMode: 240
; IeeeMode: 1
; LDSByteSize: 0 bytes/workgroup (compile time only)
; SGPRBlocks: 13
; VGPRBlocks: 20
; NumSGPRsForWavesPerEU: 106
; NumVGPRsForWavesPerEU: 168
; AccumOffset: 168
; Occupancy: 3
; WaveLimiterHint : 1
; COMPUTE_PGM_RSRC2:SCRATCH_EN: 0
; COMPUTE_PGM_RSRC2:USER_SGPR: 2
; COMPUTE_PGM_RSRC2:TRAP_HANDLER: 0
; COMPUTE_PGM_RSRC2:TGID_X_EN: 1
; COMPUTE_PGM_RSRC2:TGID_Y_EN: 1
; COMPUTE_PGM_RSRC2:TGID_Z_EN: 0
; COMPUTE_PGM_RSRC2:TIDIG_COMP_CNT: 0
; COMPUTE_PGM_RSRC3_GFX90A:ACCUM_OFFSET: 41
; COMPUTE_PGM_RSRC3_GFX90A:TG_SPLIT: 0
	.section	.text._Z25selective_scan_fwd_kernelI32Selective_Scan_fwd_kernel_traitsILi128ELi16ELi1ELb0ELb1ELb1ELb0ELb0EN3c104HalfEfS2_EEv13SSMParamsBase,"axG",@progbits,_Z25selective_scan_fwd_kernelI32Selective_Scan_fwd_kernel_traitsILi128ELi16ELi1ELb0ELb1ELb1ELb0ELb0EN3c104HalfEfS2_EEv13SSMParamsBase,comdat
	.protected	_Z25selective_scan_fwd_kernelI32Selective_Scan_fwd_kernel_traitsILi128ELi16ELi1ELb0ELb1ELb1ELb0ELb0EN3c104HalfEfS2_EEv13SSMParamsBase ; -- Begin function _Z25selective_scan_fwd_kernelI32Selective_Scan_fwd_kernel_traitsILi128ELi16ELi1ELb0ELb1ELb1ELb0ELb0EN3c104HalfEfS2_EEv13SSMParamsBase
	.globl	_Z25selective_scan_fwd_kernelI32Selective_Scan_fwd_kernel_traitsILi128ELi16ELi1ELb0ELb1ELb1ELb0ELb0EN3c104HalfEfS2_EEv13SSMParamsBase
	.p2align	8
	.type	_Z25selective_scan_fwd_kernelI32Selective_Scan_fwd_kernel_traitsILi128ELi16ELi1ELb0ELb1ELb1ELb0ELb0EN3c104HalfEfS2_EEv13SSMParamsBase,@function
_Z25selective_scan_fwd_kernelI32Selective_Scan_fwd_kernel_traitsILi128ELi16ELi1ELb0ELb1ELb1ELb0ELb0EN3c104HalfEfS2_EEv13SSMParamsBase: ; @_Z25selective_scan_fwd_kernelI32Selective_Scan_fwd_kernel_traitsILi128ELi16ELi1ELb0ELb1ELb1ELb0ELb0EN3c104HalfEfS2_EEv13SSMParamsBase
; %bb.0:
	s_load_dword s29, s[0:1], 0x18
	s_load_dwordx4 s[4:7], s[0:1], 0xe8
	s_mov_b32 s24, s3
                                        ; implicit-def: $vgpr167 : SGPR spill to VGPR lane
	s_waitcnt lgkmcnt(0)
	s_abs_i32 s28, s29
	v_cvt_f32_u32_e32 v1, s28
	s_cmp_eq_u64 s[6:7], 0
	v_rcp_iflag_f32_e32 v1, v1
	s_nop 0
	v_mul_f32_e32 v1, 0x4f7ffffe, v1
	v_cvt_u32_f32_e32 v1, v1
	s_nop 0
	v_readfirstlane_b32 s30, v1
	s_cbranch_scc1 .LBB95_2
; %bb.1:
	s_ashr_i32 s3, s2, 31
	s_add_u32 s6, s6, s2
	s_addc_u32 s7, s7, s3
	v_mov_b32_e32 v1, 0
	global_load_ubyte v1, v1, s[6:7]
	s_waitcnt vmcnt(0)
	v_and_b32_e32 v1, 1, v1
	v_cmp_eq_u32_e64 s[6:7], 1, v1
	s_branch .LBB95_3
.LBB95_2:
	s_mov_b64 s[6:7], 0
.LBB95_3:
	s_nop 0
	v_writelane_b32 v167, s6, 0
	s_cmp_eq_u64 s[4:5], 0
	s_nop 0
	v_writelane_b32 v167, s7, 1
	s_load_dwordx2 s[6:7], s[0:1], 0x20
	s_cbranch_scc1 .LBB95_5
; %bb.4:
	s_ashr_i32 s3, s2, 31
	s_lshl_b64 s[8:9], s[2:3], 2
	s_add_u32 s4, s4, s8
	s_addc_u32 s5, s5, s9
	s_load_dword s26, s[4:5], 0x0
	s_waitcnt lgkmcnt(0)
	s_ashr_i32 s27, s26, 31
	s_cmp_eq_u64 s[6:7], s[26:27]
	s_cbranch_scc0 .LBB95_6
	s_branch .LBB95_238
.LBB95_5:
	s_mov_b32 s26, s2
	s_ashr_i32 s27, s26, 31
	s_waitcnt lgkmcnt(0)
	s_cmp_eq_u64 s[6:7], s[26:27]
	s_cbranch_scc1 .LBB95_238
.LBB95_6:
	s_load_dwordx16 s[36:51], s[0:1], 0x88
	s_load_dwordx2 s[34:35], s[0:1], 0x8
	s_mov_b32 s3, 0
	v_writelane_b32 v167, s3, 2
	v_writelane_b32 v167, s3, 3
	s_waitcnt lgkmcnt(0)
	s_cmp_eq_u64 s[42:43], 0
	s_cbranch_scc1 .LBB95_8
; %bb.7:
	s_ashr_i32 s25, s24, 31
	s_lshl_b64 s[4:5], s[24:25], 2
	s_add_u32 s4, s42, s4
	s_addc_u32 s5, s43, s5
	s_load_dword s3, s[4:5], 0x0
	s_waitcnt lgkmcnt(0)
	v_writelane_b32 v167, s3, 3
.LBB95_8:
	s_cmp_eq_u64 s[48:49], 0
	s_cbranch_scc1 .LBB95_10
; %bb.9:
	s_ashr_i32 s25, s24, 31
	s_lshl_b64 s[4:5], s[24:25], 2
	s_add_u32 s4, s48, s4
	s_addc_u32 s5, s49, s5
	s_load_dword s3, s[4:5], 0x0
	s_waitcnt lgkmcnt(0)
	v_writelane_b32 v167, s3, 2
.LBB95_10:
	s_cmp_lt_i32 s34, 1
	s_cbranch_scc1 .LBB95_238
; %bb.11:
	s_sub_i32 s3, 0, s28
	s_mul_i32 s3, s3, s30
	s_mul_hi_u32 s3, s30, s3
	s_abs_i32 s6, s24
	s_add_i32 s30, s30, s3
	s_load_dwordx8 s[52:59], s[0:1], 0x2c
	s_load_dwordx2 s[14:15], s[0:1], 0x5c
	s_load_dwordx4 s[60:63], s[0:1], 0x4c
	s_load_dwordx4 s[64:67], s[0:1], 0x7c
	s_load_dwordx2 s[4:5], s[0:1], 0x6c
	s_load_dwordx2 s[20:21], s[0:1], 0xc8
	s_mul_hi_u32 s3, s6, s30
	s_load_dword s25, s[0:1], 0x28
	s_ashr_i32 s0, s24, 31
	s_ashr_i32 s1, s29, 31
	s_xor_b32 s0, s0, s1
	s_mul_i32 s1, s3, s28
	s_sub_i32 s1, s6, s1
	s_add_i32 s6, s3, 1
	s_sub_i32 s7, s1, s28
	s_cmp_ge_u32 s1, s28
	s_cselect_b32 s3, s6, s3
	s_cselect_b32 s1, s7, s1
	s_add_i32 s6, s3, 1
	s_cmp_ge_u32 s1, s28
	s_cselect_b32 s1, s6, s3
	s_xor_b32 s1, s1, s0
	s_waitcnt lgkmcnt(0)
	s_mul_i32 s6, s62, s2
	s_mov_b32 s7, 0
	s_sub_i32 s3, s1, s0
	s_lshl_b64 s[0:1], s[6:7], 1
	s_add_u32 s16, s44, s0
	s_mul_i32 s6, s63, s24
	s_addc_u32 s17, s45, s1
	s_lshl_b64 s[0:1], s[6:7], 1
	s_add_u32 s10, s16, s0
	s_mul_i32 s6, s14, s2
	s_addc_u32 s11, s17, s1
	;; [unrolled: 4-line block ×3, first 2 shown]
	s_lshl_b64 s[0:1], s[6:7], 1
	s_add_u32 s0, s14, s0
	s_addc_u32 s1, s16, s1
	v_writelane_b32 v167, s0, 4
	s_mul_i32 s6, s52, s24
	v_mbcnt_lo_u32_b32 v1, -1, 0
	v_writelane_b32 v167, s1, 5
	s_lshl_b64 s[0:1], s[6:7], 2
	s_add_u32 s0, s36, s0
	v_writelane_b32 v167, s0, 6
	s_addc_u32 s0, s37, s1
	s_mul_i32 s6, s54, s2
	v_writelane_b32 v167, s0, 7
	s_lshl_b64 s[0:1], s[6:7], 1
	s_add_u32 s8, s38, s0
	s_mul_i32 s6, s3, s57
	s_addc_u32 s9, s39, s1
	s_lshl_b64 s[0:1], s[6:7], 1
	s_add_u32 s0, s8, s0
	s_addc_u32 s1, s9, s1
	v_writelane_b32 v167, s0, 8
	v_lshlrev_b32_e32 v19, 4, v0
	v_mbcnt_hi_u32_b32 v18, -1, v1
	v_writelane_b32 v167, s1, 9
	v_writelane_b32 v167, s52, 10
	s_mul_i32 s6, s58, s2
	s_lshl_b64 s[0:1], s[6:7], 1
	v_writelane_b32 v167, s53, 11
	v_writelane_b32 v167, s54, 12
	;; [unrolled: 1-line block ×7, first 2 shown]
	s_add_u32 s8, s40, s0
	v_writelane_b32 v167, s60, 18
	s_mul_i32 s6, s3, s61
	s_addc_u32 s9, s41, s1
	v_writelane_b32 v167, s61, 19
	s_lshl_b64 s[0:1], s[6:7], 1
	v_writelane_b32 v167, s62, 20
	s_add_u32 s0, s8, s0
	v_writelane_b32 v167, s63, 21
	s_addc_u32 s1, s9, s1
	v_writelane_b32 v167, s0, 22
	s_mul_i32 s6, s26, s64
	v_and_b32_e32 v2, 0x400, v19
	v_writelane_b32 v167, s1, 23
	s_lshl_b64 s[0:1], s[6:7], 1
	v_writelane_b32 v167, s64, 24
	s_add_u32 s3, s20, s0
	s_mul_i32 s6, s65, s24
	v_writelane_b32 v167, s65, 25
	s_addc_u32 s8, s21, s1
	v_writelane_b32 v167, s66, 26
	s_lshl_b64 s[0:1], s[6:7], 1
	v_writelane_b32 v167, s67, 27
	s_add_u32 s0, s3, s0
	v_writelane_b32 v167, s0, 28
	s_addc_u32 s0, s8, s1
	v_writelane_b32 v167, s0, 29
	s_add_i32 s0, s34, 0x7ff
	s_lshr_b32 s1, s0, 11
	s_bitcmp1_b32 s25, 0
	v_or_b32_e32 v68, v18, v2
	s_cselect_b64 s[8:9], -1, 0
	v_lshrrev_b32_e32 v1, 5, v68
	v_writelane_b32 v167, s8, 30
	s_cmp_gt_i32 s35, 0
	v_and_b32_e32 v1, 34, v1
	v_and_b32_e32 v20, 64, v0
	v_writelane_b32 v167, s9, 31
	s_cselect_b64 s[8:9], -1, 0
	v_add_u32_e32 v69, 64, v68
	v_or_b32_e32 v70, 0x80, v68
	v_add_u32_e32 v71, 0xc0, v68
	v_or_b32_e32 v72, 0x100, v68
	;; [unrolled: 2-line block ×7, first 2 shown]
	v_add_u32_e32 v83, 0x3c0, v68
	v_add_u32_e32 v1, v1, v68
	v_add_u16_e32 v22, v18, v20
	v_writelane_b32 v167, s8, 32
	v_lshl_add_u32 v84, v1, 1, 0
	v_lshrrev_b32_e32 v1, 5, v69
	v_lshrrev_b32_e32 v3, 5, v70
	;; [unrolled: 1-line block ×15, first 2 shown]
	v_lshrrev_b16_e32 v22, 1, v22
	v_writelane_b32 v167, s9, 33
	v_and_b32_e32 v1, 38, v1
	v_and_b32_e32 v3, 38, v3
	;; [unrolled: 1-line block ×15, first 2 shown]
	v_add_lshl_u32 v21, v18, v20, 4
	v_and_b32_e32 v22, 0x7e, v22
	v_writelane_b32 v167, s34, 34
	v_add_lshl_u32 v1, v1, v68, 1
	v_add_lshl_u32 v3, v3, v68, 1
	;; [unrolled: 1-line block ×16, first 2 shown]
	s_add_i32 s0, 0, 0x1080
	v_writelane_b32 v167, s35, 35
	v_add_u32_e32 v101, s0, v1
	v_add_u32_e32 v102, s0, v3
	;; [unrolled: 1-line block ×16, first 2 shown]
	v_writelane_b32 v167, s1, 36
	s_add_i32 s0, s1, -1
	s_mul_i32 s6, s4, s2
	s_and_b32 s8, s34, 0x7ff
	v_writelane_b32 v167, s0, 37
	s_lshl_b64 s[0:1], s[6:7], 1
	s_add_u32 s2, s50, s0
	s_mul_i32 s6, s5, s24
	s_addc_u32 s3, s51, s1
	s_lshl_b64 s[0:1], s[6:7], 1
	s_add_u32 s2, s2, s0
	s_addc_u32 s3, s3, s1
	s_cmp_eq_u32 s8, 0
	s_cselect_b64 s[0:1], -1, 0
	v_add_u32_e32 v85, 0, v1
	v_writelane_b32 v167, s0, 38
	v_and_b32_e32 v1, 15, v18
	v_cmp_lt_u32_e64 s[4:5], 1, v1
	v_writelane_b32 v167, s1, 39
	v_cmp_eq_u32_e64 s[0:1], 0, v1
	v_writelane_b32 v167, s4, 40
	v_add_u32_e32 v86, 0, v3
	v_and_b32_e32 v3, 64, v18
	v_writelane_b32 v167, s5, 41
	v_cmp_lt_u32_e64 s[4:5], 3, v1
	v_mov_b32_e32 v17, 0
	v_add_u32_e32 v99, 0, v16
	v_writelane_b32 v167, s4, 42
	v_lshlrev_b32_e32 v16, 1, v18
	v_lshl_add_u32 v118, v0, 3, 0
	v_writelane_b32 v167, s5, 43
	v_cmp_lt_u32_e64 s[4:5], 7, v1
	v_and_b32_e32 v1, 16, v18
	v_cmp_lt_u32_e64 s[20:21], 63, v0
	v_writelane_b32 v167, s4, 44
	v_cmp_eq_u32_e64 s[22:23], 0, v0
	v_add_u32_e32 v87, 0, v4
	v_writelane_b32 v167, s5, 45
	v_cmp_ne_u32_e64 s[4:5], 0, v1
	v_or_b32_e32 v1, 63, v20
	v_add_u32_e32 v88, 0, v5
	v_writelane_b32 v167, s4, 46
	v_add_u32_e32 v89, 0, v6
	v_add_u32_e32 v90, 0, v7
	v_writelane_b32 v167, s5, 47
	v_cmp_lt_u32_e64 s[4:5], 31, v18
	v_add_u32_e32 v91, 0, v8
	v_add_u32_e32 v92, 0, v9
	v_writelane_b32 v167, s4, 48
	v_add_u32_e32 v93, 0, v10
	v_add_u32_e32 v94, 0, v11
	v_writelane_b32 v167, s5, 49
	v_cmp_eq_u32_e64 s[4:5], v1, v0
	v_lshrrev_b32_e32 v1, 3, v0
	v_and_b32_e32 v1, 8, v1
	v_writelane_b32 v167, s4, 50
	v_add_u32_e32 v117, 0, v1
	v_and_b32_e32 v1, 1, v18
	v_writelane_b32 v167, s5, 51
	v_cmp_gt_u32_e64 s[4:5], 2, v0
	v_add_u32_e32 v95, 0, v12
	v_add_u32_e32 v96, 0, v13
	v_writelane_b32 v167, s4, 52
	v_add_u32_e32 v97, 0, v14
	v_add_u32_e32 v98, 0, v15
	v_writelane_b32 v167, s5, 53
	v_cmp_eq_u32_e64 s[4:5], 0, v1
	v_add_u32_e32 v1, -1, v18
	v_cmp_lt_i32_e32 vcc, v1, v3
	v_writelane_b32 v167, s4, 54
	v_add_u32_e32 v100, 0, v21
	v_cndmask_b32_e32 v1, v1, v18, vcc
	v_writelane_b32 v167, s5, 55
	v_cmp_gt_u32_e64 s[4:5], 64, v0
	v_lshlrev_b32_e32 v119, 2, v1
	v_lshl_add_u64 v[0:1], s[2:3], 0, v[16:17]
	v_writelane_b32 v167, s4, 56
	v_lshlrev_b32_e32 v16, 1, v2
	s_add_i32 s2, 0, 0x2110
	v_writelane_b32 v167, s5, 57
	v_cmp_eq_u32_e64 s[24:25], 0, v18
	v_lshl_add_u64 v[20:21], v[0:1], 0, v[16:17]
	v_lshlrev_b32_e32 v22, 1, v2
	s_mov_b32 s6, 0x41a00000
	s_mov_b32 s8, 0x3fb8aa3b
	;; [unrolled: 1-line block ×8, first 2 shown]
	v_writelane_b32 v167, s2, 58
	s_mov_b32 s33, 0xc2fc0000
	s_mov_b32 s3, 0
	v_or_b32_e32 v134, 15, v19
	v_mov_b32_e32 v135, 0x3ecc95a3
	v_mov_b32_e32 v136, 0x7f800000
	;; [unrolled: 1-line block ×5, first 2 shown]
                                        ; implicit-def: $vgpr0
	s_branch .LBB95_13
.LBB95_12:                              ;   in Loop: Header=BB95_13 Depth=1
	s_or_b64 exec, exec, s[2:3]
	v_readlane_b32 s2, v167, 4
	v_readlane_b32 s3, v167, 5
	s_add_u32 s2, s2, 0x1000
	s_addc_u32 s3, s3, 0
	v_writelane_b32 v167, s2, 4
	s_add_u32 s10, s10, 0x1000
	s_addc_u32 s11, s11, 0
	v_writelane_b32 v167, s3, 5
	s_nop 0
	v_readlane_b32 s2, v167, 8
	v_readlane_b32 s3, v167, 9
	s_add_u32 s2, s2, 0x1000
	s_addc_u32 s3, s3, 0
	v_writelane_b32 v167, s2, 8
	s_nop 1
	v_writelane_b32 v167, s3, 9
	s_nop 0
	v_readlane_b32 s2, v167, 22
	v_readlane_b32 s3, v167, 23
	s_add_u32 s2, s2, 0x1000
	s_addc_u32 s3, s3, 0
	v_writelane_b32 v167, s2, 22
	s_nop 1
	v_writelane_b32 v167, s3, 23
	s_nop 0
	v_readlane_b32 s3, v167, 59
	s_add_i32 s3, s3, 1
	v_readlane_b32 s2, v167, 36
	s_cmp_eq_u32 s3, s2
	s_cbranch_scc1 .LBB95_238
.LBB95_13:                              ; =>This Loop Header: Depth=1
                                        ;     Child Loop BB95_110 Depth 2
	v_writelane_b32 v167, s3, 59
	s_lshl_b32 s18, s3, 11
	v_readlane_b32 s2, v167, 34
	s_mov_b32 s4, s18
	v_readlane_b32 s3, v167, 35
	v_writelane_b32 v167, s4, 60
	s_waitcnt lgkmcnt(14)
	v_lshlrev_b32_e32 v16, 1, v18
	s_sub_i32 s88, s2, s18
	v_writelane_b32 v167, s5, 61
	v_writelane_b32 v167, s10, 62
	v_mov_b32_e32 v23, v17
	v_cmp_gt_u32_e64 s[26:27], s88, v68
	v_lshl_add_u64 v[0:1], s[10:11], 0, v[16:17]
	v_writelane_b32 v167, s11, 63
	v_lshl_add_u64 v[0:1], v[0:1], 0, v[22:23]
	s_waitcnt lgkmcnt(0)
	v_mov_b32_e32 v2, 0
	s_barrier
	s_and_saveexec_b64 s[2:3], s[26:27]
	s_cbranch_execz .LBB95_15
; %bb.14:                               ;   in Loop: Header=BB95_13 Depth=1
	global_load_ushort v2, v[0:1], off
.LBB95_15:                              ;   in Loop: Header=BB95_13 Depth=1
	s_or_b64 exec, exec, s[2:3]
	v_cmp_gt_u32_e64 s[28:29], s88, v69
	v_mov_b32_e32 v3, 0
	v_mov_b32_e32 v4, 0
	s_and_saveexec_b64 s[2:3], s[28:29]
	s_cbranch_execz .LBB95_17
; %bb.16:                               ;   in Loop: Header=BB95_13 Depth=1
	global_load_ushort v4, v[0:1], off offset:128
.LBB95_17:                              ;   in Loop: Header=BB95_13 Depth=1
	s_or_b64 exec, exec, s[2:3]
	v_cmp_gt_u32_e64 s[30:31], s88, v70
	s_and_saveexec_b64 s[2:3], s[30:31]
	s_cbranch_execz .LBB95_19
; %bb.18:                               ;   in Loop: Header=BB95_13 Depth=1
	global_load_ushort v3, v[0:1], off offset:256
.LBB95_19:                              ;   in Loop: Header=BB95_13 Depth=1
	s_or_b64 exec, exec, s[2:3]
	v_cmp_gt_u32_e64 s[34:35], s88, v71
	v_mov_b32_e32 v5, 0
	v_mov_b32_e32 v6, 0
	s_and_saveexec_b64 s[2:3], s[34:35]
	s_cbranch_execz .LBB95_21
; %bb.20:                               ;   in Loop: Header=BB95_13 Depth=1
	global_load_ushort v6, v[0:1], off offset:384
.LBB95_21:                              ;   in Loop: Header=BB95_13 Depth=1
	s_or_b64 exec, exec, s[2:3]
	v_cmp_gt_u32_e64 s[36:37], s88, v72
	s_and_saveexec_b64 s[2:3], s[36:37]
	s_cbranch_execz .LBB95_23
; %bb.22:                               ;   in Loop: Header=BB95_13 Depth=1
	global_load_ushort v5, v[0:1], off offset:512
.LBB95_23:                              ;   in Loop: Header=BB95_13 Depth=1
	;; [unrolled: 16-line block ×7, first 2 shown]
	s_or_b64 exec, exec, s[2:3]
	v_cmp_gt_u32_e64 s[58:59], s88, v83
	v_mov_b32_e32 v10, 0
	v_mov_b32_e32 v26, 0
	s_and_saveexec_b64 s[2:3], s[58:59]
	s_cbranch_execz .LBB95_45
; %bb.44:                               ;   in Loop: Header=BB95_13 Depth=1
	global_load_ushort v26, v[0:1], off offset:1920
.LBB95_45:                              ;   in Loop: Header=BB95_13 Depth=1
	s_or_b64 exec, exec, s[2:3]
	s_waitcnt vmcnt(0)
	ds_write_b16 v84, v2
	ds_write_b16 v85, v4 offset:128
	ds_write_b16 v86, v3 offset:256
	;; [unrolled: 1-line block ×15, first 2 shown]
	; wave barrier
	ds_read_b128 v[0:3], v100
	ds_read_b128 v[4:7], v100 offset:16
	v_readlane_b32 s2, v167, 4
	v_readlane_b32 s3, v167, 5
	v_mov_b32_e32 v23, v17
	s_waitcnt lgkmcnt(0)
	v_lshl_add_u64 v[8:9], s[2:3], 0, v[16:17]
	v_lshl_add_u64 v[8:9], v[8:9], 0, v[22:23]
	s_barrier
	s_and_saveexec_b64 s[2:3], s[26:27]
	s_cbranch_execz .LBB95_47
; %bb.46:                               ;   in Loop: Header=BB95_13 Depth=1
	global_load_ushort v10, v[8:9], off
.LBB95_47:                              ;   in Loop: Header=BB95_13 Depth=1
	s_or_b64 exec, exec, s[2:3]
	v_mov_b32_e32 v11, 0
	v_mov_b32_e32 v12, 0
	s_and_saveexec_b64 s[2:3], s[28:29]
	s_cbranch_execz .LBB95_49
; %bb.48:                               ;   in Loop: Header=BB95_13 Depth=1
	global_load_ushort v12, v[8:9], off offset:128
.LBB95_49:                              ;   in Loop: Header=BB95_13 Depth=1
	s_or_b64 exec, exec, s[2:3]
	s_and_saveexec_b64 s[2:3], s[30:31]
	s_cbranch_execz .LBB95_51
; %bb.50:                               ;   in Loop: Header=BB95_13 Depth=1
	global_load_ushort v11, v[8:9], off offset:256
.LBB95_51:                              ;   in Loop: Header=BB95_13 Depth=1
	s_or_b64 exec, exec, s[2:3]
	v_mov_b32_e32 v13, 0
	v_mov_b32_e32 v14, 0
	s_and_saveexec_b64 s[2:3], s[34:35]
	s_cbranch_execz .LBB95_53
; %bb.52:                               ;   in Loop: Header=BB95_13 Depth=1
	global_load_ushort v14, v[8:9], off offset:384
.LBB95_53:                              ;   in Loop: Header=BB95_13 Depth=1
	s_or_b64 exec, exec, s[2:3]
	s_and_saveexec_b64 s[2:3], s[36:37]
	s_cbranch_execz .LBB95_55
; %bb.54:                               ;   in Loop: Header=BB95_13 Depth=1
	global_load_ushort v13, v[8:9], off offset:512
.LBB95_55:                              ;   in Loop: Header=BB95_13 Depth=1
	;; [unrolled: 14-line block ×6, first 2 shown]
	s_or_b64 exec, exec, s[2:3]
	v_mov_b32_e32 v31, 0
	v_mov_b32_e32 v32, 0
	s_and_saveexec_b64 s[2:3], s[54:55]
	s_cbranch_execnz .LBB95_221
; %bb.72:                               ;   in Loop: Header=BB95_13 Depth=1
	s_or_b64 exec, exec, s[2:3]
	s_and_saveexec_b64 s[2:3], s[56:57]
	s_cbranch_execnz .LBB95_222
.LBB95_73:                              ;   in Loop: Header=BB95_13 Depth=1
	s_or_b64 exec, exec, s[2:3]
	v_mov_b32_e32 v33, 0
	s_and_saveexec_b64 s[2:3], s[58:59]
	s_cbranch_execz .LBB95_75
.LBB95_74:                              ;   in Loop: Header=BB95_13 Depth=1
	global_load_ushort v33, v[8:9], off offset:1920
.LBB95_75:                              ;   in Loop: Header=BB95_13 Depth=1
	s_or_b64 exec, exec, s[2:3]
	s_waitcnt vmcnt(0)
	ds_write_b16 v84, v10
	ds_write_b16 v85, v12 offset:128
	ds_write_b16 v86, v11 offset:256
	;; [unrolled: 1-line block ×15, first 2 shown]
	; wave barrier
	ds_read_b128 v[12:15], v100
	ds_read_b128 v[8:11], v100 offset:16
	v_readlane_b32 s2, v167, 2
	s_waitcnt lgkmcnt(1)
	v_cvt_f32_f16_e32 v23, v12
	v_add_f32_e32 v139, s2, v23
	v_readlane_b32 s2, v167, 30
	v_cmp_ge_f32_e32 vcc, s6, v139
	v_readlane_b32 s3, v167, 31
	s_and_b64 s[2:3], s[2:3], vcc
	s_and_saveexec_b64 s[4:5], s[2:3]
	s_cbranch_execz .LBB95_77
; %bb.76:                               ;   in Loop: Header=BB95_13 Depth=1
	v_mul_f32_e32 v23, 0x3fb8aa3b, v139
	v_rndne_f32_e32 v25, v23
	v_sub_f32_e32 v26, v23, v25
	v_fma_f32 v23, v139, s8, -v23
	v_fmac_f32_e32 v23, 0x32a5705f, v139
	v_add_f32_e32 v23, v26, v23
	v_cvt_i32_f32_e32 v25, v25
	v_exp_f32_e32 v23, v23
	v_cmp_ngt_f32_e32 vcc, s9, v139
	v_ldexp_f32 v23, v23, v25
	s_nop 0
	v_cndmask_b32_e32 v23, 0, v23, vcc
	v_cmp_nlt_f32_e32 vcc, s12, v139
	s_nop 1
	v_cndmask_b32_e32 v42, v136, v23, vcc
	v_add_f32_e32 v23, 1.0, v42
	v_add_f32_e32 v25, -1.0, v23
	v_sub_f32_e32 v26, v25, v23
	v_add_f32_e32 v26, 1.0, v26
	v_sub_f32_e32 v25, v42, v25
	v_add_f32_e32 v25, v25, v26
	v_frexp_mant_f32_e32 v28, v23
	v_cvt_f64_f32_e32 v[26:27], v23
	v_frexp_exp_i32_f64_e32 v26, v[26:27]
	v_cmp_gt_f32_e32 vcc, s14, v28
	v_cmp_gt_f32_e64 s[60:61], s16, v42
	s_nop 0
	v_subbrev_co_u32_e32 v34, vcc, 0, v26, vcc
	v_sub_u32_e32 v26, 0, v34
	v_ldexp_f32 v23, v23, v26
	v_ldexp_f32 v25, v25, v26
	v_add_f32_e32 v26, -1.0, v23
	v_add_f32_e32 v27, 1.0, v26
	v_sub_f32_e32 v27, v23, v27
	v_add_f32_e32 v28, v25, v27
	v_add_f32_e32 v27, 1.0, v23
	v_add_f32_e32 v29, -1.0, v27
	v_sub_f32_e32 v23, v23, v29
	v_add_f32_e32 v23, v25, v23
	v_add_f32_e32 v25, v27, v23
	v_rcp_f32_e32 v35, v25
	v_sub_f32_e32 v27, v27, v25
	v_add_f32_e32 v23, v23, v27
	v_add_f32_e32 v27, v26, v28
	v_sub_f32_e32 v26, v26, v27
	v_mul_f32_e32 v37, v27, v35
	v_add_f32_e32 v36, v28, v26
	v_mul_f32_e32 v28, v25, v37
	v_fma_f32 v30, v37, v25, -v28
	v_fmac_f32_e32 v30, v37, v23
	v_add_f32_e32 v26, v28, v30
	v_sub_f32_e32 v29, v27, v26
	v_pk_add_f32 v[32:33], v[26:27], v[28:29] neg_lo:[0,1] neg_hi:[0,1]
	v_mov_b32_e32 v31, v26
	v_pk_add_f32 v[26:27], v[32:33], v[30:31] neg_lo:[0,1] neg_hi:[0,1]
	v_cmp_eq_f32_e32 vcc, s13, v42
	v_add_f32_e32 v27, v36, v27
	v_add_f32_e32 v26, v26, v27
	v_add_f32_e32 v27, v29, v26
	v_mul_f32_e32 v36, v35, v27
	v_mul_f32_e32 v28, v25, v36
	v_fma_f32 v30, v36, v25, -v28
	v_fmac_f32_e32 v30, v36, v23
	v_sub_f32_e32 v23, v29, v27
	v_add_f32_e32 v23, v26, v23
	v_add_f32_e32 v26, v28, v30
	v_sub_f32_e32 v29, v27, v26
	v_pk_add_f32 v[32:33], v[26:27], v[28:29] neg_lo:[0,1] neg_hi:[0,1]
	v_mov_b32_e32 v31, v26
	v_pk_add_f32 v[26:27], v[32:33], v[30:31] neg_lo:[0,1] neg_hi:[0,1]
	s_or_b64 vcc, s[60:61], vcc
	v_add_f32_e32 v23, v23, v27
	v_add_f32_e32 v23, v26, v23
	;; [unrolled: 1-line block ×4, first 2 shown]
	v_sub_f32_e32 v25, v27, v37
	v_mul_f32_e32 v23, v35, v23
	v_sub_f32_e32 v25, v36, v25
	v_add_f32_e32 v23, v25, v23
	v_add_f32_e32 v28, v27, v23
	v_cvt_f32_i32_e32 v26, v34
	v_mul_f32_e32 v30, v28, v28
	v_fmamk_f32 v25, v30, 0x3e9b6dac, v135
	v_sub_f32_e32 v27, v28, v27
	v_fmaak_f32 v25, v30, v25, 0x3f2aaada
	v_sub_f32_e32 v23, v23, v27
	v_mul_f32_e32 v27, v28, v30
	v_pk_mul_f32 v[30:31], v[26:27], v[24:25]
	v_ldexp_f32 v29, v28, 1
	v_fma_f32 v28, v26, s15, -v30
	v_fmac_f32_e32 v28, 0xb102e308, v26
	v_pk_add_f32 v[26:27], v[30:31], v[28:29]
	v_ldexp_f32 v23, v23, 1
	v_sub_f32_e32 v25, v27, v29
	v_sub_f32_e32 v25, v31, v25
	v_add_f32_e32 v33, v23, v25
	v_mov_b32_e32 v32, v30
	v_pk_add_f32 v[30:31], v[26:27], v[30:31] neg_lo:[0,1] neg_hi:[0,1]
	v_pk_add_f32 v[34:35], v[26:27], v[32:33]
	v_mov_b32_e32 v29, v26
	v_mov_b32_e32 v31, v35
	v_pk_add_f32 v[36:37], v[28:29], v[30:31] neg_lo:[0,1] neg_hi:[0,1]
	v_pk_add_f32 v[28:29], v[28:29], v[30:31]
	v_mov_b32_e32 v32, v33
	v_mov_b32_e32 v30, v29
	v_pk_add_f32 v[38:39], v[30:31], v[26:27] neg_lo:[0,1] neg_hi:[0,1]
	v_mov_b32_e32 v28, v35
	v_mov_b32_e32 v23, v38
	v_pk_add_f32 v[40:41], v[34:35], v[22:23] neg_lo:[0,1] neg_hi:[0,1]
	v_mov_b32_e32 v34, v27
	v_mov_b32_e32 v35, v38
	;; [unrolled: 1-line block ×3, first 2 shown]
	v_pk_add_f32 v[28:29], v[28:29], v[34:35] neg_lo:[0,1] neg_hi:[0,1]
	v_mov_b32_e32 v33, v26
	v_pk_add_f32 v[26:27], v[32:33], v[28:29] neg_lo:[0,1] neg_hi:[0,1]
	v_mov_b32_e32 v40, v36
	v_pk_add_f32 v[28:29], v[40:41], v[26:27]
	s_nop 0
	v_mov_b32_e32 v32, v29
	v_pk_add_f32 v[32:33], v[28:29], v[32:33]
	s_nop 0
	v_pk_add_f32 v[30:31], v[30:31], v[32:33]
	v_mov_b32_e32 v27, v32
	v_mov_b32_e32 v29, v30
	v_pk_add_f32 v[34:35], v[28:29], v[36:37] neg_lo:[0,1] neg_hi:[0,1]
	s_nop 0
	v_sub_f32_e32 v23, v28, v34
	v_pk_add_f32 v[26:27], v[26:27], v[34:35] neg_lo:[0,1] neg_hi:[0,1]
	v_sub_f32_e32 v23, v36, v23
	v_add_f32_e32 v23, v26, v23
	v_add_f32_e32 v23, v23, v27
	;; [unrolled: 1-line block ×3, first 2 shown]
	v_cndmask_b32_e32 v139, v23, v42, vcc
.LBB95_77:                              ;   in Loop: Header=BB95_13 Depth=1
	s_or_b64 exec, exec, s[4:5]
	v_cvt_f32_f16_sdwa v12, v12 dst_sel:DWORD dst_unused:UNUSED_PAD src0_sel:WORD_1
	v_readlane_b32 s2, v167, 2
	s_nop 1
	v_add_f32_e32 v140, s2, v12
	v_readlane_b32 s2, v167, 30
	v_cmp_ge_f32_e32 vcc, s6, v140
	v_readlane_b32 s3, v167, 31
	s_and_b64 s[2:3], s[2:3], vcc
	s_and_saveexec_b64 s[4:5], s[2:3]
	s_cbranch_execz .LBB95_79
; %bb.78:                               ;   in Loop: Header=BB95_13 Depth=1
	v_mul_f32_e32 v12, 0x3fb8aa3b, v140
	v_rndne_f32_e32 v23, v12
	v_sub_f32_e32 v25, v12, v23
	v_fma_f32 v12, v140, s8, -v12
	v_fmac_f32_e32 v12, 0x32a5705f, v140
	v_add_f32_e32 v12, v25, v12
	v_cvt_i32_f32_e32 v23, v23
	v_exp_f32_e32 v12, v12
	v_cmp_ngt_f32_e32 vcc, s9, v140
	v_ldexp_f32 v12, v12, v23
	s_nop 0
	v_cndmask_b32_e32 v12, 0, v12, vcc
	v_cmp_nlt_f32_e32 vcc, s12, v140
	s_nop 1
	v_cndmask_b32_e32 v40, v136, v12, vcc
	v_add_f32_e32 v12, 1.0, v40
	v_add_f32_e32 v23, -1.0, v12
	v_sub_f32_e32 v25, v23, v12
	v_add_f32_e32 v25, 1.0, v25
	v_sub_f32_e32 v23, v40, v23
	v_add_f32_e32 v23, v23, v25
	v_frexp_mant_f32_e32 v25, v12
	v_cvt_f64_f32_e32 v[26:27], v12
	v_frexp_exp_i32_f64_e32 v26, v[26:27]
	v_cmp_gt_f32_e32 vcc, s14, v25
	v_cmp_gt_f32_e64 s[60:61], s16, v40
	s_nop 0
	v_subbrev_co_u32_e32 v34, vcc, 0, v26, vcc
	v_sub_u32_e32 v25, 0, v34
	v_ldexp_f32 v12, v12, v25
	v_ldexp_f32 v23, v23, v25
	v_add_f32_e32 v25, -1.0, v12
	v_add_f32_e32 v27, 1.0, v12
	v_add_f32_e32 v26, 1.0, v25
	v_add_f32_e32 v28, -1.0, v27
	v_sub_f32_e32 v26, v12, v26
	v_sub_f32_e32 v12, v12, v28
	v_add_f32_e32 v12, v23, v12
	v_add_f32_e32 v26, v23, v26
	;; [unrolled: 1-line block ×3, first 2 shown]
	v_rcp_f32_e32 v35, v23
	v_sub_f32_e32 v27, v27, v23
	v_add_f32_e32 v12, v12, v27
	v_add_f32_e32 v27, v25, v26
	v_mul_f32_e32 v36, v27, v35
	v_mul_f32_e32 v28, v23, v36
	v_fma_f32 v30, v36, v23, -v28
	v_sub_f32_e32 v25, v25, v27
	v_fmac_f32_e32 v30, v36, v12
	v_add_f32_e32 v25, v26, v25
	v_add_f32_e32 v26, v28, v30
	v_sub_f32_e32 v29, v27, v26
	v_pk_add_f32 v[32:33], v[26:27], v[28:29] neg_lo:[0,1] neg_hi:[0,1]
	v_mov_b32_e32 v31, v26
	v_pk_add_f32 v[26:27], v[32:33], v[30:31] neg_lo:[0,1] neg_hi:[0,1]
	v_cmp_eq_f32_e32 vcc, s13, v40
	v_add_f32_e32 v25, v25, v27
	v_add_f32_e32 v25, v26, v25
	;; [unrolled: 1-line block ×3, first 2 shown]
	v_mul_f32_e32 v37, v35, v27
	v_mul_f32_e32 v28, v23, v37
	v_fma_f32 v30, v37, v23, -v28
	v_fmac_f32_e32 v30, v37, v12
	v_add_f32_e32 v26, v28, v30
	v_sub_f32_e32 v12, v29, v27
	v_sub_f32_e32 v29, v27, v26
	v_pk_add_f32 v[32:33], v[26:27], v[28:29] neg_lo:[0,1] neg_hi:[0,1]
	v_mov_b32_e32 v31, v26
	v_add_f32_e32 v12, v25, v12
	v_pk_add_f32 v[26:27], v[32:33], v[30:31] neg_lo:[0,1] neg_hi:[0,1]
	v_add_f32_e32 v23, v36, v37
	v_add_f32_e32 v12, v12, v27
	;; [unrolled: 1-line block ×4, first 2 shown]
	v_sub_f32_e32 v25, v23, v36
	v_mul_f32_e32 v12, v35, v12
	v_sub_f32_e32 v25, v37, v25
	v_add_f32_e32 v12, v25, v12
	v_add_f32_e32 v27, v23, v12
	v_cvt_f32_i32_e32 v26, v34
	v_mul_f32_e32 v28, v27, v27
	v_fmamk_f32 v25, v28, 0x3e9b6dac, v135
	v_fmaak_f32 v25, v28, v25, 0x3f2aaada
	v_sub_f32_e32 v23, v27, v23
	v_ldexp_f32 v29, v27, 1
	v_mul_f32_e32 v27, v27, v28
	v_pk_mul_f32 v[30:31], v[26:27], v[24:25]
	v_sub_f32_e32 v12, v12, v23
	v_fma_f32 v28, v26, s15, -v30
	v_fmac_f32_e32 v28, 0xb102e308, v26
	v_pk_add_f32 v[26:27], v[30:31], v[28:29]
	v_ldexp_f32 v12, v12, 1
	v_sub_f32_e32 v23, v27, v29
	v_sub_f32_e32 v23, v31, v23
	v_add_f32_e32 v33, v12, v23
	v_mov_b32_e32 v32, v30
	v_pk_add_f32 v[30:31], v[26:27], v[30:31] neg_lo:[0,1] neg_hi:[0,1]
	v_pk_add_f32 v[34:35], v[26:27], v[32:33]
	v_mov_b32_e32 v29, v26
	v_mov_b32_e32 v31, v35
	v_pk_add_f32 v[36:37], v[28:29], v[30:31] neg_lo:[0,1] neg_hi:[0,1]
	v_pk_add_f32 v[28:29], v[28:29], v[30:31]
	s_or_b64 vcc, s[60:61], vcc
	v_mov_b32_e32 v12, v29
	v_pk_add_f32 v[30:31], v[12:13], v[26:27] neg_lo:[0,1] neg_hi:[0,1]
	v_mov_b32_e32 v28, v35
	v_mov_b32_e32 v23, v30
	v_pk_add_f32 v[38:39], v[34:35], v[22:23] neg_lo:[0,1] neg_hi:[0,1]
	v_mov_b32_e32 v34, v27
	v_mov_b32_e32 v35, v30
	;; [unrolled: 1-line block ×3, first 2 shown]
	v_pk_add_f32 v[28:29], v[28:29], v[34:35] neg_lo:[0,1] neg_hi:[0,1]
	v_mov_b32_e32 v30, v33
	v_mov_b32_e32 v31, v26
	v_pk_add_f32 v[26:27], v[30:31], v[28:29] neg_lo:[0,1] neg_hi:[0,1]
	v_mov_b32_e32 v38, v36
	v_pk_add_f32 v[28:29], v[38:39], v[26:27]
	s_nop 0
	v_mov_b32_e32 v30, v29
	v_pk_add_f32 v[30:31], v[28:29], v[30:31]
	s_nop 0
	v_pk_add_f32 v[32:33], v[12:13], v[30:31]
	v_mov_b32_e32 v27, v30
	v_mov_b32_e32 v29, v32
	v_pk_add_f32 v[34:35], v[28:29], v[36:37] neg_lo:[0,1] neg_hi:[0,1]
	s_nop 0
	v_sub_f32_e32 v12, v28, v34
	v_pk_add_f32 v[26:27], v[26:27], v[34:35] neg_lo:[0,1] neg_hi:[0,1]
	v_sub_f32_e32 v12, v36, v12
	v_add_f32_e32 v12, v26, v12
	v_add_f32_e32 v12, v12, v27
	;; [unrolled: 1-line block ×3, first 2 shown]
	v_cndmask_b32_e32 v140, v12, v40, vcc
.LBB95_79:                              ;   in Loop: Header=BB95_13 Depth=1
	s_or_b64 exec, exec, s[4:5]
	v_cvt_f32_f16_e32 v12, v13
	v_readlane_b32 s2, v167, 2
	s_nop 1
	v_add_f32_e32 v141, s2, v12
	v_readlane_b32 s2, v167, 30
	v_cmp_ge_f32_e32 vcc, s6, v141
	v_readlane_b32 s3, v167, 31
	s_and_b64 s[2:3], s[2:3], vcc
	s_and_saveexec_b64 s[4:5], s[2:3]
	s_cbranch_execz .LBB95_81
; %bb.80:                               ;   in Loop: Header=BB95_13 Depth=1
	v_mul_f32_e32 v12, 0x3fb8aa3b, v141
	v_rndne_f32_e32 v23, v12
	v_sub_f32_e32 v25, v12, v23
	v_fma_f32 v12, v141, s8, -v12
	v_fmac_f32_e32 v12, 0x32a5705f, v141
	v_add_f32_e32 v12, v25, v12
	v_cvt_i32_f32_e32 v23, v23
	v_exp_f32_e32 v12, v12
	v_cmp_ngt_f32_e32 vcc, s9, v141
	v_ldexp_f32 v12, v12, v23
	s_nop 0
	v_cndmask_b32_e32 v12, 0, v12, vcc
	v_cmp_nlt_f32_e32 vcc, s12, v141
	s_nop 1
	v_cndmask_b32_e32 v40, v136, v12, vcc
	v_add_f32_e32 v12, 1.0, v40
	v_add_f32_e32 v23, -1.0, v12
	v_sub_f32_e32 v25, v23, v12
	v_add_f32_e32 v25, 1.0, v25
	v_sub_f32_e32 v23, v40, v23
	v_add_f32_e32 v23, v23, v25
	v_frexp_mant_f32_e32 v25, v12
	v_cvt_f64_f32_e32 v[26:27], v12
	v_frexp_exp_i32_f64_e32 v26, v[26:27]
	v_cmp_gt_f32_e32 vcc, s14, v25
	v_cmp_gt_f32_e64 s[60:61], s16, v40
	s_nop 0
	v_subbrev_co_u32_e32 v34, vcc, 0, v26, vcc
	v_sub_u32_e32 v25, 0, v34
	v_ldexp_f32 v12, v12, v25
	v_ldexp_f32 v23, v23, v25
	v_add_f32_e32 v25, -1.0, v12
	v_add_f32_e32 v27, 1.0, v12
	v_add_f32_e32 v26, 1.0, v25
	v_add_f32_e32 v28, -1.0, v27
	v_sub_f32_e32 v26, v12, v26
	v_sub_f32_e32 v12, v12, v28
	v_add_f32_e32 v12, v23, v12
	v_add_f32_e32 v26, v23, v26
	;; [unrolled: 1-line block ×3, first 2 shown]
	v_rcp_f32_e32 v35, v23
	v_sub_f32_e32 v27, v27, v23
	v_add_f32_e32 v12, v12, v27
	v_add_f32_e32 v27, v25, v26
	v_mul_f32_e32 v36, v27, v35
	v_mul_f32_e32 v28, v23, v36
	v_fma_f32 v30, v36, v23, -v28
	v_sub_f32_e32 v25, v25, v27
	v_fmac_f32_e32 v30, v36, v12
	v_add_f32_e32 v25, v26, v25
	v_add_f32_e32 v26, v28, v30
	v_sub_f32_e32 v29, v27, v26
	v_pk_add_f32 v[32:33], v[26:27], v[28:29] neg_lo:[0,1] neg_hi:[0,1]
	v_mov_b32_e32 v31, v26
	v_pk_add_f32 v[26:27], v[32:33], v[30:31] neg_lo:[0,1] neg_hi:[0,1]
	v_cmp_eq_f32_e32 vcc, s13, v40
	v_add_f32_e32 v25, v25, v27
	v_add_f32_e32 v25, v26, v25
	;; [unrolled: 1-line block ×3, first 2 shown]
	v_mul_f32_e32 v37, v35, v27
	v_mul_f32_e32 v28, v23, v37
	v_fma_f32 v30, v37, v23, -v28
	v_fmac_f32_e32 v30, v37, v12
	v_add_f32_e32 v26, v28, v30
	v_sub_f32_e32 v12, v29, v27
	v_sub_f32_e32 v29, v27, v26
	v_pk_add_f32 v[32:33], v[26:27], v[28:29] neg_lo:[0,1] neg_hi:[0,1]
	v_mov_b32_e32 v31, v26
	v_add_f32_e32 v12, v25, v12
	v_pk_add_f32 v[26:27], v[32:33], v[30:31] neg_lo:[0,1] neg_hi:[0,1]
	v_add_f32_e32 v23, v36, v37
	v_add_f32_e32 v12, v12, v27
	;; [unrolled: 1-line block ×4, first 2 shown]
	v_sub_f32_e32 v25, v23, v36
	v_mul_f32_e32 v12, v35, v12
	v_sub_f32_e32 v25, v37, v25
	v_add_f32_e32 v12, v25, v12
	v_add_f32_e32 v27, v23, v12
	v_cvt_f32_i32_e32 v26, v34
	v_mul_f32_e32 v28, v27, v27
	v_fmamk_f32 v25, v28, 0x3e9b6dac, v135
	v_fmaak_f32 v25, v28, v25, 0x3f2aaada
	v_sub_f32_e32 v23, v27, v23
	v_ldexp_f32 v29, v27, 1
	v_mul_f32_e32 v27, v27, v28
	v_pk_mul_f32 v[30:31], v[26:27], v[24:25]
	v_sub_f32_e32 v12, v12, v23
	v_fma_f32 v28, v26, s15, -v30
	v_fmac_f32_e32 v28, 0xb102e308, v26
	v_pk_add_f32 v[26:27], v[30:31], v[28:29]
	v_ldexp_f32 v12, v12, 1
	v_sub_f32_e32 v23, v27, v29
	v_sub_f32_e32 v23, v31, v23
	v_add_f32_e32 v33, v12, v23
	v_mov_b32_e32 v32, v30
	v_pk_add_f32 v[30:31], v[26:27], v[30:31] neg_lo:[0,1] neg_hi:[0,1]
	v_pk_add_f32 v[34:35], v[26:27], v[32:33]
	v_mov_b32_e32 v29, v26
	v_mov_b32_e32 v31, v35
	v_pk_add_f32 v[36:37], v[28:29], v[30:31] neg_lo:[0,1] neg_hi:[0,1]
	v_pk_add_f32 v[28:29], v[28:29], v[30:31]
	s_or_b64 vcc, s[60:61], vcc
	v_mov_b32_e32 v12, v29
	v_pk_add_f32 v[30:31], v[12:13], v[26:27] neg_lo:[0,1] neg_hi:[0,1]
	v_mov_b32_e32 v28, v35
	v_mov_b32_e32 v23, v30
	v_pk_add_f32 v[38:39], v[34:35], v[22:23] neg_lo:[0,1] neg_hi:[0,1]
	v_mov_b32_e32 v34, v27
	v_mov_b32_e32 v35, v30
	;; [unrolled: 1-line block ×3, first 2 shown]
	v_pk_add_f32 v[28:29], v[28:29], v[34:35] neg_lo:[0,1] neg_hi:[0,1]
	v_mov_b32_e32 v30, v33
	v_mov_b32_e32 v31, v26
	v_pk_add_f32 v[26:27], v[30:31], v[28:29] neg_lo:[0,1] neg_hi:[0,1]
	v_mov_b32_e32 v38, v36
	v_pk_add_f32 v[28:29], v[38:39], v[26:27]
	s_nop 0
	v_mov_b32_e32 v30, v29
	v_pk_add_f32 v[30:31], v[28:29], v[30:31]
	s_nop 0
	v_pk_add_f32 v[32:33], v[12:13], v[30:31]
	v_mov_b32_e32 v27, v30
	v_mov_b32_e32 v29, v32
	v_pk_add_f32 v[34:35], v[28:29], v[36:37] neg_lo:[0,1] neg_hi:[0,1]
	s_nop 0
	v_sub_f32_e32 v12, v28, v34
	v_pk_add_f32 v[26:27], v[26:27], v[34:35] neg_lo:[0,1] neg_hi:[0,1]
	v_sub_f32_e32 v12, v36, v12
	v_add_f32_e32 v12, v26, v12
	v_add_f32_e32 v12, v12, v27
	;; [unrolled: 1-line block ×3, first 2 shown]
	v_cndmask_b32_e32 v141, v12, v40, vcc
.LBB95_81:                              ;   in Loop: Header=BB95_13 Depth=1
	s_or_b64 exec, exec, s[4:5]
	v_cvt_f32_f16_sdwa v12, v13 dst_sel:DWORD dst_unused:UNUSED_PAD src0_sel:WORD_1
	v_readlane_b32 s2, v167, 2
	s_nop 1
	v_add_f32_e32 v142, s2, v12
	v_readlane_b32 s2, v167, 30
	v_cmp_ge_f32_e32 vcc, s6, v142
	v_readlane_b32 s3, v167, 31
	s_and_b64 s[2:3], s[2:3], vcc
	s_and_saveexec_b64 s[4:5], s[2:3]
	s_cbranch_execz .LBB95_83
; %bb.82:                               ;   in Loop: Header=BB95_13 Depth=1
	v_mul_f32_e32 v12, 0x3fb8aa3b, v142
	v_rndne_f32_e32 v13, v12
	v_sub_f32_e32 v23, v12, v13
	v_fma_f32 v12, v142, s8, -v12
	v_fmac_f32_e32 v12, 0x32a5705f, v142
	v_add_f32_e32 v12, v23, v12
	v_cvt_i32_f32_e32 v13, v13
	v_exp_f32_e32 v12, v12
	v_cmp_ngt_f32_e32 vcc, s9, v142
	v_ldexp_f32 v12, v12, v13
	s_nop 0
	v_cndmask_b32_e32 v12, 0, v12, vcc
	v_cmp_nlt_f32_e32 vcc, s12, v142
	s_nop 1
	v_cndmask_b32_e32 v40, v136, v12, vcc
	v_add_f32_e32 v23, 1.0, v40
	v_add_f32_e32 v12, -1.0, v23
	v_sub_f32_e32 v13, v12, v23
	v_add_f32_e32 v13, 1.0, v13
	v_sub_f32_e32 v12, v40, v12
	v_add_f32_e32 v25, v12, v13
	v_frexp_mant_f32_e32 v26, v23
	v_cvt_f64_f32_e32 v[12:13], v23
	v_frexp_exp_i32_f64_e32 v12, v[12:13]
	v_cmp_gt_f32_e32 vcc, s14, v26
	v_cmp_gt_f32_e64 s[60:61], s16, v40
	s_nop 0
	v_subbrev_co_u32_e32 v32, vcc, 0, v12, vcc
	v_sub_u32_e32 v12, 0, v32
	v_ldexp_f32 v13, v23, v12
	v_add_f32_e32 v23, -1.0, v13
	v_add_f32_e32 v26, 1.0, v13
	v_ldexp_f32 v12, v25, v12
	v_add_f32_e32 v25, 1.0, v23
	v_add_f32_e32 v27, -1.0, v26
	v_sub_f32_e32 v25, v13, v25
	v_sub_f32_e32 v13, v13, v27
	v_add_f32_e32 v25, v12, v25
	v_add_f32_e32 v12, v12, v13
	;; [unrolled: 1-line block ×3, first 2 shown]
	v_rcp_f32_e32 v35, v33
	v_sub_f32_e32 v13, v26, v33
	v_add_f32_e32 v34, v12, v13
	v_add_f32_e32 v13, v23, v25
	v_sub_f32_e32 v12, v23, v13
	v_add_f32_e32 v23, v25, v12
	v_mul_f32_e32 v25, v13, v35
	v_mul_f32_e32 v26, v33, v25
	v_fma_f32 v28, v25, v33, -v26
	v_fmac_f32_e32 v28, v25, v34
	v_add_f32_e32 v12, v26, v28
	v_sub_f32_e32 v27, v13, v12
	v_pk_add_f32 v[30:31], v[12:13], v[26:27] neg_lo:[0,1] neg_hi:[0,1]
	v_mov_b32_e32 v29, v12
	v_pk_add_f32 v[12:13], v[30:31], v[28:29] neg_lo:[0,1] neg_hi:[0,1]
	v_cmp_eq_f32_e32 vcc, s13, v40
	v_add_f32_e32 v13, v23, v13
	v_add_f32_e32 v12, v12, v13
	;; [unrolled: 1-line block ×3, first 2 shown]
	v_mul_f32_e32 v23, v35, v13
	v_mul_f32_e32 v26, v33, v23
	v_fma_f32 v28, v23, v33, -v26
	v_fmac_f32_e32 v28, v23, v34
	v_sub_f32_e32 v27, v27, v13
	v_add_f32_e32 v33, v12, v27
	v_add_f32_e32 v12, v26, v28
	v_sub_f32_e32 v27, v13, v12
	v_pk_add_f32 v[30:31], v[12:13], v[26:27] neg_lo:[0,1] neg_hi:[0,1]
	v_mov_b32_e32 v29, v12
	v_pk_add_f32 v[12:13], v[30:31], v[28:29] neg_lo:[0,1] neg_hi:[0,1]
	s_or_b64 vcc, s[60:61], vcc
	v_add_f32_e32 v13, v33, v13
	v_add_f32_e32 v12, v12, v13
	;; [unrolled: 1-line block ×4, first 2 shown]
	v_sub_f32_e32 v25, v13, v25
	v_mul_f32_e32 v12, v35, v12
	v_sub_f32_e32 v23, v23, v25
	v_add_f32_e32 v23, v23, v12
	v_add_f32_e32 v26, v13, v23
	v_mul_f32_e32 v28, v26, v26
	v_fmamk_f32 v12, v28, 0x3e9b6dac, v135
	v_fmaak_f32 v25, v28, v12, 0x3f2aaada
	v_cvt_f32_i32_e32 v12, v32
	v_sub_f32_e32 v13, v26, v13
	v_sub_f32_e32 v13, v23, v13
	v_ldexp_f32 v23, v13, 1
	v_mul_f32_e32 v13, v26, v28
	v_pk_mul_f32 v[28:29], v[12:13], v[24:25]
	v_ldexp_f32 v27, v26, 1
	v_fma_f32 v26, v12, s15, -v28
	v_fmac_f32_e32 v26, 0xb102e308, v12
	v_pk_add_f32 v[12:13], v[28:29], v[26:27]
	v_mov_b32_e32 v30, v28
	v_sub_f32_e32 v25, v13, v27
	v_sub_f32_e32 v25, v29, v25
	v_add_f32_e32 v31, v23, v25
	v_pk_add_f32 v[28:29], v[12:13], v[28:29] neg_lo:[0,1] neg_hi:[0,1]
	v_pk_add_f32 v[32:33], v[12:13], v[30:31]
	v_mov_b32_e32 v27, v12
	v_mov_b32_e32 v29, v33
	v_pk_add_f32 v[34:35], v[26:27], v[28:29] neg_lo:[0,1] neg_hi:[0,1]
	v_pk_add_f32 v[26:27], v[26:27], v[28:29]
	v_mov_b32_e32 v30, v31
	v_mov_b32_e32 v28, v27
	v_pk_add_f32 v[36:37], v[28:29], v[12:13] neg_lo:[0,1] neg_hi:[0,1]
	v_mov_b32_e32 v26, v33
	v_mov_b32_e32 v23, v36
	v_pk_add_f32 v[38:39], v[32:33], v[22:23] neg_lo:[0,1] neg_hi:[0,1]
	v_mov_b32_e32 v32, v13
	v_mov_b32_e32 v33, v36
	;; [unrolled: 1-line block ×3, first 2 shown]
	v_pk_add_f32 v[26:27], v[26:27], v[32:33] neg_lo:[0,1] neg_hi:[0,1]
	v_mov_b32_e32 v31, v12
	v_pk_add_f32 v[12:13], v[30:31], v[26:27] neg_lo:[0,1] neg_hi:[0,1]
	v_mov_b32_e32 v38, v34
	v_pk_add_f32 v[26:27], v[38:39], v[12:13]
	s_nop 0
	v_mov_b32_e32 v30, v27
	v_pk_add_f32 v[30:31], v[26:27], v[30:31]
	s_nop 0
	v_pk_add_f32 v[28:29], v[28:29], v[30:31]
	v_mov_b32_e32 v13, v30
	v_mov_b32_e32 v27, v28
	v_pk_add_f32 v[32:33], v[26:27], v[34:35] neg_lo:[0,1] neg_hi:[0,1]
	s_nop 0
	v_sub_f32_e32 v23, v26, v32
	v_pk_add_f32 v[12:13], v[12:13], v[32:33] neg_lo:[0,1] neg_hi:[0,1]
	v_sub_f32_e32 v23, v34, v23
	v_add_f32_e32 v12, v12, v23
	v_add_f32_e32 v12, v12, v13
	;; [unrolled: 1-line block ×3, first 2 shown]
	v_cndmask_b32_e32 v142, v12, v40, vcc
.LBB95_83:                              ;   in Loop: Header=BB95_13 Depth=1
	s_or_b64 exec, exec, s[4:5]
	v_cvt_f32_f16_e32 v12, v14
	v_readlane_b32 s2, v167, 2
	s_nop 1
	v_add_f32_e32 v143, s2, v12
	v_readlane_b32 s2, v167, 30
	v_cmp_ge_f32_e32 vcc, s6, v143
	v_readlane_b32 s3, v167, 31
	s_and_b64 s[2:3], s[2:3], vcc
	s_and_saveexec_b64 s[4:5], s[2:3]
	s_cbranch_execz .LBB95_85
; %bb.84:                               ;   in Loop: Header=BB95_13 Depth=1
	v_mul_f32_e32 v12, 0x3fb8aa3b, v143
	v_rndne_f32_e32 v13, v12
	v_sub_f32_e32 v23, v12, v13
	v_fma_f32 v12, v143, s8, -v12
	v_fmac_f32_e32 v12, 0x32a5705f, v143
	v_add_f32_e32 v12, v23, v12
	v_cvt_i32_f32_e32 v13, v13
	v_exp_f32_e32 v12, v12
	v_cmp_ngt_f32_e32 vcc, s9, v143
	v_ldexp_f32 v12, v12, v13
	s_nop 0
	v_cndmask_b32_e32 v12, 0, v12, vcc
	v_cmp_nlt_f32_e32 vcc, s12, v143
	s_nop 1
	v_cndmask_b32_e32 v40, v136, v12, vcc
	v_add_f32_e32 v23, 1.0, v40
	v_add_f32_e32 v12, -1.0, v23
	v_sub_f32_e32 v13, v12, v23
	v_add_f32_e32 v13, 1.0, v13
	v_sub_f32_e32 v12, v40, v12
	v_add_f32_e32 v25, v12, v13
	v_frexp_mant_f32_e32 v26, v23
	v_cvt_f64_f32_e32 v[12:13], v23
	v_frexp_exp_i32_f64_e32 v12, v[12:13]
	v_cmp_gt_f32_e32 vcc, s14, v26
	v_cmp_gt_f32_e64 s[60:61], s16, v40
	s_nop 0
	v_subbrev_co_u32_e32 v32, vcc, 0, v12, vcc
	v_sub_u32_e32 v12, 0, v32
	v_ldexp_f32 v13, v23, v12
	v_add_f32_e32 v23, -1.0, v13
	v_add_f32_e32 v26, 1.0, v13
	v_ldexp_f32 v12, v25, v12
	v_add_f32_e32 v25, 1.0, v23
	v_add_f32_e32 v27, -1.0, v26
	v_sub_f32_e32 v25, v13, v25
	v_sub_f32_e32 v13, v13, v27
	v_add_f32_e32 v25, v12, v25
	v_add_f32_e32 v12, v12, v13
	v_add_f32_e32 v33, v26, v12
	v_rcp_f32_e32 v35, v33
	v_sub_f32_e32 v13, v26, v33
	v_add_f32_e32 v34, v12, v13
	v_add_f32_e32 v13, v23, v25
	v_sub_f32_e32 v12, v23, v13
	v_add_f32_e32 v23, v25, v12
	v_mul_f32_e32 v25, v13, v35
	v_mul_f32_e32 v26, v33, v25
	v_fma_f32 v28, v25, v33, -v26
	v_fmac_f32_e32 v28, v25, v34
	v_add_f32_e32 v12, v26, v28
	v_sub_f32_e32 v27, v13, v12
	v_pk_add_f32 v[30:31], v[12:13], v[26:27] neg_lo:[0,1] neg_hi:[0,1]
	v_mov_b32_e32 v29, v12
	v_pk_add_f32 v[12:13], v[30:31], v[28:29] neg_lo:[0,1] neg_hi:[0,1]
	v_cmp_eq_f32_e32 vcc, s13, v40
	v_add_f32_e32 v13, v23, v13
	v_add_f32_e32 v12, v12, v13
	;; [unrolled: 1-line block ×3, first 2 shown]
	v_mul_f32_e32 v23, v35, v13
	v_mul_f32_e32 v26, v33, v23
	v_fma_f32 v28, v23, v33, -v26
	v_fmac_f32_e32 v28, v23, v34
	v_sub_f32_e32 v27, v27, v13
	v_add_f32_e32 v33, v12, v27
	v_add_f32_e32 v12, v26, v28
	v_sub_f32_e32 v27, v13, v12
	v_pk_add_f32 v[30:31], v[12:13], v[26:27] neg_lo:[0,1] neg_hi:[0,1]
	v_mov_b32_e32 v29, v12
	v_pk_add_f32 v[12:13], v[30:31], v[28:29] neg_lo:[0,1] neg_hi:[0,1]
	s_or_b64 vcc, s[60:61], vcc
	v_add_f32_e32 v13, v33, v13
	v_add_f32_e32 v12, v12, v13
	;; [unrolled: 1-line block ×4, first 2 shown]
	v_sub_f32_e32 v25, v13, v25
	v_mul_f32_e32 v12, v35, v12
	v_sub_f32_e32 v23, v23, v25
	v_add_f32_e32 v23, v23, v12
	v_add_f32_e32 v26, v13, v23
	v_mul_f32_e32 v28, v26, v26
	v_fmamk_f32 v12, v28, 0x3e9b6dac, v135
	v_fmaak_f32 v25, v28, v12, 0x3f2aaada
	v_cvt_f32_i32_e32 v12, v32
	v_sub_f32_e32 v13, v26, v13
	v_sub_f32_e32 v13, v23, v13
	v_ldexp_f32 v23, v13, 1
	v_mul_f32_e32 v13, v26, v28
	v_pk_mul_f32 v[28:29], v[12:13], v[24:25]
	v_ldexp_f32 v27, v26, 1
	v_fma_f32 v26, v12, s15, -v28
	v_fmac_f32_e32 v26, 0xb102e308, v12
	v_pk_add_f32 v[12:13], v[28:29], v[26:27]
	v_mov_b32_e32 v30, v28
	v_sub_f32_e32 v25, v13, v27
	v_sub_f32_e32 v25, v29, v25
	v_add_f32_e32 v31, v23, v25
	v_pk_add_f32 v[28:29], v[12:13], v[28:29] neg_lo:[0,1] neg_hi:[0,1]
	v_pk_add_f32 v[32:33], v[12:13], v[30:31]
	v_mov_b32_e32 v27, v12
	v_mov_b32_e32 v29, v33
	v_pk_add_f32 v[34:35], v[26:27], v[28:29] neg_lo:[0,1] neg_hi:[0,1]
	v_pk_add_f32 v[26:27], v[26:27], v[28:29]
	v_mov_b32_e32 v30, v31
	v_mov_b32_e32 v28, v27
	v_pk_add_f32 v[36:37], v[28:29], v[12:13] neg_lo:[0,1] neg_hi:[0,1]
	v_mov_b32_e32 v26, v33
	v_mov_b32_e32 v23, v36
	v_pk_add_f32 v[38:39], v[32:33], v[22:23] neg_lo:[0,1] neg_hi:[0,1]
	v_mov_b32_e32 v32, v13
	v_mov_b32_e32 v33, v36
	v_mov_b32_e32 v35, v27
	v_pk_add_f32 v[26:27], v[26:27], v[32:33] neg_lo:[0,1] neg_hi:[0,1]
	v_mov_b32_e32 v31, v12
	v_pk_add_f32 v[12:13], v[30:31], v[26:27] neg_lo:[0,1] neg_hi:[0,1]
	v_mov_b32_e32 v38, v34
	v_pk_add_f32 v[26:27], v[38:39], v[12:13]
	s_nop 0
	v_mov_b32_e32 v30, v27
	v_pk_add_f32 v[30:31], v[26:27], v[30:31]
	s_nop 0
	v_pk_add_f32 v[28:29], v[28:29], v[30:31]
	v_mov_b32_e32 v13, v30
	v_mov_b32_e32 v27, v28
	v_pk_add_f32 v[32:33], v[26:27], v[34:35] neg_lo:[0,1] neg_hi:[0,1]
	s_nop 0
	v_sub_f32_e32 v23, v26, v32
	v_pk_add_f32 v[12:13], v[12:13], v[32:33] neg_lo:[0,1] neg_hi:[0,1]
	v_sub_f32_e32 v23, v34, v23
	v_add_f32_e32 v12, v12, v23
	v_add_f32_e32 v12, v12, v13
	;; [unrolled: 1-line block ×3, first 2 shown]
	v_cndmask_b32_e32 v143, v12, v40, vcc
.LBB95_85:                              ;   in Loop: Header=BB95_13 Depth=1
	s_or_b64 exec, exec, s[4:5]
	v_cvt_f32_f16_sdwa v12, v14 dst_sel:DWORD dst_unused:UNUSED_PAD src0_sel:WORD_1
	v_readlane_b32 s2, v167, 2
	s_nop 1
	v_add_f32_e32 v144, s2, v12
	v_readlane_b32 s2, v167, 30
	v_cmp_ge_f32_e32 vcc, s6, v144
	v_readlane_b32 s3, v167, 31
	s_and_b64 s[2:3], s[2:3], vcc
	s_and_saveexec_b64 s[4:5], s[2:3]
	s_cbranch_execz .LBB95_87
; %bb.86:                               ;   in Loop: Header=BB95_13 Depth=1
	v_mul_f32_e32 v12, 0x3fb8aa3b, v144
	v_rndne_f32_e32 v13, v12
	v_sub_f32_e32 v14, v12, v13
	v_fma_f32 v12, v144, s8, -v12
	v_fmac_f32_e32 v12, 0x32a5705f, v144
	v_add_f32_e32 v12, v14, v12
	v_cvt_i32_f32_e32 v13, v13
	v_exp_f32_e32 v12, v12
	v_cmp_ngt_f32_e32 vcc, s9, v144
	v_ldexp_f32 v12, v12, v13
	s_nop 0
	v_cndmask_b32_e32 v12, 0, v12, vcc
	v_cmp_nlt_f32_e32 vcc, s12, v144
	s_nop 1
	v_cndmask_b32_e32 v38, v136, v12, vcc
	v_add_f32_e32 v14, 1.0, v38
	v_add_f32_e32 v12, -1.0, v14
	v_sub_f32_e32 v13, v12, v14
	v_add_f32_e32 v13, 1.0, v13
	v_sub_f32_e32 v12, v38, v12
	v_add_f32_e32 v23, v12, v13
	v_frexp_mant_f32_e32 v25, v14
	v_cvt_f64_f32_e32 v[12:13], v14
	v_frexp_exp_i32_f64_e32 v12, v[12:13]
	v_cmp_gt_f32_e32 vcc, s14, v25
	v_cmp_gt_f32_e64 s[60:61], s16, v38
	s_nop 0
	v_subbrev_co_u32_e32 v32, vcc, 0, v12, vcc
	v_sub_u32_e32 v12, 0, v32
	v_ldexp_f32 v13, v14, v12
	v_add_f32_e32 v14, -1.0, v13
	v_add_f32_e32 v25, 1.0, v13
	v_ldexp_f32 v12, v23, v12
	v_add_f32_e32 v23, 1.0, v14
	v_add_f32_e32 v26, -1.0, v25
	v_sub_f32_e32 v23, v13, v23
	v_sub_f32_e32 v13, v13, v26
	v_add_f32_e32 v23, v12, v23
	v_add_f32_e32 v12, v12, v13
	;; [unrolled: 1-line block ×3, first 2 shown]
	v_rcp_f32_e32 v34, v33
	v_sub_f32_e32 v13, v25, v33
	v_add_f32_e32 v25, v12, v13
	v_add_f32_e32 v13, v14, v23
	v_sub_f32_e32 v12, v14, v13
	v_add_f32_e32 v14, v23, v12
	v_mul_f32_e32 v23, v13, v34
	v_mul_f32_e32 v26, v33, v23
	v_fma_f32 v28, v23, v33, -v26
	v_fmac_f32_e32 v28, v23, v25
	v_add_f32_e32 v12, v26, v28
	v_sub_f32_e32 v27, v13, v12
	v_pk_add_f32 v[30:31], v[12:13], v[26:27] neg_lo:[0,1] neg_hi:[0,1]
	v_mov_b32_e32 v29, v12
	v_pk_add_f32 v[12:13], v[30:31], v[28:29] neg_lo:[0,1] neg_hi:[0,1]
	v_cmp_eq_f32_e32 vcc, s13, v38
	v_add_f32_e32 v13, v14, v13
	v_add_f32_e32 v12, v12, v13
	;; [unrolled: 1-line block ×3, first 2 shown]
	v_mul_f32_e32 v14, v34, v13
	v_mul_f32_e32 v26, v33, v14
	v_fma_f32 v28, v14, v33, -v26
	v_fmac_f32_e32 v28, v14, v25
	v_sub_f32_e32 v25, v27, v13
	v_add_f32_e32 v25, v12, v25
	v_add_f32_e32 v12, v26, v28
	v_sub_f32_e32 v27, v13, v12
	v_pk_add_f32 v[30:31], v[12:13], v[26:27] neg_lo:[0,1] neg_hi:[0,1]
	v_mov_b32_e32 v29, v12
	v_pk_add_f32 v[12:13], v[30:31], v[28:29] neg_lo:[0,1] neg_hi:[0,1]
	s_or_b64 vcc, s[60:61], vcc
	v_add_f32_e32 v13, v25, v13
	v_add_f32_e32 v12, v12, v13
	;; [unrolled: 1-line block ×4, first 2 shown]
	v_sub_f32_e32 v23, v13, v23
	v_mul_f32_e32 v12, v34, v12
	v_sub_f32_e32 v14, v14, v23
	v_add_f32_e32 v14, v14, v12
	v_add_f32_e32 v23, v13, v14
	v_mul_f32_e32 v26, v23, v23
	v_fmamk_f32 v12, v26, 0x3e9b6dac, v135
	v_fmaak_f32 v25, v26, v12, 0x3f2aaada
	v_cvt_f32_i32_e32 v12, v32
	v_sub_f32_e32 v13, v23, v13
	v_sub_f32_e32 v13, v14, v13
	v_ldexp_f32 v14, v13, 1
	v_mul_f32_e32 v13, v23, v26
	v_pk_mul_f32 v[28:29], v[12:13], v[24:25]
	v_ldexp_f32 v27, v23, 1
	v_fma_f32 v26, v12, s15, -v28
	v_fmac_f32_e32 v26, 0xb102e308, v12
	v_pk_add_f32 v[12:13], v[28:29], v[26:27]
	v_mov_b32_e32 v30, v28
	v_sub_f32_e32 v23, v13, v27
	v_sub_f32_e32 v23, v29, v23
	v_add_f32_e32 v31, v14, v23
	v_pk_add_f32 v[28:29], v[12:13], v[28:29] neg_lo:[0,1] neg_hi:[0,1]
	v_pk_add_f32 v[32:33], v[12:13], v[30:31]
	v_mov_b32_e32 v27, v12
	v_mov_b32_e32 v29, v33
	v_pk_add_f32 v[34:35], v[26:27], v[28:29] neg_lo:[0,1] neg_hi:[0,1]
	v_pk_add_f32 v[26:27], v[26:27], v[28:29]
	s_nop 0
	v_mov_b32_e32 v14, v27
	v_pk_add_f32 v[28:29], v[14:15], v[12:13] neg_lo:[0,1] neg_hi:[0,1]
	v_mov_b32_e32 v26, v33
	v_mov_b32_e32 v23, v28
	v_pk_add_f32 v[36:37], v[32:33], v[22:23] neg_lo:[0,1] neg_hi:[0,1]
	v_mov_b32_e32 v32, v13
	v_mov_b32_e32 v33, v28
	;; [unrolled: 1-line block ×3, first 2 shown]
	v_pk_add_f32 v[26:27], v[26:27], v[32:33] neg_lo:[0,1] neg_hi:[0,1]
	v_mov_b32_e32 v28, v31
	v_mov_b32_e32 v29, v12
	v_pk_add_f32 v[12:13], v[28:29], v[26:27] neg_lo:[0,1] neg_hi:[0,1]
	v_mov_b32_e32 v36, v34
	v_pk_add_f32 v[26:27], v[36:37], v[12:13]
	s_nop 0
	v_mov_b32_e32 v28, v27
	v_pk_add_f32 v[28:29], v[26:27], v[28:29]
	s_nop 0
	v_pk_add_f32 v[30:31], v[14:15], v[28:29]
	v_mov_b32_e32 v13, v28
	v_mov_b32_e32 v27, v30
	v_pk_add_f32 v[32:33], v[26:27], v[34:35] neg_lo:[0,1] neg_hi:[0,1]
	s_nop 0
	v_sub_f32_e32 v14, v26, v32
	v_pk_add_f32 v[12:13], v[12:13], v[32:33] neg_lo:[0,1] neg_hi:[0,1]
	v_sub_f32_e32 v14, v34, v14
	v_add_f32_e32 v12, v12, v14
	v_add_f32_e32 v12, v12, v13
	;; [unrolled: 1-line block ×3, first 2 shown]
	v_cndmask_b32_e32 v144, v12, v38, vcc
.LBB95_87:                              ;   in Loop: Header=BB95_13 Depth=1
	s_or_b64 exec, exec, s[4:5]
	v_cvt_f32_f16_e32 v12, v15
	v_readlane_b32 s2, v167, 2
	s_nop 1
	v_add_f32_e32 v145, s2, v12
	v_readlane_b32 s2, v167, 30
	v_cmp_ge_f32_e32 vcc, s6, v145
	v_readlane_b32 s3, v167, 31
	s_and_b64 s[2:3], s[2:3], vcc
	s_and_saveexec_b64 s[4:5], s[2:3]
	s_cbranch_execz .LBB95_89
; %bb.88:                               ;   in Loop: Header=BB95_13 Depth=1
	v_mul_f32_e32 v12, 0x3fb8aa3b, v145
	v_rndne_f32_e32 v13, v12
	v_sub_f32_e32 v14, v12, v13
	v_fma_f32 v12, v145, s8, -v12
	v_fmac_f32_e32 v12, 0x32a5705f, v145
	v_add_f32_e32 v12, v14, v12
	v_cvt_i32_f32_e32 v13, v13
	v_exp_f32_e32 v12, v12
	v_cmp_ngt_f32_e32 vcc, s9, v145
	v_ldexp_f32 v12, v12, v13
	s_nop 0
	v_cndmask_b32_e32 v12, 0, v12, vcc
	v_cmp_nlt_f32_e32 vcc, s12, v145
	s_nop 1
	v_cndmask_b32_e32 v38, v136, v12, vcc
	v_add_f32_e32 v14, 1.0, v38
	v_add_f32_e32 v12, -1.0, v14
	v_sub_f32_e32 v13, v12, v14
	v_add_f32_e32 v13, 1.0, v13
	v_sub_f32_e32 v12, v38, v12
	v_add_f32_e32 v23, v12, v13
	v_frexp_mant_f32_e32 v25, v14
	v_cvt_f64_f32_e32 v[12:13], v14
	v_frexp_exp_i32_f64_e32 v12, v[12:13]
	v_cmp_gt_f32_e32 vcc, s14, v25
	v_cmp_gt_f32_e64 s[60:61], s16, v38
	s_nop 0
	v_subbrev_co_u32_e32 v32, vcc, 0, v12, vcc
	v_sub_u32_e32 v12, 0, v32
	v_ldexp_f32 v13, v14, v12
	v_add_f32_e32 v14, -1.0, v13
	v_add_f32_e32 v25, 1.0, v13
	v_ldexp_f32 v12, v23, v12
	v_add_f32_e32 v23, 1.0, v14
	v_add_f32_e32 v26, -1.0, v25
	v_sub_f32_e32 v23, v13, v23
	v_sub_f32_e32 v13, v13, v26
	v_add_f32_e32 v23, v12, v23
	v_add_f32_e32 v12, v12, v13
	;; [unrolled: 1-line block ×3, first 2 shown]
	v_rcp_f32_e32 v34, v33
	v_sub_f32_e32 v13, v25, v33
	v_add_f32_e32 v25, v12, v13
	v_add_f32_e32 v13, v14, v23
	v_sub_f32_e32 v12, v14, v13
	v_add_f32_e32 v14, v23, v12
	v_mul_f32_e32 v23, v13, v34
	v_mul_f32_e32 v26, v33, v23
	v_fma_f32 v28, v23, v33, -v26
	v_fmac_f32_e32 v28, v23, v25
	v_add_f32_e32 v12, v26, v28
	v_sub_f32_e32 v27, v13, v12
	v_pk_add_f32 v[30:31], v[12:13], v[26:27] neg_lo:[0,1] neg_hi:[0,1]
	v_mov_b32_e32 v29, v12
	v_pk_add_f32 v[12:13], v[30:31], v[28:29] neg_lo:[0,1] neg_hi:[0,1]
	v_cmp_eq_f32_e32 vcc, s13, v38
	v_add_f32_e32 v13, v14, v13
	v_add_f32_e32 v12, v12, v13
	;; [unrolled: 1-line block ×3, first 2 shown]
	v_mul_f32_e32 v14, v34, v13
	v_mul_f32_e32 v26, v33, v14
	v_fma_f32 v28, v14, v33, -v26
	v_fmac_f32_e32 v28, v14, v25
	v_sub_f32_e32 v25, v27, v13
	v_add_f32_e32 v25, v12, v25
	v_add_f32_e32 v12, v26, v28
	v_sub_f32_e32 v27, v13, v12
	v_pk_add_f32 v[30:31], v[12:13], v[26:27] neg_lo:[0,1] neg_hi:[0,1]
	v_mov_b32_e32 v29, v12
	v_pk_add_f32 v[12:13], v[30:31], v[28:29] neg_lo:[0,1] neg_hi:[0,1]
	s_or_b64 vcc, s[60:61], vcc
	v_add_f32_e32 v13, v25, v13
	v_add_f32_e32 v12, v12, v13
	;; [unrolled: 1-line block ×4, first 2 shown]
	v_sub_f32_e32 v23, v13, v23
	v_mul_f32_e32 v12, v34, v12
	v_sub_f32_e32 v14, v14, v23
	v_add_f32_e32 v14, v14, v12
	v_add_f32_e32 v23, v13, v14
	v_mul_f32_e32 v26, v23, v23
	v_fmamk_f32 v12, v26, 0x3e9b6dac, v135
	v_fmaak_f32 v25, v26, v12, 0x3f2aaada
	v_cvt_f32_i32_e32 v12, v32
	v_sub_f32_e32 v13, v23, v13
	v_sub_f32_e32 v13, v14, v13
	v_ldexp_f32 v14, v13, 1
	v_mul_f32_e32 v13, v23, v26
	v_pk_mul_f32 v[28:29], v[12:13], v[24:25]
	v_ldexp_f32 v27, v23, 1
	v_fma_f32 v26, v12, s15, -v28
	v_fmac_f32_e32 v26, 0xb102e308, v12
	v_pk_add_f32 v[12:13], v[28:29], v[26:27]
	v_mov_b32_e32 v30, v28
	v_sub_f32_e32 v23, v13, v27
	v_sub_f32_e32 v23, v29, v23
	v_add_f32_e32 v31, v14, v23
	v_pk_add_f32 v[28:29], v[12:13], v[28:29] neg_lo:[0,1] neg_hi:[0,1]
	v_pk_add_f32 v[32:33], v[12:13], v[30:31]
	v_mov_b32_e32 v27, v12
	v_mov_b32_e32 v29, v33
	v_pk_add_f32 v[34:35], v[26:27], v[28:29] neg_lo:[0,1] neg_hi:[0,1]
	v_pk_add_f32 v[26:27], v[26:27], v[28:29]
	s_nop 0
	v_mov_b32_e32 v14, v27
	v_pk_add_f32 v[28:29], v[14:15], v[12:13] neg_lo:[0,1] neg_hi:[0,1]
	v_mov_b32_e32 v26, v33
	v_mov_b32_e32 v23, v28
	v_pk_add_f32 v[36:37], v[32:33], v[22:23] neg_lo:[0,1] neg_hi:[0,1]
	v_mov_b32_e32 v32, v13
	v_mov_b32_e32 v33, v28
	v_mov_b32_e32 v35, v27
	v_pk_add_f32 v[26:27], v[26:27], v[32:33] neg_lo:[0,1] neg_hi:[0,1]
	v_mov_b32_e32 v28, v31
	v_mov_b32_e32 v29, v12
	v_pk_add_f32 v[12:13], v[28:29], v[26:27] neg_lo:[0,1] neg_hi:[0,1]
	v_mov_b32_e32 v36, v34
	v_pk_add_f32 v[26:27], v[36:37], v[12:13]
	s_nop 0
	v_mov_b32_e32 v28, v27
	v_pk_add_f32 v[28:29], v[26:27], v[28:29]
	s_nop 0
	v_pk_add_f32 v[30:31], v[14:15], v[28:29]
	v_mov_b32_e32 v13, v28
	v_mov_b32_e32 v27, v30
	v_pk_add_f32 v[32:33], v[26:27], v[34:35] neg_lo:[0,1] neg_hi:[0,1]
	s_nop 0
	v_sub_f32_e32 v14, v26, v32
	v_pk_add_f32 v[12:13], v[12:13], v[32:33] neg_lo:[0,1] neg_hi:[0,1]
	v_sub_f32_e32 v14, v34, v14
	v_add_f32_e32 v12, v12, v14
	v_add_f32_e32 v12, v12, v13
	;; [unrolled: 1-line block ×3, first 2 shown]
	v_cndmask_b32_e32 v145, v12, v38, vcc
.LBB95_89:                              ;   in Loop: Header=BB95_13 Depth=1
	s_or_b64 exec, exec, s[4:5]
	v_cvt_f32_f16_sdwa v12, v15 dst_sel:DWORD dst_unused:UNUSED_PAD src0_sel:WORD_1
	v_readlane_b32 s2, v167, 2
	s_nop 1
	v_add_f32_e32 v146, s2, v12
	v_readlane_b32 s2, v167, 30
	v_cmp_ge_f32_e32 vcc, s6, v146
	v_readlane_b32 s3, v167, 31
	s_and_b64 s[2:3], s[2:3], vcc
	s_and_saveexec_b64 s[4:5], s[2:3]
	s_cbranch_execz .LBB95_91
; %bb.90:                               ;   in Loop: Header=BB95_13 Depth=1
	v_mul_f32_e32 v12, 0x3fb8aa3b, v146
	v_rndne_f32_e32 v13, v12
	v_sub_f32_e32 v14, v12, v13
	v_fma_f32 v12, v146, s8, -v12
	v_fmac_f32_e32 v12, 0x32a5705f, v146
	v_add_f32_e32 v12, v14, v12
	v_cvt_i32_f32_e32 v13, v13
	v_exp_f32_e32 v12, v12
	v_cmp_ngt_f32_e32 vcc, s9, v146
	v_ldexp_f32 v12, v12, v13
	s_nop 0
	v_cndmask_b32_e32 v12, 0, v12, vcc
	v_cmp_nlt_f32_e32 vcc, s12, v146
	s_nop 1
	v_cndmask_b32_e32 v38, v136, v12, vcc
	v_add_f32_e32 v14, 1.0, v38
	v_add_f32_e32 v12, -1.0, v14
	v_sub_f32_e32 v13, v12, v14
	v_add_f32_e32 v13, 1.0, v13
	v_sub_f32_e32 v12, v38, v12
	v_add_f32_e32 v15, v12, v13
	v_frexp_mant_f32_e32 v23, v14
	v_cvt_f64_f32_e32 v[12:13], v14
	v_frexp_exp_i32_f64_e32 v12, v[12:13]
	v_cmp_gt_f32_e32 vcc, s14, v23
	v_cmp_gt_f32_e64 s[60:61], s16, v38
	s_nop 0
	v_subbrev_co_u32_e32 v23, vcc, 0, v12, vcc
	v_sub_u32_e32 v12, 0, v23
	v_ldexp_f32 v13, v14, v12
	v_add_f32_e32 v14, -1.0, v13
	v_add_f32_e32 v25, 1.0, v13
	v_ldexp_f32 v12, v15, v12
	v_add_f32_e32 v15, 1.0, v14
	v_add_f32_e32 v26, -1.0, v25
	v_sub_f32_e32 v15, v13, v15
	v_sub_f32_e32 v13, v13, v26
	v_add_f32_e32 v15, v12, v15
	v_add_f32_e32 v12, v12, v13
	;; [unrolled: 1-line block ×3, first 2 shown]
	v_rcp_f32_e32 v31, v30
	v_sub_f32_e32 v13, v25, v30
	v_add_f32_e32 v25, v12, v13
	v_add_f32_e32 v13, v14, v15
	v_mul_f32_e32 v33, v13, v31
	v_sub_f32_e32 v12, v14, v13
	v_mul_f32_e32 v14, v30, v33
	v_fma_f32 v26, v33, v30, -v14
	v_fmac_f32_e32 v26, v33, v25
	v_add_f32_e32 v32, v15, v12
	v_add_f32_e32 v12, v14, v26
	v_sub_f32_e32 v15, v13, v12
	v_pk_add_f32 v[28:29], v[12:13], v[14:15] neg_lo:[0,1] neg_hi:[0,1]
	v_mov_b32_e32 v27, v12
	v_pk_add_f32 v[12:13], v[28:29], v[26:27] neg_lo:[0,1] neg_hi:[0,1]
	v_cmp_eq_f32_e32 vcc, s13, v38
	v_add_f32_e32 v13, v32, v13
	v_add_f32_e32 v12, v12, v13
	;; [unrolled: 1-line block ×3, first 2 shown]
	v_mul_f32_e32 v32, v31, v13
	v_mul_f32_e32 v14, v30, v32
	v_fma_f32 v26, v32, v30, -v14
	v_fmac_f32_e32 v26, v32, v25
	v_sub_f32_e32 v15, v15, v13
	v_add_f32_e32 v25, v12, v15
	v_add_f32_e32 v12, v14, v26
	v_sub_f32_e32 v15, v13, v12
	v_pk_add_f32 v[28:29], v[12:13], v[14:15] neg_lo:[0,1] neg_hi:[0,1]
	v_mov_b32_e32 v27, v12
	v_pk_add_f32 v[12:13], v[28:29], v[26:27] neg_lo:[0,1] neg_hi:[0,1]
	s_or_b64 vcc, s[60:61], vcc
	v_add_f32_e32 v13, v25, v13
	v_add_f32_e32 v12, v12, v13
	;; [unrolled: 1-line block ×4, first 2 shown]
	v_sub_f32_e32 v14, v13, v33
	v_mul_f32_e32 v12, v31, v12
	v_sub_f32_e32 v14, v32, v14
	v_add_f32_e32 v14, v14, v12
	v_add_f32_e32 v26, v13, v14
	v_mul_f32_e32 v27, v26, v26
	v_fmamk_f32 v12, v27, 0x3e9b6dac, v135
	v_fmaak_f32 v25, v27, v12, 0x3f2aaada
	v_cvt_f32_i32_e32 v12, v23
	v_sub_f32_e32 v13, v26, v13
	v_sub_f32_e32 v13, v14, v13
	v_ldexp_f32 v23, v13, 1
	v_mul_f32_e32 v13, v26, v27
	v_ldexp_f32 v15, v26, 1
	v_pk_mul_f32 v[26:27], v[12:13], v[24:25]
	s_nop 0
	v_fma_f32 v14, v12, s15, -v26
	v_fmac_f32_e32 v14, 0xb102e308, v12
	v_pk_add_f32 v[12:13], v[26:27], v[14:15]
	v_mov_b32_e32 v28, v26
	v_sub_f32_e32 v15, v13, v15
	v_sub_f32_e32 v15, v27, v15
	v_add_f32_e32 v29, v23, v15
	v_pk_add_f32 v[26:27], v[12:13], v[26:27] neg_lo:[0,1] neg_hi:[0,1]
	v_pk_add_f32 v[30:31], v[12:13], v[28:29]
	v_mov_b32_e32 v15, v12
	v_mov_b32_e32 v27, v31
	v_pk_add_f32 v[32:33], v[14:15], v[26:27] neg_lo:[0,1] neg_hi:[0,1]
	v_pk_add_f32 v[14:15], v[14:15], v[26:27]
	v_mov_b32_e32 v28, v29
	v_mov_b32_e32 v26, v15
	v_pk_add_f32 v[34:35], v[26:27], v[12:13] neg_lo:[0,1] neg_hi:[0,1]
	v_mov_b32_e32 v14, v31
	v_mov_b32_e32 v23, v34
	v_pk_add_f32 v[36:37], v[30:31], v[22:23] neg_lo:[0,1] neg_hi:[0,1]
	v_mov_b32_e32 v30, v13
	v_mov_b32_e32 v31, v34
	;; [unrolled: 1-line block ×3, first 2 shown]
	v_pk_add_f32 v[14:15], v[14:15], v[30:31] neg_lo:[0,1] neg_hi:[0,1]
	v_mov_b32_e32 v29, v12
	v_pk_add_f32 v[12:13], v[28:29], v[14:15] neg_lo:[0,1] neg_hi:[0,1]
	v_mov_b32_e32 v36, v32
	v_pk_add_f32 v[14:15], v[36:37], v[12:13]
	s_nop 0
	v_mov_b32_e32 v28, v15
	v_pk_add_f32 v[28:29], v[14:15], v[28:29]
	s_nop 0
	v_pk_add_f32 v[26:27], v[26:27], v[28:29]
	v_mov_b32_e32 v13, v28
	v_mov_b32_e32 v15, v26
	v_pk_add_f32 v[30:31], v[14:15], v[32:33] neg_lo:[0,1] neg_hi:[0,1]
	s_nop 0
	v_sub_f32_e32 v14, v14, v30
	v_pk_add_f32 v[12:13], v[12:13], v[30:31] neg_lo:[0,1] neg_hi:[0,1]
	v_sub_f32_e32 v14, v32, v14
	v_add_f32_e32 v12, v12, v14
	v_add_f32_e32 v12, v12, v13
	;; [unrolled: 1-line block ×3, first 2 shown]
	v_cndmask_b32_e32 v146, v12, v38, vcc
.LBB95_91:                              ;   in Loop: Header=BB95_13 Depth=1
	s_or_b64 exec, exec, s[4:5]
	s_waitcnt lgkmcnt(0)
	v_cvt_f32_f16_e32 v12, v8
	v_readlane_b32 s2, v167, 2
	s_nop 1
	v_add_f32_e32 v147, s2, v12
	v_readlane_b32 s2, v167, 30
	v_cmp_ge_f32_e32 vcc, s6, v147
	v_readlane_b32 s3, v167, 31
	s_and_b64 s[2:3], s[2:3], vcc
	s_and_saveexec_b64 s[4:5], s[2:3]
	s_cbranch_execz .LBB95_93
; %bb.92:                               ;   in Loop: Header=BB95_13 Depth=1
	v_mul_f32_e32 v12, 0x3fb8aa3b, v147
	v_rndne_f32_e32 v13, v12
	v_sub_f32_e32 v14, v12, v13
	v_fma_f32 v12, v147, s8, -v12
	v_fmac_f32_e32 v12, 0x32a5705f, v147
	v_add_f32_e32 v12, v14, v12
	v_cvt_i32_f32_e32 v13, v13
	v_exp_f32_e32 v12, v12
	v_cmp_ngt_f32_e32 vcc, s9, v147
	v_ldexp_f32 v12, v12, v13
	s_nop 0
	v_cndmask_b32_e32 v12, 0, v12, vcc
	v_cmp_nlt_f32_e32 vcc, s12, v147
	s_nop 1
	v_cndmask_b32_e32 v38, v136, v12, vcc
	v_add_f32_e32 v14, 1.0, v38
	v_add_f32_e32 v12, -1.0, v14
	v_sub_f32_e32 v13, v12, v14
	v_add_f32_e32 v13, 1.0, v13
	v_sub_f32_e32 v12, v38, v12
	v_add_f32_e32 v15, v12, v13
	v_frexp_mant_f32_e32 v23, v14
	v_cvt_f64_f32_e32 v[12:13], v14
	v_frexp_exp_i32_f64_e32 v12, v[12:13]
	v_cmp_gt_f32_e32 vcc, s14, v23
	v_cmp_gt_f32_e64 s[60:61], s16, v38
	s_nop 0
	v_subbrev_co_u32_e32 v23, vcc, 0, v12, vcc
	v_sub_u32_e32 v12, 0, v23
	v_ldexp_f32 v13, v14, v12
	v_add_f32_e32 v14, -1.0, v13
	v_add_f32_e32 v25, 1.0, v13
	v_ldexp_f32 v12, v15, v12
	v_add_f32_e32 v15, 1.0, v14
	v_add_f32_e32 v26, -1.0, v25
	v_sub_f32_e32 v15, v13, v15
	v_sub_f32_e32 v13, v13, v26
	v_add_f32_e32 v15, v12, v15
	v_add_f32_e32 v12, v12, v13
	;; [unrolled: 1-line block ×3, first 2 shown]
	v_rcp_f32_e32 v31, v30
	v_sub_f32_e32 v13, v25, v30
	v_add_f32_e32 v25, v12, v13
	v_add_f32_e32 v13, v14, v15
	v_mul_f32_e32 v33, v13, v31
	v_sub_f32_e32 v12, v14, v13
	v_mul_f32_e32 v14, v30, v33
	v_fma_f32 v26, v33, v30, -v14
	v_fmac_f32_e32 v26, v33, v25
	v_add_f32_e32 v32, v15, v12
	v_add_f32_e32 v12, v14, v26
	v_sub_f32_e32 v15, v13, v12
	v_pk_add_f32 v[28:29], v[12:13], v[14:15] neg_lo:[0,1] neg_hi:[0,1]
	v_mov_b32_e32 v27, v12
	v_pk_add_f32 v[12:13], v[28:29], v[26:27] neg_lo:[0,1] neg_hi:[0,1]
	v_cmp_eq_f32_e32 vcc, s13, v38
	v_add_f32_e32 v13, v32, v13
	v_add_f32_e32 v12, v12, v13
	;; [unrolled: 1-line block ×3, first 2 shown]
	v_mul_f32_e32 v32, v31, v13
	v_mul_f32_e32 v14, v30, v32
	v_fma_f32 v26, v32, v30, -v14
	v_fmac_f32_e32 v26, v32, v25
	v_sub_f32_e32 v15, v15, v13
	v_add_f32_e32 v25, v12, v15
	v_add_f32_e32 v12, v14, v26
	v_sub_f32_e32 v15, v13, v12
	v_pk_add_f32 v[28:29], v[12:13], v[14:15] neg_lo:[0,1] neg_hi:[0,1]
	v_mov_b32_e32 v27, v12
	v_pk_add_f32 v[12:13], v[28:29], v[26:27] neg_lo:[0,1] neg_hi:[0,1]
	s_or_b64 vcc, s[60:61], vcc
	v_add_f32_e32 v13, v25, v13
	v_add_f32_e32 v12, v12, v13
	;; [unrolled: 1-line block ×4, first 2 shown]
	v_sub_f32_e32 v14, v13, v33
	v_mul_f32_e32 v12, v31, v12
	v_sub_f32_e32 v14, v32, v14
	v_add_f32_e32 v14, v14, v12
	v_add_f32_e32 v26, v13, v14
	v_mul_f32_e32 v27, v26, v26
	v_fmamk_f32 v12, v27, 0x3e9b6dac, v135
	v_fmaak_f32 v25, v27, v12, 0x3f2aaada
	v_cvt_f32_i32_e32 v12, v23
	v_sub_f32_e32 v13, v26, v13
	v_sub_f32_e32 v13, v14, v13
	v_ldexp_f32 v23, v13, 1
	v_mul_f32_e32 v13, v26, v27
	v_ldexp_f32 v15, v26, 1
	v_pk_mul_f32 v[26:27], v[12:13], v[24:25]
	s_nop 0
	v_fma_f32 v14, v12, s15, -v26
	v_fmac_f32_e32 v14, 0xb102e308, v12
	v_pk_add_f32 v[12:13], v[26:27], v[14:15]
	v_mov_b32_e32 v28, v26
	v_sub_f32_e32 v15, v13, v15
	v_sub_f32_e32 v15, v27, v15
	v_add_f32_e32 v29, v23, v15
	v_pk_add_f32 v[26:27], v[12:13], v[26:27] neg_lo:[0,1] neg_hi:[0,1]
	v_pk_add_f32 v[30:31], v[12:13], v[28:29]
	v_mov_b32_e32 v15, v12
	v_mov_b32_e32 v27, v31
	v_pk_add_f32 v[32:33], v[14:15], v[26:27] neg_lo:[0,1] neg_hi:[0,1]
	v_pk_add_f32 v[14:15], v[14:15], v[26:27]
	v_mov_b32_e32 v28, v29
	v_mov_b32_e32 v26, v15
	v_pk_add_f32 v[34:35], v[26:27], v[12:13] neg_lo:[0,1] neg_hi:[0,1]
	v_mov_b32_e32 v14, v31
	v_mov_b32_e32 v23, v34
	v_pk_add_f32 v[36:37], v[30:31], v[22:23] neg_lo:[0,1] neg_hi:[0,1]
	v_mov_b32_e32 v30, v13
	v_mov_b32_e32 v31, v34
	;; [unrolled: 1-line block ×3, first 2 shown]
	v_pk_add_f32 v[14:15], v[14:15], v[30:31] neg_lo:[0,1] neg_hi:[0,1]
	v_mov_b32_e32 v29, v12
	v_pk_add_f32 v[12:13], v[28:29], v[14:15] neg_lo:[0,1] neg_hi:[0,1]
	v_mov_b32_e32 v36, v32
	v_pk_add_f32 v[14:15], v[36:37], v[12:13]
	s_nop 0
	v_mov_b32_e32 v28, v15
	v_pk_add_f32 v[28:29], v[14:15], v[28:29]
	s_nop 0
	v_pk_add_f32 v[26:27], v[26:27], v[28:29]
	v_mov_b32_e32 v13, v28
	v_mov_b32_e32 v15, v26
	v_pk_add_f32 v[30:31], v[14:15], v[32:33] neg_lo:[0,1] neg_hi:[0,1]
	s_nop 0
	v_sub_f32_e32 v14, v14, v30
	v_pk_add_f32 v[12:13], v[12:13], v[30:31] neg_lo:[0,1] neg_hi:[0,1]
	v_sub_f32_e32 v14, v32, v14
	v_add_f32_e32 v12, v12, v14
	v_add_f32_e32 v12, v12, v13
	;; [unrolled: 1-line block ×3, first 2 shown]
	v_cndmask_b32_e32 v147, v12, v38, vcc
.LBB95_93:                              ;   in Loop: Header=BB95_13 Depth=1
	s_or_b64 exec, exec, s[4:5]
	v_cvt_f32_f16_sdwa v8, v8 dst_sel:DWORD dst_unused:UNUSED_PAD src0_sel:WORD_1
	v_readlane_b32 s2, v167, 2
	s_nop 1
	v_add_f32_e32 v148, s2, v8
	v_readlane_b32 s2, v167, 30
	v_cmp_ge_f32_e32 vcc, s6, v148
	v_readlane_b32 s3, v167, 31
	s_and_b64 s[2:3], s[2:3], vcc
	s_and_saveexec_b64 s[4:5], s[2:3]
	s_cbranch_execz .LBB95_95
; %bb.94:                               ;   in Loop: Header=BB95_13 Depth=1
	v_mul_f32_e32 v8, 0x3fb8aa3b, v148
	v_rndne_f32_e32 v12, v8
	v_sub_f32_e32 v13, v8, v12
	v_fma_f32 v8, v148, s8, -v8
	v_fmac_f32_e32 v8, 0x32a5705f, v148
	v_add_f32_e32 v8, v13, v8
	v_cvt_i32_f32_e32 v12, v12
	v_exp_f32_e32 v8, v8
	v_cmp_ngt_f32_e32 vcc, s9, v148
	v_ldexp_f32 v8, v8, v12
	s_nop 0
	v_cndmask_b32_e32 v8, 0, v8, vcc
	v_cmp_nlt_f32_e32 vcc, s12, v148
	s_nop 1
	v_cndmask_b32_e32 v36, v136, v8, vcc
	v_add_f32_e32 v8, 1.0, v36
	v_add_f32_e32 v12, -1.0, v8
	v_sub_f32_e32 v13, v12, v8
	v_add_f32_e32 v13, 1.0, v13
	v_sub_f32_e32 v12, v36, v12
	v_add_f32_e32 v14, v12, v13
	v_frexp_mant_f32_e32 v15, v8
	v_cvt_f64_f32_e32 v[12:13], v8
	v_frexp_exp_i32_f64_e32 v12, v[12:13]
	v_cmp_gt_f32_e32 vcc, s14, v15
	v_cmp_gt_f32_e64 s[60:61], s16, v36
	s_nop 0
	v_subbrev_co_u32_e32 v23, vcc, 0, v12, vcc
	v_sub_u32_e32 v12, 0, v23
	v_ldexp_f32 v8, v8, v12
	v_ldexp_f32 v12, v14, v12
	v_add_f32_e32 v14, -1.0, v8
	v_add_f32_e32 v13, 1.0, v14
	v_sub_f32_e32 v13, v8, v13
	v_add_f32_e32 v15, v12, v13
	v_add_f32_e32 v13, 1.0, v8
	v_add_f32_e32 v25, -1.0, v13
	v_sub_f32_e32 v8, v8, v25
	v_add_f32_e32 v8, v12, v8
	v_add_f32_e32 v25, v13, v8
	v_rcp_f32_e32 v30, v25
	v_sub_f32_e32 v12, v13, v25
	v_add_f32_e32 v13, v14, v15
	v_add_f32_e32 v8, v8, v12
	v_mul_f32_e32 v32, v13, v30
	v_sub_f32_e32 v12, v14, v13
	v_mul_f32_e32 v14, v25, v32
	v_fma_f32 v26, v32, v25, -v14
	v_fmac_f32_e32 v26, v32, v8
	v_add_f32_e32 v31, v15, v12
	v_add_f32_e32 v12, v14, v26
	v_sub_f32_e32 v15, v13, v12
	v_pk_add_f32 v[28:29], v[12:13], v[14:15] neg_lo:[0,1] neg_hi:[0,1]
	v_mov_b32_e32 v27, v12
	v_pk_add_f32 v[12:13], v[28:29], v[26:27] neg_lo:[0,1] neg_hi:[0,1]
	v_cmp_eq_f32_e32 vcc, s13, v36
	v_add_f32_e32 v13, v31, v13
	v_add_f32_e32 v12, v12, v13
	;; [unrolled: 1-line block ×3, first 2 shown]
	v_mul_f32_e32 v31, v30, v13
	v_mul_f32_e32 v14, v25, v31
	v_fma_f32 v26, v31, v25, -v14
	v_fmac_f32_e32 v26, v31, v8
	v_sub_f32_e32 v8, v15, v13
	v_add_f32_e32 v8, v12, v8
	v_add_f32_e32 v12, v14, v26
	v_sub_f32_e32 v15, v13, v12
	v_pk_add_f32 v[28:29], v[12:13], v[14:15] neg_lo:[0,1] neg_hi:[0,1]
	v_mov_b32_e32 v27, v12
	v_pk_add_f32 v[12:13], v[28:29], v[26:27] neg_lo:[0,1] neg_hi:[0,1]
	s_or_b64 vcc, s[60:61], vcc
	v_add_f32_e32 v8, v8, v13
	v_add_f32_e32 v8, v12, v8
	;; [unrolled: 1-line block ×4, first 2 shown]
	v_sub_f32_e32 v12, v13, v32
	v_mul_f32_e32 v8, v30, v8
	v_sub_f32_e32 v12, v31, v12
	v_add_f32_e32 v8, v12, v8
	v_add_f32_e32 v14, v13, v8
	v_mul_f32_e32 v26, v14, v14
	v_fmamk_f32 v12, v26, 0x3e9b6dac, v135
	v_fmaak_f32 v25, v26, v12, 0x3f2aaada
	v_cvt_f32_i32_e32 v12, v23
	v_sub_f32_e32 v13, v14, v13
	v_sub_f32_e32 v8, v8, v13
	v_mul_f32_e32 v13, v14, v26
	v_pk_mul_f32 v[26:27], v[12:13], v[24:25]
	v_ldexp_f32 v15, v14, 1
	v_fma_f32 v14, v12, s15, -v26
	v_fmac_f32_e32 v14, 0xb102e308, v12
	v_pk_add_f32 v[12:13], v[26:27], v[14:15]
	v_ldexp_f32 v8, v8, 1
	v_sub_f32_e32 v15, v13, v15
	v_sub_f32_e32 v15, v27, v15
	v_add_f32_e32 v29, v8, v15
	v_mov_b32_e32 v28, v26
	v_pk_add_f32 v[26:27], v[12:13], v[26:27] neg_lo:[0,1] neg_hi:[0,1]
	v_pk_add_f32 v[30:31], v[12:13], v[28:29]
	v_mov_b32_e32 v15, v12
	v_mov_b32_e32 v27, v31
	v_pk_add_f32 v[32:33], v[14:15], v[26:27] neg_lo:[0,1] neg_hi:[0,1]
	v_pk_add_f32 v[14:15], v[14:15], v[26:27]
	s_nop 0
	v_mov_b32_e32 v8, v15
	v_pk_add_f32 v[26:27], v[8:9], v[12:13] neg_lo:[0,1] neg_hi:[0,1]
	v_mov_b32_e32 v14, v31
	v_mov_b32_e32 v23, v26
	v_pk_add_f32 v[34:35], v[30:31], v[22:23] neg_lo:[0,1] neg_hi:[0,1]
	v_mov_b32_e32 v30, v13
	v_mov_b32_e32 v31, v26
	;; [unrolled: 1-line block ×3, first 2 shown]
	v_pk_add_f32 v[14:15], v[14:15], v[30:31] neg_lo:[0,1] neg_hi:[0,1]
	v_mov_b32_e32 v26, v29
	v_mov_b32_e32 v27, v12
	v_pk_add_f32 v[12:13], v[26:27], v[14:15] neg_lo:[0,1] neg_hi:[0,1]
	v_mov_b32_e32 v34, v32
	v_pk_add_f32 v[14:15], v[34:35], v[12:13]
	s_nop 0
	v_mov_b32_e32 v26, v15
	v_pk_add_f32 v[26:27], v[14:15], v[26:27]
	s_nop 0
	v_pk_add_f32 v[28:29], v[8:9], v[26:27]
	v_mov_b32_e32 v13, v26
	v_mov_b32_e32 v15, v28
	v_pk_add_f32 v[30:31], v[14:15], v[32:33] neg_lo:[0,1] neg_hi:[0,1]
	s_nop 0
	v_sub_f32_e32 v8, v14, v30
	v_pk_add_f32 v[12:13], v[12:13], v[30:31] neg_lo:[0,1] neg_hi:[0,1]
	v_sub_f32_e32 v8, v32, v8
	v_add_f32_e32 v8, v12, v8
	v_add_f32_e32 v8, v8, v13
	;; [unrolled: 1-line block ×3, first 2 shown]
	v_cndmask_b32_e32 v148, v8, v36, vcc
.LBB95_95:                              ;   in Loop: Header=BB95_13 Depth=1
	s_or_b64 exec, exec, s[4:5]
	v_cvt_f32_f16_e32 v8, v9
	v_readlane_b32 s2, v167, 2
	s_nop 1
	v_add_f32_e32 v149, s2, v8
	v_readlane_b32 s2, v167, 30
	v_cmp_ge_f32_e32 vcc, s6, v149
	v_readlane_b32 s3, v167, 31
	s_and_b64 s[2:3], s[2:3], vcc
	s_and_saveexec_b64 s[4:5], s[2:3]
	s_cbranch_execz .LBB95_97
; %bb.96:                               ;   in Loop: Header=BB95_13 Depth=1
	v_mul_f32_e32 v8, 0x3fb8aa3b, v149
	v_rndne_f32_e32 v12, v8
	v_sub_f32_e32 v13, v8, v12
	v_fma_f32 v8, v149, s8, -v8
	v_fmac_f32_e32 v8, 0x32a5705f, v149
	v_add_f32_e32 v8, v13, v8
	v_cvt_i32_f32_e32 v12, v12
	v_exp_f32_e32 v8, v8
	v_cmp_ngt_f32_e32 vcc, s9, v149
	v_ldexp_f32 v8, v8, v12
	s_nop 0
	v_cndmask_b32_e32 v8, 0, v8, vcc
	v_cmp_nlt_f32_e32 vcc, s12, v149
	s_nop 1
	v_cndmask_b32_e32 v36, v136, v8, vcc
	v_add_f32_e32 v8, 1.0, v36
	v_add_f32_e32 v12, -1.0, v8
	v_sub_f32_e32 v13, v12, v8
	v_add_f32_e32 v13, 1.0, v13
	v_sub_f32_e32 v12, v36, v12
	v_add_f32_e32 v14, v12, v13
	v_frexp_mant_f32_e32 v15, v8
	v_cvt_f64_f32_e32 v[12:13], v8
	v_frexp_exp_i32_f64_e32 v12, v[12:13]
	v_cmp_gt_f32_e32 vcc, s14, v15
	v_cmp_gt_f32_e64 s[60:61], s16, v36
	s_nop 0
	v_subbrev_co_u32_e32 v23, vcc, 0, v12, vcc
	v_sub_u32_e32 v12, 0, v23
	v_ldexp_f32 v8, v8, v12
	v_ldexp_f32 v12, v14, v12
	v_add_f32_e32 v14, -1.0, v8
	v_add_f32_e32 v13, 1.0, v14
	v_sub_f32_e32 v13, v8, v13
	v_add_f32_e32 v15, v12, v13
	v_add_f32_e32 v13, 1.0, v8
	v_add_f32_e32 v25, -1.0, v13
	v_sub_f32_e32 v8, v8, v25
	v_add_f32_e32 v8, v12, v8
	v_add_f32_e32 v25, v13, v8
	v_rcp_f32_e32 v30, v25
	v_sub_f32_e32 v12, v13, v25
	v_add_f32_e32 v13, v14, v15
	v_add_f32_e32 v8, v8, v12
	v_mul_f32_e32 v32, v13, v30
	v_sub_f32_e32 v12, v14, v13
	v_mul_f32_e32 v14, v25, v32
	v_fma_f32 v26, v32, v25, -v14
	v_fmac_f32_e32 v26, v32, v8
	v_add_f32_e32 v31, v15, v12
	v_add_f32_e32 v12, v14, v26
	v_sub_f32_e32 v15, v13, v12
	v_pk_add_f32 v[28:29], v[12:13], v[14:15] neg_lo:[0,1] neg_hi:[0,1]
	v_mov_b32_e32 v27, v12
	v_pk_add_f32 v[12:13], v[28:29], v[26:27] neg_lo:[0,1] neg_hi:[0,1]
	v_cmp_eq_f32_e32 vcc, s13, v36
	v_add_f32_e32 v13, v31, v13
	v_add_f32_e32 v12, v12, v13
	v_add_f32_e32 v13, v15, v12
	v_mul_f32_e32 v31, v30, v13
	v_mul_f32_e32 v14, v25, v31
	v_fma_f32 v26, v31, v25, -v14
	v_fmac_f32_e32 v26, v31, v8
	v_sub_f32_e32 v8, v15, v13
	v_add_f32_e32 v8, v12, v8
	v_add_f32_e32 v12, v14, v26
	v_sub_f32_e32 v15, v13, v12
	v_pk_add_f32 v[28:29], v[12:13], v[14:15] neg_lo:[0,1] neg_hi:[0,1]
	v_mov_b32_e32 v27, v12
	v_pk_add_f32 v[12:13], v[28:29], v[26:27] neg_lo:[0,1] neg_hi:[0,1]
	s_or_b64 vcc, s[60:61], vcc
	v_add_f32_e32 v8, v8, v13
	v_add_f32_e32 v8, v12, v8
	;; [unrolled: 1-line block ×4, first 2 shown]
	v_sub_f32_e32 v12, v13, v32
	v_mul_f32_e32 v8, v30, v8
	v_sub_f32_e32 v12, v31, v12
	v_add_f32_e32 v8, v12, v8
	v_add_f32_e32 v14, v13, v8
	v_mul_f32_e32 v26, v14, v14
	v_fmamk_f32 v12, v26, 0x3e9b6dac, v135
	v_fmaak_f32 v25, v26, v12, 0x3f2aaada
	v_cvt_f32_i32_e32 v12, v23
	v_sub_f32_e32 v13, v14, v13
	v_sub_f32_e32 v8, v8, v13
	v_mul_f32_e32 v13, v14, v26
	v_pk_mul_f32 v[26:27], v[12:13], v[24:25]
	v_ldexp_f32 v15, v14, 1
	v_fma_f32 v14, v12, s15, -v26
	v_fmac_f32_e32 v14, 0xb102e308, v12
	v_pk_add_f32 v[12:13], v[26:27], v[14:15]
	v_ldexp_f32 v8, v8, 1
	v_sub_f32_e32 v15, v13, v15
	v_sub_f32_e32 v15, v27, v15
	v_add_f32_e32 v29, v8, v15
	v_mov_b32_e32 v28, v26
	v_pk_add_f32 v[26:27], v[12:13], v[26:27] neg_lo:[0,1] neg_hi:[0,1]
	v_pk_add_f32 v[30:31], v[12:13], v[28:29]
	v_mov_b32_e32 v15, v12
	v_mov_b32_e32 v27, v31
	v_pk_add_f32 v[32:33], v[14:15], v[26:27] neg_lo:[0,1] neg_hi:[0,1]
	v_pk_add_f32 v[14:15], v[14:15], v[26:27]
	s_nop 0
	v_mov_b32_e32 v8, v15
	v_pk_add_f32 v[26:27], v[8:9], v[12:13] neg_lo:[0,1] neg_hi:[0,1]
	v_mov_b32_e32 v14, v31
	v_mov_b32_e32 v23, v26
	v_pk_add_f32 v[34:35], v[30:31], v[22:23] neg_lo:[0,1] neg_hi:[0,1]
	v_mov_b32_e32 v30, v13
	v_mov_b32_e32 v31, v26
	;; [unrolled: 1-line block ×3, first 2 shown]
	v_pk_add_f32 v[14:15], v[14:15], v[30:31] neg_lo:[0,1] neg_hi:[0,1]
	v_mov_b32_e32 v26, v29
	v_mov_b32_e32 v27, v12
	v_pk_add_f32 v[12:13], v[26:27], v[14:15] neg_lo:[0,1] neg_hi:[0,1]
	v_mov_b32_e32 v34, v32
	v_pk_add_f32 v[14:15], v[34:35], v[12:13]
	s_nop 0
	v_mov_b32_e32 v26, v15
	v_pk_add_f32 v[26:27], v[14:15], v[26:27]
	s_nop 0
	v_pk_add_f32 v[28:29], v[8:9], v[26:27]
	v_mov_b32_e32 v13, v26
	v_mov_b32_e32 v15, v28
	v_pk_add_f32 v[30:31], v[14:15], v[32:33] neg_lo:[0,1] neg_hi:[0,1]
	s_nop 0
	v_sub_f32_e32 v8, v14, v30
	v_pk_add_f32 v[12:13], v[12:13], v[30:31] neg_lo:[0,1] neg_hi:[0,1]
	v_sub_f32_e32 v8, v32, v8
	v_add_f32_e32 v8, v12, v8
	v_add_f32_e32 v8, v8, v13
	v_add_f32_e32 v8, v28, v8
	v_cndmask_b32_e32 v149, v8, v36, vcc
.LBB95_97:                              ;   in Loop: Header=BB95_13 Depth=1
	s_or_b64 exec, exec, s[4:5]
	v_cvt_f32_f16_sdwa v8, v9 dst_sel:DWORD dst_unused:UNUSED_PAD src0_sel:WORD_1
	v_readlane_b32 s2, v167, 2
	s_nop 1
	v_add_f32_e32 v150, s2, v8
	v_readlane_b32 s2, v167, 30
	v_cmp_ge_f32_e32 vcc, s6, v150
	v_readlane_b32 s3, v167, 31
	s_and_b64 s[2:3], s[2:3], vcc
	s_and_saveexec_b64 s[4:5], s[2:3]
	s_cbranch_execz .LBB95_99
; %bb.98:                               ;   in Loop: Header=BB95_13 Depth=1
	v_mul_f32_e32 v8, 0x3fb8aa3b, v150
	v_rndne_f32_e32 v9, v8
	v_sub_f32_e32 v12, v8, v9
	v_fma_f32 v8, v150, s8, -v8
	v_fmac_f32_e32 v8, 0x32a5705f, v150
	v_add_f32_e32 v8, v12, v8
	v_cvt_i32_f32_e32 v9, v9
	v_exp_f32_e32 v8, v8
	v_cmp_ngt_f32_e32 vcc, s9, v150
	v_ldexp_f32 v8, v8, v9
	s_nop 0
	v_cndmask_b32_e32 v8, 0, v8, vcc
	v_cmp_nlt_f32_e32 vcc, s12, v150
	s_nop 1
	v_cndmask_b32_e32 v23, v136, v8, vcc
	v_add_f32_e32 v12, 1.0, v23
	v_add_f32_e32 v8, -1.0, v12
	v_sub_f32_e32 v9, v8, v12
	v_add_f32_e32 v9, 1.0, v9
	v_sub_f32_e32 v8, v23, v8
	v_add_f32_e32 v13, v8, v9
	v_frexp_mant_f32_e32 v14, v12
	v_cvt_f64_f32_e32 v[8:9], v12
	v_frexp_exp_i32_f64_e32 v8, v[8:9]
	v_cmp_gt_f32_e32 vcc, s14, v14
	v_cmp_gt_f32_e64 s[60:61], s16, v23
	s_nop 0
	v_subbrev_co_u32_e32 v28, vcc, 0, v8, vcc
	v_sub_u32_e32 v8, 0, v28
	v_ldexp_f32 v9, v12, v8
	v_add_f32_e32 v12, -1.0, v9
	v_add_f32_e32 v14, 1.0, v9
	v_ldexp_f32 v8, v13, v8
	v_add_f32_e32 v13, 1.0, v12
	v_add_f32_e32 v15, -1.0, v14
	v_sub_f32_e32 v13, v9, v13
	v_sub_f32_e32 v9, v9, v15
	v_add_f32_e32 v13, v8, v13
	v_add_f32_e32 v8, v8, v9
	;; [unrolled: 1-line block ×3, first 2 shown]
	v_rcp_f32_e32 v30, v25
	v_sub_f32_e32 v9, v14, v25
	v_add_f32_e32 v29, v8, v9
	v_add_f32_e32 v9, v12, v13
	v_mul_f32_e32 v32, v9, v30
	v_sub_f32_e32 v8, v12, v9
	v_mul_f32_e32 v12, v25, v32
	v_fma_f32 v14, v32, v25, -v12
	v_fmac_f32_e32 v14, v32, v29
	v_add_f32_e32 v31, v13, v8
	v_add_f32_e32 v8, v12, v14
	v_sub_f32_e32 v13, v9, v8
	v_pk_add_f32 v[26:27], v[8:9], v[12:13] neg_lo:[0,1] neg_hi:[0,1]
	v_mov_b32_e32 v15, v8
	v_pk_add_f32 v[8:9], v[26:27], v[14:15] neg_lo:[0,1] neg_hi:[0,1]
	v_cmp_eq_f32_e32 vcc, s13, v23
	v_add_f32_e32 v9, v31, v9
	v_add_f32_e32 v8, v8, v9
	;; [unrolled: 1-line block ×3, first 2 shown]
	v_mul_f32_e32 v31, v30, v9
	v_mul_f32_e32 v12, v25, v31
	v_fma_f32 v14, v31, v25, -v12
	v_fmac_f32_e32 v14, v31, v29
	v_sub_f32_e32 v13, v13, v9
	v_add_f32_e32 v25, v8, v13
	v_add_f32_e32 v8, v12, v14
	v_sub_f32_e32 v13, v9, v8
	v_pk_add_f32 v[26:27], v[8:9], v[12:13] neg_lo:[0,1] neg_hi:[0,1]
	v_mov_b32_e32 v15, v8
	v_pk_add_f32 v[8:9], v[26:27], v[14:15] neg_lo:[0,1] neg_hi:[0,1]
	s_or_b64 vcc, s[60:61], vcc
	v_add_f32_e32 v9, v25, v9
	v_add_f32_e32 v8, v8, v9
	;; [unrolled: 1-line block ×4, first 2 shown]
	v_sub_f32_e32 v12, v9, v32
	v_mul_f32_e32 v8, v30, v8
	v_sub_f32_e32 v12, v31, v12
	v_add_f32_e32 v12, v12, v8
	v_add_f32_e32 v14, v9, v12
	v_mul_f32_e32 v15, v14, v14
	v_fmamk_f32 v8, v15, 0x3e9b6dac, v135
	v_fmaak_f32 v25, v15, v8, 0x3f2aaada
	v_cvt_f32_i32_e32 v8, v28
	v_sub_f32_e32 v9, v14, v9
	v_sub_f32_e32 v9, v12, v9
	v_ldexp_f32 v26, v9, 1
	v_mul_f32_e32 v9, v14, v15
	v_ldexp_f32 v13, v14, 1
	v_pk_mul_f32 v[14:15], v[8:9], v[24:25]
	s_nop 0
	v_fma_f32 v12, v8, s15, -v14
	v_fmac_f32_e32 v12, 0xb102e308, v8
	v_pk_add_f32 v[8:9], v[14:15], v[12:13]
	s_nop 0
	v_sub_f32_e32 v13, v9, v13
	v_sub_f32_e32 v13, v15, v13
	v_add_f32_e32 v27, v26, v13
	v_mov_b32_e32 v26, v14
	v_pk_add_f32 v[14:15], v[8:9], v[14:15] neg_lo:[0,1] neg_hi:[0,1]
	v_pk_add_f32 v[28:29], v[8:9], v[26:27]
	v_mov_b32_e32 v13, v8
	v_mov_b32_e32 v15, v29
	v_pk_add_f32 v[30:31], v[12:13], v[14:15] neg_lo:[0,1] neg_hi:[0,1]
	v_pk_add_f32 v[12:13], v[12:13], v[14:15]
	v_mov_b32_e32 v26, v27
	v_mov_b32_e32 v14, v13
	v_pk_add_f32 v[32:33], v[14:15], v[8:9] neg_lo:[0,1] neg_hi:[0,1]
	v_mov_b32_e32 v12, v29
	v_mov_b32_e32 v15, v32
	v_pk_add_f32 v[34:35], v[28:29], v[14:15] neg_lo:[0,1] neg_hi:[0,1]
	v_mov_b32_e32 v28, v9
	v_mov_b32_e32 v29, v32
	;; [unrolled: 1-line block ×3, first 2 shown]
	v_pk_add_f32 v[12:13], v[12:13], v[28:29] neg_lo:[0,1] neg_hi:[0,1]
	v_mov_b32_e32 v27, v8
	v_pk_add_f32 v[8:9], v[26:27], v[12:13] neg_lo:[0,1] neg_hi:[0,1]
	v_mov_b32_e32 v34, v30
	v_pk_add_f32 v[12:13], v[34:35], v[8:9]
	s_nop 0
	v_mov_b32_e32 v26, v13
	v_pk_add_f32 v[26:27], v[12:13], v[26:27]
	s_nop 0
	v_pk_add_f32 v[14:15], v[14:15], v[26:27]
	v_mov_b32_e32 v9, v26
	v_mov_b32_e32 v13, v14
	v_pk_add_f32 v[28:29], v[12:13], v[30:31] neg_lo:[0,1] neg_hi:[0,1]
	s_nop 0
	v_sub_f32_e32 v12, v12, v28
	v_pk_add_f32 v[8:9], v[8:9], v[28:29] neg_lo:[0,1] neg_hi:[0,1]
	v_sub_f32_e32 v12, v30, v12
	v_add_f32_e32 v8, v8, v12
	v_add_f32_e32 v8, v8, v9
	;; [unrolled: 1-line block ×3, first 2 shown]
	v_cndmask_b32_e32 v150, v8, v23, vcc
.LBB95_99:                              ;   in Loop: Header=BB95_13 Depth=1
	s_or_b64 exec, exec, s[4:5]
	v_cvt_f32_f16_e32 v8, v10
	v_readlane_b32 s2, v167, 2
	s_nop 1
	v_add_f32_e32 v151, s2, v8
	v_readlane_b32 s2, v167, 30
	v_cmp_ge_f32_e32 vcc, s6, v151
	v_readlane_b32 s3, v167, 31
	s_and_b64 s[2:3], s[2:3], vcc
	s_and_saveexec_b64 s[4:5], s[2:3]
	s_cbranch_execz .LBB95_101
; %bb.100:                              ;   in Loop: Header=BB95_13 Depth=1
	v_mul_f32_e32 v8, 0x3fb8aa3b, v151
	v_rndne_f32_e32 v9, v8
	v_sub_f32_e32 v12, v8, v9
	v_fma_f32 v8, v151, s8, -v8
	v_fmac_f32_e32 v8, 0x32a5705f, v151
	v_add_f32_e32 v8, v12, v8
	v_cvt_i32_f32_e32 v9, v9
	v_exp_f32_e32 v8, v8
	v_cmp_ngt_f32_e32 vcc, s9, v151
	v_ldexp_f32 v8, v8, v9
	s_nop 0
	v_cndmask_b32_e32 v8, 0, v8, vcc
	v_cmp_nlt_f32_e32 vcc, s12, v151
	s_nop 1
	v_cndmask_b32_e32 v23, v136, v8, vcc
	v_add_f32_e32 v12, 1.0, v23
	v_add_f32_e32 v8, -1.0, v12
	v_sub_f32_e32 v9, v8, v12
	v_add_f32_e32 v9, 1.0, v9
	v_sub_f32_e32 v8, v23, v8
	v_add_f32_e32 v13, v8, v9
	v_frexp_mant_f32_e32 v14, v12
	v_cvt_f64_f32_e32 v[8:9], v12
	v_frexp_exp_i32_f64_e32 v8, v[8:9]
	v_cmp_gt_f32_e32 vcc, s14, v14
	v_cmp_gt_f32_e64 s[60:61], s16, v23
	s_nop 0
	v_subbrev_co_u32_e32 v28, vcc, 0, v8, vcc
	v_sub_u32_e32 v8, 0, v28
	v_ldexp_f32 v9, v12, v8
	v_add_f32_e32 v12, -1.0, v9
	v_add_f32_e32 v14, 1.0, v9
	v_ldexp_f32 v8, v13, v8
	v_add_f32_e32 v13, 1.0, v12
	v_add_f32_e32 v15, -1.0, v14
	v_sub_f32_e32 v13, v9, v13
	v_sub_f32_e32 v9, v9, v15
	v_add_f32_e32 v13, v8, v13
	v_add_f32_e32 v8, v8, v9
	;; [unrolled: 1-line block ×3, first 2 shown]
	v_rcp_f32_e32 v30, v25
	v_sub_f32_e32 v9, v14, v25
	v_add_f32_e32 v29, v8, v9
	v_add_f32_e32 v9, v12, v13
	v_mul_f32_e32 v32, v9, v30
	v_sub_f32_e32 v8, v12, v9
	v_mul_f32_e32 v12, v25, v32
	v_fma_f32 v14, v32, v25, -v12
	v_fmac_f32_e32 v14, v32, v29
	v_add_f32_e32 v31, v13, v8
	v_add_f32_e32 v8, v12, v14
	v_sub_f32_e32 v13, v9, v8
	v_pk_add_f32 v[26:27], v[8:9], v[12:13] neg_lo:[0,1] neg_hi:[0,1]
	v_mov_b32_e32 v15, v8
	v_pk_add_f32 v[8:9], v[26:27], v[14:15] neg_lo:[0,1] neg_hi:[0,1]
	v_cmp_eq_f32_e32 vcc, s13, v23
	v_add_f32_e32 v9, v31, v9
	v_add_f32_e32 v8, v8, v9
	;; [unrolled: 1-line block ×3, first 2 shown]
	v_mul_f32_e32 v31, v30, v9
	v_mul_f32_e32 v12, v25, v31
	v_fma_f32 v14, v31, v25, -v12
	v_fmac_f32_e32 v14, v31, v29
	v_sub_f32_e32 v13, v13, v9
	v_add_f32_e32 v25, v8, v13
	v_add_f32_e32 v8, v12, v14
	v_sub_f32_e32 v13, v9, v8
	v_pk_add_f32 v[26:27], v[8:9], v[12:13] neg_lo:[0,1] neg_hi:[0,1]
	v_mov_b32_e32 v15, v8
	v_pk_add_f32 v[8:9], v[26:27], v[14:15] neg_lo:[0,1] neg_hi:[0,1]
	s_or_b64 vcc, s[60:61], vcc
	v_add_f32_e32 v9, v25, v9
	v_add_f32_e32 v8, v8, v9
	;; [unrolled: 1-line block ×4, first 2 shown]
	v_sub_f32_e32 v12, v9, v32
	v_mul_f32_e32 v8, v30, v8
	v_sub_f32_e32 v12, v31, v12
	v_add_f32_e32 v12, v12, v8
	v_add_f32_e32 v14, v9, v12
	v_mul_f32_e32 v15, v14, v14
	v_fmamk_f32 v8, v15, 0x3e9b6dac, v135
	v_fmaak_f32 v25, v15, v8, 0x3f2aaada
	v_cvt_f32_i32_e32 v8, v28
	v_sub_f32_e32 v9, v14, v9
	v_sub_f32_e32 v9, v12, v9
	v_ldexp_f32 v26, v9, 1
	v_mul_f32_e32 v9, v14, v15
	v_ldexp_f32 v13, v14, 1
	v_pk_mul_f32 v[14:15], v[8:9], v[24:25]
	s_nop 0
	v_fma_f32 v12, v8, s15, -v14
	v_fmac_f32_e32 v12, 0xb102e308, v8
	v_pk_add_f32 v[8:9], v[14:15], v[12:13]
	s_nop 0
	v_sub_f32_e32 v13, v9, v13
	v_sub_f32_e32 v13, v15, v13
	v_add_f32_e32 v27, v26, v13
	v_mov_b32_e32 v26, v14
	v_pk_add_f32 v[14:15], v[8:9], v[14:15] neg_lo:[0,1] neg_hi:[0,1]
	v_pk_add_f32 v[28:29], v[8:9], v[26:27]
	v_mov_b32_e32 v13, v8
	v_mov_b32_e32 v15, v29
	v_pk_add_f32 v[30:31], v[12:13], v[14:15] neg_lo:[0,1] neg_hi:[0,1]
	v_pk_add_f32 v[12:13], v[12:13], v[14:15]
	v_mov_b32_e32 v26, v27
	v_mov_b32_e32 v14, v13
	v_pk_add_f32 v[32:33], v[14:15], v[8:9] neg_lo:[0,1] neg_hi:[0,1]
	v_mov_b32_e32 v12, v29
	v_mov_b32_e32 v15, v32
	v_pk_add_f32 v[34:35], v[28:29], v[14:15] neg_lo:[0,1] neg_hi:[0,1]
	v_mov_b32_e32 v28, v9
	v_mov_b32_e32 v29, v32
	v_mov_b32_e32 v31, v13
	v_pk_add_f32 v[12:13], v[12:13], v[28:29] neg_lo:[0,1] neg_hi:[0,1]
	v_mov_b32_e32 v27, v8
	v_pk_add_f32 v[8:9], v[26:27], v[12:13] neg_lo:[0,1] neg_hi:[0,1]
	v_mov_b32_e32 v34, v30
	v_pk_add_f32 v[12:13], v[34:35], v[8:9]
	s_nop 0
	v_mov_b32_e32 v26, v13
	v_pk_add_f32 v[26:27], v[12:13], v[26:27]
	s_nop 0
	v_pk_add_f32 v[14:15], v[14:15], v[26:27]
	v_mov_b32_e32 v9, v26
	v_mov_b32_e32 v13, v14
	v_pk_add_f32 v[28:29], v[12:13], v[30:31] neg_lo:[0,1] neg_hi:[0,1]
	s_nop 0
	v_sub_f32_e32 v12, v12, v28
	v_pk_add_f32 v[8:9], v[8:9], v[28:29] neg_lo:[0,1] neg_hi:[0,1]
	v_sub_f32_e32 v12, v30, v12
	v_add_f32_e32 v8, v8, v12
	v_add_f32_e32 v8, v8, v9
	;; [unrolled: 1-line block ×3, first 2 shown]
	v_cndmask_b32_e32 v151, v8, v23, vcc
.LBB95_101:                             ;   in Loop: Header=BB95_13 Depth=1
	s_or_b64 exec, exec, s[4:5]
	v_cvt_f32_f16_sdwa v8, v10 dst_sel:DWORD dst_unused:UNUSED_PAD src0_sel:WORD_1
	v_readlane_b32 s2, v167, 2
	s_nop 1
	v_add_f32_e32 v152, s2, v8
	v_readlane_b32 s2, v167, 30
	v_cmp_ge_f32_e32 vcc, s6, v152
	v_readlane_b32 s3, v167, 31
	s_and_b64 s[2:3], s[2:3], vcc
	s_and_saveexec_b64 s[4:5], s[2:3]
	s_cbranch_execz .LBB95_103
; %bb.102:                              ;   in Loop: Header=BB95_13 Depth=1
	v_mul_f32_e32 v8, 0x3fb8aa3b, v152
	v_rndne_f32_e32 v9, v8
	v_sub_f32_e32 v10, v8, v9
	v_fma_f32 v8, v152, s8, -v8
	v_fmac_f32_e32 v8, 0x32a5705f, v152
	v_add_f32_e32 v8, v10, v8
	v_cvt_i32_f32_e32 v9, v9
	v_exp_f32_e32 v8, v8
	v_cmp_ngt_f32_e32 vcc, s9, v152
	v_ldexp_f32 v8, v8, v9
	s_nop 0
	v_cndmask_b32_e32 v8, 0, v8, vcc
	v_cmp_nlt_f32_e32 vcc, s12, v152
	s_nop 1
	v_cndmask_b32_e32 v23, v136, v8, vcc
	v_add_f32_e32 v10, 1.0, v23
	v_add_f32_e32 v8, -1.0, v10
	v_sub_f32_e32 v9, v8, v10
	v_add_f32_e32 v9, 1.0, v9
	v_sub_f32_e32 v8, v23, v8
	v_add_f32_e32 v12, v8, v9
	v_frexp_mant_f32_e32 v13, v10
	v_cvt_f64_f32_e32 v[8:9], v10
	v_frexp_exp_i32_f64_e32 v8, v[8:9]
	v_cmp_gt_f32_e32 vcc, s14, v13
	v_cmp_gt_f32_e64 s[60:61], s16, v23
	s_nop 0
	v_subbrev_co_u32_e32 v28, vcc, 0, v8, vcc
	v_sub_u32_e32 v8, 0, v28
	v_ldexp_f32 v9, v10, v8
	v_add_f32_e32 v10, -1.0, v9
	v_add_f32_e32 v13, 1.0, v9
	v_ldexp_f32 v8, v12, v8
	v_add_f32_e32 v12, 1.0, v10
	v_add_f32_e32 v14, -1.0, v13
	v_sub_f32_e32 v12, v9, v12
	v_sub_f32_e32 v9, v9, v14
	v_add_f32_e32 v12, v8, v12
	v_add_f32_e32 v8, v8, v9
	;; [unrolled: 1-line block ×3, first 2 shown]
	v_rcp_f32_e32 v30, v25
	v_sub_f32_e32 v9, v13, v25
	v_add_f32_e32 v29, v8, v9
	v_add_f32_e32 v9, v10, v12
	v_sub_f32_e32 v8, v10, v9
	v_mul_f32_e32 v31, v9, v30
	v_add_f32_e32 v10, v12, v8
	v_mul_f32_e32 v12, v25, v31
	v_fma_f32 v14, v31, v25, -v12
	v_fmac_f32_e32 v14, v31, v29
	v_add_f32_e32 v8, v12, v14
	v_sub_f32_e32 v13, v9, v8
	v_pk_add_f32 v[26:27], v[8:9], v[12:13] neg_lo:[0,1] neg_hi:[0,1]
	v_mov_b32_e32 v15, v8
	v_pk_add_f32 v[8:9], v[26:27], v[14:15] neg_lo:[0,1] neg_hi:[0,1]
	v_cmp_eq_f32_e32 vcc, s13, v23
	v_add_f32_e32 v9, v10, v9
	v_add_f32_e32 v8, v8, v9
	;; [unrolled: 1-line block ×3, first 2 shown]
	v_mul_f32_e32 v10, v30, v9
	v_mul_f32_e32 v12, v25, v10
	v_fma_f32 v14, v10, v25, -v12
	v_fmac_f32_e32 v14, v10, v29
	v_sub_f32_e32 v13, v13, v9
	v_add_f32_e32 v25, v8, v13
	v_add_f32_e32 v8, v12, v14
	v_sub_f32_e32 v13, v9, v8
	v_pk_add_f32 v[26:27], v[8:9], v[12:13] neg_lo:[0,1] neg_hi:[0,1]
	v_mov_b32_e32 v15, v8
	v_pk_add_f32 v[8:9], v[26:27], v[14:15] neg_lo:[0,1] neg_hi:[0,1]
	s_or_b64 vcc, s[60:61], vcc
	v_add_f32_e32 v9, v25, v9
	v_add_f32_e32 v8, v8, v9
	;; [unrolled: 1-line block ×4, first 2 shown]
	v_sub_f32_e32 v12, v9, v31
	v_mul_f32_e32 v8, v30, v8
	v_sub_f32_e32 v10, v10, v12
	v_add_f32_e32 v10, v10, v8
	v_add_f32_e32 v12, v9, v10
	v_mul_f32_e32 v14, v12, v12
	v_fmamk_f32 v8, v14, 0x3e9b6dac, v135
	v_fmaak_f32 v25, v14, v8, 0x3f2aaada
	v_cvt_f32_i32_e32 v8, v28
	v_sub_f32_e32 v9, v12, v9
	v_sub_f32_e32 v9, v10, v9
	v_ldexp_f32 v10, v9, 1
	v_mul_f32_e32 v9, v12, v14
	v_pk_mul_f32 v[14:15], v[8:9], v[24:25]
	v_ldexp_f32 v13, v12, 1
	v_fma_f32 v12, v8, s15, -v14
	v_fmac_f32_e32 v12, 0xb102e308, v8
	v_pk_add_f32 v[8:9], v[14:15], v[12:13]
	v_mov_b32_e32 v26, v14
	v_sub_f32_e32 v13, v9, v13
	v_sub_f32_e32 v13, v15, v13
	v_add_f32_e32 v27, v10, v13
	v_pk_add_f32 v[14:15], v[8:9], v[14:15] neg_lo:[0,1] neg_hi:[0,1]
	v_pk_add_f32 v[28:29], v[8:9], v[26:27]
	v_mov_b32_e32 v13, v8
	v_mov_b32_e32 v15, v29
	v_pk_add_f32 v[30:31], v[12:13], v[14:15] neg_lo:[0,1] neg_hi:[0,1]
	v_pk_add_f32 v[12:13], v[12:13], v[14:15]
	s_nop 0
	v_mov_b32_e32 v10, v13
	v_pk_add_f32 v[14:15], v[10:11], v[8:9] neg_lo:[0,1] neg_hi:[0,1]
	v_mov_b32_e32 v12, v29
	v_mov_b32_e32 v15, v14
	v_pk_add_f32 v[32:33], v[28:29], v[14:15] neg_lo:[0,1] neg_hi:[0,1]
	v_mov_b32_e32 v28, v9
	v_mov_b32_e32 v29, v14
	v_mov_b32_e32 v31, v13
	v_pk_add_f32 v[12:13], v[12:13], v[28:29] neg_lo:[0,1] neg_hi:[0,1]
	v_mov_b32_e32 v14, v27
	v_mov_b32_e32 v15, v8
	v_pk_add_f32 v[8:9], v[14:15], v[12:13] neg_lo:[0,1] neg_hi:[0,1]
	v_mov_b32_e32 v32, v30
	v_pk_add_f32 v[12:13], v[32:33], v[8:9]
	s_nop 0
	v_mov_b32_e32 v14, v13
	v_pk_add_f32 v[14:15], v[12:13], v[14:15]
	s_nop 0
	v_pk_add_f32 v[26:27], v[10:11], v[14:15]
	v_mov_b32_e32 v9, v14
	v_mov_b32_e32 v13, v26
	v_pk_add_f32 v[28:29], v[12:13], v[30:31] neg_lo:[0,1] neg_hi:[0,1]
	s_nop 0
	v_sub_f32_e32 v10, v12, v28
	v_pk_add_f32 v[8:9], v[8:9], v[28:29] neg_lo:[0,1] neg_hi:[0,1]
	v_sub_f32_e32 v10, v30, v10
	v_add_f32_e32 v8, v8, v10
	v_add_f32_e32 v8, v8, v9
	;; [unrolled: 1-line block ×3, first 2 shown]
	v_cndmask_b32_e32 v152, v8, v23, vcc
.LBB95_103:                             ;   in Loop: Header=BB95_13 Depth=1
	s_or_b64 exec, exec, s[4:5]
	v_cvt_f32_f16_e32 v8, v11
	v_readlane_b32 s2, v167, 2
	s_nop 1
	v_add_f32_e32 v26, s2, v8
	v_readlane_b32 s2, v167, 30
	v_cmp_ge_f32_e32 vcc, s6, v26
	v_readlane_b32 s3, v167, 31
	s_and_b64 s[2:3], s[2:3], vcc
	s_and_saveexec_b64 s[4:5], s[2:3]
	s_cbranch_execz .LBB95_105
; %bb.104:                              ;   in Loop: Header=BB95_13 Depth=1
	v_mul_f32_e32 v8, 0x3fb8aa3b, v26
	v_rndne_f32_e32 v9, v8
	v_sub_f32_e32 v10, v8, v9
	v_fma_f32 v8, v26, s8, -v8
	v_fmac_f32_e32 v8, 0x32a5705f, v26
	v_add_f32_e32 v8, v10, v8
	v_cvt_i32_f32_e32 v9, v9
	v_exp_f32_e32 v8, v8
	v_cmp_ngt_f32_e32 vcc, s9, v26
	v_ldexp_f32 v8, v8, v9
	s_nop 0
	v_cndmask_b32_e32 v8, 0, v8, vcc
	v_cmp_nlt_f32_e32 vcc, s12, v26
	s_nop 1
	v_cndmask_b32_e32 v23, v136, v8, vcc
	v_add_f32_e32 v10, 1.0, v23
	v_add_f32_e32 v8, -1.0, v10
	v_sub_f32_e32 v9, v8, v10
	v_add_f32_e32 v9, 1.0, v9
	v_sub_f32_e32 v8, v23, v8
	v_add_f32_e32 v12, v8, v9
	v_frexp_mant_f32_e32 v13, v10
	v_cvt_f64_f32_e32 v[8:9], v10
	v_frexp_exp_i32_f64_e32 v8, v[8:9]
	v_cmp_gt_f32_e32 vcc, s14, v13
	v_cmp_gt_f32_e64 s[60:61], s16, v23
	s_nop 0
	v_subbrev_co_u32_e32 v28, vcc, 0, v8, vcc
	v_sub_u32_e32 v8, 0, v28
	v_ldexp_f32 v9, v10, v8
	v_add_f32_e32 v10, -1.0, v9
	v_add_f32_e32 v13, 1.0, v9
	v_ldexp_f32 v8, v12, v8
	v_add_f32_e32 v12, 1.0, v10
	v_add_f32_e32 v14, -1.0, v13
	v_sub_f32_e32 v12, v9, v12
	v_sub_f32_e32 v9, v9, v14
	v_add_f32_e32 v12, v8, v12
	v_add_f32_e32 v8, v8, v9
	;; [unrolled: 1-line block ×3, first 2 shown]
	v_rcp_f32_e32 v30, v25
	v_sub_f32_e32 v9, v13, v25
	v_add_f32_e32 v29, v8, v9
	v_add_f32_e32 v9, v10, v12
	v_sub_f32_e32 v8, v10, v9
	v_mul_f32_e32 v31, v9, v30
	v_add_f32_e32 v10, v12, v8
	v_mul_f32_e32 v12, v25, v31
	v_fma_f32 v14, v31, v25, -v12
	v_fmac_f32_e32 v14, v31, v29
	v_add_f32_e32 v8, v12, v14
	v_sub_f32_e32 v13, v9, v8
	v_pk_add_f32 v[26:27], v[8:9], v[12:13] neg_lo:[0,1] neg_hi:[0,1]
	v_mov_b32_e32 v15, v8
	v_pk_add_f32 v[8:9], v[26:27], v[14:15] neg_lo:[0,1] neg_hi:[0,1]
	v_cmp_eq_f32_e32 vcc, s13, v23
	v_add_f32_e32 v9, v10, v9
	v_add_f32_e32 v8, v8, v9
	;; [unrolled: 1-line block ×3, first 2 shown]
	v_mul_f32_e32 v10, v30, v9
	v_mul_f32_e32 v12, v25, v10
	v_fma_f32 v14, v10, v25, -v12
	v_fmac_f32_e32 v14, v10, v29
	v_sub_f32_e32 v13, v13, v9
	v_add_f32_e32 v25, v8, v13
	v_add_f32_e32 v8, v12, v14
	v_sub_f32_e32 v13, v9, v8
	v_pk_add_f32 v[26:27], v[8:9], v[12:13] neg_lo:[0,1] neg_hi:[0,1]
	v_mov_b32_e32 v15, v8
	v_pk_add_f32 v[8:9], v[26:27], v[14:15] neg_lo:[0,1] neg_hi:[0,1]
	s_or_b64 vcc, s[60:61], vcc
	v_add_f32_e32 v9, v25, v9
	v_add_f32_e32 v8, v8, v9
	v_add_f32_e32 v9, v31, v10
	v_add_f32_e32 v8, v13, v8
	v_sub_f32_e32 v12, v9, v31
	v_mul_f32_e32 v8, v30, v8
	v_sub_f32_e32 v10, v10, v12
	v_add_f32_e32 v10, v10, v8
	v_add_f32_e32 v12, v9, v10
	v_mul_f32_e32 v14, v12, v12
	v_fmamk_f32 v8, v14, 0x3e9b6dac, v135
	v_fmaak_f32 v25, v14, v8, 0x3f2aaada
	v_cvt_f32_i32_e32 v8, v28
	v_sub_f32_e32 v9, v12, v9
	v_sub_f32_e32 v9, v10, v9
	v_ldexp_f32 v10, v9, 1
	v_mul_f32_e32 v9, v12, v14
	v_pk_mul_f32 v[14:15], v[8:9], v[24:25]
	v_ldexp_f32 v13, v12, 1
	v_fma_f32 v12, v8, s15, -v14
	v_fmac_f32_e32 v12, 0xb102e308, v8
	v_pk_add_f32 v[8:9], v[14:15], v[12:13]
	v_mov_b32_e32 v26, v14
	v_sub_f32_e32 v13, v9, v13
	v_sub_f32_e32 v13, v15, v13
	v_add_f32_e32 v27, v10, v13
	v_pk_add_f32 v[14:15], v[8:9], v[14:15] neg_lo:[0,1] neg_hi:[0,1]
	v_pk_add_f32 v[28:29], v[8:9], v[26:27]
	v_mov_b32_e32 v13, v8
	v_mov_b32_e32 v15, v29
	v_pk_add_f32 v[30:31], v[12:13], v[14:15] neg_lo:[0,1] neg_hi:[0,1]
	v_pk_add_f32 v[12:13], v[12:13], v[14:15]
	s_nop 0
	v_mov_b32_e32 v10, v13
	v_pk_add_f32 v[14:15], v[10:11], v[8:9] neg_lo:[0,1] neg_hi:[0,1]
	v_mov_b32_e32 v12, v29
	v_mov_b32_e32 v15, v14
	v_pk_add_f32 v[32:33], v[28:29], v[14:15] neg_lo:[0,1] neg_hi:[0,1]
	v_mov_b32_e32 v28, v9
	v_mov_b32_e32 v29, v14
	v_mov_b32_e32 v31, v13
	v_pk_add_f32 v[12:13], v[12:13], v[28:29] neg_lo:[0,1] neg_hi:[0,1]
	v_mov_b32_e32 v14, v27
	v_mov_b32_e32 v15, v8
	v_pk_add_f32 v[8:9], v[14:15], v[12:13] neg_lo:[0,1] neg_hi:[0,1]
	v_mov_b32_e32 v32, v30
	v_pk_add_f32 v[12:13], v[32:33], v[8:9]
	s_nop 0
	v_mov_b32_e32 v14, v13
	v_pk_add_f32 v[14:15], v[12:13], v[14:15]
	s_nop 0
	v_pk_add_f32 v[26:27], v[10:11], v[14:15]
	v_mov_b32_e32 v9, v14
	v_mov_b32_e32 v13, v26
	v_pk_add_f32 v[28:29], v[12:13], v[30:31] neg_lo:[0,1] neg_hi:[0,1]
	s_nop 0
	v_sub_f32_e32 v10, v12, v28
	v_pk_add_f32 v[8:9], v[8:9], v[28:29] neg_lo:[0,1] neg_hi:[0,1]
	v_sub_f32_e32 v10, v30, v10
	v_add_f32_e32 v8, v8, v10
	v_add_f32_e32 v8, v8, v9
	;; [unrolled: 1-line block ×3, first 2 shown]
	v_cndmask_b32_e32 v26, v8, v23, vcc
.LBB95_105:                             ;   in Loop: Header=BB95_13 Depth=1
	s_or_b64 exec, exec, s[4:5]
	v_cvt_f32_f16_sdwa v8, v11 dst_sel:DWORD dst_unused:UNUSED_PAD src0_sel:WORD_1
	v_readlane_b32 s2, v167, 2
	s_nop 1
	v_add_f32_e32 v27, s2, v8
	v_readlane_b32 s2, v167, 30
	v_cmp_ge_f32_e32 vcc, s6, v27
	v_readlane_b32 s3, v167, 31
	s_and_b64 s[2:3], s[2:3], vcc
	s_and_saveexec_b64 s[4:5], s[2:3]
	s_cbranch_execz .LBB95_107
; %bb.106:                              ;   in Loop: Header=BB95_13 Depth=1
	v_mul_f32_e32 v8, 0x3fb8aa3b, v27
	v_rndne_f32_e32 v9, v8
	v_sub_f32_e32 v10, v8, v9
	v_fma_f32 v8, v27, s8, -v8
	v_fmac_f32_e32 v8, 0x32a5705f, v27
	v_add_f32_e32 v8, v10, v8
	v_cvt_i32_f32_e32 v9, v9
	v_exp_f32_e32 v8, v8
	v_cmp_ngt_f32_e32 vcc, s9, v27
	v_ldexp_f32 v8, v8, v9
	s_nop 0
	v_cndmask_b32_e32 v8, 0, v8, vcc
	v_cmp_nlt_f32_e32 vcc, s12, v27
	s_nop 1
	v_cndmask_b32_e32 v23, v136, v8, vcc
	v_add_f32_e32 v10, 1.0, v23
	v_add_f32_e32 v8, -1.0, v10
	v_sub_f32_e32 v9, v8, v10
	v_add_f32_e32 v9, 1.0, v9
	v_sub_f32_e32 v8, v23, v8
	v_add_f32_e32 v11, v8, v9
	v_frexp_mant_f32_e32 v12, v10
	v_cvt_f64_f32_e32 v[8:9], v10
	v_frexp_exp_i32_f64_e32 v8, v[8:9]
	v_cmp_gt_f32_e32 vcc, s14, v12
	v_cmp_gt_f32_e64 s[60:61], s16, v23
	s_nop 0
	v_subbrev_co_u32_e32 v27, vcc, 0, v8, vcc
	v_sub_u32_e32 v8, 0, v27
	v_ldexp_f32 v9, v10, v8
	v_add_f32_e32 v10, -1.0, v9
	v_add_f32_e32 v12, 1.0, v9
	v_ldexp_f32 v8, v11, v8
	v_add_f32_e32 v11, 1.0, v10
	v_add_f32_e32 v13, -1.0, v12
	v_sub_f32_e32 v11, v9, v11
	v_sub_f32_e32 v9, v9, v13
	v_add_f32_e32 v11, v8, v11
	v_add_f32_e32 v8, v8, v9
	;; [unrolled: 1-line block ×3, first 2 shown]
	v_rcp_f32_e32 v29, v25
	v_sub_f32_e32 v9, v12, v25
	v_add_f32_e32 v28, v8, v9
	v_add_f32_e32 v9, v10, v11
	v_mul_f32_e32 v31, v9, v29
	v_sub_f32_e32 v8, v10, v9
	v_mul_f32_e32 v10, v25, v31
	v_fma_f32 v12, v31, v25, -v10
	v_fmac_f32_e32 v12, v31, v28
	v_add_f32_e32 v30, v11, v8
	v_add_f32_e32 v8, v10, v12
	v_sub_f32_e32 v11, v9, v8
	v_pk_add_f32 v[14:15], v[8:9], v[10:11] neg_lo:[0,1] neg_hi:[0,1]
	v_mov_b32_e32 v13, v8
	v_pk_add_f32 v[8:9], v[14:15], v[12:13] neg_lo:[0,1] neg_hi:[0,1]
	v_cmp_eq_f32_e32 vcc, s13, v23
	v_add_f32_e32 v9, v30, v9
	v_add_f32_e32 v8, v8, v9
	;; [unrolled: 1-line block ×3, first 2 shown]
	v_mul_f32_e32 v30, v29, v9
	v_mul_f32_e32 v10, v25, v30
	v_fma_f32 v12, v30, v25, -v10
	v_fmac_f32_e32 v12, v30, v28
	v_sub_f32_e32 v11, v11, v9
	v_add_f32_e32 v25, v8, v11
	v_add_f32_e32 v8, v10, v12
	v_sub_f32_e32 v11, v9, v8
	v_pk_add_f32 v[14:15], v[8:9], v[10:11] neg_lo:[0,1] neg_hi:[0,1]
	v_mov_b32_e32 v13, v8
	v_pk_add_f32 v[8:9], v[14:15], v[12:13] neg_lo:[0,1] neg_hi:[0,1]
	s_or_b64 vcc, s[60:61], vcc
	v_add_f32_e32 v9, v25, v9
	v_add_f32_e32 v8, v8, v9
	;; [unrolled: 1-line block ×4, first 2 shown]
	v_sub_f32_e32 v10, v9, v31
	v_mul_f32_e32 v8, v29, v8
	v_sub_f32_e32 v10, v30, v10
	v_add_f32_e32 v10, v10, v8
	v_add_f32_e32 v12, v9, v10
	v_mul_f32_e32 v13, v12, v12
	v_fmamk_f32 v8, v13, 0x3e9b6dac, v135
	v_fmaak_f32 v25, v13, v8, 0x3f2aaada
	v_cvt_f32_i32_e32 v8, v27
	v_sub_f32_e32 v9, v12, v9
	v_sub_f32_e32 v9, v10, v9
	v_ldexp_f32 v14, v9, 1
	v_mul_f32_e32 v9, v12, v13
	v_ldexp_f32 v11, v12, 1
	v_pk_mul_f32 v[12:13], v[8:9], v[24:25]
	s_nop 0
	v_fma_f32 v10, v8, s15, -v12
	v_fmac_f32_e32 v10, 0xb102e308, v8
	v_pk_add_f32 v[8:9], v[12:13], v[10:11]
	s_nop 0
	v_sub_f32_e32 v11, v9, v11
	v_sub_f32_e32 v11, v13, v11
	v_add_f32_e32 v15, v14, v11
	v_mov_b32_e32 v14, v12
	v_pk_add_f32 v[12:13], v[8:9], v[12:13] neg_lo:[0,1] neg_hi:[0,1]
	v_pk_add_f32 v[28:29], v[8:9], v[14:15]
	v_mov_b32_e32 v11, v8
	v_mov_b32_e32 v13, v29
	v_pk_add_f32 v[30:31], v[10:11], v[12:13] neg_lo:[0,1] neg_hi:[0,1]
	v_pk_add_f32 v[10:11], v[10:11], v[12:13]
	v_mov_b32_e32 v14, v15
	v_mov_b32_e32 v12, v11
	v_pk_add_f32 v[32:33], v[12:13], v[8:9] neg_lo:[0,1] neg_hi:[0,1]
	v_mov_b32_e32 v10, v29
	v_mov_b32_e32 v13, v32
	v_pk_add_f32 v[34:35], v[28:29], v[12:13] neg_lo:[0,1] neg_hi:[0,1]
	v_mov_b32_e32 v28, v9
	v_mov_b32_e32 v29, v32
	;; [unrolled: 1-line block ×3, first 2 shown]
	v_pk_add_f32 v[10:11], v[10:11], v[28:29] neg_lo:[0,1] neg_hi:[0,1]
	v_mov_b32_e32 v15, v8
	v_pk_add_f32 v[8:9], v[14:15], v[10:11] neg_lo:[0,1] neg_hi:[0,1]
	v_mov_b32_e32 v34, v30
	v_pk_add_f32 v[10:11], v[34:35], v[8:9]
	s_nop 0
	v_mov_b32_e32 v14, v11
	v_pk_add_f32 v[14:15], v[10:11], v[14:15]
	s_nop 0
	v_pk_add_f32 v[12:13], v[12:13], v[14:15]
	v_mov_b32_e32 v9, v14
	v_mov_b32_e32 v11, v12
	v_pk_add_f32 v[28:29], v[10:11], v[30:31] neg_lo:[0,1] neg_hi:[0,1]
	s_nop 0
	v_sub_f32_e32 v10, v10, v28
	v_pk_add_f32 v[8:9], v[8:9], v[28:29] neg_lo:[0,1] neg_hi:[0,1]
	v_sub_f32_e32 v10, v30, v10
	v_add_f32_e32 v8, v8, v10
	v_add_f32_e32 v8, v8, v9
	;; [unrolled: 1-line block ×3, first 2 shown]
	v_cndmask_b32_e32 v27, v8, v23, vcc
.LBB95_107:                             ;   in Loop: Header=BB95_13 Depth=1
	s_or_b64 exec, exec, s[4:5]
	v_cvt_f32_f16_e32 v8, v7
	v_cvt_f32_f16_sdwa v9, v6 dst_sel:DWORD dst_unused:UNUSED_PAD src0_sel:WORD_1
	v_cvt_f32_f16_e32 v6, v6
	v_cvt_f32_f16_sdwa v13, v7 dst_sel:DWORD dst_unused:UNUSED_PAD src0_sel:WORD_1
	v_cvt_f32_f16_sdwa v7, v5 dst_sel:DWORD dst_unused:UNUSED_PAD src0_sel:WORD_1
	v_cvt_f32_f16_e32 v5, v5
	v_cvt_f32_f16_sdwa v10, v4 dst_sel:DWORD dst_unused:UNUSED_PAD src0_sel:WORD_1
	v_cvt_f32_f16_e32 v4, v4
	;; [unrolled: 2-line block ×6, first 2 shown]
	v_readlane_b32 s2, v167, 3
	s_barrier
	s_nop 0
	v_mul_f32_e32 v28, s2, v8
	v_mul_f32_e32 v31, s2, v9
	;; [unrolled: 1-line block ×16, first 2 shown]
	v_readlane_b32 s2, v167, 32
	v_readlane_b32 s3, v167, 33
	s_and_b64 vcc, exec, s[2:3]
	s_cbranch_vccz .LBB95_204
; %bb.108:                              ;   in Loop: Header=BB95_13 Depth=1
	v_readlane_b32 s2, v167, 8
	v_readlane_b32 s3, v167, 9
	v_mul_f32_e32 v165, v139, v0
	v_cmp_gt_u32_e32 vcc, s88, v19
	v_lshl_add_u64 v[44:45], s[2:3], 0, v[16:17]
	v_readlane_b32 s2, v167, 22
	v_readlane_b32 s3, v167, 23
	v_or_b32_e32 v0, 1, v19
	v_mov_b32_e32 v23, v17
	v_lshl_add_u64 v[46:47], s[2:3], 0, v[16:17]
	v_readlane_b32 s3, v167, 59
	s_cmp_lg_u32 s3, 0
	v_readlane_b32 s2, v167, 37
	s_cselect_b64 s[94:95], -1, 0
	s_cmp_eq_u32 s3, s2
	v_readlane_b32 s2, v167, 38
	v_readlane_b32 s3, v167, 39
	s_cselect_b64 s[96:97], -1, 0
	s_or_b64 s[60:61], s[2:3], vcc
	v_cmp_gt_u32_e32 vcc, s88, v0
	v_or_b32_e32 v0, 2, v19
	s_or_b64 s[62:63], s[2:3], vcc
	v_cmp_gt_u32_e32 vcc, s88, v0
	v_or_b32_e32 v0, 3, v19
	;; [unrolled: 3-line block ×13, first 2 shown]
	s_or_b64 s[86:87], s[2:3], vcc
	v_cmp_gt_u32_e32 vcc, s88, v0
	v_cmp_gt_u32_e64 s[88:89], s88, v134
	s_or_b64 s[88:89], s[2:3], s[88:89]
	s_or_b64 s[90:91], s[2:3], vcc
	v_readlane_b32 s2, v167, 34
	s_mov_b32 s6, 0
	v_readlane_b32 s3, v167, 35
	v_mul_f32_e32 v25, v27, v13
	v_lshl_add_u64 v[44:45], v[44:45], 0, v[22:23]
	v_lshl_add_u64 v[46:47], v[46:47], 0, v[22:23]
	v_mul_f32_e32 v16, v26, v8
	v_mul_f32_e32 v23, v152, v9
	;; [unrolled: 1-line block ×14, first 2 shown]
	s_mov_b32 s92, s6
	s_mov_b32 s98, s6
	;; [unrolled: 1-line block ×4, first 2 shown]
	v_readlane_b32 s9, v167, 58
	s_branch .LBB95_110
.LBB95_109:                             ;   in Loop: Header=BB95_110 Depth=2
	s_or_b64 exec, exec, s[2:3]
	v_cndmask_b32_e64 v8, v8, v67, s[24:25]
	v_cndmask_b32_e64 v48, v58, v66, s[24:25]
	v_mul_f32_e32 v48, v48, v120
	v_fma_f32 v8, v8, v120, v166
	v_cndmask_b32_e64 v8, v8, v166, s[22:23]
	v_cndmask_b32_e64 v48, v48, v120, s[22:23]
	s_waitcnt lgkmcnt(0)
	v_fmac_f32_e32 v8, v61, v48
	v_fmac_f32_e32 v9, v8, v121
	;; [unrolled: 1-line block ×13, first 2 shown]
	v_readlane_b32 s12, v167, 24
	v_fmac_f32_e32 v53, v52, v56
	v_readlane_b32 s13, v167, 25
	v_readlane_b32 s14, v167, 26
	;; [unrolled: 1-line block ×3, first 2 shown]
	v_fmac_f32_e32 v57, v53, v62
	s_add_i32 s4, s4, s14
	v_readlane_b32 s12, v167, 18
	v_fmac_f32_e32 v59, v57, v63
	v_cvt_f32_f16_sdwa v49, v4 dst_sel:DWORD dst_unused:UNUSED_PAD src0_sel:WORD_1
	v_cvt_f32_f16_sdwa v61, v5 dst_sel:DWORD dst_unused:UNUSED_PAD src0_sel:WORD_1
	v_cvt_f32_f16_e32 v48, v4
	v_cvt_f32_f16_e32 v60, v5
	v_cvt_f32_f16_sdwa v5, v6 dst_sel:DWORD dst_unused:UNUSED_PAD src0_sel:WORD_1
	v_cvt_f32_f16_sdwa v63, v7 dst_sel:DWORD dst_unused:UNUSED_PAD src0_sel:WORD_1
	v_cvt_f32_f16_e32 v4, v6
	v_cvt_f32_f16_e32 v62, v7
	;; [unrolled: 4-line block ×4, first 2 shown]
	v_readlane_b32 s13, v167, 19
	v_readlane_b32 s14, v167, 20
	v_readlane_b32 s15, v167, 21
	s_add_i32 s98, s98, s12
	v_readlane_b32 s12, v167, 10
	v_readlane_b32 s13, v167, 11
	;; [unrolled: 1-line block ×3, first 2 shown]
	v_mov_b32_e32 v58, v57
	s_add_i32 s9, s9, 8
	s_add_i32 s8, s8, -1
	s_add_i32 s92, s92, s16
	s_add_i32 s6, s6, s13
	v_pk_fma_f32 v[40:41], v[10:11], v[60:61], v[40:41]
	v_pk_fma_f32 v[42:43], v[8:9], v[48:49], v[42:43]
	v_pk_fma_f32 v[36:37], v[14:15], v[62:63], v[36:37]
	v_pk_fma_f32 v[38:39], v[12:13], v[4:5], v[38:39]
	v_pk_fma_f32 v[32:33], v[54:55], v[64:65], v[32:33]
	v_pk_fma_f32 v[34:35], v[50:51], v[6:7], v[34:35]
	v_pk_fma_f32 v[28:29], v[58:59], v[66:67], v[28:29]
	s_cmp_eq_u32 s8, 0
	v_pk_fma_f32 v[30:31], v[52:53], v[0:1], v[30:31]
	v_readlane_b32 s14, v167, 12
	v_readlane_b32 s15, v167, 13
	;; [unrolled: 1-line block ×5, first 2 shown]
	s_cbranch_scc1 .LBB95_203
.LBB95_110:                             ;   Parent Loop BB95_13 Depth=1
                                        ; =>  This Inner Loop Header: Depth=2
	s_lshl_b64 s[2:3], s[6:7], 2
	v_readlane_b32 s5, v167, 6
	s_add_u32 s2, s5, s2
	v_readlane_b32 s5, v167, 7
	s_addc_u32 s3, s5, s3
	global_load_dword v50, v17, s[2:3]
	s_mov_b32 s93, s7
	v_lshl_add_u64 v[0:1], s[92:93], 1, v[44:45]
	v_mov_b32_e32 v2, 0
	v_mov_b32_e32 v3, 0
	s_and_saveexec_b64 s[2:3], s[26:27]
	s_cbranch_execnz .LBB95_146
; %bb.111:                              ;   in Loop: Header=BB95_110 Depth=2
	s_or_b64 exec, exec, s[2:3]
	s_and_saveexec_b64 s[2:3], s[28:29]
	s_cbranch_execnz .LBB95_147
.LBB95_112:                             ;   in Loop: Header=BB95_110 Depth=2
	s_or_b64 exec, exec, s[2:3]
	v_mov_b32_e32 v4, 0
	s_and_saveexec_b64 s[2:3], s[30:31]
	s_cbranch_execnz .LBB95_148
.LBB95_113:                             ;   in Loop: Header=BB95_110 Depth=2
	s_or_b64 exec, exec, s[2:3]
	s_and_saveexec_b64 s[2:3], s[34:35]
	s_cbranch_execnz .LBB95_149
.LBB95_114:                             ;   in Loop: Header=BB95_110 Depth=2
	s_or_b64 exec, exec, s[2:3]
	v_mov_b32_e32 v5, 0
	s_and_saveexec_b64 s[2:3], s[36:37]
	s_cbranch_execnz .LBB95_150
.LBB95_115:                             ;   in Loop: Header=BB95_110 Depth=2
	s_or_b64 exec, exec, s[2:3]
	s_and_saveexec_b64 s[2:3], s[38:39]
	s_cbranch_execnz .LBB95_151
.LBB95_116:                             ;   in Loop: Header=BB95_110 Depth=2
	s_or_b64 exec, exec, s[2:3]
	v_mov_b32_e32 v6, 0
	s_and_saveexec_b64 s[2:3], s[40:41]
	s_cbranch_execnz .LBB95_152
.LBB95_117:                             ;   in Loop: Header=BB95_110 Depth=2
	s_or_b64 exec, exec, s[2:3]
	s_and_saveexec_b64 s[2:3], s[42:43]
	s_cbranch_execnz .LBB95_153
.LBB95_118:                             ;   in Loop: Header=BB95_110 Depth=2
	s_or_b64 exec, exec, s[2:3]
	v_mov_b32_e32 v7, 0
	s_and_saveexec_b64 s[2:3], s[44:45]
	s_cbranch_execnz .LBB95_154
.LBB95_119:                             ;   in Loop: Header=BB95_110 Depth=2
	s_or_b64 exec, exec, s[2:3]
	s_and_saveexec_b64 s[2:3], s[46:47]
	s_cbranch_execnz .LBB95_155
.LBB95_120:                             ;   in Loop: Header=BB95_110 Depth=2
	s_or_b64 exec, exec, s[2:3]
	v_mov_b32_e32 v8, 0
	s_and_saveexec_b64 s[2:3], s[48:49]
	s_cbranch_execnz .LBB95_156
.LBB95_121:                             ;   in Loop: Header=BB95_110 Depth=2
	s_or_b64 exec, exec, s[2:3]
	s_and_saveexec_b64 s[2:3], s[50:51]
	s_cbranch_execnz .LBB95_157
.LBB95_122:                             ;   in Loop: Header=BB95_110 Depth=2
	s_or_b64 exec, exec, s[2:3]
	v_mov_b32_e32 v9, 0
	s_and_saveexec_b64 s[2:3], s[52:53]
	s_cbranch_execnz .LBB95_158
.LBB95_123:                             ;   in Loop: Header=BB95_110 Depth=2
	s_or_b64 exec, exec, s[2:3]
	s_and_saveexec_b64 s[2:3], s[54:55]
	s_cbranch_execnz .LBB95_159
.LBB95_124:                             ;   in Loop: Header=BB95_110 Depth=2
	s_or_b64 exec, exec, s[2:3]
	v_mov_b32_e32 v10, 0
	s_and_saveexec_b64 s[2:3], s[56:57]
	s_cbranch_execnz .LBB95_160
.LBB95_125:                             ;   in Loop: Header=BB95_110 Depth=2
	s_or_b64 exec, exec, s[2:3]
	s_and_saveexec_b64 s[2:3], s[58:59]
	s_cbranch_execz .LBB95_127
.LBB95_126:                             ;   in Loop: Header=BB95_110 Depth=2
	global_load_ushort v0, v[0:1], off offset:1920
	s_waitcnt vmcnt(0)
	v_lshl_or_b32 v10, v0, 16, v10
.LBB95_127:                             ;   in Loop: Header=BB95_110 Depth=2
	s_or_b64 exec, exec, s[2:3]
	s_waitcnt vmcnt(0)
	ds_write_b16 v84, v3
	ds_write_b16 v85, v2 offset:128
	ds_write_b16 v86, v4 offset:256
	ds_write_b16_d16_hi v87, v4 offset:384
	ds_write_b16 v88, v5 offset:512
	ds_write_b16_d16_hi v89, v5 offset:640
	;; [unrolled: 2-line block ×7, first 2 shown]
	; wave barrier
	ds_read_b128 v[12:15], v100
	ds_read_b128 v[8:11], v100 offset:16
	s_mov_b32 s99, s7
	v_lshl_add_u64 v[0:1], s[98:99], 1, v[46:47]
	v_mov_b32_e32 v2, 0
	v_mov_b32_e32 v3, 0
	s_and_saveexec_b64 s[2:3], s[26:27]
	s_cbranch_execnz .LBB95_161
; %bb.128:                              ;   in Loop: Header=BB95_110 Depth=2
	s_or_b64 exec, exec, s[2:3]
	s_and_saveexec_b64 s[2:3], s[28:29]
	s_cbranch_execnz .LBB95_162
.LBB95_129:                             ;   in Loop: Header=BB95_110 Depth=2
	s_or_b64 exec, exec, s[2:3]
	v_mov_b32_e32 v4, 0
	s_and_saveexec_b64 s[2:3], s[30:31]
	s_cbranch_execnz .LBB95_163
.LBB95_130:                             ;   in Loop: Header=BB95_110 Depth=2
	s_or_b64 exec, exec, s[2:3]
	s_and_saveexec_b64 s[2:3], s[34:35]
	s_cbranch_execnz .LBB95_164
.LBB95_131:                             ;   in Loop: Header=BB95_110 Depth=2
	s_or_b64 exec, exec, s[2:3]
	v_mov_b32_e32 v5, 0
	s_and_saveexec_b64 s[2:3], s[36:37]
	s_cbranch_execnz .LBB95_165
.LBB95_132:                             ;   in Loop: Header=BB95_110 Depth=2
	s_or_b64 exec, exec, s[2:3]
	s_and_saveexec_b64 s[2:3], s[38:39]
	s_cbranch_execnz .LBB95_166
.LBB95_133:                             ;   in Loop: Header=BB95_110 Depth=2
	s_or_b64 exec, exec, s[2:3]
	v_mov_b32_e32 v6, 0
	s_and_saveexec_b64 s[2:3], s[40:41]
	s_cbranch_execnz .LBB95_167
.LBB95_134:                             ;   in Loop: Header=BB95_110 Depth=2
	s_or_b64 exec, exec, s[2:3]
	s_and_saveexec_b64 s[2:3], s[42:43]
	s_cbranch_execnz .LBB95_168
.LBB95_135:                             ;   in Loop: Header=BB95_110 Depth=2
	s_or_b64 exec, exec, s[2:3]
	v_mov_b32_e32 v7, 0
	s_and_saveexec_b64 s[2:3], s[44:45]
	s_cbranch_execnz .LBB95_169
.LBB95_136:                             ;   in Loop: Header=BB95_110 Depth=2
	s_or_b64 exec, exec, s[2:3]
	s_and_saveexec_b64 s[2:3], s[46:47]
	s_cbranch_execnz .LBB95_170
.LBB95_137:                             ;   in Loop: Header=BB95_110 Depth=2
	s_or_b64 exec, exec, s[2:3]
	v_mov_b32_e32 v48, 0
	s_and_saveexec_b64 s[2:3], s[48:49]
	s_cbranch_execnz .LBB95_171
.LBB95_138:                             ;   in Loop: Header=BB95_110 Depth=2
	s_or_b64 exec, exec, s[2:3]
	s_and_saveexec_b64 s[2:3], s[50:51]
	s_cbranch_execnz .LBB95_172
.LBB95_139:                             ;   in Loop: Header=BB95_110 Depth=2
	s_or_b64 exec, exec, s[2:3]
	v_mov_b32_e32 v49, 0
	s_and_saveexec_b64 s[2:3], s[52:53]
	s_cbranch_execnz .LBB95_173
.LBB95_140:                             ;   in Loop: Header=BB95_110 Depth=2
	s_or_b64 exec, exec, s[2:3]
	s_and_saveexec_b64 s[2:3], s[54:55]
	s_cbranch_execnz .LBB95_174
.LBB95_141:                             ;   in Loop: Header=BB95_110 Depth=2
	s_or_b64 exec, exec, s[2:3]
	v_mov_b32_e32 v51, 0
	s_and_saveexec_b64 s[2:3], s[56:57]
	s_cbranch_execnz .LBB95_175
.LBB95_142:                             ;   in Loop: Header=BB95_110 Depth=2
	s_or_b64 exec, exec, s[2:3]
	s_and_saveexec_b64 s[2:3], s[58:59]
	s_cbranch_execz .LBB95_144
.LBB95_143:                             ;   in Loop: Header=BB95_110 Depth=2
	global_load_ushort v0, v[0:1], off offset:1920
	s_waitcnt vmcnt(0)
	v_lshl_or_b32 v51, v0, 16, v51
.LBB95_144:                             ;   in Loop: Header=BB95_110 Depth=2
	s_or_b64 exec, exec, s[2:3]
	s_waitcnt vmcnt(0)
	ds_write_b16 v84, v3 offset:4224
	ds_write_b16 v101, v2 offset:128
	;; [unrolled: 1-line block ×3, first 2 shown]
	ds_write_b16_d16_hi v103, v4 offset:384
	ds_write_b16 v104, v5 offset:512
	ds_write_b16_d16_hi v105, v5 offset:640
	ds_write_b16 v106, v6 offset:768
	;; [unrolled: 2-line block ×6, first 2 shown]
	ds_write_b16_d16_hi v115, v51 offset:1920
	; wave barrier
	ds_read_b128 v[4:7], v100 offset:4224
	ds_read_b128 v[0:3], v116 offset:16
	s_andn2_b64 vcc, exec, s[94:95]
	s_cbranch_vccnz .LBB95_176
; %bb.145:                              ;   in Loop: Header=BB95_110 Depth=2
	v_mov_b32_e32 v48, s9
	ds_read_b64 v[48:49], v48
	s_cbranch_execz .LBB95_177
	s_branch .LBB95_180
.LBB95_146:                             ;   in Loop: Header=BB95_110 Depth=2
	global_load_ushort v3, v[0:1], off
	s_or_b64 exec, exec, s[2:3]
	s_and_saveexec_b64 s[2:3], s[28:29]
	s_cbranch_execz .LBB95_112
.LBB95_147:                             ;   in Loop: Header=BB95_110 Depth=2
	global_load_ushort v2, v[0:1], off offset:128
	s_or_b64 exec, exec, s[2:3]
	v_mov_b32_e32 v4, 0
	s_and_saveexec_b64 s[2:3], s[30:31]
	s_cbranch_execz .LBB95_113
.LBB95_148:                             ;   in Loop: Header=BB95_110 Depth=2
	global_load_ushort v4, v[0:1], off offset:256
	s_or_b64 exec, exec, s[2:3]
	s_and_saveexec_b64 s[2:3], s[34:35]
	s_cbranch_execz .LBB95_114
.LBB95_149:                             ;   in Loop: Header=BB95_110 Depth=2
	global_load_ushort v5, v[0:1], off offset:384
	s_waitcnt vmcnt(0)
	v_lshl_or_b32 v4, v5, 16, v4
	s_or_b64 exec, exec, s[2:3]
	v_mov_b32_e32 v5, 0
	s_and_saveexec_b64 s[2:3], s[36:37]
	s_cbranch_execz .LBB95_115
.LBB95_150:                             ;   in Loop: Header=BB95_110 Depth=2
	global_load_ushort v5, v[0:1], off offset:512
	s_or_b64 exec, exec, s[2:3]
	s_and_saveexec_b64 s[2:3], s[38:39]
	s_cbranch_execz .LBB95_116
.LBB95_151:                             ;   in Loop: Header=BB95_110 Depth=2
	global_load_ushort v6, v[0:1], off offset:640
	s_waitcnt vmcnt(0)
	v_lshl_or_b32 v5, v6, 16, v5
	s_or_b64 exec, exec, s[2:3]
	v_mov_b32_e32 v6, 0
	s_and_saveexec_b64 s[2:3], s[40:41]
	s_cbranch_execz .LBB95_117
.LBB95_152:                             ;   in Loop: Header=BB95_110 Depth=2
	global_load_ushort v6, v[0:1], off offset:768
	s_or_b64 exec, exec, s[2:3]
	s_and_saveexec_b64 s[2:3], s[42:43]
	s_cbranch_execz .LBB95_118
.LBB95_153:                             ;   in Loop: Header=BB95_110 Depth=2
	global_load_ushort v7, v[0:1], off offset:896
	s_waitcnt vmcnt(0)
	v_lshl_or_b32 v6, v7, 16, v6
	s_or_b64 exec, exec, s[2:3]
	v_mov_b32_e32 v7, 0
	s_and_saveexec_b64 s[2:3], s[44:45]
	s_cbranch_execz .LBB95_119
.LBB95_154:                             ;   in Loop: Header=BB95_110 Depth=2
	global_load_ushort v7, v[0:1], off offset:1024
	s_or_b64 exec, exec, s[2:3]
	s_and_saveexec_b64 s[2:3], s[46:47]
	s_cbranch_execz .LBB95_120
.LBB95_155:                             ;   in Loop: Header=BB95_110 Depth=2
	global_load_ushort v8, v[0:1], off offset:1152
	s_waitcnt vmcnt(0)
	v_lshl_or_b32 v7, v8, 16, v7
	s_or_b64 exec, exec, s[2:3]
	v_mov_b32_e32 v8, 0
	s_and_saveexec_b64 s[2:3], s[48:49]
	s_cbranch_execz .LBB95_121
.LBB95_156:                             ;   in Loop: Header=BB95_110 Depth=2
	global_load_ushort v8, v[0:1], off offset:1280
	s_or_b64 exec, exec, s[2:3]
	s_and_saveexec_b64 s[2:3], s[50:51]
	s_cbranch_execz .LBB95_122
.LBB95_157:                             ;   in Loop: Header=BB95_110 Depth=2
	global_load_ushort v9, v[0:1], off offset:1408
	s_waitcnt vmcnt(0)
	v_lshl_or_b32 v8, v9, 16, v8
	s_or_b64 exec, exec, s[2:3]
	v_mov_b32_e32 v9, 0
	s_and_saveexec_b64 s[2:3], s[52:53]
	s_cbranch_execz .LBB95_123
.LBB95_158:                             ;   in Loop: Header=BB95_110 Depth=2
	global_load_ushort v9, v[0:1], off offset:1536
	s_or_b64 exec, exec, s[2:3]
	s_and_saveexec_b64 s[2:3], s[54:55]
	s_cbranch_execz .LBB95_124
.LBB95_159:                             ;   in Loop: Header=BB95_110 Depth=2
	global_load_ushort v10, v[0:1], off offset:1664
	s_waitcnt vmcnt(0)
	v_lshl_or_b32 v9, v10, 16, v9
	s_or_b64 exec, exec, s[2:3]
	v_mov_b32_e32 v10, 0
	s_and_saveexec_b64 s[2:3], s[56:57]
	s_cbranch_execz .LBB95_125
.LBB95_160:                             ;   in Loop: Header=BB95_110 Depth=2
	global_load_ushort v10, v[0:1], off offset:1792
	s_or_b64 exec, exec, s[2:3]
	s_and_saveexec_b64 s[2:3], s[58:59]
	s_cbranch_execnz .LBB95_126
	s_branch .LBB95_127
.LBB95_161:                             ;   in Loop: Header=BB95_110 Depth=2
	global_load_ushort v3, v[0:1], off
	s_or_b64 exec, exec, s[2:3]
	s_and_saveexec_b64 s[2:3], s[28:29]
	s_cbranch_execz .LBB95_129
.LBB95_162:                             ;   in Loop: Header=BB95_110 Depth=2
	global_load_ushort v2, v[0:1], off offset:128
	s_or_b64 exec, exec, s[2:3]
	v_mov_b32_e32 v4, 0
	s_and_saveexec_b64 s[2:3], s[30:31]
	s_cbranch_execz .LBB95_130
.LBB95_163:                             ;   in Loop: Header=BB95_110 Depth=2
	global_load_ushort v4, v[0:1], off offset:256
	s_or_b64 exec, exec, s[2:3]
	s_and_saveexec_b64 s[2:3], s[34:35]
	s_cbranch_execz .LBB95_131
.LBB95_164:                             ;   in Loop: Header=BB95_110 Depth=2
	global_load_ushort v5, v[0:1], off offset:384
	s_waitcnt vmcnt(0)
	v_lshl_or_b32 v4, v5, 16, v4
	s_or_b64 exec, exec, s[2:3]
	v_mov_b32_e32 v5, 0
	s_and_saveexec_b64 s[2:3], s[36:37]
	s_cbranch_execz .LBB95_132
.LBB95_165:                             ;   in Loop: Header=BB95_110 Depth=2
	global_load_ushort v5, v[0:1], off offset:512
	s_or_b64 exec, exec, s[2:3]
	s_and_saveexec_b64 s[2:3], s[38:39]
	s_cbranch_execz .LBB95_133
.LBB95_166:                             ;   in Loop: Header=BB95_110 Depth=2
	global_load_ushort v6, v[0:1], off offset:640
	s_waitcnt vmcnt(0)
	v_lshl_or_b32 v5, v6, 16, v5
	s_or_b64 exec, exec, s[2:3]
	v_mov_b32_e32 v6, 0
	s_and_saveexec_b64 s[2:3], s[40:41]
	s_cbranch_execz .LBB95_134
.LBB95_167:                             ;   in Loop: Header=BB95_110 Depth=2
	global_load_ushort v6, v[0:1], off offset:768
	s_or_b64 exec, exec, s[2:3]
	s_and_saveexec_b64 s[2:3], s[42:43]
	s_cbranch_execz .LBB95_135
.LBB95_168:                             ;   in Loop: Header=BB95_110 Depth=2
	global_load_ushort v7, v[0:1], off offset:896
	s_waitcnt vmcnt(0)
	v_lshl_or_b32 v6, v7, 16, v6
	s_or_b64 exec, exec, s[2:3]
	v_mov_b32_e32 v7, 0
	s_and_saveexec_b64 s[2:3], s[44:45]
	s_cbranch_execz .LBB95_136
.LBB95_169:                             ;   in Loop: Header=BB95_110 Depth=2
	global_load_ushort v7, v[0:1], off offset:1024
	s_or_b64 exec, exec, s[2:3]
	s_and_saveexec_b64 s[2:3], s[46:47]
	s_cbranch_execz .LBB95_137
.LBB95_170:                             ;   in Loop: Header=BB95_110 Depth=2
	global_load_ushort v48, v[0:1], off offset:1152
	s_waitcnt vmcnt(0)
	v_lshl_or_b32 v7, v48, 16, v7
	s_or_b64 exec, exec, s[2:3]
	v_mov_b32_e32 v48, 0
	s_and_saveexec_b64 s[2:3], s[48:49]
	s_cbranch_execz .LBB95_138
.LBB95_171:                             ;   in Loop: Header=BB95_110 Depth=2
	global_load_ushort v48, v[0:1], off offset:1280
	s_or_b64 exec, exec, s[2:3]
	s_and_saveexec_b64 s[2:3], s[50:51]
	s_cbranch_execz .LBB95_139
.LBB95_172:                             ;   in Loop: Header=BB95_110 Depth=2
	global_load_ushort v49, v[0:1], off offset:1408
	s_waitcnt vmcnt(0)
	v_lshl_or_b32 v48, v49, 16, v48
	s_or_b64 exec, exec, s[2:3]
	v_mov_b32_e32 v49, 0
	s_and_saveexec_b64 s[2:3], s[52:53]
	s_cbranch_execz .LBB95_140
.LBB95_173:                             ;   in Loop: Header=BB95_110 Depth=2
	global_load_ushort v49, v[0:1], off offset:1536
	s_or_b64 exec, exec, s[2:3]
	s_and_saveexec_b64 s[2:3], s[54:55]
	s_cbranch_execz .LBB95_141
.LBB95_174:                             ;   in Loop: Header=BB95_110 Depth=2
	global_load_ushort v51, v[0:1], off offset:1664
	s_waitcnt vmcnt(0)
	v_lshl_or_b32 v49, v51, 16, v49
	s_or_b64 exec, exec, s[2:3]
	v_mov_b32_e32 v51, 0
	s_and_saveexec_b64 s[2:3], s[56:57]
	s_cbranch_execz .LBB95_142
.LBB95_175:                             ;   in Loop: Header=BB95_110 Depth=2
	global_load_ushort v51, v[0:1], off offset:1792
	s_or_b64 exec, exec, s[2:3]
	s_and_saveexec_b64 s[2:3], s[58:59]
	s_cbranch_execnz .LBB95_143
	s_branch .LBB95_144
.LBB95_176:                             ;   in Loop: Header=BB95_110 Depth=2
                                        ; implicit-def: $vgpr49
.LBB95_177:                             ;   in Loop: Header=BB95_110 Depth=2
	v_readlane_b32 s2, v167, 0
	v_readlane_b32 s3, v167, 1
	s_andn2_b64 vcc, exec, s[2:3]
	s_waitcnt lgkmcnt(0)
	v_mov_b32_e32 v49, 0
	s_cbranch_vccnz .LBB95_179
; %bb.178:                              ;   in Loop: Header=BB95_110 Depth=2
	s_mov_b32 s5, s7
	s_lshl_b64 s[2:3], s[4:5], 1
	v_readlane_b32 s5, v167, 28
	s_add_u32 s2, s5, s2
	v_readlane_b32 s5, v167, 29
	s_addc_u32 s3, s5, s3
	global_load_ushort v48, v17, s[2:3]
	s_waitcnt vmcnt(0)
	v_cvt_f32_f16_e32 v49, v48
.LBB95_179:                             ;   in Loop: Header=BB95_110 Depth=2
	v_mov_b32_e32 v48, 1.0
.LBB95_180:                             ;   in Loop: Header=BB95_110 Depth=2
	s_waitcnt lgkmcnt(14)
	v_cvt_f32_f16_e32 v55, v8
	v_cvt_f32_f16_sdwa v56, v8 dst_sel:DWORD dst_unused:UNUSED_PAD src0_sel:WORD_1
	v_mul_f32_e32 v8, 0x3fb8aa3b, v50
	v_cvt_f32_f16_e32 v57, v9
	v_cvt_f32_f16_sdwa v59, v9 dst_sel:DWORD dst_unused:UNUSED_PAD src0_sel:WORD_1
	v_mul_f32_e32 v9, v8, v139
	v_cmp_gt_f32_e32 vcc, s33, v9
	v_cvt_f32_f16_e32 v60, v10
	v_cvt_f32_f16_sdwa v61, v10 dst_sel:DWORD dst_unused:UNUSED_PAD src0_sel:WORD_1
	v_cndmask_b32_e32 v9, 0, v137, vcc
	v_fmac_f32_e32 v9, v8, v139
	v_exp_f32_e32 v9, v9
	v_cndmask_b32_e32 v10, 1.0, v138, vcc
	v_cvt_f32_f16_e32 v51, v12
	v_cvt_f32_f16_e32 v64, v11
	v_mul_f32_e32 v9, v9, v10
	v_cndmask_b32_e64 v120, 1.0, v9, s[60:61]
	v_mul_f32_e32 v9, v8, v140
	v_cmp_gt_f32_e32 vcc, s33, v9
	v_mul_f32_e32 v10, v165, v51
	v_cndmask_b32_e64 v166, 0, v10, s[60:61]
	v_cndmask_b32_e32 v9, 0, v137, vcc
	v_fmac_f32_e32 v9, v8, v140
	v_exp_f32_e32 v9, v9
	v_cndmask_b32_e32 v10, 1.0, v138, vcc
	v_cvt_f32_f16_sdwa v58, v11 dst_sel:DWORD dst_unused:UNUSED_PAD src0_sel:WORD_1
	v_cvt_f32_f16_sdwa v12, v12 dst_sel:DWORD dst_unused:UNUSED_PAD src0_sel:WORD_1
	v_mul_f32_e32 v10, v9, v10
	v_cndmask_b32_e64 v121, 1.0, v10, s[62:63]
	v_mul_f32_e32 v10, v8, v141
	v_cmp_gt_f32_e32 vcc, s33, v10
	v_mul_f32_e32 v9, v164, v12
	v_cvt_f32_f16_e32 v52, v13
	v_cndmask_b32_e32 v10, 0, v137, vcc
	v_fmac_f32_e32 v10, v8, v141
	v_exp_f32_e32 v10, v10
	v_cndmask_b32_e32 v11, 1.0, v138, vcc
	v_cvt_f32_f16_sdwa v13, v13 dst_sel:DWORD dst_unused:UNUSED_PAD src0_sel:WORD_1
	v_cvt_f32_f16_e32 v53, v14
	v_mul_f32_e32 v11, v10, v11
	v_cndmask_b32_e64 v122, 1.0, v11, s[64:65]
	v_mul_f32_e32 v11, v8, v142
	v_cmp_gt_f32_e32 vcc, s33, v11
	v_cvt_f32_f16_sdwa v14, v14 dst_sel:DWORD dst_unused:UNUSED_PAD src0_sel:WORD_1
	v_mul_f32_e32 v10, v163, v52
	v_cndmask_b32_e32 v11, 0, v137, vcc
	v_fmac_f32_e32 v11, v8, v142
	v_exp_f32_e32 v11, v11
	v_cndmask_b32_e32 v12, 1.0, v138, vcc
	v_cvt_f32_f16_e32 v54, v15
	v_cndmask_b32_e64 v9, 0, v9, s[62:63]
	v_mul_f32_e32 v12, v11, v12
	v_cndmask_b32_e64 v123, 1.0, v12, s[66:67]
	v_mul_f32_e32 v12, v8, v143
	v_cmp_gt_f32_e32 vcc, s33, v12
	v_mul_f32_e32 v11, v162, v13
	v_pk_mul_f32 v[62:63], v[8:9], v[26:27] op_sel_hi:[0,1]
	v_cndmask_b32_e32 v12, 0, v137, vcc
	v_fmac_f32_e32 v12, v8, v143
	v_exp_f32_e32 v12, v12
	v_cndmask_b32_e32 v13, 1.0, v138, vcc
	v_mul_f32_e32 v58, v25, v58
	v_cvt_f32_f16_sdwa v15, v15 dst_sel:DWORD dst_unused:UNUSED_PAD src0_sel:WORD_1
	v_mul_f32_e32 v13, v12, v13
	v_cndmask_b32_e64 v124, 1.0, v13, s[68:69]
	v_mul_f32_e32 v13, v8, v144
	v_cmp_gt_f32_e32 vcc, s33, v13
	v_mul_f32_e32 v12, v161, v53
	v_cndmask_b32_e64 v10, 0, v10, s[64:65]
	v_cndmask_b32_e32 v13, 0, v137, vcc
	v_fmac_f32_e32 v13, v8, v144
	v_exp_f32_e32 v13, v13
	v_cndmask_b32_e32 v50, 1.0, v138, vcc
	v_cndmask_b32_e64 v11, 0, v11, s[66:67]
	v_cndmask_b32_e64 v12, 0, v12, s[68:69]
	v_mul_f32_e32 v50, v13, v50
	v_mul_f32_e32 v13, v160, v14
	;; [unrolled: 1-line block ×3, first 2 shown]
	v_cmp_gt_f32_e32 vcc, s33, v14
	v_cndmask_b32_e64 v125, 1.0, v50, s[70:71]
	v_cndmask_b32_e64 v13, 0, v13, s[70:71]
	v_cndmask_b32_e32 v14, 0, v137, vcc
	v_fmac_f32_e32 v14, v8, v145
	v_exp_f32_e32 v14, v14
	v_cndmask_b32_e32 v50, 1.0, v138, vcc
	v_mul_f32_e32 v15, v158, v15
	v_cndmask_b32_e64 v15, 0, v15, s[74:75]
	v_mul_f32_e32 v50, v14, v50
	v_cndmask_b32_e64 v126, 1.0, v50, s[72:73]
	v_mul_f32_e32 v50, v8, v146
	v_cmp_gt_f32_e32 vcc, s33, v50
	v_mul_f32_e32 v14, v159, v54
	v_cndmask_b32_e64 v14, 0, v14, s[72:73]
	v_cndmask_b32_e32 v50, 0, v137, vcc
	v_fmac_f32_e32 v50, v8, v146
	v_exp_f32_e32 v50, v50
	v_cndmask_b32_e32 v51, 1.0, v138, vcc
	v_readlane_b32 s10, v167, 40
	v_readlane_b32 s11, v167, 41
	v_mul_f32_e32 v50, v50, v51
	v_cndmask_b32_e64 v127, 1.0, v50, s[74:75]
	v_mul_f32_e32 v50, v8, v147
	v_cmp_gt_f32_e32 vcc, s33, v50
	s_nop 1
	v_cndmask_b32_e32 v50, 0, v137, vcc
	v_fmac_f32_e32 v50, v8, v147
	v_exp_f32_e32 v50, v50
	v_cndmask_b32_e32 v51, 1.0, v138, vcc
	v_mul_f32_e32 v51, v50, v51
	v_cndmask_b32_e64 v128, 1.0, v51, s[76:77]
	v_mul_f32_e32 v51, v8, v148
	v_cmp_gt_f32_e32 vcc, s33, v51
	v_mul_f32_e32 v50, v157, v55
	v_cndmask_b32_e64 v50, 0, v50, s[76:77]
	v_cndmask_b32_e32 v51, 0, v137, vcc
	v_fmac_f32_e32 v51, v8, v148
	v_exp_f32_e32 v51, v51
	v_cndmask_b32_e32 v52, 1.0, v138, vcc
	v_mul_f32_e32 v52, v51, v52
	v_cndmask_b32_e64 v129, 1.0, v52, s[78:79]
	v_mul_f32_e32 v52, v8, v149
	v_cmp_gt_f32_e32 vcc, s33, v52
	v_mul_f32_e32 v51, v156, v56
	v_cndmask_b32_e64 v51, 0, v51, s[78:79]
	;; [unrolled: 10-line block ×4, first 2 shown]
	v_cndmask_b32_e32 v52, 0, v137, vcc
	v_fmac_f32_e32 v52, v8, v151
	v_exp_f32_e32 v52, v52
	v_cndmask_b32_e32 v53, 1.0, v138, vcc
	v_mul_f32_e32 v53, v52, v53
	v_mul_f32_e32 v52, v153, v60
	v_cndmask_b32_e64 v60, 1.0, v53, s[84:85]
	v_mul_f32_e32 v53, v8, v152
	v_cmp_gt_f32_e32 vcc, s33, v53
	v_cndmask_b32_e64 v52, 0, v52, s[84:85]
	s_nop 0
	v_cndmask_b32_e32 v53, 0, v137, vcc
	v_fmac_f32_e32 v53, v8, v152
	v_cndmask_b32_e32 v56, 1.0, v138, vcc
	v_mul_f32_e32 v8, v16, v64
	v_cmp_gt_f32_e32 vcc, s33, v62
	v_cndmask_b32_e64 v57, 0, v8, s[90:91]
	v_exp_f32_e32 v53, v53
	v_cndmask_b32_e32 v8, 0, v137, vcc
	v_add_f32_e32 v8, v62, v8
	v_exp_f32_e32 v8, v8
	v_cndmask_b32_e32 v59, 1.0, v138, vcc
	v_cmp_gt_f32_e32 vcc, s33, v63
	v_mul_f32_e32 v56, v53, v56
	v_mul_f32_e32 v8, v8, v59
	v_cndmask_b32_e32 v59, 0, v137, vcc
	v_add_f32_e32 v59, v63, v59
	v_exp_f32_e32 v59, v59
	v_mul_f32_e32 v53, v23, v61
	v_cndmask_b32_e32 v61, 1.0, v138, vcc
	v_cndmask_b32_e64 v62, 1.0, v8, s[90:91]
	v_mul_f32_e32 v61, v59, v61
	v_cndmask_b32_e64 v59, 0, v58, s[88:89]
	v_mul_f32_e32 v8, v121, v120
	v_fma_f32 v58, v121, v166, v9
	v_mul_f32_e32 v8, v8, v122
	v_fma_f32 v58, v58, v122, v10
	;; [unrolled: 2-line block ×11, first 2 shown]
	v_cndmask_b32_e64 v53, 0, v53, s[86:87]
	v_cndmask_b32_e64 v56, 1.0, v56, s[86:87]
	v_fma_f32 v8, v8, v60, v52
	v_cndmask_b32_e64 v63, 1.0, v61, s[88:89]
	v_fma_f32 v65, v8, v56, v53
	v_mov_b32_e32 v61, v62
	v_pk_mul_f32 v[132:133], v[64:65], v[60:61]
	v_pk_fma_f32 v[64:65], v[64:65], v[60:61], v[56:57]
	v_pk_mul_f32 v[132:133], v[132:133], v[56:57]
	v_mov_b32_e32 v66, v63
	v_mov_b32_e32 v133, v65
	;; [unrolled: 1-line block ×3, first 2 shown]
	v_pk_mul_f32 v[64:65], v[132:133], v[62:63]
	v_mov_b32_e32 v58, v63
	v_pk_mul_f32 v[66:67], v[64:65], v[66:67]
	v_pk_fma_f32 v[64:65], v[132:133], v[62:63], v[58:59]
	s_nop 0
	v_mov_b32_dpp v8, v66 row_shr:1 row_mask:0xf bank_mask:0xf
	v_mov_b32_dpp v58, v65 row_shr:1 row_mask:0xf bank_mask:0xf
	v_mul_f32_e32 v61, v66, v8
	v_fma_f32 v58, v66, v58, v65
	v_cndmask_b32_e64 v64, v61, v66, s[0:1]
	v_cndmask_b32_e64 v67, v58, v65, s[0:1]
	;; [unrolled: 1-line block ×4, first 2 shown]
	v_mov_b32_dpp v61, v67 row_shr:2 row_mask:0xf bank_mask:0xf
	v_mov_b32_dpp v58, v66 row_shr:2 row_mask:0xf bank_mask:0xf
	s_and_saveexec_b64 s[2:3], s[10:11]
; %bb.181:                              ;   in Loop: Header=BB95_110 Depth=2
	v_fmac_f32_e32 v67, v66, v61
	v_mul_f32_e32 v66, v66, v58
	v_mov_b32_e32 v64, v66
	v_mov_b32_e32 v8, v67
; %bb.182:                              ;   in Loop: Header=BB95_110 Depth=2
	s_or_b64 exec, exec, s[2:3]
	v_readlane_b32 s10, v167, 42
	v_mov_b32_dpp v58, v66 row_shr:4 row_mask:0xf bank_mask:0xf
	v_mov_b32_dpp v61, v67 row_shr:4 row_mask:0xf bank_mask:0xf
	v_readlane_b32 s11, v167, 43
	s_and_saveexec_b64 s[2:3], s[10:11]
; %bb.183:                              ;   in Loop: Header=BB95_110 Depth=2
	v_fmac_f32_e32 v67, v66, v61
	v_mul_f32_e32 v66, v66, v58
	v_mov_b32_e32 v64, v66
	v_mov_b32_e32 v8, v67
; %bb.184:                              ;   in Loop: Header=BB95_110 Depth=2
	s_or_b64 exec, exec, s[2:3]
	v_readlane_b32 s10, v167, 44
	v_mov_b32_dpp v58, v66 row_shr:8 row_mask:0xf bank_mask:0xf
	v_mov_b32_dpp v61, v67 row_shr:8 row_mask:0xf bank_mask:0xf
	v_readlane_b32 s11, v167, 45
	s_and_saveexec_b64 s[2:3], s[10:11]
; %bb.185:                              ;   in Loop: Header=BB95_110 Depth=2
	v_fmac_f32_e32 v67, v66, v61
	v_mul_f32_e32 v66, v66, v58
	v_mov_b32_e32 v64, v66
	v_mov_b32_e32 v8, v67
; %bb.186:                              ;   in Loop: Header=BB95_110 Depth=2
	s_or_b64 exec, exec, s[2:3]
	v_readlane_b32 s10, v167, 46
	v_mov_b32_dpp v58, v66 row_bcast:15 row_mask:0xf bank_mask:0xf
	v_mov_b32_dpp v61, v67 row_bcast:15 row_mask:0xf bank_mask:0xf
	v_readlane_b32 s11, v167, 47
	s_and_saveexec_b64 s[2:3], s[10:11]
; %bb.187:                              ;   in Loop: Header=BB95_110 Depth=2
	v_fmac_f32_e32 v67, v66, v61
	v_mul_f32_e32 v66, v66, v58
	v_mov_b32_e32 v64, v66
	v_mov_b32_e32 v8, v67
; %bb.188:                              ;   in Loop: Header=BB95_110 Depth=2
	s_or_b64 exec, exec, s[2:3]
	v_readlane_b32 s10, v167, 48
	v_mov_b32_dpp v61, v66 row_bcast:31 row_mask:0xf bank_mask:0xf
	v_mov_b32_dpp v58, v67 row_bcast:31 row_mask:0xf bank_mask:0xf
	v_readlane_b32 s11, v167, 49
	s_and_saveexec_b64 s[2:3], s[10:11]
; %bb.189:                              ;   in Loop: Header=BB95_110 Depth=2
	v_fmac_f32_e32 v67, v66, v58
	v_mul_f32_e32 v64, v66, v61
	v_mov_b32_e32 v65, v67
	v_mov_b32_e32 v8, v67
	v_mov_b64_e32 v[66:67], v[64:65]
; %bb.190:                              ;   in Loop: Header=BB95_110 Depth=2
	s_or_b64 exec, exec, s[2:3]
	v_readlane_b32 s10, v167, 50
	v_readlane_b32 s11, v167, 51
	s_and_saveexec_b64 s[2:3], s[10:11]
	s_cbranch_execz .LBB95_192
; %bb.191:                              ;   in Loop: Header=BB95_110 Depth=2
	ds_write_b64 v117, v[66:67] offset:8448
.LBB95_192:                             ;   in Loop: Header=BB95_110 Depth=2
	s_or_b64 exec, exec, s[2:3]
	v_readlane_b32 s10, v167, 52
	v_readlane_b32 s11, v167, 53
	s_waitcnt lgkmcnt(0)
	s_barrier
	s_and_saveexec_b64 s[2:3], s[10:11]
	s_cbranch_execz .LBB95_194
; %bb.193:                              ;   in Loop: Header=BB95_110 Depth=2
	ds_read_b64 v[66:67], v118 offset:8448
	v_readlane_b32 s10, v167, 54
	v_readlane_b32 s11, v167, 55
	s_waitcnt lgkmcnt(0)
	v_mov_b32_dpp v58, v66 row_shr:1 row_mask:0xf bank_mask:0xf
	v_mov_b32_dpp v61, v67 row_shr:1 row_mask:0xf bank_mask:0xf
	v_fma_f32 v61, v66, v61, v67
	v_mul_f32_e32 v58, v66, v58
	v_cndmask_b32_e64 v66, v58, v66, s[10:11]
	v_cndmask_b32_e64 v67, v61, v67, s[10:11]
	ds_write_b64 v118, v[66:67] offset:8448
.LBB95_194:                             ;   in Loop: Header=BB95_110 Depth=2
	s_or_b64 exec, exec, s[2:3]
	s_waitcnt lgkmcnt(0)
	s_barrier
	s_waitcnt lgkmcnt(0)
                                        ; implicit-def: $vgpr66
	s_and_saveexec_b64 s[2:3], s[20:21]
	s_cbranch_execz .LBB95_196
; %bb.195:                              ;   in Loop: Header=BB95_110 Depth=2
	ds_read_b64 v[66:67], v117 offset:8440
	s_waitcnt lgkmcnt(0)
	v_mul_f32_e32 v58, v64, v66
	v_fmac_f32_e32 v8, v64, v67
	v_mov_b32_e32 v64, v58
.LBB95_196:                             ;   in Loop: Header=BB95_110 Depth=2
	s_or_b64 exec, exec, s[2:3]
	ds_bpermute_b32 v58, v119, v64
	ds_bpermute_b32 v8, v119, v8
	v_readlane_b32 s10, v167, 56
	v_mov_b32_e32 v65, v49
	v_readlane_b32 s11, v167, 57
	s_and_saveexec_b64 s[2:3], s[10:11]
	s_cbranch_execz .LBB95_200
; %bb.197:                              ;   in Loop: Header=BB95_110 Depth=2
	ds_read_b64 v[64:65], v17 offset:8456
	s_and_saveexec_b64 vcc, s[22:23]
	s_cbranch_execz .LBB95_199
; %bb.198:                              ;   in Loop: Header=BB95_110 Depth=2
	ds_write_b64 v17, v[48:49] offset:8456
.LBB95_199:                             ;   in Loop: Header=BB95_110 Depth=2
	s_or_b64 exec, exec, vcc
	s_waitcnt lgkmcnt(0)
	v_fmac_f32_e32 v65, v49, v64
	v_mul_f32_e32 v48, v48, v64
	v_mov_b32_e32 v49, v65
.LBB95_200:                             ;   in Loop: Header=BB95_110 Depth=2
	s_or_b64 exec, exec, s[2:3]
	s_waitcnt lgkmcnt(0)
	s_barrier
	ds_read_b32 v61, v17 offset:8460
	s_and_saveexec_b64 s[2:3], s[22:23]
	s_cbranch_execz .LBB95_109
; %bb.201:                              ;   in Loop: Header=BB95_110 Depth=2
	v_mov_b32_e32 v64, s9
	s_andn2_b64 vcc, exec, s[96:97]
	ds_write_b64 v64, v[48:49]
	s_cbranch_vccnz .LBB95_109
; %bb.202:                              ;   in Loop: Header=BB95_110 Depth=2
	s_mov_b32 s5, s7
	v_cvt_f16_f32_e32 v48, v65
	s_lshl_b64 s[10:11], s[4:5], 1
	v_readlane_b32 s5, v167, 28
	s_add_u32 s10, s5, s10
	v_readlane_b32 s5, v167, 29
	s_addc_u32 s11, s5, s11
	global_store_short v17, v48, s[10:11]
	s_branch .LBB95_109
.LBB95_203:                             ;   in Loop: Header=BB95_13 Depth=1
	s_mov_b32 s6, 0x41a00000
	s_mov_b32 s8, 0x3fb8aa3b
	;; [unrolled: 1-line block ×8, first 2 shown]
.LBB95_204:                             ;   in Loop: Header=BB95_13 Depth=1
	v_cvt_f16_f32_e32 v0, v43
	v_cvt_f16_f32_e32 v4, v42
	;; [unrolled: 1-line block ×16, first 2 shown]
	v_pack_b32_f16 v3, v7, v3
	v_pack_b32_f16 v2, v6, v2
	;; [unrolled: 1-line block ×4, first 2 shown]
	s_barrier
	ds_write_b128 v100, v[0:3]
	v_pack_b32_f16 v3, v15, v14
	v_pack_b32_f16 v2, v13, v12
	v_pack_b32_f16 v1, v11, v10
	v_pack_b32_f16 v0, v9, v8
	ds_write_b128 v100, v[0:3] offset:16
	; wave barrier
	ds_read_u16 v16, v85 offset:128
	ds_read_u16 v15, v86 offset:256
	;; [unrolled: 1-line block ×15, first 2 shown]
	v_readlane_b32 s2, v167, 60
	v_readlane_b32 s3, v167, 61
	s_mov_b32 s3, s7
	s_nop 0
	v_lshl_add_u64 v[0:1], s[2:3], 1, v[20:21]
	s_and_saveexec_b64 s[2:3], s[26:27]
	s_cbranch_execz .LBB95_206
; %bb.205:                              ;   in Loop: Header=BB95_13 Depth=1
	ds_read_u16 v23, v84
	s_waitcnt lgkmcnt(0)
	global_store_short v[0:1], v23, off
.LBB95_206:                             ;   in Loop: Header=BB95_13 Depth=1
	s_or_b64 exec, exec, s[2:3]
	s_and_saveexec_b64 s[2:3], s[28:29]
	v_readlane_b32 s10, v167, 62
	v_readlane_b32 s11, v167, 63
	s_cbranch_execnz .LBB95_223
; %bb.207:                              ;   in Loop: Header=BB95_13 Depth=1
	s_or_b64 exec, exec, s[2:3]
	s_and_saveexec_b64 s[2:3], s[30:31]
	s_cbranch_execnz .LBB95_224
.LBB95_208:                             ;   in Loop: Header=BB95_13 Depth=1
	s_or_b64 exec, exec, s[2:3]
	s_and_saveexec_b64 s[2:3], s[34:35]
	s_cbranch_execnz .LBB95_225
.LBB95_209:                             ;   in Loop: Header=BB95_13 Depth=1
	s_or_b64 exec, exec, s[2:3]
	s_and_saveexec_b64 s[2:3], s[36:37]
	s_cbranch_execnz .LBB95_226
.LBB95_210:                             ;   in Loop: Header=BB95_13 Depth=1
	s_or_b64 exec, exec, s[2:3]
	s_and_saveexec_b64 s[2:3], s[38:39]
	s_cbranch_execnz .LBB95_227
.LBB95_211:                             ;   in Loop: Header=BB95_13 Depth=1
	s_or_b64 exec, exec, s[2:3]
	s_and_saveexec_b64 s[2:3], s[40:41]
	s_cbranch_execnz .LBB95_228
.LBB95_212:                             ;   in Loop: Header=BB95_13 Depth=1
	s_or_b64 exec, exec, s[2:3]
	s_and_saveexec_b64 s[2:3], s[42:43]
	s_cbranch_execnz .LBB95_229
.LBB95_213:                             ;   in Loop: Header=BB95_13 Depth=1
	s_or_b64 exec, exec, s[2:3]
	s_and_saveexec_b64 s[2:3], s[44:45]
	s_cbranch_execnz .LBB95_230
.LBB95_214:                             ;   in Loop: Header=BB95_13 Depth=1
	s_or_b64 exec, exec, s[2:3]
	s_and_saveexec_b64 s[2:3], s[46:47]
	s_cbranch_execnz .LBB95_231
.LBB95_215:                             ;   in Loop: Header=BB95_13 Depth=1
	s_or_b64 exec, exec, s[2:3]
	s_and_saveexec_b64 s[2:3], s[48:49]
	s_cbranch_execnz .LBB95_232
.LBB95_216:                             ;   in Loop: Header=BB95_13 Depth=1
	s_or_b64 exec, exec, s[2:3]
	s_and_saveexec_b64 s[2:3], s[50:51]
	s_cbranch_execnz .LBB95_233
.LBB95_217:                             ;   in Loop: Header=BB95_13 Depth=1
	s_or_b64 exec, exec, s[2:3]
	s_and_saveexec_b64 s[2:3], s[52:53]
	s_cbranch_execnz .LBB95_234
.LBB95_218:                             ;   in Loop: Header=BB95_13 Depth=1
	s_or_b64 exec, exec, s[2:3]
	s_and_saveexec_b64 s[2:3], s[54:55]
	s_cbranch_execnz .LBB95_235
.LBB95_219:                             ;   in Loop: Header=BB95_13 Depth=1
	s_or_b64 exec, exec, s[2:3]
	s_and_saveexec_b64 s[2:3], s[56:57]
	s_cbranch_execnz .LBB95_236
.LBB95_220:                             ;   in Loop: Header=BB95_13 Depth=1
	s_or_b64 exec, exec, s[2:3]
	s_and_saveexec_b64 s[2:3], s[58:59]
	s_cbranch_execz .LBB95_12
	s_branch .LBB95_237
.LBB95_221:                             ;   in Loop: Header=BB95_13 Depth=1
	global_load_ushort v32, v[8:9], off offset:1664
	s_or_b64 exec, exec, s[2:3]
	s_and_saveexec_b64 s[2:3], s[56:57]
	s_cbranch_execz .LBB95_73
.LBB95_222:                             ;   in Loop: Header=BB95_13 Depth=1
	global_load_ushort v31, v[8:9], off offset:1792
	s_or_b64 exec, exec, s[2:3]
	v_mov_b32_e32 v33, 0
	s_and_saveexec_b64 s[2:3], s[58:59]
	s_cbranch_execnz .LBB95_74
	s_branch .LBB95_75
.LBB95_223:                             ;   in Loop: Header=BB95_13 Depth=1
	s_waitcnt lgkmcnt(14)
	global_store_short v[0:1], v16, off offset:128
	s_or_b64 exec, exec, s[2:3]
	s_and_saveexec_b64 s[2:3], s[30:31]
	s_cbranch_execz .LBB95_208
.LBB95_224:                             ;   in Loop: Header=BB95_13 Depth=1
	s_waitcnt lgkmcnt(13)
	global_store_short v[0:1], v15, off offset:256
	s_or_b64 exec, exec, s[2:3]
	s_and_saveexec_b64 s[2:3], s[34:35]
	s_cbranch_execz .LBB95_209
.LBB95_225:                             ;   in Loop: Header=BB95_13 Depth=1
	s_waitcnt lgkmcnt(12)
	global_store_short v[0:1], v14, off offset:384
	s_or_b64 exec, exec, s[2:3]
	s_and_saveexec_b64 s[2:3], s[36:37]
	s_cbranch_execz .LBB95_210
.LBB95_226:                             ;   in Loop: Header=BB95_13 Depth=1
	s_waitcnt lgkmcnt(11)
	global_store_short v[0:1], v13, off offset:512
	s_or_b64 exec, exec, s[2:3]
	s_and_saveexec_b64 s[2:3], s[38:39]
	s_cbranch_execz .LBB95_211
.LBB95_227:                             ;   in Loop: Header=BB95_13 Depth=1
	s_waitcnt lgkmcnt(10)
	global_store_short v[0:1], v12, off offset:640
	s_or_b64 exec, exec, s[2:3]
	s_and_saveexec_b64 s[2:3], s[40:41]
	s_cbranch_execz .LBB95_212
.LBB95_228:                             ;   in Loop: Header=BB95_13 Depth=1
	s_waitcnt lgkmcnt(9)
	global_store_short v[0:1], v11, off offset:768
	s_or_b64 exec, exec, s[2:3]
	s_and_saveexec_b64 s[2:3], s[42:43]
	s_cbranch_execz .LBB95_213
.LBB95_229:                             ;   in Loop: Header=BB95_13 Depth=1
	s_waitcnt lgkmcnt(8)
	global_store_short v[0:1], v10, off offset:896
	s_or_b64 exec, exec, s[2:3]
	s_and_saveexec_b64 s[2:3], s[44:45]
	s_cbranch_execz .LBB95_214
.LBB95_230:                             ;   in Loop: Header=BB95_13 Depth=1
	s_waitcnt lgkmcnt(7)
	global_store_short v[0:1], v9, off offset:1024
	s_or_b64 exec, exec, s[2:3]
	s_and_saveexec_b64 s[2:3], s[46:47]
	s_cbranch_execz .LBB95_215
.LBB95_231:                             ;   in Loop: Header=BB95_13 Depth=1
	s_waitcnt lgkmcnt(6)
	global_store_short v[0:1], v8, off offset:1152
	s_or_b64 exec, exec, s[2:3]
	s_and_saveexec_b64 s[2:3], s[48:49]
	s_cbranch_execz .LBB95_216
.LBB95_232:                             ;   in Loop: Header=BB95_13 Depth=1
	s_waitcnt lgkmcnt(5)
	global_store_short v[0:1], v7, off offset:1280
	s_or_b64 exec, exec, s[2:3]
	s_and_saveexec_b64 s[2:3], s[50:51]
	s_cbranch_execz .LBB95_217
.LBB95_233:                             ;   in Loop: Header=BB95_13 Depth=1
	s_waitcnt lgkmcnt(4)
	global_store_short v[0:1], v6, off offset:1408
	s_or_b64 exec, exec, s[2:3]
	s_and_saveexec_b64 s[2:3], s[52:53]
	s_cbranch_execz .LBB95_218
.LBB95_234:                             ;   in Loop: Header=BB95_13 Depth=1
	s_waitcnt lgkmcnt(3)
	global_store_short v[0:1], v5, off offset:1536
	s_or_b64 exec, exec, s[2:3]
	s_and_saveexec_b64 s[2:3], s[54:55]
	s_cbranch_execz .LBB95_219
.LBB95_235:                             ;   in Loop: Header=BB95_13 Depth=1
	s_waitcnt lgkmcnt(2)
	global_store_short v[0:1], v4, off offset:1664
	s_or_b64 exec, exec, s[2:3]
	s_and_saveexec_b64 s[2:3], s[56:57]
	s_cbranch_execz .LBB95_220
.LBB95_236:                             ;   in Loop: Header=BB95_13 Depth=1
	s_waitcnt lgkmcnt(1)
	global_store_short v[0:1], v3, off offset:1792
	s_or_b64 exec, exec, s[2:3]
	s_and_saveexec_b64 s[2:3], s[58:59]
	s_cbranch_execz .LBB95_12
.LBB95_237:                             ;   in Loop: Header=BB95_13 Depth=1
	s_waitcnt lgkmcnt(0)
	global_store_short v[0:1], v2, off offset:1920
	s_branch .LBB95_12
.LBB95_238:
	s_endpgm
	.section	.rodata,"a",@progbits
	.p2align	6, 0x0
	.amdhsa_kernel _Z25selective_scan_fwd_kernelI32Selective_Scan_fwd_kernel_traitsILi128ELi16ELi1ELb0ELb1ELb1ELb0ELb0EN3c104HalfEfS2_EEv13SSMParamsBase
		.amdhsa_group_segment_fixed_size 0
		.amdhsa_private_segment_fixed_size 0
		.amdhsa_kernarg_size 248
		.amdhsa_user_sgpr_count 2
		.amdhsa_user_sgpr_dispatch_ptr 0
		.amdhsa_user_sgpr_queue_ptr 0
		.amdhsa_user_sgpr_kernarg_segment_ptr 1
		.amdhsa_user_sgpr_dispatch_id 0
		.amdhsa_user_sgpr_kernarg_preload_length 0
		.amdhsa_user_sgpr_kernarg_preload_offset 0
		.amdhsa_user_sgpr_private_segment_size 0
		.amdhsa_uses_dynamic_stack 0
		.amdhsa_enable_private_segment 0
		.amdhsa_system_sgpr_workgroup_id_x 1
		.amdhsa_system_sgpr_workgroup_id_y 1
		.amdhsa_system_sgpr_workgroup_id_z 0
		.amdhsa_system_sgpr_workgroup_info 0
		.amdhsa_system_vgpr_workitem_id 0
		.amdhsa_next_free_vgpr 168
		.amdhsa_next_free_sgpr 100
		.amdhsa_accum_offset 168
		.amdhsa_reserve_vcc 1
		.amdhsa_float_round_mode_32 0
		.amdhsa_float_round_mode_16_64 0
		.amdhsa_float_denorm_mode_32 3
		.amdhsa_float_denorm_mode_16_64 3
		.amdhsa_dx10_clamp 1
		.amdhsa_ieee_mode 1
		.amdhsa_fp16_overflow 0
		.amdhsa_tg_split 0
		.amdhsa_exception_fp_ieee_invalid_op 0
		.amdhsa_exception_fp_denorm_src 0
		.amdhsa_exception_fp_ieee_div_zero 0
		.amdhsa_exception_fp_ieee_overflow 0
		.amdhsa_exception_fp_ieee_underflow 0
		.amdhsa_exception_fp_ieee_inexact 0
		.amdhsa_exception_int_div_zero 0
	.end_amdhsa_kernel
	.section	.text._Z25selective_scan_fwd_kernelI32Selective_Scan_fwd_kernel_traitsILi128ELi16ELi1ELb0ELb1ELb1ELb0ELb0EN3c104HalfEfS2_EEv13SSMParamsBase,"axG",@progbits,_Z25selective_scan_fwd_kernelI32Selective_Scan_fwd_kernel_traitsILi128ELi16ELi1ELb0ELb1ELb1ELb0ELb0EN3c104HalfEfS2_EEv13SSMParamsBase,comdat
.Lfunc_end95:
	.size	_Z25selective_scan_fwd_kernelI32Selective_Scan_fwd_kernel_traitsILi128ELi16ELi1ELb0ELb1ELb1ELb0ELb0EN3c104HalfEfS2_EEv13SSMParamsBase, .Lfunc_end95-_Z25selective_scan_fwd_kernelI32Selective_Scan_fwd_kernel_traitsILi128ELi16ELi1ELb0ELb1ELb1ELb0ELb0EN3c104HalfEfS2_EEv13SSMParamsBase
                                        ; -- End function
	.section	.AMDGPU.csdata,"",@progbits
; Kernel info:
; codeLenInByte = 20960
; NumSgprs: 106
; NumVgprs: 168
; NumAgprs: 0
; TotalNumVgprs: 168
; ScratchSize: 0
; MemoryBound: 0
; FloatMode: 240
; IeeeMode: 1
; LDSByteSize: 0 bytes/workgroup (compile time only)
; SGPRBlocks: 13
; VGPRBlocks: 20
; NumSGPRsForWavesPerEU: 106
; NumVGPRsForWavesPerEU: 168
; AccumOffset: 168
; Occupancy: 3
; WaveLimiterHint : 0
; COMPUTE_PGM_RSRC2:SCRATCH_EN: 0
; COMPUTE_PGM_RSRC2:USER_SGPR: 2
; COMPUTE_PGM_RSRC2:TRAP_HANDLER: 0
; COMPUTE_PGM_RSRC2:TGID_X_EN: 1
; COMPUTE_PGM_RSRC2:TGID_Y_EN: 1
; COMPUTE_PGM_RSRC2:TGID_Z_EN: 0
; COMPUTE_PGM_RSRC2:TIDIG_COMP_CNT: 0
; COMPUTE_PGM_RSRC3_GFX90A:ACCUM_OFFSET: 41
; COMPUTE_PGM_RSRC3_GFX90A:TG_SPLIT: 0
	.section	.text._Z25selective_scan_fwd_kernelI32Selective_Scan_fwd_kernel_traitsILi64ELi4ELi1ELb1ELb1ELb1ELb1ELb1EN3c104HalfEffEEv13SSMParamsBase,"axG",@progbits,_Z25selective_scan_fwd_kernelI32Selective_Scan_fwd_kernel_traitsILi64ELi4ELi1ELb1ELb1ELb1ELb1ELb1EN3c104HalfEffEEv13SSMParamsBase,comdat
	.protected	_Z25selective_scan_fwd_kernelI32Selective_Scan_fwd_kernel_traitsILi64ELi4ELi1ELb1ELb1ELb1ELb1ELb1EN3c104HalfEffEEv13SSMParamsBase ; -- Begin function _Z25selective_scan_fwd_kernelI32Selective_Scan_fwd_kernel_traitsILi64ELi4ELi1ELb1ELb1ELb1ELb1ELb1EN3c104HalfEffEEv13SSMParamsBase
	.globl	_Z25selective_scan_fwd_kernelI32Selective_Scan_fwd_kernel_traitsILi64ELi4ELi1ELb1ELb1ELb1ELb1ELb1EN3c104HalfEffEEv13SSMParamsBase
	.p2align	8
	.type	_Z25selective_scan_fwd_kernelI32Selective_Scan_fwd_kernel_traitsILi64ELi4ELi1ELb1ELb1ELb1ELb1ELb1EN3c104HalfEffEEv13SSMParamsBase,@function
_Z25selective_scan_fwd_kernelI32Selective_Scan_fwd_kernel_traitsILi64ELi4ELi1ELb1ELb1ELb1ELb1ELb1EN3c104HalfEffEEv13SSMParamsBase: ; @_Z25selective_scan_fwd_kernelI32Selective_Scan_fwd_kernel_traitsILi64ELi4ELi1ELb1ELb1ELb1ELb1ELb1EN3c104HalfEffEEv13SSMParamsBase
; %bb.0:
	s_load_dword s37, s[0:1], 0x18
	s_load_dwordx4 s[4:7], s[0:1], 0xe8
	s_load_dwordx8 s[20:27], s[0:1], 0xc8
	s_mov_b32 s34, s3
	s_ashr_i32 s3, s2, 31
	s_lshl_b64 s[8:9], s[2:3], 2
	s_waitcnt lgkmcnt(0)
	s_abs_i32 s36, s37
	v_cvt_f32_u32_e32 v1, s36
	s_add_u32 s28, s26, s8
	s_addc_u32 s29, s27, s9
	s_cmp_eq_u64 s[6:7], 0
	v_rcp_iflag_f32_e32 v1, v1
	s_nop 0
	v_mul_f32_e32 v1, 0x4f7ffffe, v1
	v_cvt_u32_f32_e32 v1, v1
	s_nop 0
	v_readfirstlane_b32 s56, v1
	s_cbranch_scc1 .LBB96_102
; %bb.1:
	s_add_u32 s6, s6, s2
	s_addc_u32 s7, s7, s3
	v_mov_b32_e32 v1, 0
	global_load_ubyte v1, v1, s[6:7]
	s_waitcnt vmcnt(0)
	v_and_b32_e32 v1, 1, v1
	v_cmp_eq_u32_e64 s[38:39], 1, v1
	s_load_dwordx2 s[6:7], s[0:1], 0x20
	s_cmp_eq_u64 s[4:5], 0
	s_cbranch_scc1 .LBB96_3
.LBB96_2:
	s_add_u32 s2, s4, s8
	s_addc_u32 s3, s5, s9
	s_load_dword s2, s[2:3], 0x0
	s_waitcnt lgkmcnt(0)
	s_ashr_i32 s3, s2, 31
.LBB96_3:
	s_waitcnt lgkmcnt(0)
	s_cmp_eq_u64 s[6:7], s[2:3]
	s_cbranch_scc1 .LBB96_101
; %bb.4:
	s_load_dwordx16 s[4:19], s[0:1], 0x88
	s_load_dwordx2 s[26:27], s[28:29], 0x0
	s_mov_b32 s33, 0
	s_mov_b32 s76, 0
	s_waitcnt lgkmcnt(0)
	s_cmp_eq_u64 s[10:11], 0
	s_cbranch_scc1 .LBB96_6
; %bb.5:
	s_ashr_i32 s35, s34, 31
	s_lshl_b64 s[28:29], s[34:35], 2
	s_add_u32 s10, s10, s28
	s_addc_u32 s11, s11, s29
	s_load_dword s76, s[10:11], 0x0
.LBB96_6:
	s_cmp_eq_u64 s[16:17], 0
	s_cbranch_scc1 .LBB96_8
; %bb.7:
	s_ashr_i32 s35, s34, 31
	s_lshl_b64 s[10:11], s[34:35], 2
	s_add_u32 s10, s16, s10
	s_addc_u32 s11, s17, s11
	s_load_dword s33, s[10:11], 0x0
.LBB96_8:
	s_sub_i32 s77, s27, s26
	s_cmp_lt_i32 s77, 1
	s_cbranch_scc1 .LBB96_101
; %bb.9:
	s_sub_i32 s3, 0, s36
	s_mul_i32 s3, s3, s56
	s_mul_hi_u32 s3, s56, s3
	s_abs_i32 s16, s34
	s_add_i32 s56, s56, s3
	s_load_dwordx8 s[40:47], s[0:1], 0x2c
	s_load_dwordx2 s[10:11], s[0:1], 0x7c
	s_load_dwordx4 s[28:31], s[0:1], 0x6c
	s_load_dwordx8 s[48:55], s[0:1], 0x4c
	s_load_dword s78, s[0:1], 0x84
	s_mul_hi_u32 s3, s16, s56
	s_load_dword s79, s[0:1], 0xc
	s_load_dword s17, s[0:1], 0x28
	s_ashr_i32 s0, s34, 31
	s_ashr_i32 s1, s37, 31
	s_xor_b32 s0, s0, s1
	s_mul_i32 s1, s3, s36
	s_sub_i32 s1, s16, s1
	s_add_i32 s16, s3, 1
	s_sub_i32 s27, s1, s36
	s_cmp_ge_u32 s1, s36
	s_cselect_b32 s3, s16, s3
	s_cselect_b32 s1, s27, s1
	s_add_i32 s16, s3, 1
	s_cmp_ge_u32 s1, s36
	s_cselect_b32 s1, s16, s3
	s_xor_b32 s1, s1, s0
	s_waitcnt lgkmcnt(0)
	s_mul_i32 s56, s26, s50
	s_mov_b32 s57, 0
	s_sub_i32 s3, s1, s0
	s_lshl_b64 s[0:1], s[56:57], 1
	s_add_u32 s12, s12, s0
	s_mul_i32 s56, s51, s34
	s_addc_u32 s13, s13, s1
	s_lshl_b64 s[0:1], s[56:57], 1
	s_add_u32 s50, s12, s0
	s_mul_i32 s56, s26, s52
	s_addc_u32 s51, s13, s1
	;; [unrolled: 4-line block ×9, first 2 shown]
	s_lshl_b64 s[0:1], s[56:57], 2
	s_add_u32 s2, s20, s0
	s_mul_i32 s56, s11, s34
	v_mbcnt_lo_u32_b32 v2, -1, 0
	s_addc_u32 s3, s21, s1
	s_lshl_b64 s[0:1], s[56:57], 2
	v_mbcnt_hi_u32_b32 v2, -1, v2
	s_add_u32 s45, s2, s0
	v_lshrrev_b32_e32 v3, 5, v2
	s_addc_u32 s49, s3, s1
	s_add_i32 s0, s77, 0x7ff
	v_and_b32_e32 v3, 2, v3
	s_lshr_b32 s81, s0, 11
	v_add_u32_e32 v40, 64, v2
	v_or_b32_e32 v41, 0x80, v2
	v_add_u32_e32 v42, 0xc0, v2
	v_add_u32_e32 v3, v3, v2
	v_lshl_add_u32 v43, v3, 1, 0
	v_lshrrev_b32_e32 v3, 5, v40
	v_lshrrev_b32_e32 v4, 5, v41
	;; [unrolled: 1-line block ×3, first 2 shown]
	s_bitcmp1_b32 s17, 0
	v_and_b32_e32 v3, 6, v3
	v_and_b32_e32 v4, 6, v4
	;; [unrolled: 1-line block ×3, first 2 shown]
	s_cselect_b64 s[58:59], -1, 0
	s_cmp_gt_i32 s79, 0
	v_add_lshl_u32 v3, v3, v2, 1
	v_add_lshl_u32 v4, v4, v2, 1
	;; [unrolled: 1-line block ×3, first 2 shown]
	s_cselect_b64 s[60:61], -1, 0
	s_add_i32 s0, 0, 0x210
	s_mul_i32 s56, s26, s28
	v_add_u32_e32 v48, s0, v3
	v_add_u32_e32 v49, s0, v4
	;; [unrolled: 1-line block ×3, first 2 shown]
	s_and_b32 s2, s77, 0xff
	s_add_i32 s82, s81, -1
	s_lshl_b64 s[0:1], s[56:57], 1
	s_add_u32 s3, s18, s0
	s_mul_i32 s56, s29, s34
	s_addc_u32 s4, s19, s1
	s_lshl_b64 s[0:1], s[56:57], 1
	s_add_u32 s18, s3, s0
	s_mul_i32 s56, s26, s54
	s_addc_u32 s19, s4, s1
	;; [unrolled: 4-line block ×5, first 2 shown]
	s_lshl_b64 s[0:1], s[56:57], 1
	s_add_u32 s22, s3, s0
	v_add_u32_e32 v44, 0, v3
	s_addc_u32 s23, s4, s1
	v_and_b32_e32 v3, 15, v2
	s_cmp_eq_u32 s2, 0
	v_cmp_eq_u32_e64 s[0:1], 0, v3
	v_cmp_lt_u32_e64 s[2:3], 1, v3
	v_cmp_lt_u32_e64 s[4:5], 3, v3
	;; [unrolled: 1-line block ×3, first 2 shown]
	v_and_b32_e32 v3, 16, v2
	v_add_u32_e32 v45, 0, v4
	v_lshrrev_b32_e32 v6, 3, v2
	v_cmp_ne_u32_e64 s[8:9], 0, v3
	v_add_u32_e32 v3, -1, v2
	v_and_b32_e32 v4, 64, v2
	v_and_b32_e32 v6, 14, v6
	v_cmp_lt_i32_e32 vcc, v3, v4
	v_mov_b32_e32 v1, 0
	v_lshlrev_b32_e32 v11, 2, v0
	v_lshl_add_u32 v6, v2, 2, v6
	v_cmp_eq_u32_e64 s[12:13], 63, v0
	v_cndmask_b32_e32 v3, v3, v2, vcc
	v_cmp_gt_u32_e64 s[14:15], 64, v0
	v_cmp_eq_u32_e64 s[16:17], 0, v0
	v_lshlrev_b32_e32 v0, 1, v2
                                        ; implicit-def: $vgpr12
	v_add_u32_e32 v46, 0, v5
	v_lshl_add_u32 v47, v6, 1, 0
	s_cselect_b64 s[54:55], -1, 0
	v_cmp_lt_u32_e64 s[10:11], 31, v2
	v_lshlrev_b32_e32 v51, 2, v3
	v_lshl_add_u64 v[4:5], s[18:19], 0, v[0:1]
	v_lshl_add_u64 v[6:7], s[20:21], 0, v[0:1]
	;; [unrolled: 1-line block ×3, first 2 shown]
	v_or_b32_e32 v3, 1, v11
	v_or_b32_e32 v10, 2, v11
	;; [unrolled: 1-line block ×3, first 2 shown]
	v_lshlrev_b32_e32 v0, 1, v2
	s_mov_b32 s83, 0x41a00000
	s_mov_b32 s84, 0x3fb8aa3b
	;; [unrolled: 1-line block ×6, first 2 shown]
	v_mov_b32_e32 v53, 0x3ecc95a3
	s_mov_b32 s89, 0x3f317218
	s_mov_b32 s90, 0x33800000
	s_add_i32 s91, 0, 0x428
	s_mov_b32 s92, 0xc2fc0000
	s_mov_b32 s93, 0xbfb8aa3b
	;; [unrolled: 1-line block ×5, first 2 shown]
	v_mov_b32_e32 v54, 0x7f800000
	v_mov_b32_e32 v12, 0x3f317218
	;; [unrolled: 1-line block ×4, first 2 shown]
	s_mov_b32 s97, 0
	s_branch .LBB96_11
.LBB96_10:                              ;   in Loop: Header=BB96_11 Depth=1
	s_or_b64 exec, exec, s[18:19]
	s_add_u32 s52, s52, 0x200
	s_addc_u32 s53, s53, 0
	s_add_u32 s50, s50, 0x200
	s_addc_u32 s51, s51, 0
	;; [unrolled: 2-line block ×4, first 2 shown]
	s_add_i32 s97, s97, 1
	s_cmp_lg_u32 s97, s81
	s_cbranch_scc0 .LBB96_101
.LBB96_11:                              ; =>This Loop Header: Depth=1
                                        ;     Child Loop BB96_36 Depth 2
	s_lshl_b32 s62, s97, 8
	s_sub_i32 s34, s77, s62
	v_lshl_add_u64 v[14:15], s[50:51], 0, v[0:1]
	v_cmp_gt_u32_e64 s[18:19], s34, v2
	s_waitcnt lgkmcnt(1)
	v_mov_b32_e32 v16, 0
	s_waitcnt lgkmcnt(0)
	; wave barrier
	s_and_saveexec_b64 s[20:21], s[18:19]
	s_cbranch_execz .LBB96_13
; %bb.12:                               ;   in Loop: Header=BB96_11 Depth=1
	global_load_ushort v16, v[14:15], off
.LBB96_13:                              ;   in Loop: Header=BB96_11 Depth=1
	s_or_b64 exec, exec, s[20:21]
	v_cmp_gt_u32_e64 s[20:21], s34, v40
	v_mov_b32_e32 v17, 0
	v_mov_b32_e32 v18, 0
	s_and_saveexec_b64 s[22:23], s[20:21]
	s_cbranch_execz .LBB96_15
; %bb.14:                               ;   in Loop: Header=BB96_11 Depth=1
	global_load_ushort v18, v[14:15], off offset:128
.LBB96_15:                              ;   in Loop: Header=BB96_11 Depth=1
	s_or_b64 exec, exec, s[22:23]
	v_cmp_gt_u32_e64 s[22:23], s34, v41
	s_and_saveexec_b64 s[24:25], s[22:23]
	s_cbranch_execz .LBB96_17
; %bb.16:                               ;   in Loop: Header=BB96_11 Depth=1
	global_load_ushort v17, v[14:15], off offset:256
.LBB96_17:                              ;   in Loop: Header=BB96_11 Depth=1
	s_or_b64 exec, exec, s[24:25]
	v_cmp_gt_u32_e64 s[24:25], s34, v42
	s_waitcnt lgkmcnt(0)
	v_mov_b32_e32 v13, 0
	v_mov_b32_e32 v19, 0
	s_and_saveexec_b64 s[26:27], s[24:25]
	s_cbranch_execz .LBB96_19
; %bb.18:                               ;   in Loop: Header=BB96_11 Depth=1
	global_load_ushort v19, v[14:15], off offset:384
.LBB96_19:                              ;   in Loop: Header=BB96_11 Depth=1
	s_or_b64 exec, exec, s[26:27]
	s_waitcnt vmcnt(0)
	ds_write_b16 v43, v16
	ds_write_b16 v44, v18 offset:128
	ds_write_b16 v45, v17 offset:256
	;; [unrolled: 1-line block ×3, first 2 shown]
	; wave barrier
	ds_read_b64 v[14:15], v47
	v_lshl_add_u64 v[16:17], s[52:53], 0, v[0:1]
	s_waitcnt lgkmcnt(0)
	; wave barrier
	s_waitcnt lgkmcnt(0)
	s_and_saveexec_b64 s[26:27], s[18:19]
	s_cbranch_execz .LBB96_21
; %bb.20:                               ;   in Loop: Header=BB96_11 Depth=1
	global_load_ushort v13, v[16:17], off
.LBB96_21:                              ;   in Loop: Header=BB96_11 Depth=1
	s_or_b64 exec, exec, s[26:27]
	v_mov_b32_e32 v18, 0
	v_mov_b32_e32 v19, 0
	s_and_saveexec_b64 s[26:27], s[20:21]
	s_cbranch_execnz .LBB96_92
; %bb.22:                               ;   in Loop: Header=BB96_11 Depth=1
	s_or_b64 exec, exec, s[26:27]
	s_and_saveexec_b64 s[26:27], s[22:23]
	s_cbranch_execnz .LBB96_93
.LBB96_23:                              ;   in Loop: Header=BB96_11 Depth=1
	s_or_b64 exec, exec, s[26:27]
	v_mov_b32_e32 v20, 0
	s_and_saveexec_b64 s[26:27], s[24:25]
	s_cbranch_execz .LBB96_25
.LBB96_24:                              ;   in Loop: Header=BB96_11 Depth=1
	global_load_ushort v20, v[16:17], off offset:384
.LBB96_25:                              ;   in Loop: Header=BB96_11 Depth=1
	s_or_b64 exec, exec, s[26:27]
	s_waitcnt vmcnt(0)
	ds_write_b16 v43, v13
	ds_write_b16 v44, v19 offset:128
	ds_write_b16 v45, v18 offset:256
	;; [unrolled: 1-line block ×3, first 2 shown]
	; wave barrier
	ds_read_b64 v[16:17], v47
	s_waitcnt lgkmcnt(0)
	v_cvt_f32_f16_e32 v13, v16
	v_add_f32_e32 v57, s33, v13
	v_cmp_ge_f32_e32 vcc, s83, v57
	s_and_b64 s[26:27], s[58:59], vcc
	s_and_saveexec_b64 s[28:29], s[26:27]
	s_cbranch_execz .LBB96_27
; %bb.26:                               ;   in Loop: Header=BB96_11 Depth=1
	v_mul_f32_e32 v13, 0x3fb8aa3b, v57
	v_rndne_f32_e32 v18, v13
	v_sub_f32_e32 v19, v13, v18
	v_fma_f32 v13, v57, s84, -v13
	v_fmac_f32_e32 v13, 0x32a5705f, v57
	v_add_f32_e32 v13, v19, v13
	v_cvt_i32_f32_e32 v18, v18
	v_exp_f32_e32 v13, v13
	v_cmp_ngt_f32_e32 vcc, s85, v57
	v_ldexp_f32 v13, v13, v18
	s_nop 0
	v_cndmask_b32_e32 v13, 0, v13, vcc
	v_cmp_nlt_f32_e32 vcc, s86, v57
	s_nop 1
	v_cndmask_b32_e32 v34, v54, v13, vcc
	v_add_f32_e32 v13, 1.0, v34
	v_add_f32_e32 v18, -1.0, v13
	v_sub_f32_e32 v19, v18, v13
	v_add_f32_e32 v19, 1.0, v19
	v_sub_f32_e32 v18, v34, v18
	v_add_f32_e32 v20, v18, v19
	v_frexp_mant_f32_e32 v21, v13
	v_cvt_f64_f32_e32 v[18:19], v13
	v_frexp_exp_i32_f64_e32 v18, v[18:19]
	v_cmp_gt_f32_e32 vcc, s88, v21
	v_cmp_gt_f32_e64 s[26:27], s90, v34
	s_nop 0
	v_subbrev_co_u32_e32 v26, vcc, 0, v18, vcc
	v_sub_u32_e32 v18, 0, v26
	v_ldexp_f32 v13, v13, v18
	v_ldexp_f32 v18, v20, v18
	v_add_f32_e32 v20, -1.0, v13
	v_add_f32_e32 v19, 1.0, v20
	v_sub_f32_e32 v19, v13, v19
	v_add_f32_e32 v21, v18, v19
	v_add_f32_e32 v19, 1.0, v13
	v_add_f32_e32 v22, -1.0, v19
	v_sub_f32_e32 v13, v13, v22
	v_add_f32_e32 v13, v18, v13
	v_add_f32_e32 v27, v19, v13
	v_rcp_f32_e32 v28, v27
	v_sub_f32_e32 v18, v19, v27
	v_add_f32_e32 v19, v20, v21
	v_add_f32_e32 v13, v13, v18
	v_mul_f32_e32 v30, v19, v28
	v_sub_f32_e32 v18, v20, v19
	v_mul_f32_e32 v20, v27, v30
	v_fma_f32 v22, v30, v27, -v20
	v_fmac_f32_e32 v22, v30, v13
	v_add_f32_e32 v29, v21, v18
	v_add_f32_e32 v18, v20, v22
	v_sub_f32_e32 v21, v19, v18
	v_pk_add_f32 v[24:25], v[18:19], v[20:21] neg_lo:[0,1] neg_hi:[0,1]
	v_mov_b32_e32 v23, v18
	v_pk_add_f32 v[18:19], v[24:25], v[22:23] neg_lo:[0,1] neg_hi:[0,1]
	v_cmp_eq_f32_e32 vcc, s87, v34
	v_add_f32_e32 v19, v29, v19
	v_add_f32_e32 v18, v18, v19
	;; [unrolled: 1-line block ×3, first 2 shown]
	v_mul_f32_e32 v29, v28, v19
	v_mul_f32_e32 v20, v27, v29
	v_fma_f32 v22, v29, v27, -v20
	v_fmac_f32_e32 v22, v29, v13
	v_sub_f32_e32 v13, v21, v19
	v_add_f32_e32 v13, v18, v13
	v_add_f32_e32 v18, v20, v22
	v_sub_f32_e32 v21, v19, v18
	v_pk_add_f32 v[24:25], v[18:19], v[20:21] neg_lo:[0,1] neg_hi:[0,1]
	v_mov_b32_e32 v23, v18
	v_pk_add_f32 v[18:19], v[24:25], v[22:23] neg_lo:[0,1] neg_hi:[0,1]
	s_or_b64 vcc, s[26:27], vcc
	v_add_f32_e32 v13, v13, v19
	v_add_f32_e32 v13, v18, v13
	;; [unrolled: 1-line block ×4, first 2 shown]
	v_sub_f32_e32 v18, v19, v30
	v_mul_f32_e32 v13, v28, v13
	v_sub_f32_e32 v18, v29, v18
	v_add_f32_e32 v20, v18, v13
	v_add_f32_e32 v22, v19, v20
	v_cvt_f32_i32_e32 v18, v26
	v_mul_f32_e32 v23, v22, v22
	v_sub_f32_e32 v19, v22, v19
	v_fmamk_f32 v13, v23, 0x3e9b6dac, v53
	v_sub_f32_e32 v19, v20, v19
	v_fmaak_f32 v13, v23, v13, 0x3f2aaada
	v_ldexp_f32 v24, v19, 1
	v_mul_f32_e32 v19, v22, v23
	v_ldexp_f32 v21, v22, 1
	v_pk_mul_f32 v[22:23], v[18:19], v[12:13]
	s_nop 0
	v_fma_f32 v20, v18, s89, -v22
	v_fmac_f32_e32 v20, 0xb102e308, v18
	v_pk_add_f32 v[18:19], v[22:23], v[20:21]
	s_nop 0
	v_sub_f32_e32 v13, v19, v21
	v_sub_f32_e32 v13, v23, v13
	v_add_f32_e32 v25, v24, v13
	v_mov_b32_e32 v24, v22
	v_pk_add_f32 v[22:23], v[18:19], v[22:23] neg_lo:[0,1] neg_hi:[0,1]
	v_pk_add_f32 v[26:27], v[18:19], v[24:25]
	v_mov_b32_e32 v21, v18
	v_mov_b32_e32 v23, v27
	v_pk_add_f32 v[28:29], v[20:21], v[22:23] neg_lo:[0,1] neg_hi:[0,1]
	v_pk_add_f32 v[20:21], v[20:21], v[22:23]
	v_mov_b32_e32 v24, v25
	v_mov_b32_e32 v22, v21
	v_pk_add_f32 v[30:31], v[22:23], v[18:19] neg_lo:[0,1] neg_hi:[0,1]
	v_mov_b32_e32 v20, v27
	v_mov_b32_e32 v13, v30
	v_pk_add_f32 v[32:33], v[26:27], v[12:13] neg_lo:[0,1] neg_hi:[0,1]
	v_mov_b32_e32 v26, v19
	v_mov_b32_e32 v27, v30
	;; [unrolled: 1-line block ×3, first 2 shown]
	v_pk_add_f32 v[20:21], v[20:21], v[26:27] neg_lo:[0,1] neg_hi:[0,1]
	v_mov_b32_e32 v25, v18
	v_pk_add_f32 v[18:19], v[24:25], v[20:21] neg_lo:[0,1] neg_hi:[0,1]
	v_mov_b32_e32 v32, v28
	v_pk_add_f32 v[20:21], v[32:33], v[18:19]
	s_nop 0
	v_mov_b32_e32 v24, v21
	v_pk_add_f32 v[24:25], v[20:21], v[24:25]
	s_nop 0
	v_pk_add_f32 v[22:23], v[22:23], v[24:25]
	v_mov_b32_e32 v19, v24
	v_mov_b32_e32 v21, v22
	v_pk_add_f32 v[26:27], v[20:21], v[28:29] neg_lo:[0,1] neg_hi:[0,1]
	s_nop 0
	v_sub_f32_e32 v13, v20, v26
	v_pk_add_f32 v[18:19], v[18:19], v[26:27] neg_lo:[0,1] neg_hi:[0,1]
	v_sub_f32_e32 v13, v28, v13
	v_add_f32_e32 v13, v18, v13
	v_add_f32_e32 v13, v13, v19
	;; [unrolled: 1-line block ×3, first 2 shown]
	v_cndmask_b32_e32 v57, v13, v34, vcc
.LBB96_27:                              ;   in Loop: Header=BB96_11 Depth=1
	s_or_b64 exec, exec, s[28:29]
	v_cvt_f32_f16_sdwa v13, v16 dst_sel:DWORD dst_unused:UNUSED_PAD src0_sel:WORD_1
	v_add_f32_e32 v58, s33, v13
	v_cmp_ge_f32_e32 vcc, s83, v58
	s_and_b64 s[26:27], s[58:59], vcc
	s_and_saveexec_b64 s[28:29], s[26:27]
	s_cbranch_execz .LBB96_29
; %bb.28:                               ;   in Loop: Header=BB96_11 Depth=1
	v_mul_f32_e32 v13, 0x3fb8aa3b, v58
	v_rndne_f32_e32 v16, v13
	v_sub_f32_e32 v18, v13, v16
	v_fma_f32 v13, v58, s84, -v13
	v_fmac_f32_e32 v13, 0x32a5705f, v58
	v_add_f32_e32 v13, v18, v13
	v_cvt_i32_f32_e32 v16, v16
	v_exp_f32_e32 v13, v13
	v_cmp_ngt_f32_e32 vcc, s85, v58
	v_ldexp_f32 v13, v13, v16
	s_nop 0
	v_cndmask_b32_e32 v13, 0, v13, vcc
	v_cmp_nlt_f32_e32 vcc, s86, v58
	s_nop 1
	v_cndmask_b32_e32 v32, v54, v13, vcc
	v_add_f32_e32 v13, 1.0, v32
	v_add_f32_e32 v16, -1.0, v13
	v_sub_f32_e32 v18, v16, v13
	v_add_f32_e32 v18, 1.0, v18
	v_sub_f32_e32 v16, v32, v16
	v_add_f32_e32 v16, v16, v18
	v_frexp_mant_f32_e32 v20, v13
	v_cvt_f64_f32_e32 v[18:19], v13
	v_frexp_exp_i32_f64_e32 v18, v[18:19]
	v_cmp_gt_f32_e32 vcc, s88, v20
	v_cmp_gt_f32_e64 s[26:27], s90, v32
	s_nop 0
	v_subbrev_co_u32_e32 v26, vcc, 0, v18, vcc
	v_sub_u32_e32 v18, 0, v26
	v_ldexp_f32 v13, v13, v18
	v_ldexp_f32 v16, v16, v18
	v_add_f32_e32 v18, -1.0, v13
	v_add_f32_e32 v19, 1.0, v18
	v_sub_f32_e32 v19, v13, v19
	v_add_f32_e32 v20, v16, v19
	v_add_f32_e32 v19, 1.0, v13
	v_add_f32_e32 v21, -1.0, v19
	v_sub_f32_e32 v13, v13, v21
	v_add_f32_e32 v13, v16, v13
	v_add_f32_e32 v16, v19, v13
	v_rcp_f32_e32 v27, v16
	v_sub_f32_e32 v19, v19, v16
	v_add_f32_e32 v13, v13, v19
	v_add_f32_e32 v19, v18, v20
	v_sub_f32_e32 v18, v18, v19
	v_mul_f32_e32 v29, v19, v27
	v_add_f32_e32 v28, v20, v18
	v_mul_f32_e32 v20, v16, v29
	v_fma_f32 v22, v29, v16, -v20
	v_fmac_f32_e32 v22, v29, v13
	v_add_f32_e32 v18, v20, v22
	v_sub_f32_e32 v21, v19, v18
	v_pk_add_f32 v[24:25], v[18:19], v[20:21] neg_lo:[0,1] neg_hi:[0,1]
	v_mov_b32_e32 v23, v18
	v_pk_add_f32 v[18:19], v[24:25], v[22:23] neg_lo:[0,1] neg_hi:[0,1]
	v_cmp_eq_f32_e32 vcc, s87, v32
	v_add_f32_e32 v19, v28, v19
	v_add_f32_e32 v18, v18, v19
	v_add_f32_e32 v19, v21, v18
	v_mul_f32_e32 v28, v27, v19
	v_mul_f32_e32 v20, v16, v28
	v_fma_f32 v22, v28, v16, -v20
	v_fmac_f32_e32 v22, v28, v13
	v_sub_f32_e32 v13, v21, v19
	v_add_f32_e32 v13, v18, v13
	v_add_f32_e32 v18, v20, v22
	v_sub_f32_e32 v21, v19, v18
	v_pk_add_f32 v[24:25], v[18:19], v[20:21] neg_lo:[0,1] neg_hi:[0,1]
	v_mov_b32_e32 v23, v18
	v_pk_add_f32 v[18:19], v[24:25], v[22:23] neg_lo:[0,1] neg_hi:[0,1]
	v_add_f32_e32 v16, v29, v28
	v_add_f32_e32 v13, v13, v19
	;; [unrolled: 1-line block ×4, first 2 shown]
	v_sub_f32_e32 v18, v16, v29
	v_mul_f32_e32 v13, v27, v13
	v_sub_f32_e32 v18, v28, v18
	v_add_f32_e32 v19, v18, v13
	v_add_f32_e32 v20, v16, v19
	v_cvt_f32_i32_e32 v18, v26
	v_mul_f32_e32 v22, v20, v20
	v_fmamk_f32 v13, v22, 0x3e9b6dac, v53
	v_sub_f32_e32 v16, v20, v16
	v_fmaak_f32 v13, v22, v13, 0x3f2aaada
	v_sub_f32_e32 v16, v19, v16
	v_mul_f32_e32 v19, v20, v22
	v_pk_mul_f32 v[22:23], v[18:19], v[12:13]
	v_ldexp_f32 v21, v20, 1
	v_fma_f32 v20, v18, s89, -v22
	v_fmac_f32_e32 v20, 0xb102e308, v18
	v_pk_add_f32 v[18:19], v[22:23], v[20:21]
	v_ldexp_f32 v16, v16, 1
	v_sub_f32_e32 v13, v19, v21
	v_sub_f32_e32 v13, v23, v13
	v_add_f32_e32 v25, v16, v13
	v_mov_b32_e32 v24, v22
	v_pk_add_f32 v[22:23], v[18:19], v[22:23] neg_lo:[0,1] neg_hi:[0,1]
	v_pk_add_f32 v[26:27], v[18:19], v[24:25]
	v_mov_b32_e32 v21, v18
	v_mov_b32_e32 v23, v27
	v_pk_add_f32 v[28:29], v[20:21], v[22:23] neg_lo:[0,1] neg_hi:[0,1]
	v_pk_add_f32 v[20:21], v[20:21], v[22:23]
	s_or_b64 vcc, s[26:27], vcc
	v_mov_b32_e32 v16, v21
	v_pk_add_f32 v[22:23], v[16:17], v[18:19] neg_lo:[0,1] neg_hi:[0,1]
	v_mov_b32_e32 v20, v27
	v_mov_b32_e32 v13, v22
	v_pk_add_f32 v[30:31], v[26:27], v[12:13] neg_lo:[0,1] neg_hi:[0,1]
	v_mov_b32_e32 v26, v19
	v_mov_b32_e32 v27, v22
	;; [unrolled: 1-line block ×3, first 2 shown]
	v_pk_add_f32 v[20:21], v[20:21], v[26:27] neg_lo:[0,1] neg_hi:[0,1]
	v_mov_b32_e32 v22, v25
	v_mov_b32_e32 v23, v18
	v_pk_add_f32 v[18:19], v[22:23], v[20:21] neg_lo:[0,1] neg_hi:[0,1]
	v_mov_b32_e32 v30, v28
	v_pk_add_f32 v[20:21], v[30:31], v[18:19]
	s_nop 0
	v_mov_b32_e32 v22, v21
	v_pk_add_f32 v[22:23], v[20:21], v[22:23]
	s_nop 0
	v_pk_add_f32 v[24:25], v[16:17], v[22:23]
	v_mov_b32_e32 v19, v22
	v_mov_b32_e32 v21, v24
	v_pk_add_f32 v[26:27], v[20:21], v[28:29] neg_lo:[0,1] neg_hi:[0,1]
	s_nop 0
	v_sub_f32_e32 v13, v20, v26
	v_pk_add_f32 v[18:19], v[18:19], v[26:27] neg_lo:[0,1] neg_hi:[0,1]
	v_sub_f32_e32 v13, v28, v13
	v_add_f32_e32 v13, v18, v13
	v_add_f32_e32 v13, v13, v19
	;; [unrolled: 1-line block ×3, first 2 shown]
	v_cndmask_b32_e32 v58, v13, v32, vcc
.LBB96_29:                              ;   in Loop: Header=BB96_11 Depth=1
	s_or_b64 exec, exec, s[28:29]
	v_cvt_f32_f16_e32 v13, v17
	v_add_f32_e32 v19, s33, v13
	v_cmp_ge_f32_e32 vcc, s83, v19
	s_and_b64 s[26:27], s[58:59], vcc
	s_and_saveexec_b64 s[28:29], s[26:27]
	s_cbranch_execz .LBB96_31
; %bb.30:                               ;   in Loop: Header=BB96_11 Depth=1
	v_mul_f32_e32 v13, 0x3fb8aa3b, v19
	v_rndne_f32_e32 v16, v13
	v_sub_f32_e32 v18, v13, v16
	v_fma_f32 v13, v19, s84, -v13
	v_fmac_f32_e32 v13, 0x32a5705f, v19
	v_add_f32_e32 v13, v18, v13
	v_cvt_i32_f32_e32 v16, v16
	v_exp_f32_e32 v13, v13
	v_cmp_ngt_f32_e32 vcc, s85, v19
	v_ldexp_f32 v13, v13, v16
	s_nop 0
	v_cndmask_b32_e32 v13, 0, v13, vcc
	v_cmp_nlt_f32_e32 vcc, s86, v19
	s_nop 1
	v_cndmask_b32_e32 v32, v54, v13, vcc
	v_add_f32_e32 v13, 1.0, v32
	v_add_f32_e32 v16, -1.0, v13
	v_sub_f32_e32 v18, v16, v13
	v_add_f32_e32 v18, 1.0, v18
	v_sub_f32_e32 v16, v32, v16
	v_add_f32_e32 v16, v16, v18
	v_frexp_mant_f32_e32 v20, v13
	v_cvt_f64_f32_e32 v[18:19], v13
	v_frexp_exp_i32_f64_e32 v18, v[18:19]
	v_cmp_gt_f32_e32 vcc, s88, v20
	v_cmp_gt_f32_e64 s[26:27], s90, v32
	s_nop 0
	v_subbrev_co_u32_e32 v26, vcc, 0, v18, vcc
	v_sub_u32_e32 v18, 0, v26
	v_ldexp_f32 v13, v13, v18
	v_ldexp_f32 v16, v16, v18
	v_add_f32_e32 v18, -1.0, v13
	v_add_f32_e32 v19, 1.0, v18
	v_sub_f32_e32 v19, v13, v19
	v_add_f32_e32 v20, v16, v19
	v_add_f32_e32 v19, 1.0, v13
	v_add_f32_e32 v21, -1.0, v19
	v_sub_f32_e32 v13, v13, v21
	v_add_f32_e32 v13, v16, v13
	v_add_f32_e32 v16, v19, v13
	v_rcp_f32_e32 v27, v16
	v_sub_f32_e32 v19, v19, v16
	v_add_f32_e32 v13, v13, v19
	v_add_f32_e32 v19, v18, v20
	v_sub_f32_e32 v18, v18, v19
	v_mul_f32_e32 v29, v19, v27
	v_add_f32_e32 v28, v20, v18
	v_mul_f32_e32 v20, v16, v29
	v_fma_f32 v22, v29, v16, -v20
	v_fmac_f32_e32 v22, v29, v13
	v_add_f32_e32 v18, v20, v22
	v_sub_f32_e32 v21, v19, v18
	v_pk_add_f32 v[24:25], v[18:19], v[20:21] neg_lo:[0,1] neg_hi:[0,1]
	v_mov_b32_e32 v23, v18
	v_pk_add_f32 v[18:19], v[24:25], v[22:23] neg_lo:[0,1] neg_hi:[0,1]
	v_cmp_eq_f32_e32 vcc, s87, v32
	v_add_f32_e32 v19, v28, v19
	v_add_f32_e32 v18, v18, v19
	;; [unrolled: 1-line block ×3, first 2 shown]
	v_mul_f32_e32 v28, v27, v19
	v_mul_f32_e32 v20, v16, v28
	v_fma_f32 v22, v28, v16, -v20
	v_fmac_f32_e32 v22, v28, v13
	v_sub_f32_e32 v13, v21, v19
	v_add_f32_e32 v13, v18, v13
	v_add_f32_e32 v18, v20, v22
	v_sub_f32_e32 v21, v19, v18
	v_pk_add_f32 v[24:25], v[18:19], v[20:21] neg_lo:[0,1] neg_hi:[0,1]
	v_mov_b32_e32 v23, v18
	v_pk_add_f32 v[18:19], v[24:25], v[22:23] neg_lo:[0,1] neg_hi:[0,1]
	v_add_f32_e32 v16, v29, v28
	v_add_f32_e32 v13, v13, v19
	;; [unrolled: 1-line block ×4, first 2 shown]
	v_sub_f32_e32 v18, v16, v29
	v_mul_f32_e32 v13, v27, v13
	v_sub_f32_e32 v18, v28, v18
	v_add_f32_e32 v19, v18, v13
	v_add_f32_e32 v20, v16, v19
	v_cvt_f32_i32_e32 v18, v26
	v_mul_f32_e32 v22, v20, v20
	v_fmamk_f32 v13, v22, 0x3e9b6dac, v53
	v_sub_f32_e32 v16, v20, v16
	v_fmaak_f32 v13, v22, v13, 0x3f2aaada
	v_sub_f32_e32 v16, v19, v16
	v_mul_f32_e32 v19, v20, v22
	v_pk_mul_f32 v[22:23], v[18:19], v[12:13]
	v_ldexp_f32 v21, v20, 1
	v_fma_f32 v20, v18, s89, -v22
	v_fmac_f32_e32 v20, 0xb102e308, v18
	v_pk_add_f32 v[18:19], v[22:23], v[20:21]
	v_ldexp_f32 v16, v16, 1
	v_sub_f32_e32 v13, v19, v21
	v_sub_f32_e32 v13, v23, v13
	v_add_f32_e32 v25, v16, v13
	v_mov_b32_e32 v24, v22
	v_pk_add_f32 v[22:23], v[18:19], v[22:23] neg_lo:[0,1] neg_hi:[0,1]
	v_pk_add_f32 v[26:27], v[18:19], v[24:25]
	v_mov_b32_e32 v21, v18
	v_mov_b32_e32 v23, v27
	v_pk_add_f32 v[28:29], v[20:21], v[22:23] neg_lo:[0,1] neg_hi:[0,1]
	v_pk_add_f32 v[20:21], v[20:21], v[22:23]
	s_or_b64 vcc, s[26:27], vcc
	v_mov_b32_e32 v16, v21
	v_pk_add_f32 v[22:23], v[16:17], v[18:19] neg_lo:[0,1] neg_hi:[0,1]
	v_mov_b32_e32 v20, v27
	v_mov_b32_e32 v13, v22
	v_pk_add_f32 v[30:31], v[26:27], v[12:13] neg_lo:[0,1] neg_hi:[0,1]
	v_mov_b32_e32 v26, v19
	v_mov_b32_e32 v27, v22
	v_mov_b32_e32 v29, v21
	v_pk_add_f32 v[20:21], v[20:21], v[26:27] neg_lo:[0,1] neg_hi:[0,1]
	v_mov_b32_e32 v22, v25
	v_mov_b32_e32 v23, v18
	v_pk_add_f32 v[18:19], v[22:23], v[20:21] neg_lo:[0,1] neg_hi:[0,1]
	v_mov_b32_e32 v30, v28
	v_pk_add_f32 v[20:21], v[30:31], v[18:19]
	s_nop 0
	v_mov_b32_e32 v22, v21
	v_pk_add_f32 v[22:23], v[20:21], v[22:23]
	s_nop 0
	v_pk_add_f32 v[24:25], v[16:17], v[22:23]
	v_mov_b32_e32 v19, v22
	v_mov_b32_e32 v21, v24
	v_pk_add_f32 v[26:27], v[20:21], v[28:29] neg_lo:[0,1] neg_hi:[0,1]
	s_nop 0
	v_sub_f32_e32 v13, v20, v26
	v_pk_add_f32 v[18:19], v[18:19], v[26:27] neg_lo:[0,1] neg_hi:[0,1]
	v_sub_f32_e32 v13, v28, v13
	v_add_f32_e32 v13, v18, v13
	v_add_f32_e32 v13, v13, v19
	;; [unrolled: 1-line block ×3, first 2 shown]
	v_cndmask_b32_e32 v19, v13, v32, vcc
.LBB96_31:                              ;   in Loop: Header=BB96_11 Depth=1
	s_or_b64 exec, exec, s[28:29]
	v_cvt_f32_f16_sdwa v13, v17 dst_sel:DWORD dst_unused:UNUSED_PAD src0_sel:WORD_1
	v_add_f32_e32 v18, s33, v13
	v_cmp_ge_f32_e32 vcc, s83, v18
	s_and_b64 s[26:27], s[58:59], vcc
	s_and_saveexec_b64 s[28:29], s[26:27]
	s_cbranch_execz .LBB96_33
; %bb.32:                               ;   in Loop: Header=BB96_11 Depth=1
	v_mul_f32_e32 v13, 0x3fb8aa3b, v18
	v_rndne_f32_e32 v16, v13
	v_sub_f32_e32 v17, v13, v16
	v_fma_f32 v13, v18, s84, -v13
	v_fmac_f32_e32 v13, 0x32a5705f, v18
	v_add_f32_e32 v13, v17, v13
	v_cvt_i32_f32_e32 v16, v16
	v_exp_f32_e32 v13, v13
	v_cmp_ngt_f32_e32 vcc, s85, v18
	v_ldexp_f32 v13, v13, v16
	s_nop 0
	v_cndmask_b32_e32 v13, 0, v13, vcc
	v_cmp_nlt_f32_e32 vcc, s86, v18
	s_nop 1
	v_cndmask_b32_e32 v32, v54, v13, vcc
	v_add_f32_e32 v13, 1.0, v32
	v_add_f32_e32 v16, -1.0, v13
	v_sub_f32_e32 v17, v16, v13
	v_add_f32_e32 v17, 1.0, v17
	v_sub_f32_e32 v16, v32, v16
	v_add_f32_e32 v18, v16, v17
	v_frexp_mant_f32_e32 v20, v13
	v_cvt_f64_f32_e32 v[16:17], v13
	v_frexp_exp_i32_f64_e32 v16, v[16:17]
	v_cmp_gt_f32_e32 vcc, s88, v20
	v_cmp_gt_f32_e64 s[26:27], s90, v32
	s_nop 0
	v_subbrev_co_u32_e32 v26, vcc, 0, v16, vcc
	v_sub_u32_e32 v16, 0, v26
	v_ldexp_f32 v13, v13, v16
	v_ldexp_f32 v16, v18, v16
	v_add_f32_e32 v18, -1.0, v13
	v_add_f32_e32 v17, 1.0, v18
	v_sub_f32_e32 v17, v13, v17
	v_add_f32_e32 v20, v16, v17
	v_add_f32_e32 v17, 1.0, v13
	v_add_f32_e32 v21, -1.0, v17
	v_sub_f32_e32 v13, v13, v21
	v_add_f32_e32 v13, v16, v13
	v_add_f32_e32 v27, v17, v13
	v_rcp_f32_e32 v28, v27
	v_sub_f32_e32 v16, v17, v27
	v_add_f32_e32 v17, v18, v20
	v_add_f32_e32 v13, v13, v16
	v_sub_f32_e32 v16, v18, v17
	v_mul_f32_e32 v29, v17, v28
	v_add_f32_e32 v18, v20, v16
	v_mul_f32_e32 v20, v27, v29
	v_fma_f32 v22, v29, v27, -v20
	v_fmac_f32_e32 v22, v29, v13
	v_add_f32_e32 v16, v20, v22
	v_sub_f32_e32 v21, v17, v16
	v_pk_add_f32 v[24:25], v[16:17], v[20:21] neg_lo:[0,1] neg_hi:[0,1]
	v_mov_b32_e32 v23, v16
	v_pk_add_f32 v[16:17], v[24:25], v[22:23] neg_lo:[0,1] neg_hi:[0,1]
	v_cmp_eq_f32_e32 vcc, s87, v32
	v_add_f32_e32 v17, v18, v17
	v_add_f32_e32 v16, v16, v17
	v_add_f32_e32 v17, v21, v16
	v_mul_f32_e32 v18, v28, v17
	v_mul_f32_e32 v20, v27, v18
	v_fma_f32 v22, v18, v27, -v20
	v_fmac_f32_e32 v22, v18, v13
	v_sub_f32_e32 v13, v21, v17
	v_add_f32_e32 v13, v16, v13
	v_add_f32_e32 v16, v20, v22
	v_sub_f32_e32 v21, v17, v16
	v_pk_add_f32 v[24:25], v[16:17], v[20:21] neg_lo:[0,1] neg_hi:[0,1]
	v_mov_b32_e32 v23, v16
	v_pk_add_f32 v[16:17], v[24:25], v[22:23] neg_lo:[0,1] neg_hi:[0,1]
	s_or_b64 vcc, s[26:27], vcc
	v_add_f32_e32 v13, v13, v17
	v_add_f32_e32 v13, v16, v13
	;; [unrolled: 1-line block ×4, first 2 shown]
	v_sub_f32_e32 v16, v17, v29
	v_mul_f32_e32 v13, v28, v13
	v_sub_f32_e32 v16, v18, v16
	v_add_f32_e32 v18, v16, v13
	v_add_f32_e32 v20, v17, v18
	v_cvt_f32_i32_e32 v16, v26
	v_mul_f32_e32 v22, v20, v20
	v_sub_f32_e32 v17, v20, v17
	v_fmamk_f32 v13, v22, 0x3e9b6dac, v53
	v_sub_f32_e32 v17, v18, v17
	v_fmaak_f32 v13, v22, v13, 0x3f2aaada
	v_ldexp_f32 v18, v17, 1
	v_mul_f32_e32 v17, v20, v22
	v_pk_mul_f32 v[22:23], v[16:17], v[12:13]
	v_ldexp_f32 v21, v20, 1
	v_fma_f32 v20, v16, s89, -v22
	v_fmac_f32_e32 v20, 0xb102e308, v16
	v_pk_add_f32 v[16:17], v[22:23], v[20:21]
	v_mov_b32_e32 v24, v22
	v_sub_f32_e32 v13, v17, v21
	v_sub_f32_e32 v13, v23, v13
	v_add_f32_e32 v25, v18, v13
	v_pk_add_f32 v[22:23], v[16:17], v[22:23] neg_lo:[0,1] neg_hi:[0,1]
	v_pk_add_f32 v[26:27], v[16:17], v[24:25]
	v_mov_b32_e32 v21, v16
	v_mov_b32_e32 v23, v27
	v_pk_add_f32 v[28:29], v[20:21], v[22:23] neg_lo:[0,1] neg_hi:[0,1]
	v_pk_add_f32 v[20:21], v[20:21], v[22:23]
	s_nop 0
	v_mov_b32_e32 v18, v21
	v_pk_add_f32 v[22:23], v[18:19], v[16:17] neg_lo:[0,1] neg_hi:[0,1]
	v_mov_b32_e32 v20, v27
	v_mov_b32_e32 v13, v22
	v_pk_add_f32 v[30:31], v[26:27], v[12:13] neg_lo:[0,1] neg_hi:[0,1]
	v_mov_b32_e32 v26, v17
	v_mov_b32_e32 v27, v22
	;; [unrolled: 1-line block ×3, first 2 shown]
	v_pk_add_f32 v[20:21], v[20:21], v[26:27] neg_lo:[0,1] neg_hi:[0,1]
	v_mov_b32_e32 v22, v25
	v_mov_b32_e32 v23, v16
	v_pk_add_f32 v[16:17], v[22:23], v[20:21] neg_lo:[0,1] neg_hi:[0,1]
	v_mov_b32_e32 v30, v28
	v_pk_add_f32 v[20:21], v[30:31], v[16:17]
	s_nop 0
	v_mov_b32_e32 v22, v21
	v_pk_add_f32 v[22:23], v[20:21], v[22:23]
	s_nop 0
	v_pk_add_f32 v[24:25], v[18:19], v[22:23]
	v_mov_b32_e32 v17, v22
	v_mov_b32_e32 v21, v24
	v_pk_add_f32 v[26:27], v[20:21], v[28:29] neg_lo:[0,1] neg_hi:[0,1]
	s_nop 0
	v_sub_f32_e32 v13, v20, v26
	v_pk_add_f32 v[16:17], v[16:17], v[26:27] neg_lo:[0,1] neg_hi:[0,1]
	v_sub_f32_e32 v13, v28, v13
	v_add_f32_e32 v13, v16, v13
	v_add_f32_e32 v13, v13, v17
	;; [unrolled: 1-line block ×3, first 2 shown]
	v_cndmask_b32_e32 v18, v13, v32, vcc
.LBB96_33:                              ;   in Loop: Header=BB96_11 Depth=1
	s_or_b64 exec, exec, s[28:29]
	v_cvt_f32_f16_e32 v24, v15
	v_cvt_f32_f16_sdwa v25, v14 dst_sel:DWORD dst_unused:UNUSED_PAD src0_sel:WORD_1
	v_cvt_f32_f16_e32 v26, v14
	v_cvt_f32_f16_sdwa v13, v15 dst_sel:DWORD dst_unused:UNUSED_PAD src0_sel:WORD_1
	v_mul_f32_e32 v14, s76, v24
	v_mul_f32_e32 v17, s76, v25
	v_mul_f32_e32 v16, s76, v26
	v_mul_f32_e32 v15, s76, v13
	s_and_b64 vcc, exec, s[60:61]
	s_waitcnt lgkmcnt(0)
	; wave barrier
	s_cbranch_vccz .LBB96_75
; %bb.34:                               ;   in Loop: Header=BB96_11 Depth=1
	s_cmp_lg_u32 s97, 0
	s_cselect_b64 s[64:65], -1, 0
	s_cmp_eq_u32 s97, s82
	v_cmp_gt_u32_e32 vcc, s34, v11
	s_cselect_b64 s[66:67], -1, 0
	s_or_b64 s[26:27], s[54:55], vcc
	v_cmp_gt_u32_e32 vcc, s34, v10
	s_mov_b32 s56, 0
	v_cmp_gt_u32_e64 s[28:29], s34, v3
	s_or_b64 s[30:31], s[54:55], vcc
	v_cmp_gt_u32_e32 vcc, s34, v52
	v_mul_f32_e32 v13, v18, v13
	v_lshl_add_u64 v[20:21], s[42:43], 0, v[0:1]
	v_lshl_add_u64 v[22:23], s[46:47], 0, v[0:1]
	v_mul_f32_e32 v59, v19, v24
	v_mul_f32_e32 v60, v58, v25
	;; [unrolled: 1-line block ×3, first 2 shown]
	s_or_b64 s[28:29], s[54:55], s[28:29]
	s_or_b64 s[34:35], s[54:55], vcc
	s_mov_b32 s68, s56
	s_mov_b32 s70, s56
	;; [unrolled: 1-line block ×5, first 2 shown]
	s_branch .LBB96_36
.LBB96_35:                              ;   in Loop: Header=BB96_36 Depth=2
	s_or_b64 exec, exec, s[36:37]
	v_mul_f32_e32 v26, v33, v32
	v_fma_f32 v27, v33, v35, v28
	v_cndmask_b32_e64 v28, v27, v28, s[16:17]
	v_cndmask_b32_e64 v26, v26, v33, s[16:17]
	s_waitcnt lgkmcnt(0)
	v_fmac_f32_e32 v28, v38, v26
	v_fmac_f32_e32 v29, v28, v31
	v_cvt_f32_f16_sdwa v27, v25 dst_sel:DWORD dst_unused:UNUSED_PAD src0_sel:WORD_1
	v_cvt_f32_f16_e32 v26, v25
	v_cvt_f32_f16_sdwa v25, v24 dst_sel:DWORD dst_unused:UNUSED_PAD src0_sel:WORD_1
	v_cvt_f32_f16_e32 v24, v24
	v_fmac_f32_e32 v30, v29, v37
	v_fmac_f32_e32 v34, v30, v36
	v_mov_b32_e32 v31, v34
	s_add_i32 s98, s98, 8
	s_add_i32 s63, s63, -1
	s_add_i32 s72, s72, s78
	s_add_i32 s70, s70, s48
	s_add_i32 s68, s68, s44
	s_add_i32 s56, s56, s41
	v_pk_fma_f32 v[14:15], v[30:31], v[26:27], v[14:15]
	s_cmp_eq_u32 s63, 0
	v_pk_fma_f32 v[16:17], v[28:29], v[24:25], v[16:17]
	s_cbranch_scc1 .LBB96_75
.LBB96_36:                              ;   Parent Loop BB96_11 Depth=1
                                        ; =>  This Inner Loop Header: Depth=2
	s_lshl_b64 s[36:37], s[56:57], 2
	s_add_u32 s36, s40, s36
	s_addc_u32 s37, s80, s37
	global_load_dword v30, v1, s[36:37]
	s_mov_b32 s69, s57
	v_lshl_add_u64 v[24:25], s[68:69], 1, v[20:21]
	v_mov_b32_e32 v26, 0
	v_mov_b32_e32 v27, 0
	s_and_saveexec_b64 s[36:37], s[18:19]
	s_cbranch_execnz .LBB96_48
; %bb.37:                               ;   in Loop: Header=BB96_36 Depth=2
	s_or_b64 exec, exec, s[36:37]
	s_and_saveexec_b64 s[36:37], s[20:21]
	s_cbranch_execnz .LBB96_49
.LBB96_38:                              ;   in Loop: Header=BB96_36 Depth=2
	s_or_b64 exec, exec, s[36:37]
	v_mov_b32_e32 v28, 0
	s_and_saveexec_b64 s[36:37], s[22:23]
	s_cbranch_execnz .LBB96_50
.LBB96_39:                              ;   in Loop: Header=BB96_36 Depth=2
	s_or_b64 exec, exec, s[36:37]
	s_and_saveexec_b64 s[36:37], s[24:25]
	s_cbranch_execz .LBB96_41
.LBB96_40:                              ;   in Loop: Header=BB96_36 Depth=2
	global_load_ushort v24, v[24:25], off offset:384
	s_waitcnt vmcnt(0)
	v_lshl_or_b32 v28, v24, 16, v28
.LBB96_41:                              ;   in Loop: Header=BB96_36 Depth=2
	s_or_b64 exec, exec, s[36:37]
	s_waitcnt vmcnt(0)
	ds_write_b16 v43, v27
	ds_write_b16 v44, v26 offset:128
	ds_write_b16 v45, v28 offset:256
	ds_write_b16_d16_hi v46, v28 offset:384
	; wave barrier
	ds_read_b64 v[28:29], v47
	s_mov_b32 s71, s57
	v_lshl_add_u64 v[24:25], s[70:71], 1, v[22:23]
	v_mov_b32_e32 v26, 0
	v_mov_b32_e32 v27, 0
	s_and_saveexec_b64 s[36:37], s[18:19]
	s_cbranch_execnz .LBB96_51
; %bb.42:                               ;   in Loop: Header=BB96_36 Depth=2
	s_or_b64 exec, exec, s[36:37]
	s_and_saveexec_b64 s[36:37], s[20:21]
	s_cbranch_execnz .LBB96_52
.LBB96_43:                              ;   in Loop: Header=BB96_36 Depth=2
	s_or_b64 exec, exec, s[36:37]
	v_mov_b32_e32 v31, 0
	s_and_saveexec_b64 s[36:37], s[22:23]
	s_cbranch_execnz .LBB96_53
.LBB96_44:                              ;   in Loop: Header=BB96_36 Depth=2
	s_or_b64 exec, exec, s[36:37]
	s_and_saveexec_b64 s[36:37], s[24:25]
	s_cbranch_execz .LBB96_46
.LBB96_45:                              ;   in Loop: Header=BB96_36 Depth=2
	global_load_ushort v24, v[24:25], off offset:384
	s_waitcnt vmcnt(0)
	v_lshl_or_b32 v31, v24, 16, v31
.LBB96_46:                              ;   in Loop: Header=BB96_36 Depth=2
	s_or_b64 exec, exec, s[36:37]
	s_waitcnt vmcnt(0)
	ds_write_b16 v43, v27 offset:528
	ds_write_b16 v48, v26 offset:128
	;; [unrolled: 1-line block ×3, first 2 shown]
	ds_write_b16_d16_hi v50, v31 offset:384
	; wave barrier
	ds_read_b64 v[24:25], v47 offset:528
	s_andn2_b64 vcc, exec, s[64:65]
	s_cbranch_vccnz .LBB96_54
; %bb.47:                               ;   in Loop: Header=BB96_36 Depth=2
	v_mov_b32_e32 v26, s98
	ds_read_b64 v[26:27], v26
	s_cbranch_execz .LBB96_55
	s_branch .LBB96_58
.LBB96_48:                              ;   in Loop: Header=BB96_36 Depth=2
	global_load_ushort v27, v[24:25], off
	s_or_b64 exec, exec, s[36:37]
	s_and_saveexec_b64 s[36:37], s[20:21]
	s_cbranch_execz .LBB96_38
.LBB96_49:                              ;   in Loop: Header=BB96_36 Depth=2
	global_load_ushort v26, v[24:25], off offset:128
	s_or_b64 exec, exec, s[36:37]
	v_mov_b32_e32 v28, 0
	s_and_saveexec_b64 s[36:37], s[22:23]
	s_cbranch_execz .LBB96_39
.LBB96_50:                              ;   in Loop: Header=BB96_36 Depth=2
	global_load_ushort v28, v[24:25], off offset:256
	s_or_b64 exec, exec, s[36:37]
	s_and_saveexec_b64 s[36:37], s[24:25]
	s_cbranch_execnz .LBB96_40
	s_branch .LBB96_41
.LBB96_51:                              ;   in Loop: Header=BB96_36 Depth=2
	global_load_ushort v27, v[24:25], off
	s_or_b64 exec, exec, s[36:37]
	s_and_saveexec_b64 s[36:37], s[20:21]
	s_cbranch_execz .LBB96_43
.LBB96_52:                              ;   in Loop: Header=BB96_36 Depth=2
	global_load_ushort v26, v[24:25], off offset:128
	s_or_b64 exec, exec, s[36:37]
	v_mov_b32_e32 v31, 0
	s_and_saveexec_b64 s[36:37], s[22:23]
	s_cbranch_execz .LBB96_44
.LBB96_53:                              ;   in Loop: Header=BB96_36 Depth=2
	global_load_ushort v31, v[24:25], off offset:256
	s_or_b64 exec, exec, s[36:37]
	s_and_saveexec_b64 s[36:37], s[24:25]
	s_cbranch_execnz .LBB96_45
	s_branch .LBB96_46
.LBB96_54:                              ;   in Loop: Header=BB96_36 Depth=2
                                        ; implicit-def: $vgpr27
.LBB96_55:                              ;   in Loop: Header=BB96_36 Depth=2
	s_andn2_b64 vcc, exec, s[38:39]
	s_waitcnt lgkmcnt(0)
	v_mov_b32_e32 v27, 0
	s_cbranch_vccnz .LBB96_57
; %bb.56:                               ;   in Loop: Header=BB96_36 Depth=2
	s_mov_b32 s73, s57
	s_lshl_b64 s[36:37], s[72:73], 2
	s_add_u32 s36, s45, s36
	s_addc_u32 s37, s49, s37
	global_load_dword v27, v1, s[36:37]
.LBB96_57:                              ;   in Loop: Header=BB96_36 Depth=2
	v_mov_b32_e32 v26, 1.0
.LBB96_58:                              ;   in Loop: Header=BB96_36 Depth=2
	v_mul_f32_e32 v30, 0x3fb8aa3b, v30
	s_waitcnt lgkmcnt(5)
	v_cvt_f32_f16_e32 v31, v28
	v_cvt_f32_f16_sdwa v32, v28 dst_sel:DWORD dst_unused:UNUSED_PAD src0_sel:WORD_1
	v_mul_f32_e32 v28, v30, v57
	v_cmp_gt_f32_e32 vcc, s92, v28
	v_cvt_f32_f16_e32 v36, v29
	v_cvt_f32_f16_sdwa v37, v29 dst_sel:DWORD dst_unused:UNUSED_PAD src0_sel:WORD_1
	v_cndmask_b32_e32 v28, 0, v55, vcc
	v_fmac_f32_e32 v28, v30, v57
	v_exp_f32_e32 v28, v28
	v_cndmask_b32_e32 v29, 1.0, v56, vcc
	v_mul_f32_e32 v29, v28, v29
	v_mul_f32_e32 v28, v61, v31
	;; [unrolled: 1-line block ×3, first 2 shown]
	v_cmp_gt_f32_e32 vcc, s92, v31
	v_cndmask_b32_e64 v33, 1.0, v29, s[26:27]
	v_cndmask_b32_e64 v28, 0, v28, s[26:27]
	v_cndmask_b32_e32 v31, 0, v55, vcc
	v_fmac_f32_e32 v31, v30, v58
	v_exp_f32_e32 v31, v31
	v_cndmask_b32_e32 v29, 1.0, v56, vcc
	v_mul_f32_e32 v31, v31, v29
	v_pk_mul_f32 v[34:35], v[30:31], v[18:19] op_sel_hi:[0,1]
	v_cmp_gt_f32_e32 vcc, s92, v34
	v_mul_f32_e32 v29, v60, v32
	v_cmp_gt_f32_e64 s[36:37], s92, v35
	v_cndmask_b32_e32 v32, 0, v55, vcc
	v_add_f32_e32 v32, v34, v32
	v_cndmask_b32_e64 v34, 0, v55, s[36:37]
	v_exp_f32_e32 v32, v32
	v_add_f32_e32 v34, v35, v34
	v_exp_f32_e32 v34, v34
	v_cndmask_b32_e32 v35, 1.0, v56, vcc
	v_mul_f32_e32 v32, v32, v35
	v_cndmask_b32_e64 v35, 1.0, v56, s[36:37]
	v_cndmask_b32_e64 v29, 0, v29, s[28:29]
	v_cndmask_b32_e64 v31, 1.0, v31, s[28:29]
	v_mul_f32_e32 v35, v34, v35
	v_mul_f32_e32 v30, v59, v36
	;; [unrolled: 1-line block ×3, first 2 shown]
	v_cndmask_b32_e64 v37, 1.0, v35, s[30:31]
	v_cndmask_b32_e64 v36, 1.0, v32, s[34:35]
	v_fma_f32 v32, v31, v28, v29
	v_cndmask_b32_e64 v30, 0, v30, s[30:31]
	v_mul_f32_e32 v32, v32, v37
	v_pk_add_f32 v[38:39], v[32:33], v[30:31]
	v_pk_mul_f32 v[62:63], v[32:33], v[30:31]
	v_cndmask_b32_e64 v34, 0, v34, s[34:35]
	v_mov_b32_e32 v39, v63
	v_pk_mul_f32 v[62:63], v[38:39], v[36:37]
	v_mov_b32_e32 v35, v36
	v_pk_fma_f32 v[64:65], v[38:39], v[36:37], v[34:35]
	v_pk_mul_f32 v[62:63], v[62:63], v[34:35]
	s_nop 0
	v_mov_b32_dpp v35, v64 row_shr:1 row_mask:0xf bank_mask:0xf
	v_mov_b32_dpp v32, v63 row_shr:1 row_mask:0xf bank_mask:0xf
	v_mul_f32_e32 v62, v63, v32
	v_fma_f32 v32, v63, v35, v64
	v_cndmask_b32_e64 v39, v32, v64, s[0:1]
	v_cndmask_b32_e64 v32, v32, v64, s[0:1]
	;; [unrolled: 1-line block ×4, first 2 shown]
	v_mov_b32_dpp v63, v32 row_shr:2 row_mask:0xf bank_mask:0xf
	v_mov_b32_dpp v62, v35 row_shr:2 row_mask:0xf bank_mask:0xf
	s_and_saveexec_b64 s[36:37], s[2:3]
; %bb.59:                               ;   in Loop: Header=BB96_36 Depth=2
	v_fmac_f32_e32 v32, v35, v63
	v_mul_f32_e32 v35, v35, v62
	v_mov_b32_e32 v38, v35
	v_mov_b32_e32 v39, v32
; %bb.60:                               ;   in Loop: Header=BB96_36 Depth=2
	s_or_b64 exec, exec, s[36:37]
	v_mov_b32_dpp v62, v35 row_shr:4 row_mask:0xf bank_mask:0xf
	v_mov_b32_dpp v63, v32 row_shr:4 row_mask:0xf bank_mask:0xf
	s_and_saveexec_b64 s[36:37], s[4:5]
; %bb.61:                               ;   in Loop: Header=BB96_36 Depth=2
	v_fmac_f32_e32 v32, v35, v63
	v_mul_f32_e32 v35, v35, v62
	v_mov_b32_e32 v38, v35
	v_mov_b32_e32 v39, v32
; %bb.62:                               ;   in Loop: Header=BB96_36 Depth=2
	s_or_b64 exec, exec, s[36:37]
	;; [unrolled: 10-line block ×3, first 2 shown]
	v_mov_b32_dpp v62, v35 row_bcast:15 row_mask:0xf bank_mask:0xf
	v_mov_b32_dpp v63, v32 row_bcast:15 row_mask:0xf bank_mask:0xf
	s_and_saveexec_b64 s[36:37], s[8:9]
; %bb.65:                               ;   in Loop: Header=BB96_36 Depth=2
	v_fmac_f32_e32 v32, v35, v63
	v_mul_f32_e32 v35, v35, v62
	v_mov_b32_e32 v38, v35
	v_mov_b32_e32 v39, v32
; %bb.66:                               ;   in Loop: Header=BB96_36 Depth=2
	s_or_b64 exec, exec, s[36:37]
	v_mov_b32_dpp v62, v35 row_bcast:31 row_mask:0xf bank_mask:0xf
	v_mov_b32_dpp v63, v32 row_bcast:31 row_mask:0xf bank_mask:0xf
	v_mul_f32_e32 v62, v35, v62
	v_fmac_f32_e32 v32, v35, v63
	v_cndmask_b32_e64 v38, v38, v62, s[10:11]
	v_cndmask_b32_e64 v39, v39, v32, s[10:11]
	s_and_saveexec_b64 s[36:37], s[12:13]
	s_cbranch_execz .LBB96_68
; %bb.67:                               ;   in Loop: Header=BB96_36 Depth=2
	ds_write_b64 v1, v[38:39] offset:1056
.LBB96_68:                              ;   in Loop: Header=BB96_36 Depth=2
	s_or_b64 exec, exec, s[36:37]
	ds_bpermute_b32 v32, v51, v38
	ds_bpermute_b32 v35, v51, v39
	s_waitcnt vmcnt(0) lgkmcnt(2)
	v_mov_b32_e32 v39, v27
	s_waitcnt lgkmcnt(0)
	; wave barrier
	s_waitcnt lgkmcnt(0)
	s_and_saveexec_b64 s[36:37], s[14:15]
	s_cbranch_execz .LBB96_72
; %bb.69:                               ;   in Loop: Header=BB96_36 Depth=2
	ds_read_b64 v[38:39], v1 offset:1056
	s_and_saveexec_b64 s[74:75], s[16:17]
	s_cbranch_execz .LBB96_71
; %bb.70:                               ;   in Loop: Header=BB96_36 Depth=2
	ds_write_b64 v1, v[26:27] offset:1056
.LBB96_71:                              ;   in Loop: Header=BB96_36 Depth=2
	s_or_b64 exec, exec, s[74:75]
	s_waitcnt lgkmcnt(0)
	v_fmac_f32_e32 v39, v27, v38
	v_mul_f32_e32 v26, v26, v38
	v_mov_b32_e32 v27, v39
.LBB96_72:                              ;   in Loop: Header=BB96_36 Depth=2
	s_or_b64 exec, exec, s[36:37]
	s_waitcnt lgkmcnt(0)
	; wave barrier
	ds_read_b32 v38, v1 offset:1060
	s_and_saveexec_b64 s[36:37], s[16:17]
	s_cbranch_execz .LBB96_35
; %bb.73:                               ;   in Loop: Header=BB96_36 Depth=2
	v_mov_b32_e32 v62, s98
	s_andn2_b64 vcc, exec, s[66:67]
	ds_write_b64 v62, v[26:27]
	s_cbranch_vccnz .LBB96_35
; %bb.74:                               ;   in Loop: Header=BB96_36 Depth=2
	s_mov_b32 s73, s57
	s_lshl_b64 s[74:75], s[72:73], 2
	s_add_u32 s74, s45, s74
	s_addc_u32 s75, s49, s75
	global_store_dword v1, v39, s[74:75]
	s_branch .LBB96_35
.LBB96_75:                              ;   in Loop: Header=BB96_11 Depth=1
	v_cvt_f16_f32_e32 v13, v16
	v_cvt_f16_f32_e32 v18, v14
	;; [unrolled: 1-line block ×4, first 2 shown]
	s_waitcnt lgkmcnt(0)
	; wave barrier
	v_pack_b32_f16 v19, v18, v19
	v_pack_b32_f16 v18, v13, v20
	ds_write_b64 v47, v[18:19]
	; wave barrier
	ds_read_u16 v21, v44 offset:128
	ds_read_u16 v20, v45 offset:256
	;; [unrolled: 1-line block ×3, first 2 shown]
	s_mov_b32 s63, s57
	v_lshl_add_u64 v[18:19], s[62:63], 1, v[4:5]
	s_and_saveexec_b64 s[26:27], s[18:19]
	s_cbranch_execnz .LBB96_94
; %bb.76:                               ;   in Loop: Header=BB96_11 Depth=1
	s_or_b64 exec, exec, s[26:27]
	s_and_saveexec_b64 s[26:27], s[20:21]
	s_cbranch_execnz .LBB96_95
.LBB96_77:                              ;   in Loop: Header=BB96_11 Depth=1
	s_or_b64 exec, exec, s[26:27]
	s_and_saveexec_b64 s[26:27], s[22:23]
	s_cbranch_execnz .LBB96_96
.LBB96_78:                              ;   in Loop: Header=BB96_11 Depth=1
	s_or_b64 exec, exec, s[26:27]
	s_and_saveexec_b64 s[26:27], s[24:25]
	s_cbranch_execz .LBB96_80
.LBB96_79:                              ;   in Loop: Header=BB96_11 Depth=1
	s_waitcnt lgkmcnt(0)
	global_store_short v[18:19], v13, off offset:384
.LBB96_80:                              ;   in Loop: Header=BB96_11 Depth=1
	s_or_b64 exec, exec, s[26:27]
	v_lshl_add_u64 v[18:19], s[62:63], 1, v[6:7]
	s_waitcnt lgkmcnt(0)
	v_mov_b32_e32 v13, 0
	v_mov_b32_e32 v20, 0
	s_waitcnt lgkmcnt(0)
	; wave barrier
	s_and_saveexec_b64 s[26:27], s[18:19]
	s_cbranch_execz .LBB96_82
; %bb.81:                               ;   in Loop: Header=BB96_11 Depth=1
	global_load_ushort v20, v[18:19], off
.LBB96_82:                              ;   in Loop: Header=BB96_11 Depth=1
	s_or_b64 exec, exec, s[26:27]
	s_and_saveexec_b64 s[26:27], s[20:21]
	s_cbranch_execz .LBB96_84
; %bb.83:                               ;   in Loop: Header=BB96_11 Depth=1
	global_load_ushort v13, v[18:19], off offset:128
.LBB96_84:                              ;   in Loop: Header=BB96_11 Depth=1
	s_or_b64 exec, exec, s[26:27]
	v_mov_b32_e32 v21, 0
	v_mov_b32_e32 v22, 0
	s_and_saveexec_b64 s[26:27], s[22:23]
	s_cbranch_execz .LBB96_86
; %bb.85:                               ;   in Loop: Header=BB96_11 Depth=1
	global_load_ushort v22, v[18:19], off offset:256
.LBB96_86:                              ;   in Loop: Header=BB96_11 Depth=1
	s_or_b64 exec, exec, s[26:27]
	s_and_saveexec_b64 s[26:27], s[24:25]
	s_cbranch_execz .LBB96_88
; %bb.87:                               ;   in Loop: Header=BB96_11 Depth=1
	global_load_ushort v21, v[18:19], off offset:384
.LBB96_88:                              ;   in Loop: Header=BB96_11 Depth=1
	s_or_b64 exec, exec, s[26:27]
	s_waitcnt vmcnt(0)
	ds_write_b16 v43, v20
	ds_write_b16 v44, v13 offset:128
	ds_write_b16 v45, v22 offset:256
	;; [unrolled: 1-line block ×3, first 2 shown]
	; wave barrier
	ds_read_b64 v[18:19], v47
	s_waitcnt lgkmcnt(0)
	; wave barrier
	s_waitcnt lgkmcnt(0)
	v_cvt_f32_f16_e32 v13, v19
	v_cvt_f32_f16_e32 v24, v18
	v_cvt_f32_f16_sdwa v23, v18 dst_sel:DWORD dst_unused:UNUSED_PAD src0_sel:WORD_1
	v_mul_f32_e32 v20, 0xbfb8aa3b, v13
	v_rndne_f32_e32 v21, v20
	v_fma_mix_f32 v22, v19, s93, -v20 op_sel_hi:[1,0,0]
	v_sub_f32_e32 v20, v20, v21
	v_fma_mix_f32 v22, v19, s94, v22 op_sel_hi:[1,0,0]
	v_cvt_i32_f32_e32 v21, v21
	v_add_f32_e32 v20, v20, v22
	v_exp_f32_e32 v20, v20
	v_cvt_f32_f16_sdwa v22, v19 dst_sel:DWORD dst_unused:UNUSED_PAD src0_sel:WORD_1
	v_cmp_nlt_f32_e32 vcc, s95, v13
	v_ldexp_f32 v20, v20, v21
	v_mul_f32_e32 v21, 0xbfb8aa3b, v22
	v_rndne_f32_e32 v25, v21
	v_sub_f32_e32 v26, v21, v25
	v_fma_mix_f32 v21, v19, s93, -v21 op_sel:[1,0,0] op_sel_hi:[1,0,0]
	v_cndmask_b32_e32 v20, 0, v20, vcc
	v_fma_mix_f32 v19, v19, s94, v21 op_sel:[1,0,0] op_sel_hi:[1,0,0]
	v_cvt_i32_f32_e32 v21, v25
	v_add_f32_e32 v19, v26, v19
	v_exp_f32_e32 v19, v19
	v_cmp_ngt_f32_e32 vcc, s96, v13
	v_ldexp_f32 v19, v19, v21
	v_mul_f32_e32 v21, 0xbfb8aa3b, v24
	v_rndne_f32_e32 v25, v21
	v_sub_f32_e32 v26, v21, v25
	v_fma_mix_f32 v21, v18, s93, -v21 op_sel_hi:[1,0,0]
	v_cvt_i32_f32_e32 v25, v25
	v_fma_mix_f32 v21, v18, s94, v21 op_sel_hi:[1,0,0]
	v_cndmask_b32_e32 v20, v54, v20, vcc
	v_add_f32_e32 v21, v26, v21
	v_exp_f32_e32 v26, v21
	v_cmp_nlt_f32_e32 vcc, s95, v22
	s_nop 1
	v_cndmask_b32_e32 v19, 0, v19, vcc
	v_cmp_ngt_f32_e32 vcc, s96, v22
	s_nop 1
	v_cndmask_b32_e32 v21, v54, v19, vcc
	v_ldexp_f32 v19, v26, v25
	v_mul_f32_e32 v25, 0xbfb8aa3b, v23
	v_rndne_f32_e32 v26, v25
	v_sub_f32_e32 v27, v25, v26
	v_fma_mix_f32 v25, v18, s93, -v25 op_sel:[1,0,0] op_sel_hi:[1,0,0]
	v_cvt_i32_f32_e32 v26, v26
	v_fma_mix_f32 v18, v18, s94, v25 op_sel:[1,0,0] op_sel_hi:[1,0,0]
	v_cmp_nlt_f32_e32 vcc, s95, v24
	v_add_f32_e32 v18, v27, v18
	v_exp_f32_e32 v25, v18
	v_pk_add_f32 v[20:21], v[20:21], 1.0 op_sel_hi:[1,0]
	v_cndmask_b32_e32 v18, 0, v19, vcc
	v_cmp_ngt_f32_e32 vcc, s96, v24
	v_ldexp_f32 v19, v25, v26
	v_div_scale_f32 v25, s[26:27], v21, v21, v22
	v_rcp_f32_e32 v26, v25
	v_cndmask_b32_e32 v18, v54, v18, vcc
	v_cmp_nlt_f32_e32 vcc, s95, v23
	v_fma_f32 v27, -v25, v26, 1.0
	s_nop 0
	v_cndmask_b32_e32 v19, 0, v19, vcc
	v_cmp_ngt_f32_e32 vcc, s96, v23
	v_fmac_f32_e32 v26, v27, v26
	s_nop 0
	v_cndmask_b32_e32 v19, v54, v19, vcc
	v_div_scale_f32 v27, vcc, v22, v21, v22
	v_mul_f32_e32 v28, v27, v26
	v_fma_f32 v29, -v25, v28, v27
	v_fmac_f32_e32 v28, v29, v26
	v_fma_f32 v25, -v25, v28, v27
	v_div_scale_f32 v27, s[26:27], v20, v20, v13
	v_rcp_f32_e32 v29, v27
	v_div_fmas_f32 v25, v25, v26, v28
	v_div_fixup_f32 v21, v25, v21, v22
	v_pk_add_f32 v[18:19], v[18:19], 1.0 op_sel_hi:[1,0]
	v_fma_f32 v22, -v27, v29, 1.0
	v_fmac_f32_e32 v29, v22, v29
	v_div_scale_f32 v22, vcc, v13, v20, v13
	v_mul_f32_e32 v25, v22, v29
	v_fma_f32 v26, -v27, v25, v22
	v_fmac_f32_e32 v25, v26, v29
	v_div_scale_f32 v26, s[26:27], v19, v19, v23
	v_fma_f32 v22, -v27, v25, v22
	v_rcp_f32_e32 v27, v26
	v_div_fmas_f32 v22, v22, v29, v25
	v_div_fixup_f32 v20, v22, v20, v13
	v_pk_mul_f32 v[14:15], v[14:15], v[20:21]
	v_fma_f32 v13, -v26, v27, 1.0
	v_fmac_f32_e32 v27, v13, v27
	v_div_scale_f32 v13, vcc, v23, v19, v23
	v_mul_f32_e32 v22, v13, v27
	v_fma_f32 v25, -v26, v22, v13
	v_fmac_f32_e32 v22, v25, v27
	v_div_scale_f32 v25, s[26:27], v18, v18, v24
	v_fma_f32 v13, -v26, v22, v13
	v_rcp_f32_e32 v26, v25
	v_div_fmas_f32 v13, v13, v27, v22
	v_div_fixup_f32 v19, v13, v19, v23
	v_cvt_f16_f32_e32 v14, v14
	v_fma_f32 v13, -v25, v26, 1.0
	v_fmac_f32_e32 v26, v13, v26
	v_div_scale_f32 v13, vcc, v24, v18, v24
	v_mul_f32_e32 v22, v13, v26
	v_fma_f32 v23, -v25, v22, v13
	v_fmac_f32_e32 v22, v23, v26
	v_fma_f32 v13, -v25, v22, v13
	v_div_fmas_f32 v13, v13, v26, v22
	v_div_fixup_f32 v18, v13, v18, v24
	v_pk_mul_f32 v[16:17], v[16:17], v[18:19]
	v_cvt_f16_f32_e32 v13, v15
	v_cvt_f16_f32_e32 v17, v17
	;; [unrolled: 1-line block ×3, first 2 shown]
	v_pack_b32_f16 v15, v14, v13
	v_pack_b32_f16 v14, v16, v17
	ds_write_b64 v47, v[14:15]
	; wave barrier
	ds_read_u16 v17, v44 offset:128
	ds_read_u16 v16, v45 offset:256
	;; [unrolled: 1-line block ×3, first 2 shown]
	v_lshl_add_u64 v[14:15], s[62:63], 1, v[8:9]
	s_and_saveexec_b64 s[26:27], s[18:19]
	s_cbranch_execnz .LBB96_97
; %bb.89:                               ;   in Loop: Header=BB96_11 Depth=1
	s_or_b64 exec, exec, s[26:27]
	s_and_saveexec_b64 s[18:19], s[20:21]
	s_cbranch_execnz .LBB96_98
.LBB96_90:                              ;   in Loop: Header=BB96_11 Depth=1
	s_or_b64 exec, exec, s[18:19]
	s_and_saveexec_b64 s[18:19], s[22:23]
	s_cbranch_execnz .LBB96_99
.LBB96_91:                              ;   in Loop: Header=BB96_11 Depth=1
	s_or_b64 exec, exec, s[18:19]
	s_and_saveexec_b64 s[18:19], s[24:25]
	s_cbranch_execz .LBB96_10
	s_branch .LBB96_100
.LBB96_92:                              ;   in Loop: Header=BB96_11 Depth=1
	global_load_ushort v19, v[16:17], off offset:128
	s_or_b64 exec, exec, s[26:27]
	s_and_saveexec_b64 s[26:27], s[22:23]
	s_cbranch_execz .LBB96_23
.LBB96_93:                              ;   in Loop: Header=BB96_11 Depth=1
	global_load_ushort v18, v[16:17], off offset:256
	s_or_b64 exec, exec, s[26:27]
	v_mov_b32_e32 v20, 0
	s_and_saveexec_b64 s[26:27], s[24:25]
	s_cbranch_execnz .LBB96_24
	s_branch .LBB96_25
.LBB96_94:                              ;   in Loop: Header=BB96_11 Depth=1
	ds_read_u16 v22, v43
	s_waitcnt lgkmcnt(0)
	global_store_short v[18:19], v22, off
	s_or_b64 exec, exec, s[26:27]
	s_and_saveexec_b64 s[26:27], s[20:21]
	s_cbranch_execz .LBB96_77
.LBB96_95:                              ;   in Loop: Header=BB96_11 Depth=1
	s_waitcnt lgkmcnt(2)
	global_store_short v[18:19], v21, off offset:128
	s_or_b64 exec, exec, s[26:27]
	s_and_saveexec_b64 s[26:27], s[22:23]
	s_cbranch_execz .LBB96_78
.LBB96_96:                              ;   in Loop: Header=BB96_11 Depth=1
	s_waitcnt lgkmcnt(1)
	global_store_short v[18:19], v20, off offset:256
	s_or_b64 exec, exec, s[26:27]
	s_and_saveexec_b64 s[26:27], s[24:25]
	s_cbranch_execnz .LBB96_79
	s_branch .LBB96_80
.LBB96_97:                              ;   in Loop: Header=BB96_11 Depth=1
	ds_read_u16 v18, v43
	s_waitcnt lgkmcnt(0)
	global_store_short v[14:15], v18, off
	s_or_b64 exec, exec, s[26:27]
	s_and_saveexec_b64 s[18:19], s[20:21]
	s_cbranch_execz .LBB96_90
.LBB96_98:                              ;   in Loop: Header=BB96_11 Depth=1
	s_waitcnt lgkmcnt(2)
	global_store_short v[14:15], v17, off offset:128
	s_or_b64 exec, exec, s[18:19]
	s_and_saveexec_b64 s[18:19], s[22:23]
	s_cbranch_execz .LBB96_91
.LBB96_99:                              ;   in Loop: Header=BB96_11 Depth=1
	s_waitcnt lgkmcnt(1)
	global_store_short v[14:15], v16, off offset:256
	s_or_b64 exec, exec, s[18:19]
	s_and_saveexec_b64 s[18:19], s[24:25]
	s_cbranch_execz .LBB96_10
.LBB96_100:                             ;   in Loop: Header=BB96_11 Depth=1
	s_waitcnt lgkmcnt(0)
	global_store_short v[14:15], v13, off offset:384
	s_branch .LBB96_10
.LBB96_101:
	s_endpgm
.LBB96_102:
	s_mov_b64 s[38:39], 0
	s_load_dwordx2 s[6:7], s[0:1], 0x20
	s_cmp_eq_u64 s[4:5], 0
	s_cbranch_scc0 .LBB96_2
	s_branch .LBB96_3
	.section	.rodata,"a",@progbits
	.p2align	6, 0x0
	.amdhsa_kernel _Z25selective_scan_fwd_kernelI32Selective_Scan_fwd_kernel_traitsILi64ELi4ELi1ELb1ELb1ELb1ELb1ELb1EN3c104HalfEffEEv13SSMParamsBase
		.amdhsa_group_segment_fixed_size 0
		.amdhsa_private_segment_fixed_size 0
		.amdhsa_kernarg_size 248
		.amdhsa_user_sgpr_count 2
		.amdhsa_user_sgpr_dispatch_ptr 0
		.amdhsa_user_sgpr_queue_ptr 0
		.amdhsa_user_sgpr_kernarg_segment_ptr 1
		.amdhsa_user_sgpr_dispatch_id 0
		.amdhsa_user_sgpr_kernarg_preload_length 0
		.amdhsa_user_sgpr_kernarg_preload_offset 0
		.amdhsa_user_sgpr_private_segment_size 0
		.amdhsa_uses_dynamic_stack 0
		.amdhsa_enable_private_segment 0
		.amdhsa_system_sgpr_workgroup_id_x 1
		.amdhsa_system_sgpr_workgroup_id_y 1
		.amdhsa_system_sgpr_workgroup_id_z 0
		.amdhsa_system_sgpr_workgroup_info 0
		.amdhsa_system_vgpr_workitem_id 0
		.amdhsa_next_free_vgpr 66
		.amdhsa_next_free_sgpr 99
		.amdhsa_accum_offset 68
		.amdhsa_reserve_vcc 1
		.amdhsa_float_round_mode_32 0
		.amdhsa_float_round_mode_16_64 0
		.amdhsa_float_denorm_mode_32 3
		.amdhsa_float_denorm_mode_16_64 3
		.amdhsa_dx10_clamp 1
		.amdhsa_ieee_mode 1
		.amdhsa_fp16_overflow 0
		.amdhsa_tg_split 0
		.amdhsa_exception_fp_ieee_invalid_op 0
		.amdhsa_exception_fp_denorm_src 0
		.amdhsa_exception_fp_ieee_div_zero 0
		.amdhsa_exception_fp_ieee_overflow 0
		.amdhsa_exception_fp_ieee_underflow 0
		.amdhsa_exception_fp_ieee_inexact 0
		.amdhsa_exception_int_div_zero 0
	.end_amdhsa_kernel
	.section	.text._Z25selective_scan_fwd_kernelI32Selective_Scan_fwd_kernel_traitsILi64ELi4ELi1ELb1ELb1ELb1ELb1ELb1EN3c104HalfEffEEv13SSMParamsBase,"axG",@progbits,_Z25selective_scan_fwd_kernelI32Selective_Scan_fwd_kernel_traitsILi64ELi4ELi1ELb1ELb1ELb1ELb1ELb1EN3c104HalfEffEEv13SSMParamsBase,comdat
.Lfunc_end96:
	.size	_Z25selective_scan_fwd_kernelI32Selective_Scan_fwd_kernel_traitsILi64ELi4ELi1ELb1ELb1ELb1ELb1ELb1EN3c104HalfEffEEv13SSMParamsBase, .Lfunc_end96-_Z25selective_scan_fwd_kernelI32Selective_Scan_fwd_kernel_traitsILi64ELi4ELi1ELb1ELb1ELb1ELb1ELb1EN3c104HalfEffEEv13SSMParamsBase
                                        ; -- End function
	.section	.AMDGPU.csdata,"",@progbits
; Kernel info:
; codeLenInByte = 7280
; NumSgprs: 105
; NumVgprs: 66
; NumAgprs: 0
; TotalNumVgprs: 66
; ScratchSize: 0
; MemoryBound: 0
; FloatMode: 240
; IeeeMode: 1
; LDSByteSize: 0 bytes/workgroup (compile time only)
; SGPRBlocks: 13
; VGPRBlocks: 8
; NumSGPRsForWavesPerEU: 105
; NumVGPRsForWavesPerEU: 66
; AccumOffset: 68
; Occupancy: 7
; WaveLimiterHint : 1
; COMPUTE_PGM_RSRC2:SCRATCH_EN: 0
; COMPUTE_PGM_RSRC2:USER_SGPR: 2
; COMPUTE_PGM_RSRC2:TRAP_HANDLER: 0
; COMPUTE_PGM_RSRC2:TGID_X_EN: 1
; COMPUTE_PGM_RSRC2:TGID_Y_EN: 1
; COMPUTE_PGM_RSRC2:TGID_Z_EN: 0
; COMPUTE_PGM_RSRC2:TIDIG_COMP_CNT: 0
; COMPUTE_PGM_RSRC3_GFX90A:ACCUM_OFFSET: 16
; COMPUTE_PGM_RSRC3_GFX90A:TG_SPLIT: 0
	.section	.text._Z25selective_scan_fwd_kernelI32Selective_Scan_fwd_kernel_traitsILi64ELi4ELi1ELb1ELb1ELb1ELb1ELb0EN3c104HalfEffEEv13SSMParamsBase,"axG",@progbits,_Z25selective_scan_fwd_kernelI32Selective_Scan_fwd_kernel_traitsILi64ELi4ELi1ELb1ELb1ELb1ELb1ELb0EN3c104HalfEffEEv13SSMParamsBase,comdat
	.protected	_Z25selective_scan_fwd_kernelI32Selective_Scan_fwd_kernel_traitsILi64ELi4ELi1ELb1ELb1ELb1ELb1ELb0EN3c104HalfEffEEv13SSMParamsBase ; -- Begin function _Z25selective_scan_fwd_kernelI32Selective_Scan_fwd_kernel_traitsILi64ELi4ELi1ELb1ELb1ELb1ELb1ELb0EN3c104HalfEffEEv13SSMParamsBase
	.globl	_Z25selective_scan_fwd_kernelI32Selective_Scan_fwd_kernel_traitsILi64ELi4ELi1ELb1ELb1ELb1ELb1ELb0EN3c104HalfEffEEv13SSMParamsBase
	.p2align	8
	.type	_Z25selective_scan_fwd_kernelI32Selective_Scan_fwd_kernel_traitsILi64ELi4ELi1ELb1ELb1ELb1ELb1ELb0EN3c104HalfEffEEv13SSMParamsBase,@function
_Z25selective_scan_fwd_kernelI32Selective_Scan_fwd_kernel_traitsILi64ELi4ELi1ELb1ELb1ELb1ELb1ELb0EN3c104HalfEffEEv13SSMParamsBase: ; @_Z25selective_scan_fwd_kernelI32Selective_Scan_fwd_kernel_traitsILi64ELi4ELi1ELb1ELb1ELb1ELb1ELb0EN3c104HalfEffEEv13SSMParamsBase
; %bb.0:
	s_load_dword s35, s[0:1], 0x18
	s_load_dwordx4 s[4:7], s[0:1], 0xe8
	s_mov_b32 s56, s3
	s_waitcnt lgkmcnt(0)
	s_abs_i32 s34, s35
	v_cvt_f32_u32_e32 v1, s34
	s_cmp_eq_u64 s[6:7], 0
	v_rcp_iflag_f32_e32 v1, v1
	s_nop 0
	v_mul_f32_e32 v1, 0x4f7ffffe, v1
	v_cvt_u32_f32_e32 v1, v1
	s_nop 0
	v_readfirstlane_b32 s20, v1
	s_cbranch_scc1 .LBB97_3
; %bb.1:
	s_ashr_i32 s3, s2, 31
	s_add_u32 s6, s6, s2
	s_addc_u32 s7, s7, s3
	v_mov_b32_e32 v1, 0
	global_load_ubyte v1, v1, s[6:7]
	s_waitcnt vmcnt(0)
	v_and_b32_e32 v1, 1, v1
	v_cmp_eq_u32_e64 s[28:29], 1, v1
	s_load_dwordx2 s[6:7], s[0:1], 0x20
	s_cmp_eq_u64 s[4:5], 0
	s_cbranch_scc1 .LBB97_4
.LBB97_2:
	s_ashr_i32 s3, s2, 31
	s_lshl_b64 s[8:9], s[2:3], 2
	s_add_u32 s4, s4, s8
	s_addc_u32 s5, s5, s9
	s_load_dword s52, s[4:5], 0x0
	s_waitcnt lgkmcnt(0)
	s_ashr_i32 s53, s52, 31
	s_cmp_eq_u64 s[6:7], s[52:53]
	s_cbranch_scc0 .LBB97_5
	s_branch .LBB97_50
.LBB97_3:
	s_mov_b64 s[28:29], 0
	s_load_dwordx2 s[6:7], s[0:1], 0x20
	s_cmp_eq_u64 s[4:5], 0
	s_cbranch_scc0 .LBB97_2
.LBB97_4:
	s_mov_b32 s52, s2
	s_ashr_i32 s53, s52, 31
	s_waitcnt lgkmcnt(0)
	s_cmp_eq_u64 s[6:7], s[52:53]
	s_cbranch_scc1 .LBB97_50
.LBB97_5:
	s_load_dwordx16 s[4:19], s[0:1], 0x88
	s_load_dwordx2 s[30:31], s[0:1], 0x8
	s_mov_b32 s33, 0
	s_mov_b32 s70, 0
	s_waitcnt lgkmcnt(0)
	s_cmp_eq_u64 s[10:11], 0
	s_cbranch_scc1 .LBB97_7
; %bb.6:
	s_ashr_i32 s57, s56, 31
	s_lshl_b64 s[22:23], s[56:57], 2
	s_add_u32 s10, s10, s22
	s_addc_u32 s11, s11, s23
	s_load_dword s70, s[10:11], 0x0
.LBB97_7:
	s_cmp_eq_u64 s[16:17], 0
	s_cbranch_scc1 .LBB97_9
; %bb.8:
	s_ashr_i32 s57, s56, 31
	s_lshl_b64 s[10:11], s[56:57], 2
	s_add_u32 s10, s16, s10
	s_addc_u32 s11, s17, s11
	s_load_dword s33, s[10:11], 0x0
.LBB97_9:
	s_cmp_lt_i32 s30, 1
	s_cbranch_scc1 .LBB97_50
; %bb.10:
	s_sub_i32 s3, 0, s34
	s_mul_i32 s3, s3, s20
	s_mul_hi_u32 s3, s20, s3
	s_load_dwordx8 s[36:43], s[0:1], 0x2c
	s_load_dwordx2 s[16:17], s[0:1], 0x7c
	s_load_dwordx4 s[24:27], s[0:1], 0x6c
	s_load_dwordx8 s[44:51], s[0:1], 0x4c
	s_load_dwordx2 s[10:11], s[0:1], 0xd8
	s_waitcnt lgkmcnt(0)
	s_abs_i32 s39, s56
	s_add_i32 s3, s20, s3
	s_load_dwordx4 s[20:23], s[0:1], 0xc8
	s_load_dword s71, s[0:1], 0x84
	s_mul_hi_u32 s3, s39, s3
	s_load_dword s53, s[0:1], 0x28
	s_ashr_i32 s0, s56, 31
	s_ashr_i32 s1, s35, 31
	s_xor_b32 s0, s0, s1
	s_mul_i32 s1, s3, s34
	s_sub_i32 s1, s39, s1
	s_add_i32 s35, s3, 1
	s_sub_i32 s39, s1, s34
	s_cmp_ge_u32 s1, s34
	s_cselect_b32 s3, s35, s3
	s_cselect_b32 s1, s39, s1
	s_add_i32 s35, s3, 1
	s_cmp_ge_u32 s1, s34
	s_cselect_b32 s1, s35, s3
	s_xor_b32 s1, s1, s0
	s_mul_i32 s34, s46, s2
	s_mov_b32 s35, 0
	s_sub_i32 s3, s1, s0
	s_lshl_b64 s[0:1], s[34:35], 1
	s_add_u32 s12, s12, s0
	s_mul_i32 s34, s47, s56
	s_addc_u32 s13, s13, s1
	s_lshl_b64 s[0:1], s[34:35], 1
	s_add_u32 s46, s12, s0
	s_mul_i32 s34, s48, s2
	s_addc_u32 s47, s13, s1
	;; [unrolled: 4-line block ×9, first 2 shown]
	s_lshl_b64 s[0:1], s[34:35], 2
	s_waitcnt lgkmcnt(0)
	s_add_u32 s3, s20, s0
	s_mul_i32 s34, s17, s56
	s_addc_u32 s4, s21, s1
	s_lshl_b64 s[0:1], s[34:35], 2
	s_add_u32 s41, s3, s0
	s_addc_u32 s45, s4, s1
	s_add_i32 s0, s30, 0x7ff
	s_lshr_b32 s73, s0, 11
	s_bitcmp1_b32 s53, 0
	s_cselect_b64 s[52:53], -1, 0
	s_cmp_gt_i32 s31, 0
	s_mul_i32 s34, s24, s2
	s_cselect_b64 s[54:55], -1, 0
	s_and_b32 s12, s30, 0xff
	s_add_i32 s74, s73, -1
	s_lshl_b64 s[4:5], s[34:35], 1
	s_add_u32 s3, s18, s4
	s_mul_i32 s34, s25, s56
	s_addc_u32 s7, s19, s5
	s_lshl_b64 s[4:5], s[34:35], 1
	s_add_u32 s6, s3, s4
	s_mul_i32 s34, s26, s2
	s_addc_u32 s7, s7, s5
	s_lshl_b64 s[4:5], s[34:35], 1
	s_add_u32 s3, s10, s4
	s_mul_i32 s34, s27, s56
	s_addc_u32 s9, s11, s5
	s_lshl_b64 s[4:5], s[34:35], 1
	s_add_u32 s8, s3, s4
	s_mul_i32 s34, s50, s2
	s_addc_u32 s9, s9, s5
	s_lshl_b64 s[2:3], s[34:35], 1
	s_add_u32 s4, s22, s2
	s_mul_i32 s34, s51, s56
	s_addc_u32 s5, s23, s3
	s_lshl_b64 s[2:3], s[34:35], 1
	s_add_u32 s10, s4, s2
	v_mov_b32_e32 v3, 0
	s_addc_u32 s11, s5, s3
	v_lshlrev_b32_e32 v2, 3, v0
	s_cmp_eq_u32 s12, 0
	v_lshlrev_b32_e32 v11, 2, v0
	v_lshl_add_u64 v[4:5], s[6:7], 0, v[2:3]
	v_lshl_add_u64 v[6:7], s[10:11], 0, v[2:3]
	v_lshl_add_u64 v[8:9], s[8:9], 0, v[2:3]
                                        ; implicit-def: $vgpr2
	v_mbcnt_lo_u32_b32 v13, -1, 0
	v_cmp_gt_u32_e64 s[0:1], 64, v0
	s_cselect_b64 s[50:51], -1, 0
	v_cmp_eq_u32_e64 s[2:3], 63, v0
	v_cmp_eq_u32_e64 s[4:5], 0, v0
	v_or_b32_e32 v1, 1, v11
	v_or_b32_e32 v10, 2, v11
	;; [unrolled: 1-line block ×3, first 2 shown]
	s_mov_b32 s75, 0x41a00000
	s_mov_b32 s76, 0x3fb8aa3b
	;; [unrolled: 1-line block ×6, first 2 shown]
	v_mov_b32_e32 v47, 0x3ecc95a3
	s_mov_b32 s81, 0x3f317218
	s_mov_b32 s82, 0x33800000
	s_add_i32 s83, 0, 0x428
	s_mov_b32 s84, 0xc2fc0000
	s_mov_b32 s85, 0xbfb8aa3b
	;; [unrolled: 1-line block ×5, first 2 shown]
	v_lshlrev_b32_e32 v2, 3, v0
	v_mov_b32_e32 v0, 0x7f800000
	v_mov_b32_e32 v12, 0x3f317218
	v_mbcnt_hi_u32_b32 v48, -1, v13
	v_mov_b32_e32 v49, 0x42800000
	v_mov_b32_e32 v50, 0x1f800000
	s_mov_b32 s89, 0
                                        ; implicit-def: $vgpr53
                                        ; implicit-def: $vgpr17
                                        ; implicit-def: $vgpr51
                                        ; implicit-def: $vgpr14
                                        ; implicit-def: $vgpr52
                                        ; implicit-def: $vgpr54
                                        ; implicit-def: $vgpr18_vgpr19
	s_branch .LBB97_12
.LBB97_11:                              ;   in Loop: Header=BB97_12 Depth=1
	s_or_b64 exec, exec, s[6:7]
	s_waitcnt vmcnt(0)
	v_cvt_f32_f16_e32 v13, v19
	v_cvt_f32_f16_sdwa v29, v19 dst_sel:DWORD dst_unused:UNUSED_PAD src0_sel:WORD_1
	v_cvt_f32_f16_e32 v30, v18
	v_cvt_f32_f16_sdwa v28, v18 dst_sel:DWORD dst_unused:UNUSED_PAD src0_sel:WORD_1
	v_mul_f32_e32 v24, 0xbfb8aa3b, v13
	v_rndne_f32_e32 v25, v24
	v_sub_f32_e32 v26, v24, v25
	v_fma_mix_f32 v24, v19, s85, -v24 op_sel_hi:[1,0,0]
	v_cvt_i32_f32_e32 v25, v25
	v_fma_mix_f32 v24, v19, s86, v24 op_sel_hi:[1,0,0]
	v_cmp_nlt_f32_e32 vcc, s87, v13
	v_add_f32_e32 v24, v26, v24
	v_exp_f32_e32 v24, v24
	s_add_u32 s48, s48, 0x200
	s_addc_u32 s49, s49, 0
	s_add_u32 s46, s46, 0x200
	v_ldexp_f32 v24, v24, v25
	v_mul_f32_e32 v25, 0xbfb8aa3b, v29
	v_rndne_f32_e32 v26, v25
	v_sub_f32_e32 v27, v25, v26
	v_fma_mix_f32 v25, v19, s85, -v25 op_sel:[1,0,0] op_sel_hi:[1,0,0]
	v_cvt_i32_f32_e32 v26, v26
	v_fma_mix_f32 v25, v19, s86, v25 op_sel:[1,0,0] op_sel_hi:[1,0,0]
	v_cndmask_b32_e32 v24, 0, v24, vcc
	v_add_f32_e32 v25, v27, v25
	v_exp_f32_e32 v25, v25
	v_cmp_ngt_f32_e32 vcc, s88, v13
	s_addc_u32 s47, s47, 0
	s_add_u32 s38, s38, 0x200
	v_ldexp_f32 v25, v25, v26
	v_mul_f32_e32 v26, 0xbfb8aa3b, v30
	v_rndne_f32_e32 v27, v26
	v_sub_f32_e32 v31, v26, v27
	v_fma_mix_f32 v26, v18, s85, -v26 op_sel_hi:[1,0,0]
	v_cvt_i32_f32_e32 v27, v27
	v_fma_mix_f32 v26, v18, s86, v26 op_sel_hi:[1,0,0]
	v_cndmask_b32_e32 v24, v0, v24, vcc
	v_add_f32_e32 v26, v31, v26
	v_exp_f32_e32 v26, v26
	v_cmp_nlt_f32_e32 vcc, s87, v29
	s_addc_u32 s39, s39, 0
	s_add_u32 s42, s42, 0x200
	v_ldexp_f32 v26, v26, v27
	v_mul_f32_e32 v27, 0xbfb8aa3b, v28
	v_rndne_f32_e32 v31, v27
	v_sub_f32_e32 v32, v27, v31
	v_fma_mix_f32 v27, v18, s85, -v27 op_sel:[1,0,0] op_sel_hi:[1,0,0]
	v_cvt_i32_f32_e32 v31, v31
	v_fma_mix_f32 v27, v18, s86, v27 op_sel:[1,0,0] op_sel_hi:[1,0,0]
	v_cndmask_b32_e32 v25, 0, v25, vcc
	v_add_f32_e32 v27, v32, v27
	v_exp_f32_e32 v27, v27
	v_cmp_ngt_f32_e32 vcc, s88, v29
	s_addc_u32 s43, s43, 0
	s_add_i32 s89, s89, 1
	v_cndmask_b32_e32 v25, v0, v25, vcc
	v_pk_add_f32 v[24:25], v[24:25], 1.0 op_sel_hi:[1,0]
	v_ldexp_f32 v27, v27, v31
	v_div_scale_f32 v31, s[6:7], v25, v25, v29
	v_rcp_f32_e32 v32, v31
	v_cmp_nlt_f32_e32 vcc, s87, v30
	s_cmp_eq_u32 s89, s73
	s_nop 0
	v_cndmask_b32_e32 v26, 0, v26, vcc
	v_cmp_ngt_f32_e32 vcc, s88, v30
	v_fma_f32 v33, -v31, v32, 1.0
	v_fmac_f32_e32 v32, v33, v32
	v_cndmask_b32_e32 v26, v0, v26, vcc
	v_cmp_nlt_f32_e32 vcc, s87, v28
	; wave barrier
	s_nop 1
	v_cndmask_b32_e32 v27, 0, v27, vcc
	v_cmp_ngt_f32_e32 vcc, s88, v28
	s_nop 1
	v_cndmask_b32_e32 v27, v0, v27, vcc
	v_div_scale_f32 v33, vcc, v29, v25, v29
	v_mul_f32_e32 v34, v33, v32
	v_fma_f32 v35, -v31, v34, v33
	v_fmac_f32_e32 v34, v35, v32
	v_fma_f32 v31, -v31, v34, v33
	v_div_scale_f32 v33, s[6:7], v24, v24, v13
	v_rcp_f32_e32 v35, v33
	v_div_fmas_f32 v31, v31, v32, v34
	v_div_fixup_f32 v25, v31, v25, v29
	v_pk_add_f32 v[26:27], v[26:27], 1.0 op_sel_hi:[1,0]
	v_fma_f32 v29, -v33, v35, 1.0
	v_fmac_f32_e32 v35, v29, v35
	v_div_scale_f32 v29, vcc, v13, v24, v13
	v_mul_f32_e32 v31, v29, v35
	v_fma_f32 v32, -v33, v31, v29
	v_fmac_f32_e32 v31, v32, v35
	v_div_scale_f32 v32, s[6:7], v27, v27, v28
	v_fma_f32 v29, -v33, v31, v29
	v_rcp_f32_e32 v33, v32
	v_div_fmas_f32 v29, v29, v35, v31
	v_div_fixup_f32 v24, v29, v24, v13
	v_pk_mul_f32 v[20:21], v[20:21], v[24:25]
	v_fma_f32 v13, -v32, v33, 1.0
	v_fmac_f32_e32 v33, v13, v33
	v_div_scale_f32 v13, vcc, v28, v27, v28
	v_mul_f32_e32 v29, v13, v33
	v_fma_f32 v31, -v32, v29, v13
	v_fmac_f32_e32 v29, v31, v33
	v_div_scale_f32 v31, s[6:7], v26, v26, v30
	v_fma_f32 v13, -v32, v29, v13
	v_rcp_f32_e32 v32, v31
	v_div_fmas_f32 v13, v13, v33, v29
	v_div_fixup_f32 v27, v13, v27, v28
	v_cvt_f16_f32_e32 v24, v20
	v_fma_f32 v13, -v31, v32, 1.0
	v_fmac_f32_e32 v32, v13, v32
	v_div_scale_f32 v13, vcc, v30, v26, v30
	v_mul_f32_e32 v28, v13, v32
	v_fma_f32 v29, -v31, v28, v13
	v_fmac_f32_e32 v28, v29, v32
	v_fma_f32 v13, -v31, v28, v13
	v_div_fmas_f32 v13, v13, v32, v28
	v_div_fixup_f32 v26, v13, v26, v30
	v_pk_mul_f32 v[22:23], v[22:23], v[26:27]
	v_cvt_f16_f32_e32 v13, v21
	v_cvt_f16_f32_e32 v25, v23
	;; [unrolled: 1-line block ×3, first 2 shown]
	v_lshl_add_u64 v[20:21], s[56:57], 1, v[8:9]
	v_pack_b32_f16 v23, v24, v13
	v_pack_b32_f16 v22, v22, v25
	global_store_dwordx2 v[20:21], v[22:23], off
	s_cbranch_scc1 .LBB97_50
.LBB97_12:                              ; =>This Loop Header: Depth=1
                                        ;     Child Loop BB97_25 Depth 2
	s_waitcnt lgkmcnt(0)
	; wave barrier
	s_and_saveexec_b64 s[6:7], s[0:1]
	s_cbranch_execz .LBB97_14
; %bb.13:                               ;   in Loop: Header=BB97_12 Depth=1
	global_load_dwordx2 v[14:15], v2, s[46:47]
	global_load_dwordx2 v[16:17], v2, s[48:49]
	s_waitcnt vmcnt(1)
	v_lshrrev_b32_e32 v52, 16, v14
	v_lshrrev_b32_e32 v54, 16, v15
	s_waitcnt vmcnt(0)
	v_lshrrev_b32_e32 v51, 16, v16
	v_lshrrev_b32_e32 v53, 16, v17
.LBB97_14:                              ;   in Loop: Header=BB97_12 Depth=1
	s_or_b64 exec, exec, s[6:7]
	v_cvt_f32_f16_e32 v13, v16
	v_add_f32_e32 v55, s33, v13
	v_cmp_ge_f32_e32 vcc, s75, v55
	s_and_b64 s[6:7], s[52:53], vcc
	s_and_saveexec_b64 s[8:9], s[6:7]
	s_cbranch_execz .LBB97_16
; %bb.15:                               ;   in Loop: Header=BB97_12 Depth=1
	v_mul_f32_e32 v13, 0x3fb8aa3b, v55
	v_rndne_f32_e32 v20, v13
	v_sub_f32_e32 v21, v13, v20
	v_fma_f32 v13, v55, s76, -v13
	v_fmac_f32_e32 v13, 0x32a5705f, v55
	v_add_f32_e32 v13, v21, v13
	v_cvt_i32_f32_e32 v20, v20
	v_exp_f32_e32 v13, v13
	v_cmp_ngt_f32_e32 vcc, s77, v55
	v_ldexp_f32 v13, v13, v20
	s_nop 0
	v_cndmask_b32_e32 v13, 0, v13, vcc
	v_cmp_nlt_f32_e32 vcc, s78, v55
	s_nop 1
	v_cndmask_b32_e32 v36, v0, v13, vcc
	v_add_f32_e32 v13, 1.0, v36
	v_add_f32_e32 v20, -1.0, v13
	v_sub_f32_e32 v21, v20, v13
	v_add_f32_e32 v21, 1.0, v21
	v_sub_f32_e32 v20, v36, v20
	v_add_f32_e32 v22, v20, v21
	v_frexp_mant_f32_e32 v23, v13
	v_cvt_f64_f32_e32 v[20:21], v13
	v_frexp_exp_i32_f64_e32 v20, v[20:21]
	v_cmp_gt_f32_e32 vcc, s80, v23
	v_cmp_gt_f32_e64 s[6:7], s82, v36
	s_nop 0
	v_subbrev_co_u32_e32 v28, vcc, 0, v20, vcc
	v_sub_u32_e32 v20, 0, v28
	v_ldexp_f32 v13, v13, v20
	v_ldexp_f32 v20, v22, v20
	v_add_f32_e32 v22, -1.0, v13
	v_add_f32_e32 v21, 1.0, v22
	v_sub_f32_e32 v21, v13, v21
	v_add_f32_e32 v23, v20, v21
	v_add_f32_e32 v21, 1.0, v13
	v_add_f32_e32 v24, -1.0, v21
	v_sub_f32_e32 v13, v13, v24
	v_add_f32_e32 v13, v20, v13
	v_add_f32_e32 v29, v21, v13
	v_rcp_f32_e32 v30, v29
	v_sub_f32_e32 v20, v21, v29
	v_add_f32_e32 v21, v22, v23
	v_add_f32_e32 v13, v13, v20
	v_mul_f32_e32 v32, v21, v30
	v_sub_f32_e32 v20, v22, v21
	v_mul_f32_e32 v22, v29, v32
	v_fma_f32 v24, v32, v29, -v22
	v_fmac_f32_e32 v24, v32, v13
	v_add_f32_e32 v31, v23, v20
	v_add_f32_e32 v20, v22, v24
	v_sub_f32_e32 v23, v21, v20
	v_pk_add_f32 v[26:27], v[20:21], v[22:23] neg_lo:[0,1] neg_hi:[0,1]
	v_mov_b32_e32 v25, v20
	v_pk_add_f32 v[20:21], v[26:27], v[24:25] neg_lo:[0,1] neg_hi:[0,1]
	v_cmp_eq_f32_e32 vcc, s79, v36
	v_add_f32_e32 v21, v31, v21
	v_add_f32_e32 v20, v20, v21
	;; [unrolled: 1-line block ×3, first 2 shown]
	v_mul_f32_e32 v31, v30, v21
	v_mul_f32_e32 v22, v29, v31
	v_fma_f32 v24, v31, v29, -v22
	v_fmac_f32_e32 v24, v31, v13
	v_sub_f32_e32 v13, v23, v21
	v_add_f32_e32 v13, v20, v13
	v_add_f32_e32 v20, v22, v24
	v_sub_f32_e32 v23, v21, v20
	v_pk_add_f32 v[26:27], v[20:21], v[22:23] neg_lo:[0,1] neg_hi:[0,1]
	v_mov_b32_e32 v25, v20
	v_pk_add_f32 v[20:21], v[26:27], v[24:25] neg_lo:[0,1] neg_hi:[0,1]
	s_or_b64 vcc, s[6:7], vcc
	v_add_f32_e32 v13, v13, v21
	v_add_f32_e32 v13, v20, v13
	;; [unrolled: 1-line block ×4, first 2 shown]
	v_sub_f32_e32 v20, v21, v32
	v_mul_f32_e32 v13, v30, v13
	v_sub_f32_e32 v20, v31, v20
	v_add_f32_e32 v22, v20, v13
	v_add_f32_e32 v24, v21, v22
	v_cvt_f32_i32_e32 v20, v28
	v_mul_f32_e32 v25, v24, v24
	v_sub_f32_e32 v21, v24, v21
	v_fmamk_f32 v13, v25, 0x3e9b6dac, v47
	v_sub_f32_e32 v21, v22, v21
	v_fmaak_f32 v13, v25, v13, 0x3f2aaada
	v_ldexp_f32 v26, v21, 1
	v_mul_f32_e32 v21, v24, v25
	v_ldexp_f32 v23, v24, 1
	v_pk_mul_f32 v[24:25], v[20:21], v[12:13]
	s_nop 0
	v_fma_f32 v22, v20, s81, -v24
	v_fmac_f32_e32 v22, 0xb102e308, v20
	v_pk_add_f32 v[20:21], v[24:25], v[22:23]
	s_nop 0
	v_sub_f32_e32 v13, v21, v23
	v_sub_f32_e32 v13, v25, v13
	v_add_f32_e32 v27, v26, v13
	v_mov_b32_e32 v26, v24
	v_pk_add_f32 v[24:25], v[20:21], v[24:25] neg_lo:[0,1] neg_hi:[0,1]
	v_pk_add_f32 v[28:29], v[20:21], v[26:27]
	v_mov_b32_e32 v23, v20
	v_mov_b32_e32 v25, v29
	v_pk_add_f32 v[30:31], v[22:23], v[24:25] neg_lo:[0,1] neg_hi:[0,1]
	v_pk_add_f32 v[22:23], v[22:23], v[24:25]
	v_mov_b32_e32 v26, v27
	v_mov_b32_e32 v24, v23
	v_pk_add_f32 v[32:33], v[24:25], v[20:21] neg_lo:[0,1] neg_hi:[0,1]
	v_mov_b32_e32 v22, v29
	v_mov_b32_e32 v13, v32
	v_pk_add_f32 v[34:35], v[28:29], v[12:13] neg_lo:[0,1] neg_hi:[0,1]
	v_mov_b32_e32 v28, v21
	v_mov_b32_e32 v29, v32
	;; [unrolled: 1-line block ×3, first 2 shown]
	v_pk_add_f32 v[22:23], v[22:23], v[28:29] neg_lo:[0,1] neg_hi:[0,1]
	v_mov_b32_e32 v27, v20
	v_pk_add_f32 v[20:21], v[26:27], v[22:23] neg_lo:[0,1] neg_hi:[0,1]
	v_mov_b32_e32 v34, v30
	v_pk_add_f32 v[22:23], v[34:35], v[20:21]
	s_nop 0
	v_mov_b32_e32 v26, v23
	v_pk_add_f32 v[26:27], v[22:23], v[26:27]
	s_nop 0
	v_pk_add_f32 v[24:25], v[24:25], v[26:27]
	v_mov_b32_e32 v21, v26
	v_mov_b32_e32 v23, v24
	v_pk_add_f32 v[28:29], v[22:23], v[30:31] neg_lo:[0,1] neg_hi:[0,1]
	s_nop 0
	v_sub_f32_e32 v13, v22, v28
	v_pk_add_f32 v[20:21], v[20:21], v[28:29] neg_lo:[0,1] neg_hi:[0,1]
	v_sub_f32_e32 v13, v30, v13
	v_add_f32_e32 v13, v20, v13
	v_add_f32_e32 v13, v13, v21
	;; [unrolled: 1-line block ×3, first 2 shown]
	v_cndmask_b32_e32 v55, v13, v36, vcc
.LBB97_16:                              ;   in Loop: Header=BB97_12 Depth=1
	s_or_b64 exec, exec, s[8:9]
	v_cvt_f32_f16_e32 v13, v51
	v_add_f32_e32 v56, s33, v13
	v_cmp_ge_f32_e32 vcc, s75, v56
	s_and_b64 s[6:7], s[52:53], vcc
	s_and_saveexec_b64 s[8:9], s[6:7]
	s_cbranch_execz .LBB97_18
; %bb.17:                               ;   in Loop: Header=BB97_12 Depth=1
	v_mul_f32_e32 v13, 0x3fb8aa3b, v56
	v_rndne_f32_e32 v20, v13
	v_sub_f32_e32 v21, v13, v20
	v_fma_f32 v13, v56, s76, -v13
	v_fmac_f32_e32 v13, 0x32a5705f, v56
	v_add_f32_e32 v13, v21, v13
	v_cvt_i32_f32_e32 v20, v20
	v_exp_f32_e32 v13, v13
	v_cmp_ngt_f32_e32 vcc, s77, v56
	v_ldexp_f32 v13, v13, v20
	s_nop 0
	v_cndmask_b32_e32 v13, 0, v13, vcc
	v_cmp_nlt_f32_e32 vcc, s78, v56
	s_nop 1
	v_cndmask_b32_e32 v36, v0, v13, vcc
	v_add_f32_e32 v13, 1.0, v36
	v_add_f32_e32 v20, -1.0, v13
	v_sub_f32_e32 v21, v20, v13
	v_add_f32_e32 v21, 1.0, v21
	v_sub_f32_e32 v20, v36, v20
	v_add_f32_e32 v22, v20, v21
	v_frexp_mant_f32_e32 v23, v13
	v_cvt_f64_f32_e32 v[20:21], v13
	v_frexp_exp_i32_f64_e32 v20, v[20:21]
	v_cmp_gt_f32_e32 vcc, s80, v23
	v_cmp_gt_f32_e64 s[6:7], s82, v36
	s_nop 0
	v_subbrev_co_u32_e32 v28, vcc, 0, v20, vcc
	v_sub_u32_e32 v20, 0, v28
	v_ldexp_f32 v13, v13, v20
	v_ldexp_f32 v20, v22, v20
	v_add_f32_e32 v22, -1.0, v13
	v_add_f32_e32 v21, 1.0, v22
	v_sub_f32_e32 v21, v13, v21
	v_add_f32_e32 v23, v20, v21
	v_add_f32_e32 v21, 1.0, v13
	v_add_f32_e32 v24, -1.0, v21
	v_sub_f32_e32 v13, v13, v24
	v_add_f32_e32 v13, v20, v13
	v_add_f32_e32 v29, v21, v13
	v_rcp_f32_e32 v30, v29
	v_sub_f32_e32 v20, v21, v29
	v_add_f32_e32 v21, v22, v23
	v_add_f32_e32 v13, v13, v20
	v_mul_f32_e32 v32, v21, v30
	v_sub_f32_e32 v20, v22, v21
	v_mul_f32_e32 v22, v29, v32
	v_fma_f32 v24, v32, v29, -v22
	v_fmac_f32_e32 v24, v32, v13
	v_add_f32_e32 v31, v23, v20
	v_add_f32_e32 v20, v22, v24
	v_sub_f32_e32 v23, v21, v20
	v_pk_add_f32 v[26:27], v[20:21], v[22:23] neg_lo:[0,1] neg_hi:[0,1]
	v_mov_b32_e32 v25, v20
	v_pk_add_f32 v[20:21], v[26:27], v[24:25] neg_lo:[0,1] neg_hi:[0,1]
	v_cmp_eq_f32_e32 vcc, s79, v36
	v_add_f32_e32 v21, v31, v21
	v_add_f32_e32 v20, v20, v21
	;; [unrolled: 1-line block ×3, first 2 shown]
	v_mul_f32_e32 v31, v30, v21
	v_mul_f32_e32 v22, v29, v31
	v_fma_f32 v24, v31, v29, -v22
	v_fmac_f32_e32 v24, v31, v13
	v_sub_f32_e32 v13, v23, v21
	v_add_f32_e32 v13, v20, v13
	v_add_f32_e32 v20, v22, v24
	v_sub_f32_e32 v23, v21, v20
	v_pk_add_f32 v[26:27], v[20:21], v[22:23] neg_lo:[0,1] neg_hi:[0,1]
	v_mov_b32_e32 v25, v20
	v_pk_add_f32 v[20:21], v[26:27], v[24:25] neg_lo:[0,1] neg_hi:[0,1]
	s_or_b64 vcc, s[6:7], vcc
	v_add_f32_e32 v13, v13, v21
	v_add_f32_e32 v13, v20, v13
	;; [unrolled: 1-line block ×4, first 2 shown]
	v_sub_f32_e32 v20, v21, v32
	v_mul_f32_e32 v13, v30, v13
	v_sub_f32_e32 v20, v31, v20
	v_add_f32_e32 v22, v20, v13
	v_add_f32_e32 v24, v21, v22
	v_cvt_f32_i32_e32 v20, v28
	v_mul_f32_e32 v25, v24, v24
	v_sub_f32_e32 v21, v24, v21
	v_fmamk_f32 v13, v25, 0x3e9b6dac, v47
	v_sub_f32_e32 v21, v22, v21
	v_fmaak_f32 v13, v25, v13, 0x3f2aaada
	v_ldexp_f32 v26, v21, 1
	v_mul_f32_e32 v21, v24, v25
	v_ldexp_f32 v23, v24, 1
	v_pk_mul_f32 v[24:25], v[20:21], v[12:13]
	s_nop 0
	v_fma_f32 v22, v20, s81, -v24
	v_fmac_f32_e32 v22, 0xb102e308, v20
	v_pk_add_f32 v[20:21], v[24:25], v[22:23]
	s_nop 0
	v_sub_f32_e32 v13, v21, v23
	v_sub_f32_e32 v13, v25, v13
	v_add_f32_e32 v27, v26, v13
	v_mov_b32_e32 v26, v24
	v_pk_add_f32 v[24:25], v[20:21], v[24:25] neg_lo:[0,1] neg_hi:[0,1]
	v_pk_add_f32 v[28:29], v[20:21], v[26:27]
	v_mov_b32_e32 v23, v20
	v_mov_b32_e32 v25, v29
	v_pk_add_f32 v[30:31], v[22:23], v[24:25] neg_lo:[0,1] neg_hi:[0,1]
	v_pk_add_f32 v[22:23], v[22:23], v[24:25]
	v_mov_b32_e32 v26, v27
	v_mov_b32_e32 v24, v23
	v_pk_add_f32 v[32:33], v[24:25], v[20:21] neg_lo:[0,1] neg_hi:[0,1]
	v_mov_b32_e32 v22, v29
	v_mov_b32_e32 v13, v32
	v_pk_add_f32 v[34:35], v[28:29], v[12:13] neg_lo:[0,1] neg_hi:[0,1]
	v_mov_b32_e32 v28, v21
	v_mov_b32_e32 v29, v32
	;; [unrolled: 1-line block ×3, first 2 shown]
	v_pk_add_f32 v[22:23], v[22:23], v[28:29] neg_lo:[0,1] neg_hi:[0,1]
	v_mov_b32_e32 v27, v20
	v_pk_add_f32 v[20:21], v[26:27], v[22:23] neg_lo:[0,1] neg_hi:[0,1]
	v_mov_b32_e32 v34, v30
	v_pk_add_f32 v[22:23], v[34:35], v[20:21]
	s_nop 0
	v_mov_b32_e32 v26, v23
	v_pk_add_f32 v[26:27], v[22:23], v[26:27]
	s_nop 0
	v_pk_add_f32 v[24:25], v[24:25], v[26:27]
	v_mov_b32_e32 v21, v26
	v_mov_b32_e32 v23, v24
	v_pk_add_f32 v[28:29], v[22:23], v[30:31] neg_lo:[0,1] neg_hi:[0,1]
	s_nop 0
	v_sub_f32_e32 v13, v22, v28
	v_pk_add_f32 v[20:21], v[20:21], v[28:29] neg_lo:[0,1] neg_hi:[0,1]
	v_sub_f32_e32 v13, v30, v13
	v_add_f32_e32 v13, v20, v13
	v_add_f32_e32 v13, v13, v21
	;; [unrolled: 1-line block ×3, first 2 shown]
	v_cndmask_b32_e32 v56, v13, v36, vcc
.LBB97_18:                              ;   in Loop: Header=BB97_12 Depth=1
	s_or_b64 exec, exec, s[8:9]
	v_cvt_f32_f16_e32 v13, v17
	v_add_f32_e32 v25, s33, v13
	v_cmp_ge_f32_e32 vcc, s75, v25
	s_and_b64 s[6:7], s[52:53], vcc
	s_and_saveexec_b64 s[8:9], s[6:7]
	s_cbranch_execz .LBB97_20
; %bb.19:                               ;   in Loop: Header=BB97_12 Depth=1
	v_mul_f32_e32 v13, 0x3fb8aa3b, v25
	v_rndne_f32_e32 v20, v13
	v_sub_f32_e32 v21, v13, v20
	v_fma_f32 v13, v25, s76, -v13
	v_fmac_f32_e32 v13, 0x32a5705f, v25
	v_add_f32_e32 v13, v21, v13
	v_cvt_i32_f32_e32 v20, v20
	v_exp_f32_e32 v13, v13
	v_cmp_ngt_f32_e32 vcc, s77, v25
	v_ldexp_f32 v13, v13, v20
	s_nop 0
	v_cndmask_b32_e32 v13, 0, v13, vcc
	v_cmp_nlt_f32_e32 vcc, s78, v25
	s_nop 1
	v_cndmask_b32_e32 v36, v0, v13, vcc
	v_add_f32_e32 v13, 1.0, v36
	v_add_f32_e32 v20, -1.0, v13
	v_sub_f32_e32 v21, v20, v13
	v_add_f32_e32 v21, 1.0, v21
	v_sub_f32_e32 v20, v36, v20
	v_add_f32_e32 v22, v20, v21
	v_frexp_mant_f32_e32 v23, v13
	v_cvt_f64_f32_e32 v[20:21], v13
	v_frexp_exp_i32_f64_e32 v20, v[20:21]
	v_cmp_gt_f32_e32 vcc, s80, v23
	v_cmp_gt_f32_e64 s[6:7], s82, v36
	s_nop 0
	v_subbrev_co_u32_e32 v28, vcc, 0, v20, vcc
	v_sub_u32_e32 v20, 0, v28
	v_ldexp_f32 v13, v13, v20
	v_ldexp_f32 v20, v22, v20
	v_add_f32_e32 v22, -1.0, v13
	v_add_f32_e32 v21, 1.0, v22
	v_sub_f32_e32 v21, v13, v21
	v_add_f32_e32 v23, v20, v21
	v_add_f32_e32 v21, 1.0, v13
	v_add_f32_e32 v24, -1.0, v21
	v_sub_f32_e32 v13, v13, v24
	v_add_f32_e32 v13, v20, v13
	v_add_f32_e32 v29, v21, v13
	v_rcp_f32_e32 v30, v29
	v_sub_f32_e32 v20, v21, v29
	v_add_f32_e32 v21, v22, v23
	v_add_f32_e32 v13, v13, v20
	v_mul_f32_e32 v32, v21, v30
	v_sub_f32_e32 v20, v22, v21
	v_mul_f32_e32 v22, v29, v32
	v_fma_f32 v24, v32, v29, -v22
	v_fmac_f32_e32 v24, v32, v13
	v_add_f32_e32 v31, v23, v20
	v_add_f32_e32 v20, v22, v24
	v_sub_f32_e32 v23, v21, v20
	v_pk_add_f32 v[26:27], v[20:21], v[22:23] neg_lo:[0,1] neg_hi:[0,1]
	v_mov_b32_e32 v25, v20
	v_pk_add_f32 v[20:21], v[26:27], v[24:25] neg_lo:[0,1] neg_hi:[0,1]
	v_cmp_eq_f32_e32 vcc, s79, v36
	v_add_f32_e32 v21, v31, v21
	v_add_f32_e32 v20, v20, v21
	;; [unrolled: 1-line block ×3, first 2 shown]
	v_mul_f32_e32 v31, v30, v21
	v_mul_f32_e32 v22, v29, v31
	v_fma_f32 v24, v31, v29, -v22
	v_fmac_f32_e32 v24, v31, v13
	v_sub_f32_e32 v13, v23, v21
	v_add_f32_e32 v13, v20, v13
	v_add_f32_e32 v20, v22, v24
	v_sub_f32_e32 v23, v21, v20
	v_pk_add_f32 v[26:27], v[20:21], v[22:23] neg_lo:[0,1] neg_hi:[0,1]
	v_mov_b32_e32 v25, v20
	v_pk_add_f32 v[20:21], v[26:27], v[24:25] neg_lo:[0,1] neg_hi:[0,1]
	s_or_b64 vcc, s[6:7], vcc
	v_add_f32_e32 v13, v13, v21
	v_add_f32_e32 v13, v20, v13
	;; [unrolled: 1-line block ×4, first 2 shown]
	v_sub_f32_e32 v20, v21, v32
	v_mul_f32_e32 v13, v30, v13
	v_sub_f32_e32 v20, v31, v20
	v_add_f32_e32 v22, v20, v13
	v_add_f32_e32 v24, v21, v22
	v_cvt_f32_i32_e32 v20, v28
	v_mul_f32_e32 v25, v24, v24
	v_sub_f32_e32 v21, v24, v21
	v_fmamk_f32 v13, v25, 0x3e9b6dac, v47
	v_sub_f32_e32 v21, v22, v21
	v_fmaak_f32 v13, v25, v13, 0x3f2aaada
	v_ldexp_f32 v26, v21, 1
	v_mul_f32_e32 v21, v24, v25
	v_ldexp_f32 v23, v24, 1
	v_pk_mul_f32 v[24:25], v[20:21], v[12:13]
	s_nop 0
	v_fma_f32 v22, v20, s81, -v24
	v_fmac_f32_e32 v22, 0xb102e308, v20
	v_pk_add_f32 v[20:21], v[24:25], v[22:23]
	s_nop 0
	v_sub_f32_e32 v13, v21, v23
	v_sub_f32_e32 v13, v25, v13
	v_add_f32_e32 v27, v26, v13
	v_mov_b32_e32 v26, v24
	v_pk_add_f32 v[24:25], v[20:21], v[24:25] neg_lo:[0,1] neg_hi:[0,1]
	v_pk_add_f32 v[28:29], v[20:21], v[26:27]
	v_mov_b32_e32 v23, v20
	v_mov_b32_e32 v25, v29
	v_pk_add_f32 v[30:31], v[22:23], v[24:25] neg_lo:[0,1] neg_hi:[0,1]
	v_pk_add_f32 v[22:23], v[22:23], v[24:25]
	v_mov_b32_e32 v26, v27
	v_mov_b32_e32 v24, v23
	v_pk_add_f32 v[32:33], v[24:25], v[20:21] neg_lo:[0,1] neg_hi:[0,1]
	v_mov_b32_e32 v22, v29
	v_mov_b32_e32 v13, v32
	v_pk_add_f32 v[34:35], v[28:29], v[12:13] neg_lo:[0,1] neg_hi:[0,1]
	v_mov_b32_e32 v28, v21
	v_mov_b32_e32 v29, v32
	;; [unrolled: 1-line block ×3, first 2 shown]
	v_pk_add_f32 v[22:23], v[22:23], v[28:29] neg_lo:[0,1] neg_hi:[0,1]
	v_mov_b32_e32 v27, v20
	v_pk_add_f32 v[20:21], v[26:27], v[22:23] neg_lo:[0,1] neg_hi:[0,1]
	v_mov_b32_e32 v34, v30
	v_pk_add_f32 v[22:23], v[34:35], v[20:21]
	s_nop 0
	v_mov_b32_e32 v26, v23
	v_pk_add_f32 v[26:27], v[22:23], v[26:27]
	s_nop 0
	v_pk_add_f32 v[24:25], v[24:25], v[26:27]
	v_mov_b32_e32 v21, v26
	v_mov_b32_e32 v23, v24
	v_pk_add_f32 v[28:29], v[22:23], v[30:31] neg_lo:[0,1] neg_hi:[0,1]
	s_nop 0
	v_sub_f32_e32 v13, v22, v28
	v_pk_add_f32 v[20:21], v[20:21], v[28:29] neg_lo:[0,1] neg_hi:[0,1]
	v_sub_f32_e32 v13, v30, v13
	v_add_f32_e32 v13, v20, v13
	v_add_f32_e32 v13, v13, v21
	;; [unrolled: 1-line block ×3, first 2 shown]
	v_cndmask_b32_e32 v25, v13, v36, vcc
.LBB97_20:                              ;   in Loop: Header=BB97_12 Depth=1
	s_or_b64 exec, exec, s[8:9]
	v_cvt_f32_f16_e32 v13, v53
	v_add_f32_e32 v24, s33, v13
	v_cmp_ge_f32_e32 vcc, s75, v24
	s_and_b64 s[6:7], s[52:53], vcc
	s_and_saveexec_b64 s[8:9], s[6:7]
	s_cbranch_execz .LBB97_22
; %bb.21:                               ;   in Loop: Header=BB97_12 Depth=1
	v_mul_f32_e32 v13, 0x3fb8aa3b, v24
	v_rndne_f32_e32 v20, v13
	v_sub_f32_e32 v21, v13, v20
	v_fma_f32 v13, v24, s76, -v13
	v_fmac_f32_e32 v13, 0x32a5705f, v24
	v_add_f32_e32 v13, v21, v13
	v_cvt_i32_f32_e32 v20, v20
	v_exp_f32_e32 v13, v13
	v_cmp_ngt_f32_e32 vcc, s77, v24
	v_ldexp_f32 v13, v13, v20
	s_nop 0
	v_cndmask_b32_e32 v13, 0, v13, vcc
	v_cmp_nlt_f32_e32 vcc, s78, v24
	s_nop 1
	v_cndmask_b32_e32 v36, v0, v13, vcc
	v_add_f32_e32 v13, 1.0, v36
	v_add_f32_e32 v20, -1.0, v13
	v_sub_f32_e32 v21, v20, v13
	v_add_f32_e32 v21, 1.0, v21
	v_sub_f32_e32 v20, v36, v20
	v_add_f32_e32 v22, v20, v21
	v_frexp_mant_f32_e32 v23, v13
	v_cvt_f64_f32_e32 v[20:21], v13
	v_frexp_exp_i32_f64_e32 v20, v[20:21]
	v_cmp_gt_f32_e32 vcc, s80, v23
	v_cmp_gt_f32_e64 s[6:7], s82, v36
	s_nop 0
	v_subbrev_co_u32_e32 v24, vcc, 0, v20, vcc
	v_sub_u32_e32 v20, 0, v24
	v_ldexp_f32 v13, v13, v20
	v_ldexp_f32 v20, v22, v20
	v_add_f32_e32 v22, -1.0, v13
	v_add_f32_e32 v21, 1.0, v22
	v_sub_f32_e32 v21, v13, v21
	v_add_f32_e32 v23, v20, v21
	v_add_f32_e32 v21, 1.0, v13
	v_add_f32_e32 v26, -1.0, v21
	v_sub_f32_e32 v13, v13, v26
	v_add_f32_e32 v13, v20, v13
	v_add_f32_e32 v30, v21, v13
	v_rcp_f32_e32 v31, v30
	v_sub_f32_e32 v20, v21, v30
	v_add_f32_e32 v21, v22, v23
	v_add_f32_e32 v13, v13, v20
	v_mul_f32_e32 v33, v21, v31
	v_sub_f32_e32 v20, v22, v21
	v_mul_f32_e32 v22, v30, v33
	v_fma_f32 v26, v33, v30, -v22
	v_fmac_f32_e32 v26, v33, v13
	v_add_f32_e32 v32, v23, v20
	v_add_f32_e32 v20, v22, v26
	v_sub_f32_e32 v23, v21, v20
	v_pk_add_f32 v[28:29], v[20:21], v[22:23] neg_lo:[0,1] neg_hi:[0,1]
	v_mov_b32_e32 v27, v20
	v_pk_add_f32 v[20:21], v[28:29], v[26:27] neg_lo:[0,1] neg_hi:[0,1]
	v_cmp_eq_f32_e32 vcc, s79, v36
	v_add_f32_e32 v21, v32, v21
	v_add_f32_e32 v20, v20, v21
	;; [unrolled: 1-line block ×3, first 2 shown]
	v_mul_f32_e32 v32, v31, v21
	v_mul_f32_e32 v22, v30, v32
	v_fma_f32 v26, v32, v30, -v22
	v_fmac_f32_e32 v26, v32, v13
	v_sub_f32_e32 v13, v23, v21
	v_add_f32_e32 v13, v20, v13
	v_add_f32_e32 v20, v22, v26
	v_sub_f32_e32 v23, v21, v20
	v_pk_add_f32 v[28:29], v[20:21], v[22:23] neg_lo:[0,1] neg_hi:[0,1]
	v_mov_b32_e32 v27, v20
	v_pk_add_f32 v[20:21], v[28:29], v[26:27] neg_lo:[0,1] neg_hi:[0,1]
	s_or_b64 vcc, s[6:7], vcc
	v_add_f32_e32 v13, v13, v21
	v_add_f32_e32 v13, v20, v13
	;; [unrolled: 1-line block ×4, first 2 shown]
	v_sub_f32_e32 v20, v21, v33
	v_mul_f32_e32 v13, v31, v13
	v_sub_f32_e32 v20, v32, v20
	v_add_f32_e32 v22, v20, v13
	v_add_f32_e32 v26, v21, v22
	v_cvt_f32_i32_e32 v20, v24
	v_mul_f32_e32 v27, v26, v26
	v_sub_f32_e32 v21, v26, v21
	v_fmamk_f32 v13, v27, 0x3e9b6dac, v47
	v_sub_f32_e32 v21, v22, v21
	v_fmaak_f32 v13, v27, v13, 0x3f2aaada
	v_ldexp_f32 v24, v21, 1
	v_mul_f32_e32 v21, v26, v27
	v_ldexp_f32 v23, v26, 1
	v_pk_mul_f32 v[26:27], v[20:21], v[12:13]
	s_nop 0
	v_fma_f32 v22, v20, s81, -v26
	v_fmac_f32_e32 v22, 0xb102e308, v20
	v_pk_add_f32 v[20:21], v[26:27], v[22:23]
	v_mov_b32_e32 v28, v26
	v_sub_f32_e32 v13, v21, v23
	v_sub_f32_e32 v13, v27, v13
	v_add_f32_e32 v29, v24, v13
	v_pk_add_f32 v[26:27], v[20:21], v[26:27] neg_lo:[0,1] neg_hi:[0,1]
	v_pk_add_f32 v[30:31], v[20:21], v[28:29]
	v_mov_b32_e32 v23, v20
	v_mov_b32_e32 v27, v31
	v_pk_add_f32 v[32:33], v[22:23], v[26:27] neg_lo:[0,1] neg_hi:[0,1]
	v_pk_add_f32 v[22:23], v[22:23], v[26:27]
	s_nop 0
	v_mov_b32_e32 v24, v23
	v_pk_add_f32 v[26:27], v[24:25], v[20:21] neg_lo:[0,1] neg_hi:[0,1]
	v_mov_b32_e32 v22, v31
	v_mov_b32_e32 v13, v26
	v_pk_add_f32 v[34:35], v[30:31], v[12:13] neg_lo:[0,1] neg_hi:[0,1]
	v_mov_b32_e32 v30, v21
	v_mov_b32_e32 v31, v26
	;; [unrolled: 1-line block ×3, first 2 shown]
	v_pk_add_f32 v[22:23], v[22:23], v[30:31] neg_lo:[0,1] neg_hi:[0,1]
	v_mov_b32_e32 v26, v29
	v_mov_b32_e32 v27, v20
	v_pk_add_f32 v[20:21], v[26:27], v[22:23] neg_lo:[0,1] neg_hi:[0,1]
	v_mov_b32_e32 v34, v32
	v_pk_add_f32 v[22:23], v[34:35], v[20:21]
	s_nop 0
	v_mov_b32_e32 v26, v23
	v_pk_add_f32 v[26:27], v[22:23], v[26:27]
	s_nop 0
	v_pk_add_f32 v[28:29], v[24:25], v[26:27]
	v_mov_b32_e32 v21, v26
	v_mov_b32_e32 v23, v28
	v_pk_add_f32 v[30:31], v[22:23], v[32:33] neg_lo:[0,1] neg_hi:[0,1]
	s_nop 0
	v_sub_f32_e32 v13, v22, v30
	v_pk_add_f32 v[20:21], v[20:21], v[30:31] neg_lo:[0,1] neg_hi:[0,1]
	v_sub_f32_e32 v13, v32, v13
	v_add_f32_e32 v13, v20, v13
	v_add_f32_e32 v13, v13, v21
	;; [unrolled: 1-line block ×3, first 2 shown]
	v_cndmask_b32_e32 v24, v13, v36, vcc
.LBB97_22:                              ;   in Loop: Header=BB97_12 Depth=1
	s_or_b64 exec, exec, s[8:9]
	v_cvt_f32_f16_e32 v26, v15
	v_cvt_f32_f16_e32 v27, v52
	v_cvt_f32_f16_e32 v28, v14
	v_cvt_f32_f16_e32 v13, v54
	v_mul_f32_e32 v20, s70, v26
	v_mul_f32_e32 v23, s70, v27
	;; [unrolled: 1-line block ×3, first 2 shown]
	s_lshl_b32 s56, s89, 8
	v_mul_f32_e32 v21, s70, v13
	s_and_b64 vcc, exec, s[54:55]
	s_waitcnt lgkmcnt(0)
	; wave barrier
	s_cbranch_vccz .LBB97_48
; %bb.23:                               ;   in Loop: Header=BB97_12 Depth=1
	v_and_b32_e32 v30, 15, v48
	v_cmp_eq_u32_e64 s[6:7], 0, v30
	v_cmp_lt_u32_e64 s[8:9], 1, v30
	v_cmp_lt_u32_e64 s[10:11], 3, v30
	;; [unrolled: 1-line block ×3, first 2 shown]
	v_and_b32_e32 v30, 16, v48
	s_sub_i32 s24, s30, s56
	v_cmp_ne_u32_e64 s[14:15], 0, v30
	v_add_u32_e32 v30, -1, v48
	v_and_b32_e32 v31, 64, v48
	s_cmp_lg_u32 s89, 0
	v_cmp_lt_i32_e32 vcc, v30, v31
	s_cselect_b64 s[58:59], -1, 0
	s_cmp_eq_u32 s89, s74
	v_cndmask_b32_e32 v30, v30, v48, vcc
	v_cmp_gt_u32_e32 vcc, s24, v11
	s_cselect_b64 s[60:61], -1, 0
	s_or_b64 s[18:19], s[50:51], vcc
	v_cmp_gt_u32_e32 vcc, s24, v10
	s_mov_b32 s34, 0
	v_cmp_gt_u32_e64 s[20:21], s24, v1
	s_or_b64 s[22:23], s[50:51], vcc
	v_cmp_gt_u32_e32 vcc, s24, v46
	v_mul_f32_e32 v13, v24, v13
	v_mul_f32_e32 v57, v25, v26
	v_mul_f32_e32 v58, v56, v27
	v_mul_f32_e32 v59, v55, v28
	v_lshl_add_u64 v[26:27], s[38:39], 0, v[2:3]
	v_lshl_add_u64 v[28:29], s[42:43], 0, v[2:3]
	v_cmp_lt_u32_e64 s[16:17], 31, v48
	v_lshlrev_b32_e32 v60, 2, v30
	s_or_b64 s[20:21], s[50:51], s[20:21]
	s_or_b64 s[24:25], s[50:51], vcc
	s_mov_b32 s62, s34
	s_mov_b32 s64, s34
	;; [unrolled: 1-line block ×5, first 2 shown]
	s_branch .LBB97_25
.LBB97_24:                              ;   in Loop: Header=BB97_25 Depth=2
	s_or_b64 exec, exec, s[26:27]
	v_mul_f32_e32 v32, v39, v38
	v_fma_f32 v33, v39, v41, v34
	v_cndmask_b32_e64 v34, v33, v34, s[4:5]
	v_cndmask_b32_e64 v32, v32, v39, s[4:5]
	s_waitcnt lgkmcnt(0)
	v_fmac_f32_e32 v34, v44, v32
	v_fmac_f32_e32 v35, v34, v37
	v_cvt_f32_f16_sdwa v33, v31 dst_sel:DWORD dst_unused:UNUSED_PAD src0_sel:WORD_1
	v_cvt_f32_f16_e32 v32, v31
	v_cvt_f32_f16_sdwa v31, v30 dst_sel:DWORD dst_unused:UNUSED_PAD src0_sel:WORD_1
	v_cvt_f32_f16_e32 v30, v30
	v_fmac_f32_e32 v36, v35, v43
	v_fmac_f32_e32 v40, v36, v42
	v_mov_b32_e32 v37, v40
	s_add_i32 s90, s90, 8
	s_add_i32 s57, s57, -1
	s_add_i32 s66, s66, s71
	s_add_i32 s64, s64, s44
	;; [unrolled: 1-line block ×4, first 2 shown]
	v_pk_fma_f32 v[20:21], v[36:37], v[32:33], v[20:21]
	s_cmp_eq_u32 s57, 0
	v_pk_fma_f32 v[22:23], v[34:35], v[30:31], v[22:23]
	s_cbranch_scc1 .LBB97_48
.LBB97_25:                              ;   Parent Loop BB97_12 Depth=1
                                        ; =>  This Inner Loop Header: Depth=2
	s_lshl_b64 s[26:27], s[34:35], 2
	s_mov_b32 s63, s35
	s_add_u32 s26, s36, s26
	v_lshl_add_u64 v[30:31], s[62:63], 1, v[26:27]
	s_mov_b32 s65, s35
	s_addc_u32 s27, s72, s27
	global_load_dwordx2 v[34:35], v[30:31], off
	v_lshl_add_u64 v[30:31], s[64:65], 1, v[28:29]
	global_load_dword v36, v3, s[26:27]
	s_andn2_b64 vcc, exec, s[58:59]
	global_load_dwordx2 v[30:31], v[30:31], off
	s_cbranch_vccnz .LBB97_27
; %bb.26:                               ;   in Loop: Header=BB97_25 Depth=2
	v_mov_b32_e32 v32, s90
	ds_read_b64 v[32:33], v32
	s_cbranch_execz .LBB97_28
	s_branch .LBB97_31
.LBB97_27:                              ;   in Loop: Header=BB97_25 Depth=2
                                        ; implicit-def: $vgpr33
.LBB97_28:                              ;   in Loop: Header=BB97_25 Depth=2
	s_andn2_b64 vcc, exec, s[28:29]
	s_waitcnt lgkmcnt(0)
	v_mov_b32_e32 v33, 0
	s_cbranch_vccnz .LBB97_30
; %bb.29:                               ;   in Loop: Header=BB97_25 Depth=2
	s_mov_b32 s67, s35
	s_lshl_b64 s[26:27], s[66:67], 2
	s_add_u32 s26, s41, s26
	s_addc_u32 s27, s45, s27
	global_load_dword v33, v3, s[26:27]
.LBB97_30:                              ;   in Loop: Header=BB97_25 Depth=2
	v_mov_b32_e32 v32, 1.0
.LBB97_31:                              ;   in Loop: Header=BB97_25 Depth=2
	s_waitcnt vmcnt(1)
	v_mul_f32_e32 v38, 0x3fb8aa3b, v36
	v_cvt_f32_f16_e32 v36, v34
	v_cvt_f32_f16_sdwa v37, v34 dst_sel:DWORD dst_unused:UNUSED_PAD src0_sel:WORD_1
	v_mul_f32_e32 v34, v38, v55
	v_cmp_gt_f32_e32 vcc, s84, v34
	v_cvt_f32_f16_e32 v40, v35
	v_cvt_f32_f16_sdwa v42, v35 dst_sel:DWORD dst_unused:UNUSED_PAD src0_sel:WORD_1
	v_cndmask_b32_e32 v34, 0, v49, vcc
	v_fmac_f32_e32 v34, v38, v55
	v_exp_f32_e32 v34, v34
	v_cndmask_b32_e32 v35, 1.0, v50, vcc
	v_mul_f32_e32 v40, v57, v40
	v_mul_f32_e32 v35, v34, v35
	;; [unrolled: 1-line block ×4, first 2 shown]
	v_cmp_gt_f32_e32 vcc, s84, v36
	v_cndmask_b32_e64 v39, 1.0, v35, s[18:19]
	v_cndmask_b32_e64 v34, 0, v34, s[18:19]
	v_cndmask_b32_e32 v36, 0, v49, vcc
	v_fmac_f32_e32 v36, v38, v56
	v_exp_f32_e32 v36, v36
	v_cndmask_b32_e32 v35, 1.0, v50, vcc
	v_mul_f32_e32 v36, v36, v35
	v_mul_f32_e32 v35, v58, v37
	v_cndmask_b32_e64 v37, 1.0, v36, s[20:21]
	v_cndmask_b32_e64 v36, 0, v40, s[22:23]
	v_pk_mul_f32 v[40:41], v[38:39], v[24:25] op_sel_hi:[0,1]
	v_cmp_gt_f32_e32 vcc, s84, v40
	v_cmp_gt_f32_e64 s[26:27], s84, v41
	v_cndmask_b32_e64 v35, 0, v35, s[20:21]
	v_cndmask_b32_e32 v38, 0, v49, vcc
	v_add_f32_e32 v38, v40, v38
	v_cndmask_b32_e64 v40, 0, v49, s[26:27]
	v_exp_f32_e32 v38, v38
	v_add_f32_e32 v40, v41, v40
	v_exp_f32_e32 v40, v40
	v_cndmask_b32_e32 v41, 1.0, v50, vcc
	v_mul_f32_e32 v38, v38, v41
	v_cndmask_b32_e64 v41, 1.0, v50, s[26:27]
	v_mul_f32_e32 v41, v40, v41
	v_mul_f32_e32 v40, v13, v42
	v_cndmask_b32_e64 v43, 1.0, v41, s[22:23]
	v_cndmask_b32_e64 v42, 1.0, v38, s[24:25]
	v_fma_f32 v38, v37, v34, v35
	v_mul_f32_e32 v38, v38, v43
	v_pk_add_f32 v[44:45], v[38:39], v[36:37]
	v_pk_mul_f32 v[62:63], v[38:39], v[36:37]
	v_cndmask_b32_e64 v40, 0, v40, s[24:25]
	v_mov_b32_e32 v45, v63
	v_pk_mul_f32 v[62:63], v[44:45], v[42:43]
	v_mov_b32_e32 v41, v42
	v_pk_fma_f32 v[64:65], v[44:45], v[42:43], v[40:41]
	v_pk_mul_f32 v[62:63], v[62:63], v[40:41]
	s_nop 0
	v_mov_b32_dpp v41, v64 row_shr:1 row_mask:0xf bank_mask:0xf
	v_mov_b32_dpp v38, v63 row_shr:1 row_mask:0xf bank_mask:0xf
	v_mul_f32_e32 v61, v63, v38
	v_fma_f32 v38, v63, v41, v64
	v_cndmask_b32_e64 v45, v38, v64, s[6:7]
	v_cndmask_b32_e64 v38, v38, v64, s[6:7]
	;; [unrolled: 1-line block ×4, first 2 shown]
	v_mov_b32_dpp v62, v38 row_shr:2 row_mask:0xf bank_mask:0xf
	v_mov_b32_dpp v61, v41 row_shr:2 row_mask:0xf bank_mask:0xf
	s_and_saveexec_b64 s[26:27], s[8:9]
; %bb.32:                               ;   in Loop: Header=BB97_25 Depth=2
	v_fmac_f32_e32 v38, v41, v62
	v_mul_f32_e32 v41, v41, v61
	v_mov_b32_e32 v44, v41
	v_mov_b32_e32 v45, v38
; %bb.33:                               ;   in Loop: Header=BB97_25 Depth=2
	s_or_b64 exec, exec, s[26:27]
	v_mov_b32_dpp v61, v41 row_shr:4 row_mask:0xf bank_mask:0xf
	v_mov_b32_dpp v62, v38 row_shr:4 row_mask:0xf bank_mask:0xf
	s_and_saveexec_b64 s[26:27], s[10:11]
; %bb.34:                               ;   in Loop: Header=BB97_25 Depth=2
	v_fmac_f32_e32 v38, v41, v62
	v_mul_f32_e32 v41, v41, v61
	v_mov_b32_e32 v44, v41
	v_mov_b32_e32 v45, v38
; %bb.35:                               ;   in Loop: Header=BB97_25 Depth=2
	s_or_b64 exec, exec, s[26:27]
	;; [unrolled: 10-line block ×3, first 2 shown]
	v_mov_b32_dpp v61, v41 row_bcast:15 row_mask:0xf bank_mask:0xf
	v_mov_b32_dpp v62, v38 row_bcast:15 row_mask:0xf bank_mask:0xf
	s_and_saveexec_b64 s[26:27], s[14:15]
; %bb.38:                               ;   in Loop: Header=BB97_25 Depth=2
	v_fmac_f32_e32 v38, v41, v62
	v_mul_f32_e32 v41, v41, v61
	v_mov_b32_e32 v44, v41
	v_mov_b32_e32 v45, v38
; %bb.39:                               ;   in Loop: Header=BB97_25 Depth=2
	s_or_b64 exec, exec, s[26:27]
	v_mov_b32_dpp v61, v41 row_bcast:31 row_mask:0xf bank_mask:0xf
	v_mov_b32_dpp v62, v38 row_bcast:31 row_mask:0xf bank_mask:0xf
	v_mul_f32_e32 v61, v41, v61
	v_fmac_f32_e32 v38, v41, v62
	v_cndmask_b32_e64 v44, v44, v61, s[16:17]
	v_cndmask_b32_e64 v45, v45, v38, s[16:17]
	s_and_saveexec_b64 s[26:27], s[2:3]
	s_cbranch_execz .LBB97_41
; %bb.40:                               ;   in Loop: Header=BB97_25 Depth=2
	ds_write_b64 v3, v[44:45] offset:1056
.LBB97_41:                              ;   in Loop: Header=BB97_25 Depth=2
	s_or_b64 exec, exec, s[26:27]
	ds_bpermute_b32 v38, v60, v44
	ds_bpermute_b32 v41, v60, v45
	s_waitcnt vmcnt(0) lgkmcnt(2)
	v_mov_b32_e32 v45, v33
	s_waitcnt lgkmcnt(0)
	; wave barrier
	s_waitcnt lgkmcnt(0)
	s_and_saveexec_b64 s[26:27], s[0:1]
	s_cbranch_execz .LBB97_45
; %bb.42:                               ;   in Loop: Header=BB97_25 Depth=2
	ds_read_b64 v[44:45], v3 offset:1056
	s_and_saveexec_b64 s[68:69], s[4:5]
	s_cbranch_execz .LBB97_44
; %bb.43:                               ;   in Loop: Header=BB97_25 Depth=2
	ds_write_b64 v3, v[32:33] offset:1056
.LBB97_44:                              ;   in Loop: Header=BB97_25 Depth=2
	s_or_b64 exec, exec, s[68:69]
	s_waitcnt lgkmcnt(0)
	v_fmac_f32_e32 v45, v33, v44
	v_mul_f32_e32 v32, v32, v44
	v_mov_b32_e32 v33, v45
.LBB97_45:                              ;   in Loop: Header=BB97_25 Depth=2
	s_or_b64 exec, exec, s[26:27]
	s_waitcnt lgkmcnt(0)
	; wave barrier
	ds_read_b32 v44, v3 offset:1060
	s_and_saveexec_b64 s[26:27], s[4:5]
	s_cbranch_execz .LBB97_24
; %bb.46:                               ;   in Loop: Header=BB97_25 Depth=2
	v_mov_b32_e32 v61, s90
	s_andn2_b64 vcc, exec, s[60:61]
	ds_write_b64 v61, v[32:33]
	s_cbranch_vccnz .LBB97_24
; %bb.47:                               ;   in Loop: Header=BB97_25 Depth=2
	s_mov_b32 s67, s35
	s_lshl_b64 s[68:69], s[66:67], 2
	s_add_u32 s68, s41, s68
	s_addc_u32 s69, s45, s69
	global_store_dword v3, v45, s[68:69]
	s_branch .LBB97_24
.LBB97_48:                              ;   in Loop: Header=BB97_12 Depth=1
	v_cvt_f16_f32_e32 v13, v22
	v_cvt_f16_f32_e32 v26, v20
	;; [unrolled: 1-line block ×4, first 2 shown]
	s_mov_b32 s57, s35
	v_lshl_add_u64 v[24:25], s[56:57], 1, v[4:5]
	v_pack_b32_f16 v27, v26, v27
	v_pack_b32_f16 v26, v13, v28
	s_waitcnt lgkmcnt(0)
	; wave barrier
	global_store_dwordx2 v[24:25], v[26:27], off
	s_waitcnt lgkmcnt(0)
	; wave barrier
	s_and_saveexec_b64 s[6:7], s[0:1]
	s_cbranch_execz .LBB97_11
; %bb.49:                               ;   in Loop: Header=BB97_12 Depth=1
	v_lshl_add_u64 v[18:19], s[56:57], 1, v[6:7]
	global_load_dwordx2 v[18:19], v[18:19], off
	s_branch .LBB97_11
.LBB97_50:
	s_endpgm
	.section	.rodata,"a",@progbits
	.p2align	6, 0x0
	.amdhsa_kernel _Z25selective_scan_fwd_kernelI32Selective_Scan_fwd_kernel_traitsILi64ELi4ELi1ELb1ELb1ELb1ELb1ELb0EN3c104HalfEffEEv13SSMParamsBase
		.amdhsa_group_segment_fixed_size 0
		.amdhsa_private_segment_fixed_size 0
		.amdhsa_kernarg_size 248
		.amdhsa_user_sgpr_count 2
		.amdhsa_user_sgpr_dispatch_ptr 0
		.amdhsa_user_sgpr_queue_ptr 0
		.amdhsa_user_sgpr_kernarg_segment_ptr 1
		.amdhsa_user_sgpr_dispatch_id 0
		.amdhsa_user_sgpr_kernarg_preload_length 0
		.amdhsa_user_sgpr_kernarg_preload_offset 0
		.amdhsa_user_sgpr_private_segment_size 0
		.amdhsa_uses_dynamic_stack 0
		.amdhsa_enable_private_segment 0
		.amdhsa_system_sgpr_workgroup_id_x 1
		.amdhsa_system_sgpr_workgroup_id_y 1
		.amdhsa_system_sgpr_workgroup_id_z 0
		.amdhsa_system_sgpr_workgroup_info 0
		.amdhsa_system_vgpr_workitem_id 0
		.amdhsa_next_free_vgpr 66
		.amdhsa_next_free_sgpr 91
		.amdhsa_accum_offset 68
		.amdhsa_reserve_vcc 1
		.amdhsa_float_round_mode_32 0
		.amdhsa_float_round_mode_16_64 0
		.amdhsa_float_denorm_mode_32 3
		.amdhsa_float_denorm_mode_16_64 3
		.amdhsa_dx10_clamp 1
		.amdhsa_ieee_mode 1
		.amdhsa_fp16_overflow 0
		.amdhsa_tg_split 0
		.amdhsa_exception_fp_ieee_invalid_op 0
		.amdhsa_exception_fp_denorm_src 0
		.amdhsa_exception_fp_ieee_div_zero 0
		.amdhsa_exception_fp_ieee_overflow 0
		.amdhsa_exception_fp_ieee_underflow 0
		.amdhsa_exception_fp_ieee_inexact 0
		.amdhsa_exception_int_div_zero 0
	.end_amdhsa_kernel
	.section	.text._Z25selective_scan_fwd_kernelI32Selective_Scan_fwd_kernel_traitsILi64ELi4ELi1ELb1ELb1ELb1ELb1ELb0EN3c104HalfEffEEv13SSMParamsBase,"axG",@progbits,_Z25selective_scan_fwd_kernelI32Selective_Scan_fwd_kernel_traitsILi64ELi4ELi1ELb1ELb1ELb1ELb1ELb0EN3c104HalfEffEEv13SSMParamsBase,comdat
.Lfunc_end97:
	.size	_Z25selective_scan_fwd_kernelI32Selective_Scan_fwd_kernel_traitsILi64ELi4ELi1ELb1ELb1ELb1ELb1ELb0EN3c104HalfEffEEv13SSMParamsBase, .Lfunc_end97-_Z25selective_scan_fwd_kernelI32Selective_Scan_fwd_kernel_traitsILi64ELi4ELi1ELb1ELb1ELb1ELb1ELb0EN3c104HalfEffEEv13SSMParamsBase
                                        ; -- End function
	.section	.AMDGPU.csdata,"",@progbits
; Kernel info:
; codeLenInByte = 5988
; NumSgprs: 97
; NumVgprs: 66
; NumAgprs: 0
; TotalNumVgprs: 66
; ScratchSize: 0
; MemoryBound: 0
; FloatMode: 240
; IeeeMode: 1
; LDSByteSize: 0 bytes/workgroup (compile time only)
; SGPRBlocks: 12
; VGPRBlocks: 8
; NumSGPRsForWavesPerEU: 97
; NumVGPRsForWavesPerEU: 66
; AccumOffset: 68
; Occupancy: 7
; WaveLimiterHint : 0
; COMPUTE_PGM_RSRC2:SCRATCH_EN: 0
; COMPUTE_PGM_RSRC2:USER_SGPR: 2
; COMPUTE_PGM_RSRC2:TRAP_HANDLER: 0
; COMPUTE_PGM_RSRC2:TGID_X_EN: 1
; COMPUTE_PGM_RSRC2:TGID_Y_EN: 1
; COMPUTE_PGM_RSRC2:TGID_Z_EN: 0
; COMPUTE_PGM_RSRC2:TIDIG_COMP_CNT: 0
; COMPUTE_PGM_RSRC3_GFX90A:ACCUM_OFFSET: 16
; COMPUTE_PGM_RSRC3_GFX90A:TG_SPLIT: 0
	.section	.text._Z25selective_scan_fwd_kernelI32Selective_Scan_fwd_kernel_traitsILi64ELi4ELi1ELb1ELb1ELb1ELb0ELb1EN3c104HalfEffEEv13SSMParamsBase,"axG",@progbits,_Z25selective_scan_fwd_kernelI32Selective_Scan_fwd_kernel_traitsILi64ELi4ELi1ELb1ELb1ELb1ELb0ELb1EN3c104HalfEffEEv13SSMParamsBase,comdat
	.protected	_Z25selective_scan_fwd_kernelI32Selective_Scan_fwd_kernel_traitsILi64ELi4ELi1ELb1ELb1ELb1ELb0ELb1EN3c104HalfEffEEv13SSMParamsBase ; -- Begin function _Z25selective_scan_fwd_kernelI32Selective_Scan_fwd_kernel_traitsILi64ELi4ELi1ELb1ELb1ELb1ELb0ELb1EN3c104HalfEffEEv13SSMParamsBase
	.globl	_Z25selective_scan_fwd_kernelI32Selective_Scan_fwd_kernel_traitsILi64ELi4ELi1ELb1ELb1ELb1ELb0ELb1EN3c104HalfEffEEv13SSMParamsBase
	.p2align	8
	.type	_Z25selective_scan_fwd_kernelI32Selective_Scan_fwd_kernel_traitsILi64ELi4ELi1ELb1ELb1ELb1ELb0ELb1EN3c104HalfEffEEv13SSMParamsBase,@function
_Z25selective_scan_fwd_kernelI32Selective_Scan_fwd_kernel_traitsILi64ELi4ELi1ELb1ELb1ELb1ELb0ELb1EN3c104HalfEffEEv13SSMParamsBase: ; @_Z25selective_scan_fwd_kernelI32Selective_Scan_fwd_kernel_traitsILi64ELi4ELi1ELb1ELb1ELb1ELb0ELb1EN3c104HalfEffEEv13SSMParamsBase
; %bb.0:
	s_load_dword s27, s[0:1], 0x18
	s_load_dwordx4 s[4:7], s[0:1], 0xe0
	s_load_dwordx2 s[10:11], s[0:1], 0xf0
	s_mov_b32 s20, s3
	s_ashr_i32 s3, s2, 31
	s_waitcnt lgkmcnt(0)
	s_abs_i32 s26, s27
	v_cvt_f32_u32_e32 v1, s26
	s_lshl_b64 s[8:9], s[2:3], 2
	s_add_u32 s24, s4, s8
	s_addc_u32 s25, s5, s9
	v_rcp_iflag_f32_e32 v1, v1
	s_cmp_eq_u64 s[10:11], 0
	v_mul_f32_e32 v1, 0x4f7ffffe, v1
	v_cvt_u32_f32_e32 v1, v1
	s_nop 0
	v_readfirstlane_b32 s28, v1
	s_cbranch_scc1 .LBB98_86
; %bb.1:
	s_add_u32 s4, s10, s2
	s_addc_u32 s5, s11, s3
	v_mov_b32_e32 v1, 0
	global_load_ubyte v1, v1, s[4:5]
	s_waitcnt vmcnt(0)
	v_and_b32_e32 v1, 1, v1
	v_cmp_eq_u32_e64 s[52:53], 1, v1
	s_load_dwordx2 s[4:5], s[0:1], 0x20
	s_cmp_eq_u64 s[6:7], 0
	s_cbranch_scc1 .LBB98_3
.LBB98_2:
	s_add_u32 s2, s6, s8
	s_addc_u32 s3, s7, s9
	s_load_dword s2, s[2:3], 0x0
	s_waitcnt lgkmcnt(0)
	s_ashr_i32 s3, s2, 31
.LBB98_3:
	s_waitcnt lgkmcnt(0)
	s_cmp_eq_u64 s[4:5], s[2:3]
	s_cbranch_scc1 .LBB98_85
; %bb.4:
	s_load_dwordx16 s[4:19], s[0:1], 0x88
	s_load_dwordx2 s[22:23], s[24:25], 0x0
	s_mov_b32 s33, 0
	s_mov_b32 s78, 0
	s_waitcnt lgkmcnt(0)
	s_cmp_eq_u64 s[10:11], 0
	s_cbranch_scc1 .LBB98_6
; %bb.5:
	s_ashr_i32 s21, s20, 31
	s_lshl_b64 s[24:25], s[20:21], 2
	s_add_u32 s10, s10, s24
	s_addc_u32 s11, s11, s25
	s_load_dword s78, s[10:11], 0x0
.LBB98_6:
	s_cmp_eq_u64 s[16:17], 0
	s_cbranch_scc1 .LBB98_8
; %bb.7:
	s_ashr_i32 s21, s20, 31
	s_lshl_b64 s[10:11], s[20:21], 2
	s_add_u32 s10, s16, s10
	s_addc_u32 s11, s17, s11
	s_load_dword s33, s[10:11], 0x0
.LBB98_8:
	s_sub_i32 s79, s23, s22
	s_cmp_lt_i32 s79, 1
	s_cbranch_scc1 .LBB98_85
; %bb.9:
	s_sub_i32 s3, 0, s26
	s_mul_i32 s3, s3, s28
	s_mul_hi_u32 s3, s28, s3
	s_load_dwordx8 s[40:47], s[0:1], 0x2c
	s_load_dwordx2 s[16:17], s[0:1], 0x5c
	s_load_dwordx4 s[48:51], s[0:1], 0x4c
	s_abs_i32 s21, s20
	s_add_i32 s28, s28, s3
	s_load_dwordx4 s[36:39], s[0:1], 0x7c
	s_load_dwordx2 s[10:11], s[0:1], 0x6c
	s_load_dwordx2 s[24:25], s[0:1], 0xc8
	s_mul_hi_u32 s3, s21, s28
	s_waitcnt lgkmcnt(0)
	s_load_dword s39, s[0:1], 0xc
	s_load_dword s23, s[0:1], 0x28
	s_ashr_i32 s0, s20, 31
	s_ashr_i32 s1, s27, 31
	s_xor_b32 s0, s0, s1
	s_mul_i32 s1, s3, s26
	s_sub_i32 s1, s21, s1
	s_add_i32 s21, s3, 1
	s_sub_i32 s27, s1, s26
	s_cmp_ge_u32 s1, s26
	s_cselect_b32 s3, s21, s3
	s_cselect_b32 s1, s27, s1
	s_add_i32 s21, s3, 1
	s_cmp_ge_u32 s1, s26
	s_cselect_b32 s1, s21, s3
	s_xor_b32 s1, s1, s0
	s_mul_i32 s54, s22, s50
	s_mov_b32 s55, 0
	s_sub_i32 s3, s1, s0
	s_lshl_b64 s[0:1], s[54:55], 1
	s_add_u32 s12, s12, s0
	s_mul_i32 s54, s51, s20
	s_addc_u32 s13, s13, s1
	s_lshl_b64 s[0:1], s[54:55], 1
	s_add_u32 s50, s12, s0
	s_mul_i32 s54, s22, s16
	s_addc_u32 s51, s13, s1
	;; [unrolled: 4-line block ×9, first 2 shown]
	s_lshl_b64 s[0:1], s[54:55], 2
	s_add_u32 s2, s24, s0
	s_mul_i32 s54, s37, s20
	v_mbcnt_lo_u32_b32 v2, -1, 0
	s_addc_u32 s3, s25, s1
	s_lshl_b64 s[0:1], s[54:55], 2
	v_mbcnt_hi_u32_b32 v2, -1, v2
	s_add_u32 s45, s2, s0
	v_lshrrev_b32_e32 v3, 5, v2
	s_addc_u32 s49, s3, s1
	s_add_i32 s0, s79, 0x7ff
	v_and_b32_e32 v3, 2, v3
	s_lshr_b32 s81, s0, 11
	v_add_u32_e32 v36, 64, v2
	v_or_b32_e32 v37, 0x80, v2
	v_add_u32_e32 v38, 0xc0, v2
	v_add_u32_e32 v3, v3, v2
	v_lshl_add_u32 v39, v3, 1, 0
	v_lshrrev_b32_e32 v3, 5, v36
	v_lshrrev_b32_e32 v4, 5, v37
	;; [unrolled: 1-line block ×3, first 2 shown]
	s_waitcnt lgkmcnt(0)
	s_bitcmp1_b32 s23, 0
	v_and_b32_e32 v3, 6, v3
	v_and_b32_e32 v4, 6, v4
	;; [unrolled: 1-line block ×3, first 2 shown]
	s_cselect_b64 s[58:59], -1, 0
	s_cmp_gt_i32 s39, 0
	v_add_lshl_u32 v3, v3, v2, 1
	v_add_lshl_u32 v4, v4, v2, 1
	;; [unrolled: 1-line block ×3, first 2 shown]
	s_cselect_b64 s[60:61], -1, 0
	s_add_i32 s0, 0, 0x210
	s_mul_i32 s54, s22, s10
	v_add_u32_e32 v44, s0, v3
	v_add_u32_e32 v45, s0, v4
	;; [unrolled: 1-line block ×3, first 2 shown]
	s_and_b32 s2, s79, 0xff
	s_add_i32 s82, s81, -1
	s_lshl_b64 s[0:1], s[54:55], 1
	s_add_u32 s3, s18, s0
	s_mul_i32 s54, s11, s20
	s_addc_u32 s4, s19, s1
	s_lshl_b64 s[0:1], s[54:55], 1
	s_add_u32 s18, s3, s0
	v_add_u32_e32 v40, 0, v3
	s_addc_u32 s19, s4, s1
	v_and_b32_e32 v3, 15, v2
	s_cmp_eq_u32 s2, 0
	v_cmp_eq_u32_e64 s[0:1], 0, v3
	v_cmp_lt_u32_e64 s[2:3], 1, v3
	v_cmp_lt_u32_e64 s[4:5], 3, v3
	;; [unrolled: 1-line block ×3, first 2 shown]
	v_and_b32_e32 v3, 16, v2
	v_add_u32_e32 v41, 0, v4
	v_lshrrev_b32_e32 v6, 3, v2
	v_cmp_ne_u32_e64 s[8:9], 0, v3
	v_add_u32_e32 v3, -1, v2
	v_and_b32_e32 v4, 64, v2
	v_and_b32_e32 v6, 14, v6
	v_cmp_lt_i32_e32 vcc, v3, v4
	v_mov_b32_e32 v1, 0
	v_lshlrev_b32_e32 v7, 2, v0
	v_lshl_add_u32 v6, v2, 2, v6
	v_cmp_eq_u32_e64 s[12:13], 63, v0
	v_cndmask_b32_e32 v3, v3, v2, vcc
	v_cmp_gt_u32_e64 s[14:15], 64, v0
	v_cmp_eq_u32_e64 s[16:17], 0, v0
	v_lshlrev_b32_e32 v0, 1, v2
                                        ; implicit-def: $vgpr8
	v_add_u32_e32 v42, 0, v5
	v_lshl_add_u32 v43, v6, 1, 0
	s_cselect_b64 s[62:63], -1, 0
	v_cmp_lt_u32_e64 s[10:11], 31, v2
	v_lshlrev_b32_e32 v47, 2, v3
	v_lshl_add_u64 v[4:5], s[18:19], 0, v[0:1]
	v_or_b32_e32 v3, 1, v7
	v_or_b32_e32 v6, 2, v7
	;; [unrolled: 1-line block ×3, first 2 shown]
	v_lshlrev_b32_e32 v0, 1, v2
	s_mov_b32 s83, 0x41a00000
	s_mov_b32 s84, 0x3fb8aa3b
	;; [unrolled: 1-line block ×6, first 2 shown]
	v_mov_b32_e32 v49, 0x3ecc95a3
	s_mov_b32 s89, 0x3f317218
	s_mov_b32 s90, 0x33800000
	s_add_i32 s91, 0, 0x428
	s_mov_b32 s92, 0xc2fc0000
	v_mov_b32_e32 v50, 0x7f800000
	v_mov_b32_e32 v8, 0x3f317218
	;; [unrolled: 1-line block ×4, first 2 shown]
	s_mov_b32 s93, 0
	s_branch .LBB98_11
.LBB98_10:                              ;   in Loop: Header=BB98_11 Depth=1
	s_or_b64 exec, exec, s[18:19]
	s_add_u32 s56, s56, 0x200
	s_addc_u32 s57, s57, 0
	s_add_u32 s50, s50, 0x200
	s_addc_u32 s51, s51, 0
	;; [unrolled: 2-line block ×4, first 2 shown]
	s_add_i32 s93, s93, 1
	s_cmp_eq_u32 s93, s81
	s_cbranch_scc1 .LBB98_85
.LBB98_11:                              ; =>This Loop Header: Depth=1
                                        ;     Child Loop BB98_36 Depth 2
	s_lshl_b32 s64, s93, 8
	s_sub_i32 s34, s79, s64
	v_lshl_add_u64 v[10:11], s[50:51], 0, v[0:1]
	v_cmp_gt_u32_e64 s[18:19], s34, v2
	s_waitcnt lgkmcnt(1)
	v_mov_b32_e32 v12, 0
	s_waitcnt lgkmcnt(0)
	; wave barrier
	s_and_saveexec_b64 s[20:21], s[18:19]
	s_cbranch_execz .LBB98_13
; %bb.12:                               ;   in Loop: Header=BB98_11 Depth=1
	global_load_ushort v12, v[10:11], off
.LBB98_13:                              ;   in Loop: Header=BB98_11 Depth=1
	s_or_b64 exec, exec, s[20:21]
	v_cmp_gt_u32_e64 s[20:21], s34, v36
	v_mov_b32_e32 v13, 0
	v_mov_b32_e32 v14, 0
	s_and_saveexec_b64 s[22:23], s[20:21]
	s_cbranch_execz .LBB98_15
; %bb.14:                               ;   in Loop: Header=BB98_11 Depth=1
	global_load_ushort v14, v[10:11], off offset:128
.LBB98_15:                              ;   in Loop: Header=BB98_11 Depth=1
	s_or_b64 exec, exec, s[22:23]
	v_cmp_gt_u32_e64 s[22:23], s34, v37
	s_and_saveexec_b64 s[24:25], s[22:23]
	s_cbranch_execz .LBB98_17
; %bb.16:                               ;   in Loop: Header=BB98_11 Depth=1
	global_load_ushort v13, v[10:11], off offset:256
.LBB98_17:                              ;   in Loop: Header=BB98_11 Depth=1
	s_or_b64 exec, exec, s[24:25]
	v_cmp_gt_u32_e64 s[24:25], s34, v38
	s_waitcnt lgkmcnt(0)
	v_mov_b32_e32 v9, 0
	v_mov_b32_e32 v15, 0
	s_and_saveexec_b64 s[26:27], s[24:25]
	s_cbranch_execz .LBB98_19
; %bb.18:                               ;   in Loop: Header=BB98_11 Depth=1
	global_load_ushort v15, v[10:11], off offset:384
.LBB98_19:                              ;   in Loop: Header=BB98_11 Depth=1
	s_or_b64 exec, exec, s[26:27]
	s_waitcnt vmcnt(0)
	ds_write_b16 v39, v12
	ds_write_b16 v40, v14 offset:128
	ds_write_b16 v41, v13 offset:256
	;; [unrolled: 1-line block ×3, first 2 shown]
	; wave barrier
	ds_read_b64 v[12:13], v43
	v_lshl_add_u64 v[10:11], s[56:57], 0, v[0:1]
	s_waitcnt lgkmcnt(0)
	; wave barrier
	s_waitcnt lgkmcnt(0)
	s_and_saveexec_b64 s[26:27], s[18:19]
	s_cbranch_execz .LBB98_21
; %bb.20:                               ;   in Loop: Header=BB98_11 Depth=1
	global_load_ushort v9, v[10:11], off
.LBB98_21:                              ;   in Loop: Header=BB98_11 Depth=1
	s_or_b64 exec, exec, s[26:27]
	v_mov_b32_e32 v14, 0
	v_mov_b32_e32 v15, 0
	s_and_saveexec_b64 s[26:27], s[20:21]
	s_cbranch_execnz .LBB98_79
; %bb.22:                               ;   in Loop: Header=BB98_11 Depth=1
	s_or_b64 exec, exec, s[26:27]
	s_and_saveexec_b64 s[26:27], s[22:23]
	s_cbranch_execnz .LBB98_80
.LBB98_23:                              ;   in Loop: Header=BB98_11 Depth=1
	s_or_b64 exec, exec, s[26:27]
	v_mov_b32_e32 v16, 0
	s_and_saveexec_b64 s[26:27], s[24:25]
	s_cbranch_execz .LBB98_25
.LBB98_24:                              ;   in Loop: Header=BB98_11 Depth=1
	global_load_ushort v16, v[10:11], off offset:384
.LBB98_25:                              ;   in Loop: Header=BB98_11 Depth=1
	s_or_b64 exec, exec, s[26:27]
	s_waitcnt vmcnt(0)
	ds_write_b16 v39, v9
	ds_write_b16 v40, v15 offset:128
	ds_write_b16 v41, v14 offset:256
	ds_write_b16 v42, v16 offset:384
	; wave barrier
	ds_read_b64 v[14:15], v43
	s_waitcnt lgkmcnt(0)
	v_cvt_f32_f16_e32 v9, v14
	v_add_f32_e32 v53, s33, v9
	v_cmp_ge_f32_e32 vcc, s83, v53
	s_and_b64 s[26:27], s[58:59], vcc
	s_and_saveexec_b64 s[28:29], s[26:27]
	s_cbranch_execz .LBB98_27
; %bb.26:                               ;   in Loop: Header=BB98_11 Depth=1
	v_mul_f32_e32 v9, 0x3fb8aa3b, v53
	v_rndne_f32_e32 v10, v9
	v_sub_f32_e32 v11, v9, v10
	v_fma_f32 v9, v53, s84, -v9
	v_fmac_f32_e32 v9, 0x32a5705f, v53
	v_add_f32_e32 v9, v11, v9
	v_cvt_i32_f32_e32 v10, v10
	v_exp_f32_e32 v9, v9
	v_cmp_ngt_f32_e32 vcc, s85, v53
	v_ldexp_f32 v9, v9, v10
	s_nop 0
	v_cndmask_b32_e32 v9, 0, v9, vcc
	v_cmp_nlt_f32_e32 vcc, s86, v53
	s_nop 1
	v_cndmask_b32_e32 v30, v50, v9, vcc
	v_add_f32_e32 v9, 1.0, v30
	v_add_f32_e32 v10, -1.0, v9
	v_sub_f32_e32 v11, v10, v9
	v_add_f32_e32 v11, 1.0, v11
	v_sub_f32_e32 v10, v30, v10
	v_add_f32_e32 v16, v10, v11
	v_frexp_mant_f32_e32 v17, v9
	v_cvt_f64_f32_e32 v[10:11], v9
	v_frexp_exp_i32_f64_e32 v10, v[10:11]
	v_cmp_gt_f32_e32 vcc, s88, v17
	v_cmp_gt_f32_e64 s[26:27], s90, v30
	s_nop 0
	v_subbrev_co_u32_e32 v22, vcc, 0, v10, vcc
	v_sub_u32_e32 v10, 0, v22
	v_ldexp_f32 v9, v9, v10
	v_ldexp_f32 v10, v16, v10
	v_add_f32_e32 v16, -1.0, v9
	v_add_f32_e32 v11, 1.0, v16
	v_sub_f32_e32 v11, v9, v11
	v_add_f32_e32 v17, v10, v11
	v_add_f32_e32 v11, 1.0, v9
	v_add_f32_e32 v18, -1.0, v11
	v_sub_f32_e32 v9, v9, v18
	v_add_f32_e32 v9, v10, v9
	v_add_f32_e32 v23, v11, v9
	v_rcp_f32_e32 v24, v23
	v_sub_f32_e32 v10, v11, v23
	v_add_f32_e32 v11, v16, v17
	v_add_f32_e32 v9, v9, v10
	v_mul_f32_e32 v26, v11, v24
	v_sub_f32_e32 v10, v16, v11
	v_mul_f32_e32 v16, v23, v26
	v_fma_f32 v18, v26, v23, -v16
	v_fmac_f32_e32 v18, v26, v9
	v_add_f32_e32 v25, v17, v10
	v_add_f32_e32 v10, v16, v18
	v_sub_f32_e32 v17, v11, v10
	v_pk_add_f32 v[20:21], v[10:11], v[16:17] neg_lo:[0,1] neg_hi:[0,1]
	v_mov_b32_e32 v19, v10
	v_pk_add_f32 v[10:11], v[20:21], v[18:19] neg_lo:[0,1] neg_hi:[0,1]
	v_cmp_eq_f32_e32 vcc, s87, v30
	v_add_f32_e32 v11, v25, v11
	v_add_f32_e32 v10, v10, v11
	;; [unrolled: 1-line block ×3, first 2 shown]
	v_mul_f32_e32 v25, v24, v11
	v_mul_f32_e32 v16, v23, v25
	v_fma_f32 v18, v25, v23, -v16
	v_fmac_f32_e32 v18, v25, v9
	v_sub_f32_e32 v9, v17, v11
	v_add_f32_e32 v9, v10, v9
	v_add_f32_e32 v10, v16, v18
	v_sub_f32_e32 v17, v11, v10
	v_pk_add_f32 v[20:21], v[10:11], v[16:17] neg_lo:[0,1] neg_hi:[0,1]
	v_mov_b32_e32 v19, v10
	v_pk_add_f32 v[10:11], v[20:21], v[18:19] neg_lo:[0,1] neg_hi:[0,1]
	s_or_b64 vcc, s[26:27], vcc
	v_add_f32_e32 v9, v9, v11
	v_add_f32_e32 v9, v10, v9
	;; [unrolled: 1-line block ×4, first 2 shown]
	v_sub_f32_e32 v10, v11, v26
	v_mul_f32_e32 v9, v24, v9
	v_sub_f32_e32 v10, v25, v10
	v_add_f32_e32 v16, v10, v9
	v_add_f32_e32 v18, v11, v16
	v_cvt_f32_i32_e32 v10, v22
	v_mul_f32_e32 v19, v18, v18
	v_sub_f32_e32 v11, v18, v11
	v_fmamk_f32 v9, v19, 0x3e9b6dac, v49
	v_sub_f32_e32 v11, v16, v11
	v_fmaak_f32 v9, v19, v9, 0x3f2aaada
	v_ldexp_f32 v20, v11, 1
	v_mul_f32_e32 v11, v18, v19
	v_ldexp_f32 v17, v18, 1
	v_pk_mul_f32 v[18:19], v[10:11], v[8:9]
	s_nop 0
	v_fma_f32 v16, v10, s89, -v18
	v_fmac_f32_e32 v16, 0xb102e308, v10
	v_pk_add_f32 v[10:11], v[18:19], v[16:17]
	s_nop 0
	v_sub_f32_e32 v9, v11, v17
	v_sub_f32_e32 v9, v19, v9
	v_add_f32_e32 v21, v20, v9
	v_mov_b32_e32 v20, v18
	v_pk_add_f32 v[18:19], v[10:11], v[18:19] neg_lo:[0,1] neg_hi:[0,1]
	v_pk_add_f32 v[22:23], v[10:11], v[20:21]
	v_mov_b32_e32 v17, v10
	v_mov_b32_e32 v19, v23
	v_pk_add_f32 v[24:25], v[16:17], v[18:19] neg_lo:[0,1] neg_hi:[0,1]
	v_pk_add_f32 v[16:17], v[16:17], v[18:19]
	v_mov_b32_e32 v20, v21
	v_mov_b32_e32 v18, v17
	v_pk_add_f32 v[26:27], v[18:19], v[10:11] neg_lo:[0,1] neg_hi:[0,1]
	v_mov_b32_e32 v16, v23
	v_mov_b32_e32 v9, v26
	v_pk_add_f32 v[28:29], v[22:23], v[8:9] neg_lo:[0,1] neg_hi:[0,1]
	v_mov_b32_e32 v22, v11
	v_mov_b32_e32 v23, v26
	;; [unrolled: 1-line block ×3, first 2 shown]
	v_pk_add_f32 v[16:17], v[16:17], v[22:23] neg_lo:[0,1] neg_hi:[0,1]
	v_mov_b32_e32 v21, v10
	v_pk_add_f32 v[10:11], v[20:21], v[16:17] neg_lo:[0,1] neg_hi:[0,1]
	v_mov_b32_e32 v28, v24
	v_pk_add_f32 v[16:17], v[28:29], v[10:11]
	s_nop 0
	v_mov_b32_e32 v20, v17
	v_pk_add_f32 v[20:21], v[16:17], v[20:21]
	s_nop 0
	v_pk_add_f32 v[18:19], v[18:19], v[20:21]
	v_mov_b32_e32 v11, v20
	v_mov_b32_e32 v17, v18
	v_pk_add_f32 v[22:23], v[16:17], v[24:25] neg_lo:[0,1] neg_hi:[0,1]
	s_nop 0
	v_sub_f32_e32 v9, v16, v22
	v_pk_add_f32 v[10:11], v[10:11], v[22:23] neg_lo:[0,1] neg_hi:[0,1]
	v_sub_f32_e32 v9, v24, v9
	v_add_f32_e32 v9, v10, v9
	v_add_f32_e32 v9, v9, v11
	;; [unrolled: 1-line block ×3, first 2 shown]
	v_cndmask_b32_e32 v53, v9, v30, vcc
.LBB98_27:                              ;   in Loop: Header=BB98_11 Depth=1
	s_or_b64 exec, exec, s[28:29]
	v_cvt_f32_f16_sdwa v9, v14 dst_sel:DWORD dst_unused:UNUSED_PAD src0_sel:WORD_1
	v_add_f32_e32 v54, s33, v9
	v_cmp_ge_f32_e32 vcc, s83, v54
	s_and_b64 s[26:27], s[58:59], vcc
	s_and_saveexec_b64 s[28:29], s[26:27]
	s_cbranch_execz .LBB98_29
; %bb.28:                               ;   in Loop: Header=BB98_11 Depth=1
	v_mul_f32_e32 v9, 0x3fb8aa3b, v54
	v_rndne_f32_e32 v10, v9
	v_sub_f32_e32 v11, v9, v10
	v_fma_f32 v9, v54, s84, -v9
	v_fmac_f32_e32 v9, 0x32a5705f, v54
	v_add_f32_e32 v9, v11, v9
	v_cvt_i32_f32_e32 v10, v10
	v_exp_f32_e32 v9, v9
	v_cmp_ngt_f32_e32 vcc, s85, v54
	v_ldexp_f32 v9, v9, v10
	s_nop 0
	v_cndmask_b32_e32 v9, 0, v9, vcc
	v_cmp_nlt_f32_e32 vcc, s86, v54
	s_nop 1
	v_cndmask_b32_e32 v28, v50, v9, vcc
	v_add_f32_e32 v9, 1.0, v28
	v_add_f32_e32 v10, -1.0, v9
	v_sub_f32_e32 v11, v10, v9
	v_add_f32_e32 v11, 1.0, v11
	v_sub_f32_e32 v10, v28, v10
	v_add_f32_e32 v14, v10, v11
	v_frexp_mant_f32_e32 v16, v9
	v_cvt_f64_f32_e32 v[10:11], v9
	v_frexp_exp_i32_f64_e32 v10, v[10:11]
	v_cmp_gt_f32_e32 vcc, s88, v16
	v_cmp_gt_f32_e64 s[26:27], s90, v28
	s_nop 0
	v_subbrev_co_u32_e32 v22, vcc, 0, v10, vcc
	v_sub_u32_e32 v10, 0, v22
	v_ldexp_f32 v9, v9, v10
	v_ldexp_f32 v10, v14, v10
	v_add_f32_e32 v14, -1.0, v9
	v_add_f32_e32 v11, 1.0, v14
	v_sub_f32_e32 v11, v9, v11
	v_add_f32_e32 v16, v10, v11
	v_add_f32_e32 v11, 1.0, v9
	v_add_f32_e32 v17, -1.0, v11
	v_sub_f32_e32 v9, v9, v17
	v_add_f32_e32 v9, v10, v9
	v_add_f32_e32 v23, v11, v9
	v_rcp_f32_e32 v24, v23
	v_sub_f32_e32 v10, v11, v23
	v_add_f32_e32 v11, v14, v16
	v_add_f32_e32 v9, v9, v10
	v_sub_f32_e32 v10, v14, v11
	v_mul_f32_e32 v25, v11, v24
	v_add_f32_e32 v14, v16, v10
	v_mul_f32_e32 v16, v23, v25
	v_fma_f32 v18, v25, v23, -v16
	v_fmac_f32_e32 v18, v25, v9
	v_add_f32_e32 v10, v16, v18
	v_sub_f32_e32 v17, v11, v10
	v_pk_add_f32 v[20:21], v[10:11], v[16:17] neg_lo:[0,1] neg_hi:[0,1]
	v_mov_b32_e32 v19, v10
	v_pk_add_f32 v[10:11], v[20:21], v[18:19] neg_lo:[0,1] neg_hi:[0,1]
	v_cmp_eq_f32_e32 vcc, s87, v28
	v_add_f32_e32 v11, v14, v11
	v_add_f32_e32 v10, v10, v11
	;; [unrolled: 1-line block ×3, first 2 shown]
	v_mul_f32_e32 v14, v24, v11
	v_mul_f32_e32 v16, v23, v14
	v_fma_f32 v18, v14, v23, -v16
	v_fmac_f32_e32 v18, v14, v9
	v_sub_f32_e32 v9, v17, v11
	v_add_f32_e32 v9, v10, v9
	v_add_f32_e32 v10, v16, v18
	v_sub_f32_e32 v17, v11, v10
	v_pk_add_f32 v[20:21], v[10:11], v[16:17] neg_lo:[0,1] neg_hi:[0,1]
	v_mov_b32_e32 v19, v10
	v_pk_add_f32 v[10:11], v[20:21], v[18:19] neg_lo:[0,1] neg_hi:[0,1]
	s_or_b64 vcc, s[26:27], vcc
	v_add_f32_e32 v9, v9, v11
	v_add_f32_e32 v9, v10, v9
	;; [unrolled: 1-line block ×4, first 2 shown]
	v_sub_f32_e32 v10, v11, v25
	v_mul_f32_e32 v9, v24, v9
	v_sub_f32_e32 v10, v14, v10
	v_add_f32_e32 v14, v10, v9
	v_add_f32_e32 v16, v11, v14
	v_cvt_f32_i32_e32 v10, v22
	v_mul_f32_e32 v18, v16, v16
	v_sub_f32_e32 v11, v16, v11
	v_fmamk_f32 v9, v18, 0x3e9b6dac, v49
	v_sub_f32_e32 v11, v14, v11
	v_fmaak_f32 v9, v18, v9, 0x3f2aaada
	v_ldexp_f32 v14, v11, 1
	v_mul_f32_e32 v11, v16, v18
	v_pk_mul_f32 v[18:19], v[10:11], v[8:9]
	v_ldexp_f32 v17, v16, 1
	v_fma_f32 v16, v10, s89, -v18
	v_fmac_f32_e32 v16, 0xb102e308, v10
	v_pk_add_f32 v[10:11], v[18:19], v[16:17]
	v_mov_b32_e32 v20, v18
	v_sub_f32_e32 v9, v11, v17
	v_sub_f32_e32 v9, v19, v9
	v_add_f32_e32 v21, v14, v9
	v_pk_add_f32 v[18:19], v[10:11], v[18:19] neg_lo:[0,1] neg_hi:[0,1]
	v_pk_add_f32 v[22:23], v[10:11], v[20:21]
	v_mov_b32_e32 v17, v10
	v_mov_b32_e32 v19, v23
	v_pk_add_f32 v[24:25], v[16:17], v[18:19] neg_lo:[0,1] neg_hi:[0,1]
	v_pk_add_f32 v[16:17], v[16:17], v[18:19]
	s_nop 0
	v_mov_b32_e32 v14, v17
	v_pk_add_f32 v[18:19], v[14:15], v[10:11] neg_lo:[0,1] neg_hi:[0,1]
	v_mov_b32_e32 v16, v23
	v_mov_b32_e32 v9, v18
	v_pk_add_f32 v[26:27], v[22:23], v[8:9] neg_lo:[0,1] neg_hi:[0,1]
	v_mov_b32_e32 v22, v11
	v_mov_b32_e32 v23, v18
	;; [unrolled: 1-line block ×3, first 2 shown]
	v_pk_add_f32 v[16:17], v[16:17], v[22:23] neg_lo:[0,1] neg_hi:[0,1]
	v_mov_b32_e32 v18, v21
	v_mov_b32_e32 v19, v10
	v_pk_add_f32 v[10:11], v[18:19], v[16:17] neg_lo:[0,1] neg_hi:[0,1]
	v_mov_b32_e32 v26, v24
	v_pk_add_f32 v[16:17], v[26:27], v[10:11]
	s_nop 0
	v_mov_b32_e32 v18, v17
	v_pk_add_f32 v[18:19], v[16:17], v[18:19]
	s_nop 0
	v_pk_add_f32 v[20:21], v[14:15], v[18:19]
	v_mov_b32_e32 v11, v18
	v_mov_b32_e32 v17, v20
	v_pk_add_f32 v[22:23], v[16:17], v[24:25] neg_lo:[0,1] neg_hi:[0,1]
	s_nop 0
	v_sub_f32_e32 v9, v16, v22
	v_pk_add_f32 v[10:11], v[10:11], v[22:23] neg_lo:[0,1] neg_hi:[0,1]
	v_sub_f32_e32 v9, v24, v9
	v_add_f32_e32 v9, v10, v9
	v_add_f32_e32 v9, v9, v11
	;; [unrolled: 1-line block ×3, first 2 shown]
	v_cndmask_b32_e32 v54, v9, v28, vcc
.LBB98_29:                              ;   in Loop: Header=BB98_11 Depth=1
	s_or_b64 exec, exec, s[28:29]
	v_cvt_f32_f16_e32 v9, v15
	v_add_f32_e32 v11, s33, v9
	v_cmp_ge_f32_e32 vcc, s83, v11
	s_and_b64 s[26:27], s[58:59], vcc
	s_and_saveexec_b64 s[28:29], s[26:27]
	s_cbranch_execz .LBB98_31
; %bb.30:                               ;   in Loop: Header=BB98_11 Depth=1
	v_mul_f32_e32 v9, 0x3fb8aa3b, v11
	v_rndne_f32_e32 v10, v9
	v_sub_f32_e32 v14, v9, v10
	v_fma_f32 v9, v11, s84, -v9
	v_fmac_f32_e32 v9, 0x32a5705f, v11
	v_add_f32_e32 v9, v14, v9
	v_cvt_i32_f32_e32 v10, v10
	v_exp_f32_e32 v9, v9
	v_cmp_ngt_f32_e32 vcc, s85, v11
	v_ldexp_f32 v9, v9, v10
	s_nop 0
	v_cndmask_b32_e32 v9, 0, v9, vcc
	v_cmp_nlt_f32_e32 vcc, s86, v11
	s_nop 1
	v_cndmask_b32_e32 v28, v50, v9, vcc
	v_add_f32_e32 v9, 1.0, v28
	v_add_f32_e32 v10, -1.0, v9
	v_sub_f32_e32 v11, v10, v9
	v_add_f32_e32 v11, 1.0, v11
	v_sub_f32_e32 v10, v28, v10
	v_add_f32_e32 v14, v10, v11
	v_frexp_mant_f32_e32 v16, v9
	v_cvt_f64_f32_e32 v[10:11], v9
	v_frexp_exp_i32_f64_e32 v10, v[10:11]
	v_cmp_gt_f32_e32 vcc, s88, v16
	v_cmp_gt_f32_e64 s[26:27], s90, v28
	s_nop 0
	v_subbrev_co_u32_e32 v22, vcc, 0, v10, vcc
	v_sub_u32_e32 v10, 0, v22
	v_ldexp_f32 v9, v9, v10
	v_ldexp_f32 v10, v14, v10
	v_add_f32_e32 v14, -1.0, v9
	v_add_f32_e32 v11, 1.0, v14
	v_sub_f32_e32 v11, v9, v11
	v_add_f32_e32 v16, v10, v11
	v_add_f32_e32 v11, 1.0, v9
	v_add_f32_e32 v17, -1.0, v11
	v_sub_f32_e32 v9, v9, v17
	v_add_f32_e32 v9, v10, v9
	v_add_f32_e32 v23, v11, v9
	v_rcp_f32_e32 v24, v23
	v_sub_f32_e32 v10, v11, v23
	v_add_f32_e32 v11, v14, v16
	v_add_f32_e32 v9, v9, v10
	v_sub_f32_e32 v10, v14, v11
	v_mul_f32_e32 v25, v11, v24
	v_add_f32_e32 v14, v16, v10
	v_mul_f32_e32 v16, v23, v25
	v_fma_f32 v18, v25, v23, -v16
	v_fmac_f32_e32 v18, v25, v9
	v_add_f32_e32 v10, v16, v18
	v_sub_f32_e32 v17, v11, v10
	v_pk_add_f32 v[20:21], v[10:11], v[16:17] neg_lo:[0,1] neg_hi:[0,1]
	v_mov_b32_e32 v19, v10
	v_pk_add_f32 v[10:11], v[20:21], v[18:19] neg_lo:[0,1] neg_hi:[0,1]
	v_cmp_eq_f32_e32 vcc, s87, v28
	v_add_f32_e32 v11, v14, v11
	v_add_f32_e32 v10, v10, v11
	;; [unrolled: 1-line block ×3, first 2 shown]
	v_mul_f32_e32 v14, v24, v11
	v_mul_f32_e32 v16, v23, v14
	v_fma_f32 v18, v14, v23, -v16
	v_fmac_f32_e32 v18, v14, v9
	v_sub_f32_e32 v9, v17, v11
	v_add_f32_e32 v9, v10, v9
	v_add_f32_e32 v10, v16, v18
	v_sub_f32_e32 v17, v11, v10
	v_pk_add_f32 v[20:21], v[10:11], v[16:17] neg_lo:[0,1] neg_hi:[0,1]
	v_mov_b32_e32 v19, v10
	v_pk_add_f32 v[10:11], v[20:21], v[18:19] neg_lo:[0,1] neg_hi:[0,1]
	s_or_b64 vcc, s[26:27], vcc
	v_add_f32_e32 v9, v9, v11
	v_add_f32_e32 v9, v10, v9
	;; [unrolled: 1-line block ×4, first 2 shown]
	v_sub_f32_e32 v10, v11, v25
	v_mul_f32_e32 v9, v24, v9
	v_sub_f32_e32 v10, v14, v10
	v_add_f32_e32 v14, v10, v9
	v_add_f32_e32 v16, v11, v14
	v_cvt_f32_i32_e32 v10, v22
	v_mul_f32_e32 v18, v16, v16
	v_sub_f32_e32 v11, v16, v11
	v_fmamk_f32 v9, v18, 0x3e9b6dac, v49
	v_sub_f32_e32 v11, v14, v11
	v_fmaak_f32 v9, v18, v9, 0x3f2aaada
	v_ldexp_f32 v14, v11, 1
	v_mul_f32_e32 v11, v16, v18
	v_pk_mul_f32 v[18:19], v[10:11], v[8:9]
	v_ldexp_f32 v17, v16, 1
	v_fma_f32 v16, v10, s89, -v18
	v_fmac_f32_e32 v16, 0xb102e308, v10
	v_pk_add_f32 v[10:11], v[18:19], v[16:17]
	v_mov_b32_e32 v20, v18
	v_sub_f32_e32 v9, v11, v17
	v_sub_f32_e32 v9, v19, v9
	v_add_f32_e32 v21, v14, v9
	v_pk_add_f32 v[18:19], v[10:11], v[18:19] neg_lo:[0,1] neg_hi:[0,1]
	v_pk_add_f32 v[22:23], v[10:11], v[20:21]
	v_mov_b32_e32 v17, v10
	v_mov_b32_e32 v19, v23
	v_pk_add_f32 v[24:25], v[16:17], v[18:19] neg_lo:[0,1] neg_hi:[0,1]
	v_pk_add_f32 v[16:17], v[16:17], v[18:19]
	s_nop 0
	v_mov_b32_e32 v14, v17
	v_pk_add_f32 v[18:19], v[14:15], v[10:11] neg_lo:[0,1] neg_hi:[0,1]
	v_mov_b32_e32 v16, v23
	v_mov_b32_e32 v9, v18
	v_pk_add_f32 v[26:27], v[22:23], v[8:9] neg_lo:[0,1] neg_hi:[0,1]
	v_mov_b32_e32 v22, v11
	v_mov_b32_e32 v23, v18
	;; [unrolled: 1-line block ×3, first 2 shown]
	v_pk_add_f32 v[16:17], v[16:17], v[22:23] neg_lo:[0,1] neg_hi:[0,1]
	v_mov_b32_e32 v18, v21
	v_mov_b32_e32 v19, v10
	v_pk_add_f32 v[10:11], v[18:19], v[16:17] neg_lo:[0,1] neg_hi:[0,1]
	v_mov_b32_e32 v26, v24
	v_pk_add_f32 v[16:17], v[26:27], v[10:11]
	s_nop 0
	v_mov_b32_e32 v18, v17
	v_pk_add_f32 v[18:19], v[16:17], v[18:19]
	s_nop 0
	v_pk_add_f32 v[20:21], v[14:15], v[18:19]
	v_mov_b32_e32 v11, v18
	v_mov_b32_e32 v17, v20
	v_pk_add_f32 v[22:23], v[16:17], v[24:25] neg_lo:[0,1] neg_hi:[0,1]
	s_nop 0
	v_sub_f32_e32 v9, v16, v22
	v_pk_add_f32 v[10:11], v[10:11], v[22:23] neg_lo:[0,1] neg_hi:[0,1]
	v_sub_f32_e32 v9, v24, v9
	v_add_f32_e32 v9, v10, v9
	v_add_f32_e32 v9, v9, v11
	;; [unrolled: 1-line block ×3, first 2 shown]
	v_cndmask_b32_e32 v11, v9, v28, vcc
.LBB98_31:                              ;   in Loop: Header=BB98_11 Depth=1
	s_or_b64 exec, exec, s[28:29]
	v_cvt_f32_f16_sdwa v9, v15 dst_sel:DWORD dst_unused:UNUSED_PAD src0_sel:WORD_1
	v_add_f32_e32 v10, s33, v9
	v_cmp_ge_f32_e32 vcc, s83, v10
	s_and_b64 s[26:27], s[58:59], vcc
	s_and_saveexec_b64 s[28:29], s[26:27]
	s_cbranch_execz .LBB98_33
; %bb.32:                               ;   in Loop: Header=BB98_11 Depth=1
	v_mul_f32_e32 v9, 0x3fb8aa3b, v10
	v_rndne_f32_e32 v14, v9
	v_sub_f32_e32 v15, v9, v14
	v_fma_f32 v9, v10, s84, -v9
	v_fmac_f32_e32 v9, 0x32a5705f, v10
	v_add_f32_e32 v9, v15, v9
	v_cvt_i32_f32_e32 v14, v14
	v_exp_f32_e32 v9, v9
	v_cmp_ngt_f32_e32 vcc, s85, v10
	v_ldexp_f32 v9, v9, v14
	s_nop 0
	v_cndmask_b32_e32 v9, 0, v9, vcc
	v_cmp_nlt_f32_e32 vcc, s86, v10
	s_nop 1
	v_cndmask_b32_e32 v28, v50, v9, vcc
	v_add_f32_e32 v9, 1.0, v28
	v_add_f32_e32 v10, -1.0, v9
	v_sub_f32_e32 v14, v10, v9
	v_add_f32_e32 v14, 1.0, v14
	v_sub_f32_e32 v10, v28, v10
	v_add_f32_e32 v10, v10, v14
	v_frexp_mant_f32_e32 v16, v9
	v_cvt_f64_f32_e32 v[14:15], v9
	v_frexp_exp_i32_f64_e32 v14, v[14:15]
	v_cmp_gt_f32_e32 vcc, s88, v16
	v_cmp_gt_f32_e64 s[26:27], s90, v28
	s_nop 0
	v_subbrev_co_u32_e32 v22, vcc, 0, v14, vcc
	v_sub_u32_e32 v14, 0, v22
	v_ldexp_f32 v9, v9, v14
	v_ldexp_f32 v10, v10, v14
	v_add_f32_e32 v14, -1.0, v9
	v_add_f32_e32 v15, 1.0, v14
	v_sub_f32_e32 v15, v9, v15
	v_add_f32_e32 v16, v10, v15
	v_add_f32_e32 v15, 1.0, v9
	v_add_f32_e32 v17, -1.0, v15
	v_sub_f32_e32 v9, v9, v17
	v_add_f32_e32 v9, v10, v9
	v_add_f32_e32 v10, v15, v9
	v_rcp_f32_e32 v23, v10
	v_sub_f32_e32 v15, v15, v10
	v_add_f32_e32 v9, v9, v15
	v_add_f32_e32 v15, v14, v16
	v_sub_f32_e32 v14, v14, v15
	v_mul_f32_e32 v25, v15, v23
	v_add_f32_e32 v24, v16, v14
	v_mul_f32_e32 v16, v10, v25
	v_fma_f32 v18, v25, v10, -v16
	v_fmac_f32_e32 v18, v25, v9
	v_add_f32_e32 v14, v16, v18
	v_sub_f32_e32 v17, v15, v14
	v_pk_add_f32 v[20:21], v[14:15], v[16:17] neg_lo:[0,1] neg_hi:[0,1]
	v_mov_b32_e32 v19, v14
	v_pk_add_f32 v[14:15], v[20:21], v[18:19] neg_lo:[0,1] neg_hi:[0,1]
	v_cmp_eq_f32_e32 vcc, s87, v28
	v_add_f32_e32 v15, v24, v15
	v_add_f32_e32 v14, v14, v15
	;; [unrolled: 1-line block ×3, first 2 shown]
	v_mul_f32_e32 v24, v23, v15
	v_mul_f32_e32 v16, v10, v24
	v_fma_f32 v18, v24, v10, -v16
	v_fmac_f32_e32 v18, v24, v9
	v_sub_f32_e32 v9, v17, v15
	v_add_f32_e32 v9, v14, v9
	v_add_f32_e32 v14, v16, v18
	v_sub_f32_e32 v17, v15, v14
	v_pk_add_f32 v[20:21], v[14:15], v[16:17] neg_lo:[0,1] neg_hi:[0,1]
	v_mov_b32_e32 v19, v14
	v_pk_add_f32 v[14:15], v[20:21], v[18:19] neg_lo:[0,1] neg_hi:[0,1]
	v_add_f32_e32 v10, v25, v24
	v_add_f32_e32 v9, v9, v15
	v_add_f32_e32 v9, v14, v9
	v_add_f32_e32 v9, v17, v9
	v_sub_f32_e32 v14, v10, v25
	v_mul_f32_e32 v9, v23, v9
	v_sub_f32_e32 v14, v24, v14
	v_add_f32_e32 v15, v14, v9
	v_add_f32_e32 v16, v10, v15
	v_cvt_f32_i32_e32 v14, v22
	v_mul_f32_e32 v18, v16, v16
	v_fmamk_f32 v9, v18, 0x3e9b6dac, v49
	v_sub_f32_e32 v10, v16, v10
	v_fmaak_f32 v9, v18, v9, 0x3f2aaada
	v_sub_f32_e32 v10, v15, v10
	v_mul_f32_e32 v15, v16, v18
	v_pk_mul_f32 v[18:19], v[14:15], v[8:9]
	v_ldexp_f32 v17, v16, 1
	v_fma_f32 v16, v14, s89, -v18
	v_fmac_f32_e32 v16, 0xb102e308, v14
	v_pk_add_f32 v[14:15], v[18:19], v[16:17]
	v_ldexp_f32 v10, v10, 1
	v_sub_f32_e32 v9, v15, v17
	v_sub_f32_e32 v9, v19, v9
	v_add_f32_e32 v21, v10, v9
	v_mov_b32_e32 v20, v18
	v_pk_add_f32 v[18:19], v[14:15], v[18:19] neg_lo:[0,1] neg_hi:[0,1]
	v_pk_add_f32 v[22:23], v[14:15], v[20:21]
	v_mov_b32_e32 v17, v14
	v_mov_b32_e32 v19, v23
	v_pk_add_f32 v[24:25], v[16:17], v[18:19] neg_lo:[0,1] neg_hi:[0,1]
	v_pk_add_f32 v[16:17], v[16:17], v[18:19]
	s_or_b64 vcc, s[26:27], vcc
	v_mov_b32_e32 v10, v17
	v_pk_add_f32 v[18:19], v[10:11], v[14:15] neg_lo:[0,1] neg_hi:[0,1]
	v_mov_b32_e32 v16, v23
	v_mov_b32_e32 v9, v18
	v_pk_add_f32 v[26:27], v[22:23], v[8:9] neg_lo:[0,1] neg_hi:[0,1]
	v_mov_b32_e32 v22, v15
	v_mov_b32_e32 v23, v18
	v_mov_b32_e32 v25, v17
	v_pk_add_f32 v[16:17], v[16:17], v[22:23] neg_lo:[0,1] neg_hi:[0,1]
	v_mov_b32_e32 v18, v21
	v_mov_b32_e32 v19, v14
	v_pk_add_f32 v[14:15], v[18:19], v[16:17] neg_lo:[0,1] neg_hi:[0,1]
	v_mov_b32_e32 v26, v24
	v_pk_add_f32 v[16:17], v[26:27], v[14:15]
	s_nop 0
	v_mov_b32_e32 v18, v17
	v_pk_add_f32 v[18:19], v[16:17], v[18:19]
	s_nop 0
	v_pk_add_f32 v[20:21], v[10:11], v[18:19]
	v_mov_b32_e32 v15, v18
	v_mov_b32_e32 v17, v20
	v_pk_add_f32 v[22:23], v[16:17], v[24:25] neg_lo:[0,1] neg_hi:[0,1]
	s_nop 0
	v_sub_f32_e32 v9, v16, v22
	v_pk_add_f32 v[14:15], v[14:15], v[22:23] neg_lo:[0,1] neg_hi:[0,1]
	v_sub_f32_e32 v9, v24, v9
	v_add_f32_e32 v9, v14, v9
	v_add_f32_e32 v9, v9, v15
	;; [unrolled: 1-line block ×3, first 2 shown]
	v_cndmask_b32_e32 v10, v9, v28, vcc
.LBB98_33:                              ;   in Loop: Header=BB98_11 Depth=1
	s_or_b64 exec, exec, s[28:29]
	v_cvt_f32_f16_e32 v20, v13
	v_cvt_f32_f16_sdwa v21, v12 dst_sel:DWORD dst_unused:UNUSED_PAD src0_sel:WORD_1
	v_cvt_f32_f16_e32 v22, v12
	v_cvt_f32_f16_sdwa v9, v13 dst_sel:DWORD dst_unused:UNUSED_PAD src0_sel:WORD_1
	v_mul_f32_e32 v14, s78, v20
	v_mul_f32_e32 v13, s78, v21
	;; [unrolled: 1-line block ×4, first 2 shown]
	s_and_b64 vcc, exec, s[60:61]
	s_waitcnt lgkmcnt(0)
	; wave barrier
	s_cbranch_vccz .LBB98_75
; %bb.34:                               ;   in Loop: Header=BB98_11 Depth=1
	s_cmp_lg_u32 s93, 0
	s_cselect_b64 s[66:67], -1, 0
	s_cmp_eq_u32 s93, s82
	v_cmp_gt_u32_e32 vcc, s34, v7
	s_cselect_b64 s[68:69], -1, 0
	s_or_b64 s[26:27], s[62:63], vcc
	v_cmp_gt_u32_e32 vcc, s34, v6
	s_mov_b32 s54, 0
	v_cmp_gt_u32_e64 s[28:29], s34, v3
	s_or_b64 s[30:31], s[62:63], vcc
	v_cmp_gt_u32_e32 vcc, s34, v48
	v_mul_f32_e32 v9, v10, v9
	v_lshl_add_u64 v[16:17], s[42:43], 0, v[0:1]
	v_lshl_add_u64 v[18:19], s[46:47], 0, v[0:1]
	v_mul_f32_e32 v55, v11, v20
	v_mul_f32_e32 v56, v54, v21
	;; [unrolled: 1-line block ×3, first 2 shown]
	s_or_b64 s[28:29], s[62:63], s[28:29]
	s_or_b64 s[34:35], s[62:63], vcc
	s_mov_b32 s70, s54
	s_mov_b32 s72, s54
	;; [unrolled: 1-line block ×5, first 2 shown]
	s_branch .LBB98_36
.LBB98_35:                              ;   in Loop: Header=BB98_36 Depth=2
	s_or_b64 exec, exec, s[36:37]
	v_mul_f32_e32 v22, v29, v28
	v_fma_f32 v23, v29, v31, v24
	v_cndmask_b32_e64 v24, v23, v24, s[16:17]
	v_cndmask_b32_e64 v22, v22, v29, s[16:17]
	s_waitcnt lgkmcnt(0)
	v_fmac_f32_e32 v24, v34, v22
	v_fmac_f32_e32 v25, v24, v27
	v_cvt_f32_f16_sdwa v23, v21 dst_sel:DWORD dst_unused:UNUSED_PAD src0_sel:WORD_1
	v_cvt_f32_f16_e32 v22, v21
	v_cvt_f32_f16_sdwa v21, v20 dst_sel:DWORD dst_unused:UNUSED_PAD src0_sel:WORD_1
	v_cvt_f32_f16_e32 v20, v20
	v_fmac_f32_e32 v26, v25, v33
	v_fmac_f32_e32 v30, v26, v32
	v_mov_b32_e32 v27, v30
	s_add_i32 s94, s94, 8
	s_add_i32 s65, s65, -1
	s_add_i32 s74, s74, s38
	s_add_i32 s72, s72, s48
	;; [unrolled: 1-line block ×4, first 2 shown]
	v_pk_fma_f32 v[14:15], v[26:27], v[22:23], v[14:15]
	s_cmp_eq_u32 s65, 0
	v_pk_fma_f32 v[12:13], v[24:25], v[20:21], v[12:13]
	s_cbranch_scc1 .LBB98_75
.LBB98_36:                              ;   Parent Loop BB98_11 Depth=1
                                        ; =>  This Inner Loop Header: Depth=2
	s_lshl_b64 s[36:37], s[54:55], 2
	s_add_u32 s36, s40, s36
	s_addc_u32 s37, s80, s37
	global_load_dword v26, v1, s[36:37]
	s_mov_b32 s71, s55
	v_lshl_add_u64 v[20:21], s[70:71], 1, v[16:17]
	v_mov_b32_e32 v22, 0
	v_mov_b32_e32 v23, 0
	s_and_saveexec_b64 s[36:37], s[18:19]
	s_cbranch_execnz .LBB98_48
; %bb.37:                               ;   in Loop: Header=BB98_36 Depth=2
	s_or_b64 exec, exec, s[36:37]
	s_and_saveexec_b64 s[36:37], s[20:21]
	s_cbranch_execnz .LBB98_49
.LBB98_38:                              ;   in Loop: Header=BB98_36 Depth=2
	s_or_b64 exec, exec, s[36:37]
	v_mov_b32_e32 v24, 0
	s_and_saveexec_b64 s[36:37], s[22:23]
	s_cbranch_execnz .LBB98_50
.LBB98_39:                              ;   in Loop: Header=BB98_36 Depth=2
	s_or_b64 exec, exec, s[36:37]
	s_and_saveexec_b64 s[36:37], s[24:25]
	s_cbranch_execz .LBB98_41
.LBB98_40:                              ;   in Loop: Header=BB98_36 Depth=2
	global_load_ushort v20, v[20:21], off offset:384
	s_waitcnt vmcnt(0)
	v_lshl_or_b32 v24, v20, 16, v24
.LBB98_41:                              ;   in Loop: Header=BB98_36 Depth=2
	s_or_b64 exec, exec, s[36:37]
	s_waitcnt vmcnt(0)
	ds_write_b16 v39, v23
	ds_write_b16 v40, v22 offset:128
	ds_write_b16 v41, v24 offset:256
	ds_write_b16_d16_hi v42, v24 offset:384
	; wave barrier
	ds_read_b64 v[24:25], v43
	s_mov_b32 s73, s55
	v_lshl_add_u64 v[20:21], s[72:73], 1, v[18:19]
	v_mov_b32_e32 v22, 0
	v_mov_b32_e32 v23, 0
	s_and_saveexec_b64 s[36:37], s[18:19]
	s_cbranch_execnz .LBB98_51
; %bb.42:                               ;   in Loop: Header=BB98_36 Depth=2
	s_or_b64 exec, exec, s[36:37]
	s_and_saveexec_b64 s[36:37], s[20:21]
	s_cbranch_execnz .LBB98_52
.LBB98_43:                              ;   in Loop: Header=BB98_36 Depth=2
	s_or_b64 exec, exec, s[36:37]
	v_mov_b32_e32 v27, 0
	s_and_saveexec_b64 s[36:37], s[22:23]
	s_cbranch_execnz .LBB98_53
.LBB98_44:                              ;   in Loop: Header=BB98_36 Depth=2
	s_or_b64 exec, exec, s[36:37]
	s_and_saveexec_b64 s[36:37], s[24:25]
	s_cbranch_execz .LBB98_46
.LBB98_45:                              ;   in Loop: Header=BB98_36 Depth=2
	global_load_ushort v20, v[20:21], off offset:384
	s_waitcnt vmcnt(0)
	v_lshl_or_b32 v27, v20, 16, v27
.LBB98_46:                              ;   in Loop: Header=BB98_36 Depth=2
	s_or_b64 exec, exec, s[36:37]
	s_waitcnt vmcnt(0)
	ds_write_b16 v39, v23 offset:528
	ds_write_b16 v44, v22 offset:128
	;; [unrolled: 1-line block ×3, first 2 shown]
	ds_write_b16_d16_hi v46, v27 offset:384
	; wave barrier
	ds_read_b64 v[20:21], v43 offset:528
	s_andn2_b64 vcc, exec, s[66:67]
	s_cbranch_vccnz .LBB98_54
; %bb.47:                               ;   in Loop: Header=BB98_36 Depth=2
	v_mov_b32_e32 v22, s94
	ds_read_b64 v[22:23], v22
	s_cbranch_execz .LBB98_55
	s_branch .LBB98_58
.LBB98_48:                              ;   in Loop: Header=BB98_36 Depth=2
	global_load_ushort v23, v[20:21], off
	s_or_b64 exec, exec, s[36:37]
	s_and_saveexec_b64 s[36:37], s[20:21]
	s_cbranch_execz .LBB98_38
.LBB98_49:                              ;   in Loop: Header=BB98_36 Depth=2
	global_load_ushort v22, v[20:21], off offset:128
	s_or_b64 exec, exec, s[36:37]
	v_mov_b32_e32 v24, 0
	s_and_saveexec_b64 s[36:37], s[22:23]
	s_cbranch_execz .LBB98_39
.LBB98_50:                              ;   in Loop: Header=BB98_36 Depth=2
	global_load_ushort v24, v[20:21], off offset:256
	s_or_b64 exec, exec, s[36:37]
	s_and_saveexec_b64 s[36:37], s[24:25]
	s_cbranch_execnz .LBB98_40
	s_branch .LBB98_41
.LBB98_51:                              ;   in Loop: Header=BB98_36 Depth=2
	global_load_ushort v23, v[20:21], off
	s_or_b64 exec, exec, s[36:37]
	s_and_saveexec_b64 s[36:37], s[20:21]
	s_cbranch_execz .LBB98_43
.LBB98_52:                              ;   in Loop: Header=BB98_36 Depth=2
	global_load_ushort v22, v[20:21], off offset:128
	s_or_b64 exec, exec, s[36:37]
	v_mov_b32_e32 v27, 0
	s_and_saveexec_b64 s[36:37], s[22:23]
	s_cbranch_execz .LBB98_44
.LBB98_53:                              ;   in Loop: Header=BB98_36 Depth=2
	global_load_ushort v27, v[20:21], off offset:256
	s_or_b64 exec, exec, s[36:37]
	s_and_saveexec_b64 s[36:37], s[24:25]
	s_cbranch_execnz .LBB98_45
	s_branch .LBB98_46
.LBB98_54:                              ;   in Loop: Header=BB98_36 Depth=2
                                        ; implicit-def: $vgpr23
.LBB98_55:                              ;   in Loop: Header=BB98_36 Depth=2
	s_andn2_b64 vcc, exec, s[52:53]
	s_waitcnt lgkmcnt(0)
	v_mov_b32_e32 v23, 0
	s_cbranch_vccnz .LBB98_57
; %bb.56:                               ;   in Loop: Header=BB98_36 Depth=2
	s_mov_b32 s75, s55
	s_lshl_b64 s[36:37], s[74:75], 2
	s_add_u32 s36, s45, s36
	s_addc_u32 s37, s49, s37
	global_load_dword v23, v1, s[36:37]
.LBB98_57:                              ;   in Loop: Header=BB98_36 Depth=2
	v_mov_b32_e32 v22, 1.0
.LBB98_58:                              ;   in Loop: Header=BB98_36 Depth=2
	v_mul_f32_e32 v26, 0x3fb8aa3b, v26
	s_waitcnt lgkmcnt(5)
	v_cvt_f32_f16_e32 v27, v24
	v_cvt_f32_f16_sdwa v28, v24 dst_sel:DWORD dst_unused:UNUSED_PAD src0_sel:WORD_1
	v_mul_f32_e32 v24, v26, v53
	v_cmp_gt_f32_e32 vcc, s92, v24
	v_cvt_f32_f16_e32 v32, v25
	v_cvt_f32_f16_sdwa v33, v25 dst_sel:DWORD dst_unused:UNUSED_PAD src0_sel:WORD_1
	v_cndmask_b32_e32 v24, 0, v51, vcc
	v_fmac_f32_e32 v24, v26, v53
	v_exp_f32_e32 v24, v24
	v_cndmask_b32_e32 v25, 1.0, v52, vcc
	v_mul_f32_e32 v25, v24, v25
	v_mul_f32_e32 v24, v57, v27
	;; [unrolled: 1-line block ×3, first 2 shown]
	v_cmp_gt_f32_e32 vcc, s92, v27
	v_cndmask_b32_e64 v29, 1.0, v25, s[26:27]
	v_cndmask_b32_e64 v24, 0, v24, s[26:27]
	v_cndmask_b32_e32 v27, 0, v51, vcc
	v_fmac_f32_e32 v27, v26, v54
	v_exp_f32_e32 v27, v27
	v_cndmask_b32_e32 v25, 1.0, v52, vcc
	v_mul_f32_e32 v27, v27, v25
	v_pk_mul_f32 v[30:31], v[26:27], v[10:11] op_sel_hi:[0,1]
	v_cmp_gt_f32_e32 vcc, s92, v30
	v_mul_f32_e32 v25, v56, v28
	v_cmp_gt_f32_e64 s[36:37], s92, v31
	v_cndmask_b32_e32 v28, 0, v51, vcc
	v_add_f32_e32 v28, v30, v28
	v_cndmask_b32_e64 v30, 0, v51, s[36:37]
	v_exp_f32_e32 v28, v28
	v_add_f32_e32 v30, v31, v30
	v_exp_f32_e32 v30, v30
	v_cndmask_b32_e32 v31, 1.0, v52, vcc
	v_mul_f32_e32 v28, v28, v31
	v_cndmask_b32_e64 v31, 1.0, v52, s[36:37]
	v_cndmask_b32_e64 v25, 0, v25, s[28:29]
	v_cndmask_b32_e64 v27, 1.0, v27, s[28:29]
	v_mul_f32_e32 v31, v30, v31
	v_mul_f32_e32 v26, v55, v32
	;; [unrolled: 1-line block ×3, first 2 shown]
	v_cndmask_b32_e64 v33, 1.0, v31, s[30:31]
	v_cndmask_b32_e64 v32, 1.0, v28, s[34:35]
	v_fma_f32 v28, v27, v24, v25
	v_cndmask_b32_e64 v26, 0, v26, s[30:31]
	v_mul_f32_e32 v28, v28, v33
	v_pk_add_f32 v[34:35], v[28:29], v[26:27]
	v_pk_mul_f32 v[58:59], v[28:29], v[26:27]
	v_cndmask_b32_e64 v30, 0, v30, s[34:35]
	v_mov_b32_e32 v35, v59
	v_pk_mul_f32 v[58:59], v[34:35], v[32:33]
	v_mov_b32_e32 v31, v32
	v_pk_fma_f32 v[60:61], v[34:35], v[32:33], v[30:31]
	v_pk_mul_f32 v[58:59], v[58:59], v[30:31]
	s_nop 0
	v_mov_b32_dpp v31, v60 row_shr:1 row_mask:0xf bank_mask:0xf
	v_mov_b32_dpp v28, v59 row_shr:1 row_mask:0xf bank_mask:0xf
	v_mul_f32_e32 v58, v59, v28
	v_fma_f32 v28, v59, v31, v60
	v_cndmask_b32_e64 v35, v28, v60, s[0:1]
	v_cndmask_b32_e64 v28, v28, v60, s[0:1]
	v_cndmask_b32_e64 v31, v58, v59, s[0:1]
	v_cndmask_b32_e64 v34, v58, v59, s[0:1]
	v_mov_b32_dpp v59, v28 row_shr:2 row_mask:0xf bank_mask:0xf
	v_mov_b32_dpp v58, v31 row_shr:2 row_mask:0xf bank_mask:0xf
	s_and_saveexec_b64 s[36:37], s[2:3]
; %bb.59:                               ;   in Loop: Header=BB98_36 Depth=2
	v_fmac_f32_e32 v28, v31, v59
	v_mul_f32_e32 v31, v31, v58
	v_mov_b32_e32 v34, v31
	v_mov_b32_e32 v35, v28
; %bb.60:                               ;   in Loop: Header=BB98_36 Depth=2
	s_or_b64 exec, exec, s[36:37]
	v_mov_b32_dpp v58, v31 row_shr:4 row_mask:0xf bank_mask:0xf
	v_mov_b32_dpp v59, v28 row_shr:4 row_mask:0xf bank_mask:0xf
	s_and_saveexec_b64 s[36:37], s[4:5]
; %bb.61:                               ;   in Loop: Header=BB98_36 Depth=2
	v_fmac_f32_e32 v28, v31, v59
	v_mul_f32_e32 v31, v31, v58
	v_mov_b32_e32 v34, v31
	v_mov_b32_e32 v35, v28
; %bb.62:                               ;   in Loop: Header=BB98_36 Depth=2
	s_or_b64 exec, exec, s[36:37]
	;; [unrolled: 10-line block ×3, first 2 shown]
	v_mov_b32_dpp v58, v31 row_bcast:15 row_mask:0xf bank_mask:0xf
	v_mov_b32_dpp v59, v28 row_bcast:15 row_mask:0xf bank_mask:0xf
	s_and_saveexec_b64 s[36:37], s[8:9]
; %bb.65:                               ;   in Loop: Header=BB98_36 Depth=2
	v_fmac_f32_e32 v28, v31, v59
	v_mul_f32_e32 v31, v31, v58
	v_mov_b32_e32 v34, v31
	v_mov_b32_e32 v35, v28
; %bb.66:                               ;   in Loop: Header=BB98_36 Depth=2
	s_or_b64 exec, exec, s[36:37]
	v_mov_b32_dpp v58, v31 row_bcast:31 row_mask:0xf bank_mask:0xf
	v_mov_b32_dpp v59, v28 row_bcast:31 row_mask:0xf bank_mask:0xf
	v_mul_f32_e32 v58, v31, v58
	v_fmac_f32_e32 v28, v31, v59
	v_cndmask_b32_e64 v34, v34, v58, s[10:11]
	v_cndmask_b32_e64 v35, v35, v28, s[10:11]
	s_and_saveexec_b64 s[36:37], s[12:13]
	s_cbranch_execz .LBB98_68
; %bb.67:                               ;   in Loop: Header=BB98_36 Depth=2
	ds_write_b64 v1, v[34:35] offset:1056
.LBB98_68:                              ;   in Loop: Header=BB98_36 Depth=2
	s_or_b64 exec, exec, s[36:37]
	ds_bpermute_b32 v28, v47, v34
	ds_bpermute_b32 v31, v47, v35
	s_waitcnt vmcnt(0) lgkmcnt(2)
	v_mov_b32_e32 v35, v23
	s_waitcnt lgkmcnt(0)
	; wave barrier
	s_waitcnt lgkmcnt(0)
	s_and_saveexec_b64 s[36:37], s[14:15]
	s_cbranch_execz .LBB98_72
; %bb.69:                               ;   in Loop: Header=BB98_36 Depth=2
	ds_read_b64 v[34:35], v1 offset:1056
	s_and_saveexec_b64 s[76:77], s[16:17]
	s_cbranch_execz .LBB98_71
; %bb.70:                               ;   in Loop: Header=BB98_36 Depth=2
	ds_write_b64 v1, v[22:23] offset:1056
.LBB98_71:                              ;   in Loop: Header=BB98_36 Depth=2
	s_or_b64 exec, exec, s[76:77]
	s_waitcnt lgkmcnt(0)
	v_fmac_f32_e32 v35, v23, v34
	v_mul_f32_e32 v22, v22, v34
	v_mov_b32_e32 v23, v35
.LBB98_72:                              ;   in Loop: Header=BB98_36 Depth=2
	s_or_b64 exec, exec, s[36:37]
	s_waitcnt lgkmcnt(0)
	; wave barrier
	ds_read_b32 v34, v1 offset:1060
	s_and_saveexec_b64 s[36:37], s[16:17]
	s_cbranch_execz .LBB98_35
; %bb.73:                               ;   in Loop: Header=BB98_36 Depth=2
	v_mov_b32_e32 v58, s94
	s_andn2_b64 vcc, exec, s[68:69]
	ds_write_b64 v58, v[22:23]
	s_cbranch_vccnz .LBB98_35
; %bb.74:                               ;   in Loop: Header=BB98_36 Depth=2
	s_mov_b32 s75, s55
	s_lshl_b64 s[76:77], s[74:75], 2
	s_add_u32 s76, s45, s76
	s_addc_u32 s77, s49, s77
	global_store_dword v1, v35, s[76:77]
	s_branch .LBB98_35
.LBB98_75:                              ;   in Loop: Header=BB98_11 Depth=1
	v_cvt_f16_f32_e32 v9, v15
	v_cvt_f16_f32_e32 v10, v14
	;; [unrolled: 1-line block ×4, first 2 shown]
	v_pack_b32_f16 v11, v10, v9
	; wave barrier
	v_pack_b32_f16 v10, v12, v13
	ds_write_b64 v43, v[10:11]
	; wave barrier
	ds_read_u16 v13, v40 offset:128
	ds_read_u16 v12, v41 offset:256
	;; [unrolled: 1-line block ×3, first 2 shown]
	s_mov_b32 s65, s55
	v_lshl_add_u64 v[10:11], s[64:65], 1, v[4:5]
	s_and_saveexec_b64 s[26:27], s[18:19]
	s_cbranch_execnz .LBB98_81
; %bb.76:                               ;   in Loop: Header=BB98_11 Depth=1
	s_or_b64 exec, exec, s[26:27]
	s_and_saveexec_b64 s[18:19], s[20:21]
	s_cbranch_execnz .LBB98_82
.LBB98_77:                              ;   in Loop: Header=BB98_11 Depth=1
	s_or_b64 exec, exec, s[18:19]
	s_and_saveexec_b64 s[18:19], s[22:23]
	s_cbranch_execnz .LBB98_83
.LBB98_78:                              ;   in Loop: Header=BB98_11 Depth=1
	s_or_b64 exec, exec, s[18:19]
	s_and_saveexec_b64 s[18:19], s[24:25]
	s_cbranch_execz .LBB98_10
	s_branch .LBB98_84
.LBB98_79:                              ;   in Loop: Header=BB98_11 Depth=1
	global_load_ushort v15, v[10:11], off offset:128
	s_or_b64 exec, exec, s[26:27]
	s_and_saveexec_b64 s[26:27], s[22:23]
	s_cbranch_execz .LBB98_23
.LBB98_80:                              ;   in Loop: Header=BB98_11 Depth=1
	global_load_ushort v14, v[10:11], off offset:256
	s_or_b64 exec, exec, s[26:27]
	v_mov_b32_e32 v16, 0
	s_and_saveexec_b64 s[26:27], s[24:25]
	s_cbranch_execnz .LBB98_24
	s_branch .LBB98_25
.LBB98_81:                              ;   in Loop: Header=BB98_11 Depth=1
	ds_read_u16 v14, v39
	s_waitcnt lgkmcnt(0)
	global_store_short v[10:11], v14, off
	s_or_b64 exec, exec, s[26:27]
	s_and_saveexec_b64 s[18:19], s[20:21]
	s_cbranch_execz .LBB98_77
.LBB98_82:                              ;   in Loop: Header=BB98_11 Depth=1
	s_waitcnt lgkmcnt(2)
	global_store_short v[10:11], v13, off offset:128
	s_or_b64 exec, exec, s[18:19]
	s_and_saveexec_b64 s[18:19], s[22:23]
	s_cbranch_execz .LBB98_78
.LBB98_83:                              ;   in Loop: Header=BB98_11 Depth=1
	s_waitcnt lgkmcnt(1)
	global_store_short v[10:11], v12, off offset:256
	s_or_b64 exec, exec, s[18:19]
	s_and_saveexec_b64 s[18:19], s[24:25]
	s_cbranch_execz .LBB98_10
.LBB98_84:                              ;   in Loop: Header=BB98_11 Depth=1
	s_waitcnt lgkmcnt(0)
	global_store_short v[10:11], v9, off offset:384
	s_branch .LBB98_10
.LBB98_85:
	s_endpgm
.LBB98_86:
	s_mov_b64 s[52:53], 0
	s_load_dwordx2 s[4:5], s[0:1], 0x20
	s_cmp_eq_u64 s[6:7], 0
	s_cbranch_scc0 .LBB98_2
	s_branch .LBB98_3
	.section	.rodata,"a",@progbits
	.p2align	6, 0x0
	.amdhsa_kernel _Z25selective_scan_fwd_kernelI32Selective_Scan_fwd_kernel_traitsILi64ELi4ELi1ELb1ELb1ELb1ELb0ELb1EN3c104HalfEffEEv13SSMParamsBase
		.amdhsa_group_segment_fixed_size 0
		.amdhsa_private_segment_fixed_size 0
		.amdhsa_kernarg_size 248
		.amdhsa_user_sgpr_count 2
		.amdhsa_user_sgpr_dispatch_ptr 0
		.amdhsa_user_sgpr_queue_ptr 0
		.amdhsa_user_sgpr_kernarg_segment_ptr 1
		.amdhsa_user_sgpr_dispatch_id 0
		.amdhsa_user_sgpr_kernarg_preload_length 0
		.amdhsa_user_sgpr_kernarg_preload_offset 0
		.amdhsa_user_sgpr_private_segment_size 0
		.amdhsa_uses_dynamic_stack 0
		.amdhsa_enable_private_segment 0
		.amdhsa_system_sgpr_workgroup_id_x 1
		.amdhsa_system_sgpr_workgroup_id_y 1
		.amdhsa_system_sgpr_workgroup_id_z 0
		.amdhsa_system_sgpr_workgroup_info 0
		.amdhsa_system_vgpr_workitem_id 0
		.amdhsa_next_free_vgpr 62
		.amdhsa_next_free_sgpr 95
		.amdhsa_accum_offset 64
		.amdhsa_reserve_vcc 1
		.amdhsa_float_round_mode_32 0
		.amdhsa_float_round_mode_16_64 0
		.amdhsa_float_denorm_mode_32 3
		.amdhsa_float_denorm_mode_16_64 3
		.amdhsa_dx10_clamp 1
		.amdhsa_ieee_mode 1
		.amdhsa_fp16_overflow 0
		.amdhsa_tg_split 0
		.amdhsa_exception_fp_ieee_invalid_op 0
		.amdhsa_exception_fp_denorm_src 0
		.amdhsa_exception_fp_ieee_div_zero 0
		.amdhsa_exception_fp_ieee_overflow 0
		.amdhsa_exception_fp_ieee_underflow 0
		.amdhsa_exception_fp_ieee_inexact 0
		.amdhsa_exception_int_div_zero 0
	.end_amdhsa_kernel
	.section	.text._Z25selective_scan_fwd_kernelI32Selective_Scan_fwd_kernel_traitsILi64ELi4ELi1ELb1ELb1ELb1ELb0ELb1EN3c104HalfEffEEv13SSMParamsBase,"axG",@progbits,_Z25selective_scan_fwd_kernelI32Selective_Scan_fwd_kernel_traitsILi64ELi4ELi1ELb1ELb1ELb1ELb0ELb1EN3c104HalfEffEEv13SSMParamsBase,comdat
.Lfunc_end98:
	.size	_Z25selective_scan_fwd_kernelI32Selective_Scan_fwd_kernel_traitsILi64ELi4ELi1ELb1ELb1ELb1ELb0ELb1EN3c104HalfEffEEv13SSMParamsBase, .Lfunc_end98-_Z25selective_scan_fwd_kernelI32Selective_Scan_fwd_kernel_traitsILi64ELi4ELi1ELb1ELb1ELb1ELb0ELb1EN3c104HalfEffEEv13SSMParamsBase
                                        ; -- End function
	.section	.AMDGPU.csdata,"",@progbits
; Kernel info:
; codeLenInByte = 6164
; NumSgprs: 101
; NumVgprs: 62
; NumAgprs: 0
; TotalNumVgprs: 62
; ScratchSize: 0
; MemoryBound: 0
; FloatMode: 240
; IeeeMode: 1
; LDSByteSize: 0 bytes/workgroup (compile time only)
; SGPRBlocks: 12
; VGPRBlocks: 7
; NumSGPRsForWavesPerEU: 101
; NumVGPRsForWavesPerEU: 62
; AccumOffset: 64
; Occupancy: 7
; WaveLimiterHint : 1
; COMPUTE_PGM_RSRC2:SCRATCH_EN: 0
; COMPUTE_PGM_RSRC2:USER_SGPR: 2
; COMPUTE_PGM_RSRC2:TRAP_HANDLER: 0
; COMPUTE_PGM_RSRC2:TGID_X_EN: 1
; COMPUTE_PGM_RSRC2:TGID_Y_EN: 1
; COMPUTE_PGM_RSRC2:TGID_Z_EN: 0
; COMPUTE_PGM_RSRC2:TIDIG_COMP_CNT: 0
; COMPUTE_PGM_RSRC3_GFX90A:ACCUM_OFFSET: 15
; COMPUTE_PGM_RSRC3_GFX90A:TG_SPLIT: 0
	.section	.text._Z25selective_scan_fwd_kernelI32Selective_Scan_fwd_kernel_traitsILi64ELi4ELi1ELb1ELb1ELb1ELb0ELb0EN3c104HalfEffEEv13SSMParamsBase,"axG",@progbits,_Z25selective_scan_fwd_kernelI32Selective_Scan_fwd_kernel_traitsILi64ELi4ELi1ELb1ELb1ELb1ELb0ELb0EN3c104HalfEffEEv13SSMParamsBase,comdat
	.protected	_Z25selective_scan_fwd_kernelI32Selective_Scan_fwd_kernel_traitsILi64ELi4ELi1ELb1ELb1ELb1ELb0ELb0EN3c104HalfEffEEv13SSMParamsBase ; -- Begin function _Z25selective_scan_fwd_kernelI32Selective_Scan_fwd_kernel_traitsILi64ELi4ELi1ELb1ELb1ELb1ELb0ELb0EN3c104HalfEffEEv13SSMParamsBase
	.globl	_Z25selective_scan_fwd_kernelI32Selective_Scan_fwd_kernel_traitsILi64ELi4ELi1ELb1ELb1ELb1ELb0ELb0EN3c104HalfEffEEv13SSMParamsBase
	.p2align	8
	.type	_Z25selective_scan_fwd_kernelI32Selective_Scan_fwd_kernel_traitsILi64ELi4ELi1ELb1ELb1ELb1ELb0ELb0EN3c104HalfEffEEv13SSMParamsBase,@function
_Z25selective_scan_fwd_kernelI32Selective_Scan_fwd_kernel_traitsILi64ELi4ELi1ELb1ELb1ELb1ELb0ELb0EN3c104HalfEffEEv13SSMParamsBase: ; @_Z25selective_scan_fwd_kernelI32Selective_Scan_fwd_kernel_traitsILi64ELi4ELi1ELb1ELb1ELb1ELb0ELb0EN3c104HalfEffEEv13SSMParamsBase
; %bb.0:
	s_load_dword s25, s[0:1], 0x18
	s_load_dwordx4 s[4:7], s[0:1], 0xe8
	s_mov_b32 s20, s3
	s_waitcnt lgkmcnt(0)
	s_abs_i32 s24, s25
	v_cvt_f32_u32_e32 v1, s24
	s_cmp_eq_u64 s[6:7], 0
	v_rcp_iflag_f32_e32 v1, v1
	s_nop 0
	v_mul_f32_e32 v1, 0x4f7ffffe, v1
	v_cvt_u32_f32_e32 v1, v1
	s_nop 0
	v_readfirstlane_b32 s26, v1
	s_cbranch_scc1 .LBB99_3
; %bb.1:
	s_ashr_i32 s3, s2, 31
	s_add_u32 s6, s6, s2
	s_addc_u32 s7, s7, s3
	v_mov_b32_e32 v1, 0
	global_load_ubyte v1, v1, s[6:7]
	s_waitcnt vmcnt(0)
	v_and_b32_e32 v1, 1, v1
	v_cmp_eq_u32_e64 s[34:35], 1, v1
	s_load_dwordx2 s[6:7], s[0:1], 0x20
	s_cmp_eq_u64 s[4:5], 0
	s_cbranch_scc1 .LBB99_4
.LBB99_2:
	s_ashr_i32 s3, s2, 31
	s_lshl_b64 s[8:9], s[2:3], 2
	s_add_u32 s4, s4, s8
	s_addc_u32 s5, s5, s9
	s_load_dword s22, s[4:5], 0x0
	s_waitcnt lgkmcnt(0)
	s_ashr_i32 s23, s22, 31
	s_cmp_eq_u64 s[6:7], s[22:23]
	s_cbranch_scc0 .LBB99_5
	s_branch .LBB99_48
.LBB99_3:
	s_mov_b64 s[34:35], 0
	s_load_dwordx2 s[6:7], s[0:1], 0x20
	s_cmp_eq_u64 s[4:5], 0
	s_cbranch_scc0 .LBB99_2
.LBB99_4:
	s_mov_b32 s22, s2
	s_ashr_i32 s23, s22, 31
	s_waitcnt lgkmcnt(0)
	s_cmp_eq_u64 s[6:7], s[22:23]
	s_cbranch_scc1 .LBB99_48
.LBB99_5:
	s_load_dwordx16 s[4:19], s[0:1], 0x88
	s_load_dwordx2 s[48:49], s[0:1], 0x8
	s_mov_b32 s33, 0
	s_mov_b32 s72, 0
	s_waitcnt lgkmcnt(0)
	s_cmp_eq_u64 s[10:11], 0
	s_cbranch_scc1 .LBB99_7
; %bb.6:
	s_ashr_i32 s21, s20, 31
	s_lshl_b64 s[28:29], s[20:21], 2
	s_add_u32 s10, s10, s28
	s_addc_u32 s11, s11, s29
	s_load_dword s72, s[10:11], 0x0
.LBB99_7:
	s_cmp_eq_u64 s[16:17], 0
	s_cbranch_scc1 .LBB99_9
; %bb.8:
	s_ashr_i32 s21, s20, 31
	s_lshl_b64 s[10:11], s[20:21], 2
	s_add_u32 s10, s16, s10
	s_addc_u32 s11, s17, s11
	s_load_dword s33, s[10:11], 0x0
.LBB99_9:
	s_cmp_lt_i32 s48, 1
	s_cbranch_scc1 .LBB99_48
; %bb.10:
	s_sub_i32 s3, 0, s24
	s_mul_i32 s3, s3, s26
	s_mul_hi_u32 s3, s26, s3
	s_abs_i32 s21, s20
	s_add_i32 s3, s26, s3
	s_load_dwordx8 s[36:43], s[0:1], 0x2c
	s_load_dwordx2 s[16:17], s[0:1], 0x5c
	s_load_dwordx4 s[28:31], s[0:1], 0x4c
	s_load_dwordx4 s[44:47], s[0:1], 0x7c
	s_load_dwordx2 s[10:11], s[0:1], 0x6c
	s_load_dwordx2 s[26:27], s[0:1], 0xc8
	s_mul_hi_u32 s3, s21, s3
	s_load_dword s23, s[0:1], 0x28
	s_ashr_i32 s0, s20, 31
	s_ashr_i32 s1, s25, 31
	s_xor_b32 s0, s0, s1
	s_mul_i32 s1, s3, s24
	s_sub_i32 s1, s21, s1
	s_add_i32 s21, s3, 1
	s_sub_i32 s25, s1, s24
	s_cmp_ge_u32 s1, s24
	s_cselect_b32 s3, s21, s3
	s_cselect_b32 s1, s25, s1
	s_add_i32 s21, s3, 1
	s_cmp_ge_u32 s1, s24
	s_cselect_b32 s1, s21, s3
	s_xor_b32 s1, s1, s0
	s_waitcnt lgkmcnt(0)
	s_mul_i32 s50, s30, s2
	s_mov_b32 s51, 0
	s_sub_i32 s3, s1, s0
	s_lshl_b64 s[0:1], s[50:51], 1
	s_add_u32 s12, s12, s0
	s_mul_i32 s50, s31, s20
	s_addc_u32 s13, s13, s1
	s_lshl_b64 s[0:1], s[50:51], 1
	s_add_u32 s30, s12, s0
	s_mul_i32 s50, s16, s2
	s_addc_u32 s31, s13, s1
	;; [unrolled: 4-line block ×10, first 2 shown]
	s_lshl_b64 s[0:1], s[50:51], 2
	s_add_u32 s29, s3, s0
	s_addc_u32 s41, s4, s1
	s_add_i32 s0, s48, 0x7ff
	s_lshr_b32 s73, s0, 11
	s_bitcmp1_b32 s23, 0
	s_cselect_b64 s[44:45], -1, 0
	s_cmp_gt_i32 s49, 0
	s_mul_i32 s50, s10, s2
	s_cselect_b64 s[54:55], -1, 0
	s_and_b32 s4, s48, 0xff
	s_add_i32 s74, s73, -1
	s_lshl_b64 s[2:3], s[50:51], 1
	s_add_u32 s5, s18, s2
	s_mul_i32 s50, s11, s20
	s_addc_u32 s7, s19, s3
	s_lshl_b64 s[2:3], s[50:51], 1
	s_add_u32 s6, s5, s2
	v_mov_b32_e32 v3, 0
	s_addc_u32 s7, s7, s3
	v_lshlrev_b32_e32 v2, 3, v0
	s_cmp_eq_u32 s4, 0
	v_lshlrev_b32_e32 v7, 2, v0
	v_lshl_add_u64 v[4:5], s[6:7], 0, v[2:3]
                                        ; implicit-def: $vgpr2
	v_mbcnt_lo_u32_b32 v9, -1, 0
	v_cmp_gt_u32_e64 s[0:1], 64, v0
	s_cselect_b64 s[56:57], -1, 0
	v_cmp_eq_u32_e64 s[2:3], 63, v0
	v_cmp_eq_u32_e64 s[4:5], 0, v0
	v_or_b32_e32 v1, 1, v7
	v_or_b32_e32 v6, 2, v7
	;; [unrolled: 1-line block ×3, first 2 shown]
	s_mov_b32 s75, 0x41a00000
	s_mov_b32 s76, 0x3fb8aa3b
	;; [unrolled: 1-line block ×6, first 2 shown]
	v_mov_b32_e32 v41, 0x3ecc95a3
	s_mov_b32 s81, 0x3f317218
	s_mov_b32 s82, 0x33800000
	s_add_i32 s83, 0, 0x428
	s_mov_b32 s84, 0xc2fc0000
	v_lshlrev_b32_e32 v2, 3, v0
	v_mov_b32_e32 v0, 0x7f800000
	v_mov_b32_e32 v8, 0x3f317218
	v_mbcnt_hi_u32_b32 v42, -1, v9
	v_mov_b32_e32 v43, 0x42800000
	v_mov_b32_e32 v44, 0x1f800000
	s_mov_b32 s85, 0
                                        ; implicit-def: $vgpr47
                                        ; implicit-def: $vgpr13
                                        ; implicit-def: $vgpr45
                                        ; implicit-def: $vgpr10
                                        ; implicit-def: $vgpr46
                                        ; implicit-def: $vgpr48
	s_branch .LBB99_12
.LBB99_11:                              ;   in Loop: Header=BB99_12 Depth=1
	s_add_u32 s52, s52, 0x200
	s_addc_u32 s53, s53, 0
	s_add_u32 s30, s30, 0x200
	s_addc_u32 s31, s31, 0
	v_cvt_f16_f32_e32 v9, v19
	v_cvt_f16_f32_e32 v14, v18
	;; [unrolled: 1-line block ×4, first 2 shown]
	s_add_u32 s38, s38, 0x200
	s_addc_u32 s39, s39, 0
	s_add_u32 s42, s42, 0x200
	s_mov_b32 s59, s51
	s_addc_u32 s43, s43, 0
	s_add_i32 s85, s85, 1
	v_pack_b32_f16 v15, v14, v9
	v_pack_b32_f16 v14, v16, v17
	v_lshl_add_u64 v[16:17], s[58:59], 1, v[4:5]
	s_cmp_eq_u32 s85, s73
	s_waitcnt lgkmcnt(0)
	; wave barrier
	global_store_dwordx2 v[16:17], v[14:15], off
	s_cbranch_scc1 .LBB99_48
.LBB99_12:                              ; =>This Loop Header: Depth=1
                                        ;     Child Loop BB99_25 Depth 2
	s_waitcnt lgkmcnt(0)
	; wave barrier
	s_and_saveexec_b64 s[6:7], s[0:1]
	s_cbranch_execz .LBB99_14
; %bb.13:                               ;   in Loop: Header=BB99_12 Depth=1
	global_load_dwordx2 v[10:11], v2, s[30:31]
	global_load_dwordx2 v[12:13], v2, s[52:53]
	s_waitcnt vmcnt(1)
	v_lshrrev_b32_e32 v46, 16, v10
	v_lshrrev_b32_e32 v48, 16, v11
	s_waitcnt vmcnt(0)
	v_lshrrev_b32_e32 v45, 16, v12
	v_lshrrev_b32_e32 v47, 16, v13
.LBB99_14:                              ;   in Loop: Header=BB99_12 Depth=1
	s_or_b64 exec, exec, s[6:7]
	v_cvt_f32_f16_e32 v9, v12
	v_add_f32_e32 v49, s33, v9
	v_cmp_ge_f32_e32 vcc, s75, v49
	s_and_b64 s[6:7], s[44:45], vcc
	s_and_saveexec_b64 s[8:9], s[6:7]
	s_cbranch_execz .LBB99_16
; %bb.15:                               ;   in Loop: Header=BB99_12 Depth=1
	v_mul_f32_e32 v9, 0x3fb8aa3b, v49
	v_rndne_f32_e32 v14, v9
	v_sub_f32_e32 v15, v9, v14
	v_fma_f32 v9, v49, s76, -v9
	v_fmac_f32_e32 v9, 0x32a5705f, v49
	v_add_f32_e32 v9, v15, v9
	v_cvt_i32_f32_e32 v14, v14
	v_exp_f32_e32 v9, v9
	v_cmp_ngt_f32_e32 vcc, s77, v49
	v_ldexp_f32 v9, v9, v14
	s_nop 0
	v_cndmask_b32_e32 v9, 0, v9, vcc
	v_cmp_nlt_f32_e32 vcc, s78, v49
	s_nop 1
	v_cndmask_b32_e32 v30, v0, v9, vcc
	v_add_f32_e32 v9, 1.0, v30
	v_add_f32_e32 v14, -1.0, v9
	v_sub_f32_e32 v15, v14, v9
	v_add_f32_e32 v15, 1.0, v15
	v_sub_f32_e32 v14, v30, v14
	v_add_f32_e32 v16, v14, v15
	v_frexp_mant_f32_e32 v17, v9
	v_cvt_f64_f32_e32 v[14:15], v9
	v_frexp_exp_i32_f64_e32 v14, v[14:15]
	v_cmp_gt_f32_e32 vcc, s80, v17
	v_cmp_gt_f32_e64 s[6:7], s82, v30
	s_nop 0
	v_subbrev_co_u32_e32 v22, vcc, 0, v14, vcc
	v_sub_u32_e32 v14, 0, v22
	v_ldexp_f32 v9, v9, v14
	v_ldexp_f32 v14, v16, v14
	v_add_f32_e32 v16, -1.0, v9
	v_add_f32_e32 v15, 1.0, v16
	v_sub_f32_e32 v15, v9, v15
	v_add_f32_e32 v17, v14, v15
	v_add_f32_e32 v15, 1.0, v9
	v_add_f32_e32 v18, -1.0, v15
	v_sub_f32_e32 v9, v9, v18
	v_add_f32_e32 v9, v14, v9
	v_add_f32_e32 v23, v15, v9
	v_rcp_f32_e32 v24, v23
	v_sub_f32_e32 v14, v15, v23
	v_add_f32_e32 v15, v16, v17
	v_add_f32_e32 v9, v9, v14
	v_mul_f32_e32 v26, v15, v24
	v_sub_f32_e32 v14, v16, v15
	v_mul_f32_e32 v16, v23, v26
	v_fma_f32 v18, v26, v23, -v16
	v_fmac_f32_e32 v18, v26, v9
	v_add_f32_e32 v25, v17, v14
	v_add_f32_e32 v14, v16, v18
	v_sub_f32_e32 v17, v15, v14
	v_pk_add_f32 v[20:21], v[14:15], v[16:17] neg_lo:[0,1] neg_hi:[0,1]
	v_mov_b32_e32 v19, v14
	v_pk_add_f32 v[14:15], v[20:21], v[18:19] neg_lo:[0,1] neg_hi:[0,1]
	v_cmp_eq_f32_e32 vcc, s79, v30
	v_add_f32_e32 v15, v25, v15
	v_add_f32_e32 v14, v14, v15
	v_add_f32_e32 v15, v17, v14
	v_mul_f32_e32 v25, v24, v15
	v_mul_f32_e32 v16, v23, v25
	v_fma_f32 v18, v25, v23, -v16
	v_fmac_f32_e32 v18, v25, v9
	v_sub_f32_e32 v9, v17, v15
	v_add_f32_e32 v9, v14, v9
	v_add_f32_e32 v14, v16, v18
	v_sub_f32_e32 v17, v15, v14
	v_pk_add_f32 v[20:21], v[14:15], v[16:17] neg_lo:[0,1] neg_hi:[0,1]
	v_mov_b32_e32 v19, v14
	v_pk_add_f32 v[14:15], v[20:21], v[18:19] neg_lo:[0,1] neg_hi:[0,1]
	s_or_b64 vcc, s[6:7], vcc
	v_add_f32_e32 v9, v9, v15
	v_add_f32_e32 v9, v14, v9
	;; [unrolled: 1-line block ×4, first 2 shown]
	v_sub_f32_e32 v14, v15, v26
	v_mul_f32_e32 v9, v24, v9
	v_sub_f32_e32 v14, v25, v14
	v_add_f32_e32 v16, v14, v9
	v_add_f32_e32 v18, v15, v16
	v_cvt_f32_i32_e32 v14, v22
	v_mul_f32_e32 v19, v18, v18
	v_sub_f32_e32 v15, v18, v15
	v_fmamk_f32 v9, v19, 0x3e9b6dac, v41
	v_sub_f32_e32 v15, v16, v15
	v_fmaak_f32 v9, v19, v9, 0x3f2aaada
	v_ldexp_f32 v20, v15, 1
	v_mul_f32_e32 v15, v18, v19
	v_ldexp_f32 v17, v18, 1
	v_pk_mul_f32 v[18:19], v[14:15], v[8:9]
	s_nop 0
	v_fma_f32 v16, v14, s81, -v18
	v_fmac_f32_e32 v16, 0xb102e308, v14
	v_pk_add_f32 v[14:15], v[18:19], v[16:17]
	s_nop 0
	v_sub_f32_e32 v9, v15, v17
	v_sub_f32_e32 v9, v19, v9
	v_add_f32_e32 v21, v20, v9
	v_mov_b32_e32 v20, v18
	v_pk_add_f32 v[18:19], v[14:15], v[18:19] neg_lo:[0,1] neg_hi:[0,1]
	v_pk_add_f32 v[22:23], v[14:15], v[20:21]
	v_mov_b32_e32 v17, v14
	v_mov_b32_e32 v19, v23
	v_pk_add_f32 v[24:25], v[16:17], v[18:19] neg_lo:[0,1] neg_hi:[0,1]
	v_pk_add_f32 v[16:17], v[16:17], v[18:19]
	v_mov_b32_e32 v20, v21
	v_mov_b32_e32 v18, v17
	v_pk_add_f32 v[26:27], v[18:19], v[14:15] neg_lo:[0,1] neg_hi:[0,1]
	v_mov_b32_e32 v16, v23
	v_mov_b32_e32 v9, v26
	v_pk_add_f32 v[28:29], v[22:23], v[8:9] neg_lo:[0,1] neg_hi:[0,1]
	v_mov_b32_e32 v22, v15
	v_mov_b32_e32 v23, v26
	;; [unrolled: 1-line block ×3, first 2 shown]
	v_pk_add_f32 v[16:17], v[16:17], v[22:23] neg_lo:[0,1] neg_hi:[0,1]
	v_mov_b32_e32 v21, v14
	v_pk_add_f32 v[14:15], v[20:21], v[16:17] neg_lo:[0,1] neg_hi:[0,1]
	v_mov_b32_e32 v28, v24
	v_pk_add_f32 v[16:17], v[28:29], v[14:15]
	s_nop 0
	v_mov_b32_e32 v20, v17
	v_pk_add_f32 v[20:21], v[16:17], v[20:21]
	s_nop 0
	v_pk_add_f32 v[18:19], v[18:19], v[20:21]
	v_mov_b32_e32 v15, v20
	v_mov_b32_e32 v17, v18
	v_pk_add_f32 v[22:23], v[16:17], v[24:25] neg_lo:[0,1] neg_hi:[0,1]
	s_nop 0
	v_sub_f32_e32 v9, v16, v22
	v_pk_add_f32 v[14:15], v[14:15], v[22:23] neg_lo:[0,1] neg_hi:[0,1]
	v_sub_f32_e32 v9, v24, v9
	v_add_f32_e32 v9, v14, v9
	v_add_f32_e32 v9, v9, v15
	v_add_f32_e32 v9, v18, v9
	v_cndmask_b32_e32 v49, v9, v30, vcc
.LBB99_16:                              ;   in Loop: Header=BB99_12 Depth=1
	s_or_b64 exec, exec, s[8:9]
	v_cvt_f32_f16_e32 v9, v45
	v_add_f32_e32 v50, s33, v9
	v_cmp_ge_f32_e32 vcc, s75, v50
	s_and_b64 s[6:7], s[44:45], vcc
	s_and_saveexec_b64 s[8:9], s[6:7]
	s_cbranch_execz .LBB99_18
; %bb.17:                               ;   in Loop: Header=BB99_12 Depth=1
	v_mul_f32_e32 v9, 0x3fb8aa3b, v50
	v_rndne_f32_e32 v14, v9
	v_sub_f32_e32 v15, v9, v14
	v_fma_f32 v9, v50, s76, -v9
	v_fmac_f32_e32 v9, 0x32a5705f, v50
	v_add_f32_e32 v9, v15, v9
	v_cvt_i32_f32_e32 v14, v14
	v_exp_f32_e32 v9, v9
	v_cmp_ngt_f32_e32 vcc, s77, v50
	v_ldexp_f32 v9, v9, v14
	s_nop 0
	v_cndmask_b32_e32 v9, 0, v9, vcc
	v_cmp_nlt_f32_e32 vcc, s78, v50
	s_nop 1
	v_cndmask_b32_e32 v30, v0, v9, vcc
	v_add_f32_e32 v9, 1.0, v30
	v_add_f32_e32 v14, -1.0, v9
	v_sub_f32_e32 v15, v14, v9
	v_add_f32_e32 v15, 1.0, v15
	v_sub_f32_e32 v14, v30, v14
	v_add_f32_e32 v16, v14, v15
	v_frexp_mant_f32_e32 v17, v9
	v_cvt_f64_f32_e32 v[14:15], v9
	v_frexp_exp_i32_f64_e32 v14, v[14:15]
	v_cmp_gt_f32_e32 vcc, s80, v17
	v_cmp_gt_f32_e64 s[6:7], s82, v30
	s_nop 0
	v_subbrev_co_u32_e32 v22, vcc, 0, v14, vcc
	v_sub_u32_e32 v14, 0, v22
	v_ldexp_f32 v9, v9, v14
	v_ldexp_f32 v14, v16, v14
	v_add_f32_e32 v16, -1.0, v9
	v_add_f32_e32 v15, 1.0, v16
	v_sub_f32_e32 v15, v9, v15
	v_add_f32_e32 v17, v14, v15
	v_add_f32_e32 v15, 1.0, v9
	v_add_f32_e32 v18, -1.0, v15
	v_sub_f32_e32 v9, v9, v18
	v_add_f32_e32 v9, v14, v9
	v_add_f32_e32 v23, v15, v9
	v_rcp_f32_e32 v24, v23
	v_sub_f32_e32 v14, v15, v23
	v_add_f32_e32 v15, v16, v17
	v_add_f32_e32 v9, v9, v14
	v_mul_f32_e32 v26, v15, v24
	v_sub_f32_e32 v14, v16, v15
	v_mul_f32_e32 v16, v23, v26
	v_fma_f32 v18, v26, v23, -v16
	v_fmac_f32_e32 v18, v26, v9
	v_add_f32_e32 v25, v17, v14
	v_add_f32_e32 v14, v16, v18
	v_sub_f32_e32 v17, v15, v14
	v_pk_add_f32 v[20:21], v[14:15], v[16:17] neg_lo:[0,1] neg_hi:[0,1]
	v_mov_b32_e32 v19, v14
	v_pk_add_f32 v[14:15], v[20:21], v[18:19] neg_lo:[0,1] neg_hi:[0,1]
	v_cmp_eq_f32_e32 vcc, s79, v30
	v_add_f32_e32 v15, v25, v15
	v_add_f32_e32 v14, v14, v15
	;; [unrolled: 1-line block ×3, first 2 shown]
	v_mul_f32_e32 v25, v24, v15
	v_mul_f32_e32 v16, v23, v25
	v_fma_f32 v18, v25, v23, -v16
	v_fmac_f32_e32 v18, v25, v9
	v_sub_f32_e32 v9, v17, v15
	v_add_f32_e32 v9, v14, v9
	v_add_f32_e32 v14, v16, v18
	v_sub_f32_e32 v17, v15, v14
	v_pk_add_f32 v[20:21], v[14:15], v[16:17] neg_lo:[0,1] neg_hi:[0,1]
	v_mov_b32_e32 v19, v14
	v_pk_add_f32 v[14:15], v[20:21], v[18:19] neg_lo:[0,1] neg_hi:[0,1]
	s_or_b64 vcc, s[6:7], vcc
	v_add_f32_e32 v9, v9, v15
	v_add_f32_e32 v9, v14, v9
	;; [unrolled: 1-line block ×4, first 2 shown]
	v_sub_f32_e32 v14, v15, v26
	v_mul_f32_e32 v9, v24, v9
	v_sub_f32_e32 v14, v25, v14
	v_add_f32_e32 v16, v14, v9
	v_add_f32_e32 v18, v15, v16
	v_cvt_f32_i32_e32 v14, v22
	v_mul_f32_e32 v19, v18, v18
	v_sub_f32_e32 v15, v18, v15
	v_fmamk_f32 v9, v19, 0x3e9b6dac, v41
	v_sub_f32_e32 v15, v16, v15
	v_fmaak_f32 v9, v19, v9, 0x3f2aaada
	v_ldexp_f32 v20, v15, 1
	v_mul_f32_e32 v15, v18, v19
	v_ldexp_f32 v17, v18, 1
	v_pk_mul_f32 v[18:19], v[14:15], v[8:9]
	s_nop 0
	v_fma_f32 v16, v14, s81, -v18
	v_fmac_f32_e32 v16, 0xb102e308, v14
	v_pk_add_f32 v[14:15], v[18:19], v[16:17]
	s_nop 0
	v_sub_f32_e32 v9, v15, v17
	v_sub_f32_e32 v9, v19, v9
	v_add_f32_e32 v21, v20, v9
	v_mov_b32_e32 v20, v18
	v_pk_add_f32 v[18:19], v[14:15], v[18:19] neg_lo:[0,1] neg_hi:[0,1]
	v_pk_add_f32 v[22:23], v[14:15], v[20:21]
	v_mov_b32_e32 v17, v14
	v_mov_b32_e32 v19, v23
	v_pk_add_f32 v[24:25], v[16:17], v[18:19] neg_lo:[0,1] neg_hi:[0,1]
	v_pk_add_f32 v[16:17], v[16:17], v[18:19]
	v_mov_b32_e32 v20, v21
	v_mov_b32_e32 v18, v17
	v_pk_add_f32 v[26:27], v[18:19], v[14:15] neg_lo:[0,1] neg_hi:[0,1]
	v_mov_b32_e32 v16, v23
	v_mov_b32_e32 v9, v26
	v_pk_add_f32 v[28:29], v[22:23], v[8:9] neg_lo:[0,1] neg_hi:[0,1]
	v_mov_b32_e32 v22, v15
	v_mov_b32_e32 v23, v26
	;; [unrolled: 1-line block ×3, first 2 shown]
	v_pk_add_f32 v[16:17], v[16:17], v[22:23] neg_lo:[0,1] neg_hi:[0,1]
	v_mov_b32_e32 v21, v14
	v_pk_add_f32 v[14:15], v[20:21], v[16:17] neg_lo:[0,1] neg_hi:[0,1]
	v_mov_b32_e32 v28, v24
	v_pk_add_f32 v[16:17], v[28:29], v[14:15]
	s_nop 0
	v_mov_b32_e32 v20, v17
	v_pk_add_f32 v[20:21], v[16:17], v[20:21]
	s_nop 0
	v_pk_add_f32 v[18:19], v[18:19], v[20:21]
	v_mov_b32_e32 v15, v20
	v_mov_b32_e32 v17, v18
	v_pk_add_f32 v[22:23], v[16:17], v[24:25] neg_lo:[0,1] neg_hi:[0,1]
	s_nop 0
	v_sub_f32_e32 v9, v16, v22
	v_pk_add_f32 v[14:15], v[14:15], v[22:23] neg_lo:[0,1] neg_hi:[0,1]
	v_sub_f32_e32 v9, v24, v9
	v_add_f32_e32 v9, v14, v9
	v_add_f32_e32 v9, v9, v15
	;; [unrolled: 1-line block ×3, first 2 shown]
	v_cndmask_b32_e32 v50, v9, v30, vcc
.LBB99_18:                              ;   in Loop: Header=BB99_12 Depth=1
	s_or_b64 exec, exec, s[8:9]
	v_cvt_f32_f16_e32 v9, v13
	v_add_f32_e32 v15, s33, v9
	v_cmp_ge_f32_e32 vcc, s75, v15
	s_and_b64 s[6:7], s[44:45], vcc
	s_and_saveexec_b64 s[8:9], s[6:7]
	s_cbranch_execz .LBB99_20
; %bb.19:                               ;   in Loop: Header=BB99_12 Depth=1
	v_mul_f32_e32 v9, 0x3fb8aa3b, v15
	v_rndne_f32_e32 v14, v9
	v_sub_f32_e32 v16, v9, v14
	v_fma_f32 v9, v15, s76, -v9
	v_fmac_f32_e32 v9, 0x32a5705f, v15
	v_add_f32_e32 v9, v16, v9
	v_cvt_i32_f32_e32 v14, v14
	v_exp_f32_e32 v9, v9
	v_cmp_ngt_f32_e32 vcc, s77, v15
	v_ldexp_f32 v9, v9, v14
	s_nop 0
	v_cndmask_b32_e32 v9, 0, v9, vcc
	v_cmp_nlt_f32_e32 vcc, s78, v15
	s_nop 1
	v_cndmask_b32_e32 v30, v0, v9, vcc
	v_add_f32_e32 v9, 1.0, v30
	v_add_f32_e32 v14, -1.0, v9
	v_sub_f32_e32 v15, v14, v9
	v_add_f32_e32 v15, 1.0, v15
	v_sub_f32_e32 v14, v30, v14
	v_add_f32_e32 v16, v14, v15
	v_frexp_mant_f32_e32 v17, v9
	v_cvt_f64_f32_e32 v[14:15], v9
	v_frexp_exp_i32_f64_e32 v14, v[14:15]
	v_cmp_gt_f32_e32 vcc, s80, v17
	v_cmp_gt_f32_e64 s[6:7], s82, v30
	s_nop 0
	v_subbrev_co_u32_e32 v22, vcc, 0, v14, vcc
	v_sub_u32_e32 v14, 0, v22
	v_ldexp_f32 v9, v9, v14
	v_ldexp_f32 v14, v16, v14
	v_add_f32_e32 v16, -1.0, v9
	v_add_f32_e32 v15, 1.0, v16
	v_sub_f32_e32 v15, v9, v15
	v_add_f32_e32 v17, v14, v15
	v_add_f32_e32 v15, 1.0, v9
	v_add_f32_e32 v18, -1.0, v15
	v_sub_f32_e32 v9, v9, v18
	v_add_f32_e32 v9, v14, v9
	v_add_f32_e32 v23, v15, v9
	v_rcp_f32_e32 v24, v23
	v_sub_f32_e32 v14, v15, v23
	v_add_f32_e32 v15, v16, v17
	v_add_f32_e32 v9, v9, v14
	v_mul_f32_e32 v26, v15, v24
	v_sub_f32_e32 v14, v16, v15
	v_mul_f32_e32 v16, v23, v26
	v_fma_f32 v18, v26, v23, -v16
	v_fmac_f32_e32 v18, v26, v9
	v_add_f32_e32 v25, v17, v14
	v_add_f32_e32 v14, v16, v18
	v_sub_f32_e32 v17, v15, v14
	v_pk_add_f32 v[20:21], v[14:15], v[16:17] neg_lo:[0,1] neg_hi:[0,1]
	v_mov_b32_e32 v19, v14
	v_pk_add_f32 v[14:15], v[20:21], v[18:19] neg_lo:[0,1] neg_hi:[0,1]
	v_cmp_eq_f32_e32 vcc, s79, v30
	v_add_f32_e32 v15, v25, v15
	v_add_f32_e32 v14, v14, v15
	;; [unrolled: 1-line block ×3, first 2 shown]
	v_mul_f32_e32 v25, v24, v15
	v_mul_f32_e32 v16, v23, v25
	v_fma_f32 v18, v25, v23, -v16
	v_fmac_f32_e32 v18, v25, v9
	v_sub_f32_e32 v9, v17, v15
	v_add_f32_e32 v9, v14, v9
	v_add_f32_e32 v14, v16, v18
	v_sub_f32_e32 v17, v15, v14
	v_pk_add_f32 v[20:21], v[14:15], v[16:17] neg_lo:[0,1] neg_hi:[0,1]
	v_mov_b32_e32 v19, v14
	v_pk_add_f32 v[14:15], v[20:21], v[18:19] neg_lo:[0,1] neg_hi:[0,1]
	s_or_b64 vcc, s[6:7], vcc
	v_add_f32_e32 v9, v9, v15
	v_add_f32_e32 v9, v14, v9
	;; [unrolled: 1-line block ×4, first 2 shown]
	v_sub_f32_e32 v14, v15, v26
	v_mul_f32_e32 v9, v24, v9
	v_sub_f32_e32 v14, v25, v14
	v_add_f32_e32 v16, v14, v9
	v_add_f32_e32 v18, v15, v16
	v_cvt_f32_i32_e32 v14, v22
	v_mul_f32_e32 v19, v18, v18
	v_sub_f32_e32 v15, v18, v15
	v_fmamk_f32 v9, v19, 0x3e9b6dac, v41
	v_sub_f32_e32 v15, v16, v15
	v_fmaak_f32 v9, v19, v9, 0x3f2aaada
	v_ldexp_f32 v20, v15, 1
	v_mul_f32_e32 v15, v18, v19
	v_ldexp_f32 v17, v18, 1
	v_pk_mul_f32 v[18:19], v[14:15], v[8:9]
	s_nop 0
	v_fma_f32 v16, v14, s81, -v18
	v_fmac_f32_e32 v16, 0xb102e308, v14
	v_pk_add_f32 v[14:15], v[18:19], v[16:17]
	s_nop 0
	v_sub_f32_e32 v9, v15, v17
	v_sub_f32_e32 v9, v19, v9
	v_add_f32_e32 v21, v20, v9
	v_mov_b32_e32 v20, v18
	v_pk_add_f32 v[18:19], v[14:15], v[18:19] neg_lo:[0,1] neg_hi:[0,1]
	v_pk_add_f32 v[22:23], v[14:15], v[20:21]
	v_mov_b32_e32 v17, v14
	v_mov_b32_e32 v19, v23
	v_pk_add_f32 v[24:25], v[16:17], v[18:19] neg_lo:[0,1] neg_hi:[0,1]
	v_pk_add_f32 v[16:17], v[16:17], v[18:19]
	v_mov_b32_e32 v20, v21
	v_mov_b32_e32 v18, v17
	v_pk_add_f32 v[26:27], v[18:19], v[14:15] neg_lo:[0,1] neg_hi:[0,1]
	v_mov_b32_e32 v16, v23
	v_mov_b32_e32 v9, v26
	v_pk_add_f32 v[28:29], v[22:23], v[8:9] neg_lo:[0,1] neg_hi:[0,1]
	v_mov_b32_e32 v22, v15
	v_mov_b32_e32 v23, v26
	;; [unrolled: 1-line block ×3, first 2 shown]
	v_pk_add_f32 v[16:17], v[16:17], v[22:23] neg_lo:[0,1] neg_hi:[0,1]
	v_mov_b32_e32 v21, v14
	v_pk_add_f32 v[14:15], v[20:21], v[16:17] neg_lo:[0,1] neg_hi:[0,1]
	v_mov_b32_e32 v28, v24
	v_pk_add_f32 v[16:17], v[28:29], v[14:15]
	s_nop 0
	v_mov_b32_e32 v20, v17
	v_pk_add_f32 v[20:21], v[16:17], v[20:21]
	s_nop 0
	v_pk_add_f32 v[18:19], v[18:19], v[20:21]
	v_mov_b32_e32 v15, v20
	v_mov_b32_e32 v17, v18
	v_pk_add_f32 v[22:23], v[16:17], v[24:25] neg_lo:[0,1] neg_hi:[0,1]
	s_nop 0
	v_sub_f32_e32 v9, v16, v22
	v_pk_add_f32 v[14:15], v[14:15], v[22:23] neg_lo:[0,1] neg_hi:[0,1]
	v_sub_f32_e32 v9, v24, v9
	v_add_f32_e32 v9, v14, v9
	v_add_f32_e32 v9, v9, v15
	v_add_f32_e32 v9, v18, v9
	v_cndmask_b32_e32 v15, v9, v30, vcc
.LBB99_20:                              ;   in Loop: Header=BB99_12 Depth=1
	s_or_b64 exec, exec, s[8:9]
	v_cvt_f32_f16_e32 v9, v47
	v_add_f32_e32 v14, s33, v9
	v_cmp_ge_f32_e32 vcc, s75, v14
	s_and_b64 s[6:7], s[44:45], vcc
	s_and_saveexec_b64 s[8:9], s[6:7]
	s_cbranch_execz .LBB99_22
; %bb.21:                               ;   in Loop: Header=BB99_12 Depth=1
	v_mul_f32_e32 v9, 0x3fb8aa3b, v14
	v_rndne_f32_e32 v16, v9
	v_sub_f32_e32 v17, v9, v16
	v_fma_f32 v9, v14, s76, -v9
	v_fmac_f32_e32 v9, 0x32a5705f, v14
	v_add_f32_e32 v9, v17, v9
	v_cvt_i32_f32_e32 v16, v16
	v_exp_f32_e32 v9, v9
	v_cmp_ngt_f32_e32 vcc, s77, v14
	v_ldexp_f32 v9, v9, v16
	s_nop 0
	v_cndmask_b32_e32 v9, 0, v9, vcc
	v_cmp_nlt_f32_e32 vcc, s78, v14
	s_nop 1
	v_cndmask_b32_e32 v30, v0, v9, vcc
	v_add_f32_e32 v9, 1.0, v30
	v_add_f32_e32 v14, -1.0, v9
	v_sub_f32_e32 v16, v14, v9
	v_add_f32_e32 v16, 1.0, v16
	v_sub_f32_e32 v14, v30, v14
	v_add_f32_e32 v14, v14, v16
	v_frexp_mant_f32_e32 v18, v9
	v_cvt_f64_f32_e32 v[16:17], v9
	v_frexp_exp_i32_f64_e32 v16, v[16:17]
	v_cmp_gt_f32_e32 vcc, s80, v18
	v_cmp_gt_f32_e64 s[6:7], s82, v30
	s_nop 0
	v_subbrev_co_u32_e32 v24, vcc, 0, v16, vcc
	v_sub_u32_e32 v16, 0, v24
	v_ldexp_f32 v9, v9, v16
	v_ldexp_f32 v14, v14, v16
	v_add_f32_e32 v16, -1.0, v9
	v_add_f32_e32 v17, 1.0, v16
	v_sub_f32_e32 v17, v9, v17
	v_add_f32_e32 v18, v14, v17
	v_add_f32_e32 v17, 1.0, v9
	v_add_f32_e32 v19, -1.0, v17
	v_sub_f32_e32 v9, v9, v19
	v_add_f32_e32 v9, v14, v9
	v_add_f32_e32 v14, v17, v9
	v_rcp_f32_e32 v25, v14
	v_sub_f32_e32 v17, v17, v14
	v_add_f32_e32 v9, v9, v17
	v_add_f32_e32 v17, v16, v18
	v_sub_f32_e32 v16, v16, v17
	v_mul_f32_e32 v27, v17, v25
	v_add_f32_e32 v26, v18, v16
	v_mul_f32_e32 v18, v14, v27
	v_fma_f32 v20, v27, v14, -v18
	v_fmac_f32_e32 v20, v27, v9
	v_add_f32_e32 v16, v18, v20
	v_sub_f32_e32 v19, v17, v16
	v_pk_add_f32 v[22:23], v[16:17], v[18:19] neg_lo:[0,1] neg_hi:[0,1]
	v_mov_b32_e32 v21, v16
	v_pk_add_f32 v[16:17], v[22:23], v[20:21] neg_lo:[0,1] neg_hi:[0,1]
	v_cmp_eq_f32_e32 vcc, s79, v30
	v_add_f32_e32 v17, v26, v17
	v_add_f32_e32 v16, v16, v17
	;; [unrolled: 1-line block ×3, first 2 shown]
	v_mul_f32_e32 v26, v25, v17
	v_mul_f32_e32 v18, v14, v26
	v_fma_f32 v20, v26, v14, -v18
	v_fmac_f32_e32 v20, v26, v9
	v_sub_f32_e32 v9, v19, v17
	v_add_f32_e32 v9, v16, v9
	v_add_f32_e32 v16, v18, v20
	v_sub_f32_e32 v19, v17, v16
	v_pk_add_f32 v[22:23], v[16:17], v[18:19] neg_lo:[0,1] neg_hi:[0,1]
	v_mov_b32_e32 v21, v16
	v_pk_add_f32 v[16:17], v[22:23], v[20:21] neg_lo:[0,1] neg_hi:[0,1]
	v_add_f32_e32 v14, v27, v26
	v_add_f32_e32 v9, v9, v17
	;; [unrolled: 1-line block ×4, first 2 shown]
	v_sub_f32_e32 v16, v14, v27
	v_mul_f32_e32 v9, v25, v9
	v_sub_f32_e32 v16, v26, v16
	v_add_f32_e32 v17, v16, v9
	v_add_f32_e32 v18, v14, v17
	v_cvt_f32_i32_e32 v16, v24
	v_mul_f32_e32 v20, v18, v18
	v_fmamk_f32 v9, v20, 0x3e9b6dac, v41
	v_sub_f32_e32 v14, v18, v14
	v_fmaak_f32 v9, v20, v9, 0x3f2aaada
	v_sub_f32_e32 v14, v17, v14
	v_mul_f32_e32 v17, v18, v20
	v_pk_mul_f32 v[20:21], v[16:17], v[8:9]
	v_ldexp_f32 v19, v18, 1
	v_fma_f32 v18, v16, s81, -v20
	v_fmac_f32_e32 v18, 0xb102e308, v16
	v_pk_add_f32 v[16:17], v[20:21], v[18:19]
	v_ldexp_f32 v14, v14, 1
	v_sub_f32_e32 v9, v17, v19
	v_sub_f32_e32 v9, v21, v9
	v_add_f32_e32 v23, v14, v9
	v_mov_b32_e32 v22, v20
	v_pk_add_f32 v[20:21], v[16:17], v[20:21] neg_lo:[0,1] neg_hi:[0,1]
	v_pk_add_f32 v[24:25], v[16:17], v[22:23]
	v_mov_b32_e32 v19, v16
	v_mov_b32_e32 v21, v25
	v_pk_add_f32 v[26:27], v[18:19], v[20:21] neg_lo:[0,1] neg_hi:[0,1]
	v_pk_add_f32 v[18:19], v[18:19], v[20:21]
	s_or_b64 vcc, s[6:7], vcc
	v_mov_b32_e32 v14, v19
	v_pk_add_f32 v[20:21], v[14:15], v[16:17] neg_lo:[0,1] neg_hi:[0,1]
	v_mov_b32_e32 v18, v25
	v_mov_b32_e32 v9, v20
	v_pk_add_f32 v[28:29], v[24:25], v[8:9] neg_lo:[0,1] neg_hi:[0,1]
	v_mov_b32_e32 v24, v17
	v_mov_b32_e32 v25, v20
	;; [unrolled: 1-line block ×3, first 2 shown]
	v_pk_add_f32 v[18:19], v[18:19], v[24:25] neg_lo:[0,1] neg_hi:[0,1]
	v_mov_b32_e32 v20, v23
	v_mov_b32_e32 v21, v16
	v_pk_add_f32 v[16:17], v[20:21], v[18:19] neg_lo:[0,1] neg_hi:[0,1]
	v_mov_b32_e32 v28, v26
	v_pk_add_f32 v[18:19], v[28:29], v[16:17]
	s_nop 0
	v_mov_b32_e32 v20, v19
	v_pk_add_f32 v[20:21], v[18:19], v[20:21]
	s_nop 0
	v_pk_add_f32 v[22:23], v[14:15], v[20:21]
	v_mov_b32_e32 v17, v20
	v_mov_b32_e32 v19, v22
	v_pk_add_f32 v[24:25], v[18:19], v[26:27] neg_lo:[0,1] neg_hi:[0,1]
	s_nop 0
	v_sub_f32_e32 v9, v18, v24
	v_pk_add_f32 v[16:17], v[16:17], v[24:25] neg_lo:[0,1] neg_hi:[0,1]
	v_sub_f32_e32 v9, v26, v9
	v_add_f32_e32 v9, v16, v9
	v_add_f32_e32 v9, v9, v17
	;; [unrolled: 1-line block ×3, first 2 shown]
	v_cndmask_b32_e32 v14, v9, v30, vcc
.LBB99_22:                              ;   in Loop: Header=BB99_12 Depth=1
	s_or_b64 exec, exec, s[8:9]
	v_cvt_f32_f16_e32 v20, v11
	v_cvt_f32_f16_e32 v21, v46
	;; [unrolled: 1-line block ×4, first 2 shown]
	v_mul_f32_e32 v18, s72, v20
	v_mul_f32_e32 v17, s72, v21
	;; [unrolled: 1-line block ×3, first 2 shown]
	s_lshl_b32 s58, s85, 8
	v_mul_f32_e32 v19, s72, v9
	s_and_b64 vcc, exec, s[54:55]
	s_waitcnt lgkmcnt(0)
	; wave barrier
	s_cbranch_vccz .LBB99_11
; %bb.23:                               ;   in Loop: Header=BB99_12 Depth=1
	v_and_b32_e32 v24, 15, v42
	v_cmp_eq_u32_e64 s[6:7], 0, v24
	v_cmp_lt_u32_e64 s[8:9], 1, v24
	v_cmp_lt_u32_e64 s[10:11], 3, v24
	v_cmp_lt_u32_e64 s[12:13], 7, v24
	v_and_b32_e32 v24, 16, v42
	s_sub_i32 s24, s48, s58
	v_cmp_ne_u32_e64 s[14:15], 0, v24
	v_add_u32_e32 v24, -1, v42
	v_and_b32_e32 v25, 64, v42
	s_cmp_lg_u32 s85, 0
	v_cmp_lt_i32_e32 vcc, v24, v25
	s_cselect_b64 s[60:61], -1, 0
	s_cmp_eq_u32 s85, s74
	v_cndmask_b32_e32 v24, v24, v42, vcc
	v_cmp_gt_u32_e32 vcc, s24, v7
	s_cselect_b64 s[62:63], -1, 0
	s_or_b64 s[18:19], s[56:57], vcc
	v_cmp_gt_u32_e32 vcc, s24, v6
	s_mov_b32 s50, 0
	v_cmp_gt_u32_e64 s[20:21], s24, v1
	s_or_b64 s[22:23], s[56:57], vcc
	v_cmp_gt_u32_e32 vcc, s24, v40
	v_mul_f32_e32 v9, v14, v9
	v_mul_f32_e32 v51, v15, v20
	;; [unrolled: 1-line block ×4, first 2 shown]
	v_lshl_add_u64 v[20:21], s[38:39], 0, v[2:3]
	v_lshl_add_u64 v[22:23], s[42:43], 0, v[2:3]
	v_cmp_lt_u32_e64 s[16:17], 31, v42
	v_lshlrev_b32_e32 v54, 2, v24
	s_or_b64 s[20:21], s[56:57], s[20:21]
	s_or_b64 s[24:25], s[56:57], vcc
	s_mov_b32 s64, s50
	s_mov_b32 s66, s50
	;; [unrolled: 1-line block ×5, first 2 shown]
	s_branch .LBB99_25
.LBB99_24:                              ;   in Loop: Header=BB99_25 Depth=2
	s_or_b64 exec, exec, s[26:27]
	v_mul_f32_e32 v26, v33, v32
	v_fma_f32 v27, v33, v35, v28
	v_cndmask_b32_e64 v28, v27, v28, s[4:5]
	v_cndmask_b32_e64 v26, v26, v33, s[4:5]
	s_waitcnt lgkmcnt(0)
	v_fmac_f32_e32 v28, v38, v26
	v_fmac_f32_e32 v29, v28, v31
	v_cvt_f32_f16_sdwa v27, v25 dst_sel:DWORD dst_unused:UNUSED_PAD src0_sel:WORD_1
	v_cvt_f32_f16_e32 v26, v25
	v_cvt_f32_f16_sdwa v25, v24 dst_sel:DWORD dst_unused:UNUSED_PAD src0_sel:WORD_1
	v_cvt_f32_f16_e32 v24, v24
	v_fmac_f32_e32 v30, v29, v37
	v_fmac_f32_e32 v34, v30, v36
	v_mov_b32_e32 v31, v34
	s_add_i32 s86, s86, 8
	s_add_i32 s59, s59, -1
	s_add_i32 s68, s68, s46
	s_add_i32 s66, s66, s28
	;; [unrolled: 1-line block ×4, first 2 shown]
	v_pk_fma_f32 v[18:19], v[30:31], v[26:27], v[18:19]
	s_cmp_eq_u32 s59, 0
	v_pk_fma_f32 v[16:17], v[28:29], v[24:25], v[16:17]
	s_cbranch_scc1 .LBB99_11
.LBB99_25:                              ;   Parent Loop BB99_12 Depth=1
                                        ; =>  This Inner Loop Header: Depth=2
	s_lshl_b64 s[26:27], s[50:51], 2
	s_mov_b32 s65, s51
	s_add_u32 s26, s36, s26
	v_lshl_add_u64 v[24:25], s[64:65], 1, v[20:21]
	s_mov_b32 s67, s51
	s_addc_u32 s27, s47, s27
	global_load_dwordx2 v[28:29], v[24:25], off
	v_lshl_add_u64 v[24:25], s[66:67], 1, v[22:23]
	global_load_dword v30, v3, s[26:27]
	s_andn2_b64 vcc, exec, s[60:61]
	global_load_dwordx2 v[24:25], v[24:25], off
	s_cbranch_vccnz .LBB99_27
; %bb.26:                               ;   in Loop: Header=BB99_25 Depth=2
	v_mov_b32_e32 v26, s86
	ds_read_b64 v[26:27], v26
	s_cbranch_execz .LBB99_28
	s_branch .LBB99_31
.LBB99_27:                              ;   in Loop: Header=BB99_25 Depth=2
                                        ; implicit-def: $vgpr27
.LBB99_28:                              ;   in Loop: Header=BB99_25 Depth=2
	s_andn2_b64 vcc, exec, s[34:35]
	s_waitcnt lgkmcnt(0)
	v_mov_b32_e32 v27, 0
	s_cbranch_vccnz .LBB99_30
; %bb.29:                               ;   in Loop: Header=BB99_25 Depth=2
	s_mov_b32 s69, s51
	s_lshl_b64 s[26:27], s[68:69], 2
	s_add_u32 s26, s29, s26
	s_addc_u32 s27, s41, s27
	global_load_dword v27, v3, s[26:27]
.LBB99_30:                              ;   in Loop: Header=BB99_25 Depth=2
	v_mov_b32_e32 v26, 1.0
.LBB99_31:                              ;   in Loop: Header=BB99_25 Depth=2
	s_waitcnt vmcnt(1)
	v_mul_f32_e32 v32, 0x3fb8aa3b, v30
	v_cvt_f32_f16_e32 v30, v28
	v_cvt_f32_f16_sdwa v31, v28 dst_sel:DWORD dst_unused:UNUSED_PAD src0_sel:WORD_1
	v_mul_f32_e32 v28, v32, v49
	v_cmp_gt_f32_e32 vcc, s84, v28
	v_cvt_f32_f16_e32 v34, v29
	v_cvt_f32_f16_sdwa v36, v29 dst_sel:DWORD dst_unused:UNUSED_PAD src0_sel:WORD_1
	v_cndmask_b32_e32 v28, 0, v43, vcc
	v_fmac_f32_e32 v28, v32, v49
	v_exp_f32_e32 v28, v28
	v_cndmask_b32_e32 v29, 1.0, v44, vcc
	v_mul_f32_e32 v34, v51, v34
	v_mul_f32_e32 v29, v28, v29
	;; [unrolled: 1-line block ×4, first 2 shown]
	v_cmp_gt_f32_e32 vcc, s84, v30
	v_cndmask_b32_e64 v33, 1.0, v29, s[18:19]
	v_cndmask_b32_e64 v28, 0, v28, s[18:19]
	v_cndmask_b32_e32 v30, 0, v43, vcc
	v_fmac_f32_e32 v30, v32, v50
	v_exp_f32_e32 v30, v30
	v_cndmask_b32_e32 v29, 1.0, v44, vcc
	v_mul_f32_e32 v30, v30, v29
	v_mul_f32_e32 v29, v52, v31
	v_cndmask_b32_e64 v31, 1.0, v30, s[20:21]
	v_cndmask_b32_e64 v30, 0, v34, s[22:23]
	v_pk_mul_f32 v[34:35], v[32:33], v[14:15] op_sel_hi:[0,1]
	v_cmp_gt_f32_e32 vcc, s84, v34
	v_cmp_gt_f32_e64 s[26:27], s84, v35
	v_cndmask_b32_e64 v29, 0, v29, s[20:21]
	v_cndmask_b32_e32 v32, 0, v43, vcc
	v_add_f32_e32 v32, v34, v32
	v_cndmask_b32_e64 v34, 0, v43, s[26:27]
	v_exp_f32_e32 v32, v32
	v_add_f32_e32 v34, v35, v34
	v_exp_f32_e32 v34, v34
	v_cndmask_b32_e32 v35, 1.0, v44, vcc
	v_mul_f32_e32 v32, v32, v35
	v_cndmask_b32_e64 v35, 1.0, v44, s[26:27]
	v_mul_f32_e32 v35, v34, v35
	v_mul_f32_e32 v34, v9, v36
	v_cndmask_b32_e64 v37, 1.0, v35, s[22:23]
	v_cndmask_b32_e64 v36, 1.0, v32, s[24:25]
	v_fma_f32 v32, v31, v28, v29
	v_mul_f32_e32 v32, v32, v37
	v_pk_add_f32 v[38:39], v[32:33], v[30:31]
	v_pk_mul_f32 v[56:57], v[32:33], v[30:31]
	v_cndmask_b32_e64 v34, 0, v34, s[24:25]
	v_mov_b32_e32 v39, v57
	v_pk_mul_f32 v[56:57], v[38:39], v[36:37]
	v_mov_b32_e32 v35, v36
	v_pk_fma_f32 v[58:59], v[38:39], v[36:37], v[34:35]
	v_pk_mul_f32 v[56:57], v[56:57], v[34:35]
	s_nop 0
	v_mov_b32_dpp v35, v58 row_shr:1 row_mask:0xf bank_mask:0xf
	v_mov_b32_dpp v32, v57 row_shr:1 row_mask:0xf bank_mask:0xf
	v_mul_f32_e32 v55, v57, v32
	v_fma_f32 v32, v57, v35, v58
	v_cndmask_b32_e64 v39, v32, v58, s[6:7]
	v_cndmask_b32_e64 v32, v32, v58, s[6:7]
	;; [unrolled: 1-line block ×4, first 2 shown]
	v_mov_b32_dpp v56, v32 row_shr:2 row_mask:0xf bank_mask:0xf
	v_mov_b32_dpp v55, v35 row_shr:2 row_mask:0xf bank_mask:0xf
	s_and_saveexec_b64 s[26:27], s[8:9]
; %bb.32:                               ;   in Loop: Header=BB99_25 Depth=2
	v_fmac_f32_e32 v32, v35, v56
	v_mul_f32_e32 v35, v35, v55
	v_mov_b32_e32 v38, v35
	v_mov_b32_e32 v39, v32
; %bb.33:                               ;   in Loop: Header=BB99_25 Depth=2
	s_or_b64 exec, exec, s[26:27]
	v_mov_b32_dpp v55, v35 row_shr:4 row_mask:0xf bank_mask:0xf
	v_mov_b32_dpp v56, v32 row_shr:4 row_mask:0xf bank_mask:0xf
	s_and_saveexec_b64 s[26:27], s[10:11]
; %bb.34:                               ;   in Loop: Header=BB99_25 Depth=2
	v_fmac_f32_e32 v32, v35, v56
	v_mul_f32_e32 v35, v35, v55
	v_mov_b32_e32 v38, v35
	v_mov_b32_e32 v39, v32
; %bb.35:                               ;   in Loop: Header=BB99_25 Depth=2
	s_or_b64 exec, exec, s[26:27]
	;; [unrolled: 10-line block ×3, first 2 shown]
	v_mov_b32_dpp v55, v35 row_bcast:15 row_mask:0xf bank_mask:0xf
	v_mov_b32_dpp v56, v32 row_bcast:15 row_mask:0xf bank_mask:0xf
	s_and_saveexec_b64 s[26:27], s[14:15]
; %bb.38:                               ;   in Loop: Header=BB99_25 Depth=2
	v_fmac_f32_e32 v32, v35, v56
	v_mul_f32_e32 v35, v35, v55
	v_mov_b32_e32 v38, v35
	v_mov_b32_e32 v39, v32
; %bb.39:                               ;   in Loop: Header=BB99_25 Depth=2
	s_or_b64 exec, exec, s[26:27]
	v_mov_b32_dpp v55, v35 row_bcast:31 row_mask:0xf bank_mask:0xf
	v_mov_b32_dpp v56, v32 row_bcast:31 row_mask:0xf bank_mask:0xf
	v_mul_f32_e32 v55, v35, v55
	v_fmac_f32_e32 v32, v35, v56
	v_cndmask_b32_e64 v38, v38, v55, s[16:17]
	v_cndmask_b32_e64 v39, v39, v32, s[16:17]
	s_and_saveexec_b64 s[26:27], s[2:3]
	s_cbranch_execz .LBB99_41
; %bb.40:                               ;   in Loop: Header=BB99_25 Depth=2
	ds_write_b64 v3, v[38:39] offset:1056
.LBB99_41:                              ;   in Loop: Header=BB99_25 Depth=2
	s_or_b64 exec, exec, s[26:27]
	ds_bpermute_b32 v32, v54, v38
	ds_bpermute_b32 v35, v54, v39
	s_waitcnt vmcnt(0) lgkmcnt(2)
	v_mov_b32_e32 v39, v27
	s_waitcnt lgkmcnt(0)
	; wave barrier
	s_waitcnt lgkmcnt(0)
	s_and_saveexec_b64 s[26:27], s[0:1]
	s_cbranch_execz .LBB99_45
; %bb.42:                               ;   in Loop: Header=BB99_25 Depth=2
	ds_read_b64 v[38:39], v3 offset:1056
	s_and_saveexec_b64 s[70:71], s[4:5]
	s_cbranch_execz .LBB99_44
; %bb.43:                               ;   in Loop: Header=BB99_25 Depth=2
	ds_write_b64 v3, v[26:27] offset:1056
.LBB99_44:                              ;   in Loop: Header=BB99_25 Depth=2
	s_or_b64 exec, exec, s[70:71]
	s_waitcnt lgkmcnt(0)
	v_fmac_f32_e32 v39, v27, v38
	v_mul_f32_e32 v26, v26, v38
	v_mov_b32_e32 v27, v39
.LBB99_45:                              ;   in Loop: Header=BB99_25 Depth=2
	s_or_b64 exec, exec, s[26:27]
	s_waitcnt lgkmcnt(0)
	; wave barrier
	ds_read_b32 v38, v3 offset:1060
	s_and_saveexec_b64 s[26:27], s[4:5]
	s_cbranch_execz .LBB99_24
; %bb.46:                               ;   in Loop: Header=BB99_25 Depth=2
	v_mov_b32_e32 v55, s86
	s_andn2_b64 vcc, exec, s[62:63]
	ds_write_b64 v55, v[26:27]
	s_cbranch_vccnz .LBB99_24
; %bb.47:                               ;   in Loop: Header=BB99_25 Depth=2
	s_mov_b32 s69, s51
	s_lshl_b64 s[70:71], s[68:69], 2
	s_add_u32 s70, s29, s70
	s_addc_u32 s71, s41, s71
	global_store_dword v3, v39, s[70:71]
	s_branch .LBB99_24
.LBB99_48:
	s_endpgm
	.section	.rodata,"a",@progbits
	.p2align	6, 0x0
	.amdhsa_kernel _Z25selective_scan_fwd_kernelI32Selective_Scan_fwd_kernel_traitsILi64ELi4ELi1ELb1ELb1ELb1ELb0ELb0EN3c104HalfEffEEv13SSMParamsBase
		.amdhsa_group_segment_fixed_size 0
		.amdhsa_private_segment_fixed_size 0
		.amdhsa_kernarg_size 248
		.amdhsa_user_sgpr_count 2
		.amdhsa_user_sgpr_dispatch_ptr 0
		.amdhsa_user_sgpr_queue_ptr 0
		.amdhsa_user_sgpr_kernarg_segment_ptr 1
		.amdhsa_user_sgpr_dispatch_id 0
		.amdhsa_user_sgpr_kernarg_preload_length 0
		.amdhsa_user_sgpr_kernarg_preload_offset 0
		.amdhsa_user_sgpr_private_segment_size 0
		.amdhsa_uses_dynamic_stack 0
		.amdhsa_enable_private_segment 0
		.amdhsa_system_sgpr_workgroup_id_x 1
		.amdhsa_system_sgpr_workgroup_id_y 1
		.amdhsa_system_sgpr_workgroup_id_z 0
		.amdhsa_system_sgpr_workgroup_info 0
		.amdhsa_system_vgpr_workitem_id 0
		.amdhsa_next_free_vgpr 60
		.amdhsa_next_free_sgpr 87
		.amdhsa_accum_offset 60
		.amdhsa_reserve_vcc 1
		.amdhsa_float_round_mode_32 0
		.amdhsa_float_round_mode_16_64 0
		.amdhsa_float_denorm_mode_32 3
		.amdhsa_float_denorm_mode_16_64 3
		.amdhsa_dx10_clamp 1
		.amdhsa_ieee_mode 1
		.amdhsa_fp16_overflow 0
		.amdhsa_tg_split 0
		.amdhsa_exception_fp_ieee_invalid_op 0
		.amdhsa_exception_fp_denorm_src 0
		.amdhsa_exception_fp_ieee_div_zero 0
		.amdhsa_exception_fp_ieee_overflow 0
		.amdhsa_exception_fp_ieee_underflow 0
		.amdhsa_exception_fp_ieee_inexact 0
		.amdhsa_exception_int_div_zero 0
	.end_amdhsa_kernel
	.section	.text._Z25selective_scan_fwd_kernelI32Selective_Scan_fwd_kernel_traitsILi64ELi4ELi1ELb1ELb1ELb1ELb0ELb0EN3c104HalfEffEEv13SSMParamsBase,"axG",@progbits,_Z25selective_scan_fwd_kernelI32Selective_Scan_fwd_kernel_traitsILi64ELi4ELi1ELb1ELb1ELb1ELb0ELb0EN3c104HalfEffEEv13SSMParamsBase,comdat
.Lfunc_end99:
	.size	_Z25selective_scan_fwd_kernelI32Selective_Scan_fwd_kernel_traitsILi64ELi4ELi1ELb1ELb1ELb1ELb0ELb0EN3c104HalfEffEEv13SSMParamsBase, .Lfunc_end99-_Z25selective_scan_fwd_kernelI32Selective_Scan_fwd_kernel_traitsILi64ELi4ELi1ELb1ELb1ELb1ELb0ELb0EN3c104HalfEffEEv13SSMParamsBase
                                        ; -- End function
	.section	.AMDGPU.csdata,"",@progbits
; Kernel info:
; codeLenInByte = 5140
; NumSgprs: 93
; NumVgprs: 60
; NumAgprs: 0
; TotalNumVgprs: 60
; ScratchSize: 0
; MemoryBound: 0
; FloatMode: 240
; IeeeMode: 1
; LDSByteSize: 0 bytes/workgroup (compile time only)
; SGPRBlocks: 11
; VGPRBlocks: 7
; NumSGPRsForWavesPerEU: 93
; NumVGPRsForWavesPerEU: 60
; AccumOffset: 60
; Occupancy: 8
; WaveLimiterHint : 0
; COMPUTE_PGM_RSRC2:SCRATCH_EN: 0
; COMPUTE_PGM_RSRC2:USER_SGPR: 2
; COMPUTE_PGM_RSRC2:TRAP_HANDLER: 0
; COMPUTE_PGM_RSRC2:TGID_X_EN: 1
; COMPUTE_PGM_RSRC2:TGID_Y_EN: 1
; COMPUTE_PGM_RSRC2:TGID_Z_EN: 0
; COMPUTE_PGM_RSRC2:TIDIG_COMP_CNT: 0
; COMPUTE_PGM_RSRC3_GFX90A:ACCUM_OFFSET: 14
; COMPUTE_PGM_RSRC3_GFX90A:TG_SPLIT: 0
	.section	.text._Z25selective_scan_fwd_kernelI32Selective_Scan_fwd_kernel_traitsILi64ELi4ELi1ELb0ELb1ELb1ELb1ELb1EN3c104HalfEffEEv13SSMParamsBase,"axG",@progbits,_Z25selective_scan_fwd_kernelI32Selective_Scan_fwd_kernel_traitsILi64ELi4ELi1ELb0ELb1ELb1ELb1ELb1EN3c104HalfEffEEv13SSMParamsBase,comdat
	.protected	_Z25selective_scan_fwd_kernelI32Selective_Scan_fwd_kernel_traitsILi64ELi4ELi1ELb0ELb1ELb1ELb1ELb1EN3c104HalfEffEEv13SSMParamsBase ; -- Begin function _Z25selective_scan_fwd_kernelI32Selective_Scan_fwd_kernel_traitsILi64ELi4ELi1ELb0ELb1ELb1ELb1ELb1EN3c104HalfEffEEv13SSMParamsBase
	.globl	_Z25selective_scan_fwd_kernelI32Selective_Scan_fwd_kernel_traitsILi64ELi4ELi1ELb0ELb1ELb1ELb1ELb1EN3c104HalfEffEEv13SSMParamsBase
	.p2align	8
	.type	_Z25selective_scan_fwd_kernelI32Selective_Scan_fwd_kernel_traitsILi64ELi4ELi1ELb0ELb1ELb1ELb1ELb1EN3c104HalfEffEEv13SSMParamsBase,@function
_Z25selective_scan_fwd_kernelI32Selective_Scan_fwd_kernel_traitsILi64ELi4ELi1ELb0ELb1ELb1ELb1ELb1EN3c104HalfEffEEv13SSMParamsBase: ; @_Z25selective_scan_fwd_kernelI32Selective_Scan_fwd_kernel_traitsILi64ELi4ELi1ELb0ELb1ELb1ELb1ELb1EN3c104HalfEffEEv13SSMParamsBase
; %bb.0:
	s_load_dword s37, s[0:1], 0x18
	s_load_dwordx4 s[4:7], s[0:1], 0xe8
	s_load_dwordx8 s[20:27], s[0:1], 0xc8
	s_mov_b32 s34, s3
	s_ashr_i32 s3, s2, 31
	s_lshl_b64 s[8:9], s[2:3], 2
	s_waitcnt lgkmcnt(0)
	s_abs_i32 s36, s37
	v_cvt_f32_u32_e32 v1, s36
	s_add_u32 s28, s26, s8
	s_addc_u32 s29, s27, s9
	s_cmp_eq_u64 s[6:7], 0
	v_rcp_iflag_f32_e32 v1, v1
	s_nop 0
	v_mul_f32_e32 v1, 0x4f7ffffe, v1
	v_cvt_u32_f32_e32 v1, v1
	s_nop 0
	v_readfirstlane_b32 s56, v1
	s_cbranch_scc1 .LBB100_102
; %bb.1:
	s_add_u32 s6, s6, s2
	s_addc_u32 s7, s7, s3
	v_mov_b32_e32 v1, 0
	global_load_ubyte v1, v1, s[6:7]
	s_waitcnt vmcnt(0)
	v_and_b32_e32 v1, 1, v1
	v_cmp_eq_u32_e64 s[38:39], 1, v1
	s_load_dwordx2 s[6:7], s[0:1], 0x20
	s_cmp_eq_u64 s[4:5], 0
	s_cbranch_scc1 .LBB100_3
.LBB100_2:
	s_add_u32 s2, s4, s8
	s_addc_u32 s3, s5, s9
	s_load_dword s2, s[2:3], 0x0
	s_waitcnt lgkmcnt(0)
	s_ashr_i32 s3, s2, 31
.LBB100_3:
	s_waitcnt lgkmcnt(0)
	s_cmp_eq_u64 s[6:7], s[2:3]
	s_cbranch_scc1 .LBB100_101
; %bb.4:
	s_load_dwordx16 s[4:19], s[0:1], 0x88
	s_load_dwordx2 s[26:27], s[28:29], 0x0
	s_mov_b32 s33, 0
	s_mov_b32 s76, 0
	s_waitcnt lgkmcnt(0)
	s_cmp_eq_u64 s[10:11], 0
	s_cbranch_scc1 .LBB100_6
; %bb.5:
	s_ashr_i32 s35, s34, 31
	s_lshl_b64 s[28:29], s[34:35], 2
	s_add_u32 s10, s10, s28
	s_addc_u32 s11, s11, s29
	s_load_dword s76, s[10:11], 0x0
.LBB100_6:
	s_cmp_eq_u64 s[16:17], 0
	s_cbranch_scc1 .LBB100_8
; %bb.7:
	s_ashr_i32 s35, s34, 31
	s_lshl_b64 s[10:11], s[34:35], 2
	s_add_u32 s10, s16, s10
	s_addc_u32 s11, s17, s11
	s_load_dword s33, s[10:11], 0x0
.LBB100_8:
	s_sub_i32 s77, s27, s26
	s_cmp_lt_i32 s77, 1
	s_cbranch_scc1 .LBB100_101
; %bb.9:
	s_sub_i32 s3, 0, s36
	s_mul_i32 s3, s3, s56
	s_mul_hi_u32 s3, s56, s3
	s_abs_i32 s16, s34
	s_add_i32 s56, s56, s3
	s_load_dwordx8 s[40:47], s[0:1], 0x2c
	s_load_dwordx2 s[10:11], s[0:1], 0x7c
	s_load_dwordx4 s[28:31], s[0:1], 0x6c
	s_load_dwordx8 s[48:55], s[0:1], 0x4c
	s_load_dword s78, s[0:1], 0x84
	s_mul_hi_u32 s3, s16, s56
	s_load_dword s79, s[0:1], 0xc
	s_load_dword s17, s[0:1], 0x28
	s_ashr_i32 s0, s34, 31
	s_ashr_i32 s1, s37, 31
	s_xor_b32 s0, s0, s1
	s_mul_i32 s1, s3, s36
	s_sub_i32 s1, s16, s1
	s_add_i32 s16, s3, 1
	s_sub_i32 s27, s1, s36
	s_cmp_ge_u32 s1, s36
	s_cselect_b32 s3, s16, s3
	s_cselect_b32 s1, s27, s1
	s_add_i32 s16, s3, 1
	s_cmp_ge_u32 s1, s36
	s_cselect_b32 s1, s16, s3
	s_xor_b32 s1, s1, s0
	s_waitcnt lgkmcnt(0)
	s_mul_i32 s56, s26, s50
	s_mov_b32 s57, 0
	s_sub_i32 s3, s1, s0
	s_lshl_b64 s[0:1], s[56:57], 1
	s_add_u32 s12, s12, s0
	s_mul_i32 s56, s51, s34
	s_addc_u32 s13, s13, s1
	s_lshl_b64 s[0:1], s[56:57], 1
	s_add_u32 s50, s12, s0
	s_mul_i32 s56, s26, s52
	s_addc_u32 s51, s13, s1
	;; [unrolled: 4-line block ×9, first 2 shown]
	s_lshl_b64 s[0:1], s[56:57], 2
	s_add_u32 s2, s20, s0
	s_mul_i32 s56, s11, s34
	v_mbcnt_lo_u32_b32 v2, -1, 0
	s_addc_u32 s3, s21, s1
	s_lshl_b64 s[0:1], s[56:57], 2
	v_mbcnt_hi_u32_b32 v2, -1, v2
	s_add_u32 s45, s2, s0
	v_lshrrev_b32_e32 v3, 5, v2
	s_addc_u32 s49, s3, s1
	s_add_i32 s0, s77, 0x7ff
	v_and_b32_e32 v3, 2, v3
	s_lshr_b32 s81, s0, 11
	v_add_u32_e32 v40, 64, v2
	v_or_b32_e32 v41, 0x80, v2
	v_add_u32_e32 v42, 0xc0, v2
	v_add_u32_e32 v3, v3, v2
	v_lshl_add_u32 v43, v3, 1, 0
	v_lshrrev_b32_e32 v3, 5, v40
	v_lshrrev_b32_e32 v4, 5, v41
	;; [unrolled: 1-line block ×3, first 2 shown]
	s_bitcmp1_b32 s17, 0
	v_and_b32_e32 v3, 6, v3
	v_and_b32_e32 v4, 6, v4
	;; [unrolled: 1-line block ×3, first 2 shown]
	s_cselect_b64 s[58:59], -1, 0
	s_cmp_gt_i32 s79, 0
	v_add_lshl_u32 v3, v3, v2, 1
	v_add_lshl_u32 v4, v4, v2, 1
	;; [unrolled: 1-line block ×3, first 2 shown]
	s_cselect_b64 s[60:61], -1, 0
	s_add_i32 s0, 0, 0x210
	s_mul_i32 s56, s26, s28
	v_add_u32_e32 v48, s0, v3
	v_add_u32_e32 v49, s0, v4
	v_add_u32_e32 v50, s0, v5
	s_and_b32 s2, s77, 0xff
	s_add_i32 s82, s81, -1
	s_lshl_b64 s[0:1], s[56:57], 1
	s_add_u32 s3, s18, s0
	s_mul_i32 s56, s29, s34
	s_addc_u32 s4, s19, s1
	s_lshl_b64 s[0:1], s[56:57], 1
	s_add_u32 s18, s3, s0
	s_mul_i32 s56, s26, s54
	s_addc_u32 s19, s4, s1
	;; [unrolled: 4-line block ×5, first 2 shown]
	s_lshl_b64 s[0:1], s[56:57], 1
	s_add_u32 s22, s3, s0
	v_add_u32_e32 v44, 0, v3
	s_addc_u32 s23, s4, s1
	v_and_b32_e32 v3, 15, v2
	s_cmp_eq_u32 s2, 0
	v_cmp_eq_u32_e64 s[0:1], 0, v3
	v_cmp_lt_u32_e64 s[2:3], 1, v3
	v_cmp_lt_u32_e64 s[4:5], 3, v3
	;; [unrolled: 1-line block ×3, first 2 shown]
	v_and_b32_e32 v3, 16, v2
	v_add_u32_e32 v45, 0, v4
	v_lshrrev_b32_e32 v6, 3, v2
	v_cmp_ne_u32_e64 s[8:9], 0, v3
	v_add_u32_e32 v3, -1, v2
	v_and_b32_e32 v4, 64, v2
	v_and_b32_e32 v6, 14, v6
	v_cmp_lt_i32_e32 vcc, v3, v4
	v_mov_b32_e32 v1, 0
	v_lshlrev_b32_e32 v11, 2, v0
	v_lshl_add_u32 v6, v2, 2, v6
	v_cmp_eq_u32_e64 s[12:13], 63, v0
	v_cndmask_b32_e32 v3, v3, v2, vcc
	v_cmp_gt_u32_e64 s[14:15], 64, v0
	v_cmp_eq_u32_e64 s[16:17], 0, v0
	v_lshlrev_b32_e32 v0, 1, v2
                                        ; implicit-def: $vgpr12
	v_add_u32_e32 v46, 0, v5
	v_lshl_add_u32 v47, v6, 1, 0
	s_cselect_b64 s[54:55], -1, 0
	v_cmp_lt_u32_e64 s[10:11], 31, v2
	v_lshlrev_b32_e32 v51, 2, v3
	v_lshl_add_u64 v[4:5], s[18:19], 0, v[0:1]
	v_lshl_add_u64 v[6:7], s[20:21], 0, v[0:1]
	;; [unrolled: 1-line block ×3, first 2 shown]
	v_or_b32_e32 v3, 1, v11
	v_or_b32_e32 v10, 2, v11
	;; [unrolled: 1-line block ×3, first 2 shown]
	v_lshlrev_b32_e32 v0, 1, v2
	s_mov_b32 s83, 0x41a00000
	s_mov_b32 s84, 0x3fb8aa3b
	;; [unrolled: 1-line block ×6, first 2 shown]
	v_mov_b32_e32 v53, 0x3ecc95a3
	s_mov_b32 s89, 0x3f317218
	s_mov_b32 s90, 0x33800000
	s_add_i32 s91, 0, 0x428
	s_mov_b32 s92, 0xc2fc0000
	s_mov_b32 s93, 0xbfb8aa3b
	;; [unrolled: 1-line block ×5, first 2 shown]
	v_mov_b32_e32 v54, 0x7f800000
	v_mov_b32_e32 v12, 0x3f317218
	;; [unrolled: 1-line block ×4, first 2 shown]
	s_mov_b32 s97, 0
	s_branch .LBB100_11
.LBB100_10:                             ;   in Loop: Header=BB100_11 Depth=1
	s_or_b64 exec, exec, s[18:19]
	s_add_u32 s52, s52, 0x200
	s_addc_u32 s53, s53, 0
	s_add_u32 s50, s50, 0x200
	s_addc_u32 s51, s51, 0
	;; [unrolled: 2-line block ×4, first 2 shown]
	s_add_i32 s97, s97, 1
	s_cmp_lg_u32 s97, s81
	s_cbranch_scc0 .LBB100_101
.LBB100_11:                             ; =>This Loop Header: Depth=1
                                        ;     Child Loop BB100_36 Depth 2
	s_lshl_b32 s62, s97, 8
	s_sub_i32 s34, s77, s62
	v_lshl_add_u64 v[14:15], s[50:51], 0, v[0:1]
	v_cmp_gt_u32_e64 s[18:19], s34, v2
	s_waitcnt lgkmcnt(1)
	v_mov_b32_e32 v16, 0
	s_waitcnt lgkmcnt(0)
	; wave barrier
	s_and_saveexec_b64 s[20:21], s[18:19]
	s_cbranch_execz .LBB100_13
; %bb.12:                               ;   in Loop: Header=BB100_11 Depth=1
	global_load_ushort v16, v[14:15], off
.LBB100_13:                             ;   in Loop: Header=BB100_11 Depth=1
	s_or_b64 exec, exec, s[20:21]
	v_cmp_gt_u32_e64 s[20:21], s34, v40
	v_mov_b32_e32 v17, 0
	v_mov_b32_e32 v18, 0
	s_and_saveexec_b64 s[22:23], s[20:21]
	s_cbranch_execz .LBB100_15
; %bb.14:                               ;   in Loop: Header=BB100_11 Depth=1
	global_load_ushort v18, v[14:15], off offset:128
.LBB100_15:                             ;   in Loop: Header=BB100_11 Depth=1
	s_or_b64 exec, exec, s[22:23]
	v_cmp_gt_u32_e64 s[22:23], s34, v41
	s_and_saveexec_b64 s[24:25], s[22:23]
	s_cbranch_execz .LBB100_17
; %bb.16:                               ;   in Loop: Header=BB100_11 Depth=1
	global_load_ushort v17, v[14:15], off offset:256
.LBB100_17:                             ;   in Loop: Header=BB100_11 Depth=1
	s_or_b64 exec, exec, s[24:25]
	v_cmp_gt_u32_e64 s[24:25], s34, v42
	s_waitcnt lgkmcnt(0)
	v_mov_b32_e32 v13, 0
	v_mov_b32_e32 v19, 0
	s_and_saveexec_b64 s[26:27], s[24:25]
	s_cbranch_execz .LBB100_19
; %bb.18:                               ;   in Loop: Header=BB100_11 Depth=1
	global_load_ushort v19, v[14:15], off offset:384
.LBB100_19:                             ;   in Loop: Header=BB100_11 Depth=1
	s_or_b64 exec, exec, s[26:27]
	s_waitcnt vmcnt(0)
	ds_write_b16 v43, v16
	ds_write_b16 v44, v18 offset:128
	ds_write_b16 v45, v17 offset:256
	;; [unrolled: 1-line block ×3, first 2 shown]
	; wave barrier
	ds_read_b64 v[14:15], v47
	v_lshl_add_u64 v[16:17], s[52:53], 0, v[0:1]
	s_waitcnt lgkmcnt(0)
	; wave barrier
	s_waitcnt lgkmcnt(0)
	s_and_saveexec_b64 s[26:27], s[18:19]
	s_cbranch_execz .LBB100_21
; %bb.20:                               ;   in Loop: Header=BB100_11 Depth=1
	global_load_ushort v13, v[16:17], off
.LBB100_21:                             ;   in Loop: Header=BB100_11 Depth=1
	s_or_b64 exec, exec, s[26:27]
	v_mov_b32_e32 v18, 0
	v_mov_b32_e32 v19, 0
	s_and_saveexec_b64 s[26:27], s[20:21]
	s_cbranch_execnz .LBB100_92
; %bb.22:                               ;   in Loop: Header=BB100_11 Depth=1
	s_or_b64 exec, exec, s[26:27]
	s_and_saveexec_b64 s[26:27], s[22:23]
	s_cbranch_execnz .LBB100_93
.LBB100_23:                             ;   in Loop: Header=BB100_11 Depth=1
	s_or_b64 exec, exec, s[26:27]
	v_mov_b32_e32 v20, 0
	s_and_saveexec_b64 s[26:27], s[24:25]
	s_cbranch_execz .LBB100_25
.LBB100_24:                             ;   in Loop: Header=BB100_11 Depth=1
	global_load_ushort v20, v[16:17], off offset:384
.LBB100_25:                             ;   in Loop: Header=BB100_11 Depth=1
	s_or_b64 exec, exec, s[26:27]
	s_waitcnt vmcnt(0)
	ds_write_b16 v43, v13
	ds_write_b16 v44, v19 offset:128
	ds_write_b16 v45, v18 offset:256
	;; [unrolled: 1-line block ×3, first 2 shown]
	; wave barrier
	ds_read_b64 v[16:17], v47
	s_waitcnt lgkmcnt(0)
	v_cvt_f32_f16_e32 v13, v16
	v_add_f32_e32 v57, s33, v13
	v_cmp_ge_f32_e32 vcc, s83, v57
	s_and_b64 s[26:27], s[58:59], vcc
	s_and_saveexec_b64 s[28:29], s[26:27]
	s_cbranch_execz .LBB100_27
; %bb.26:                               ;   in Loop: Header=BB100_11 Depth=1
	v_mul_f32_e32 v13, 0x3fb8aa3b, v57
	v_rndne_f32_e32 v18, v13
	v_sub_f32_e32 v19, v13, v18
	v_fma_f32 v13, v57, s84, -v13
	v_fmac_f32_e32 v13, 0x32a5705f, v57
	v_add_f32_e32 v13, v19, v13
	v_cvt_i32_f32_e32 v18, v18
	v_exp_f32_e32 v13, v13
	v_cmp_ngt_f32_e32 vcc, s85, v57
	v_ldexp_f32 v13, v13, v18
	s_nop 0
	v_cndmask_b32_e32 v13, 0, v13, vcc
	v_cmp_nlt_f32_e32 vcc, s86, v57
	s_nop 1
	v_cndmask_b32_e32 v34, v54, v13, vcc
	v_add_f32_e32 v13, 1.0, v34
	v_add_f32_e32 v18, -1.0, v13
	v_sub_f32_e32 v19, v18, v13
	v_add_f32_e32 v19, 1.0, v19
	v_sub_f32_e32 v18, v34, v18
	v_add_f32_e32 v20, v18, v19
	v_frexp_mant_f32_e32 v21, v13
	v_cvt_f64_f32_e32 v[18:19], v13
	v_frexp_exp_i32_f64_e32 v18, v[18:19]
	v_cmp_gt_f32_e32 vcc, s88, v21
	v_cmp_gt_f32_e64 s[26:27], s90, v34
	s_nop 0
	v_subbrev_co_u32_e32 v26, vcc, 0, v18, vcc
	v_sub_u32_e32 v18, 0, v26
	v_ldexp_f32 v13, v13, v18
	v_ldexp_f32 v18, v20, v18
	v_add_f32_e32 v20, -1.0, v13
	v_add_f32_e32 v19, 1.0, v20
	v_sub_f32_e32 v19, v13, v19
	v_add_f32_e32 v21, v18, v19
	v_add_f32_e32 v19, 1.0, v13
	v_add_f32_e32 v22, -1.0, v19
	v_sub_f32_e32 v13, v13, v22
	v_add_f32_e32 v13, v18, v13
	v_add_f32_e32 v27, v19, v13
	v_rcp_f32_e32 v28, v27
	v_sub_f32_e32 v18, v19, v27
	v_add_f32_e32 v19, v20, v21
	v_add_f32_e32 v13, v13, v18
	v_mul_f32_e32 v30, v19, v28
	v_sub_f32_e32 v18, v20, v19
	v_mul_f32_e32 v20, v27, v30
	v_fma_f32 v22, v30, v27, -v20
	v_fmac_f32_e32 v22, v30, v13
	v_add_f32_e32 v29, v21, v18
	v_add_f32_e32 v18, v20, v22
	v_sub_f32_e32 v21, v19, v18
	v_pk_add_f32 v[24:25], v[18:19], v[20:21] neg_lo:[0,1] neg_hi:[0,1]
	v_mov_b32_e32 v23, v18
	v_pk_add_f32 v[18:19], v[24:25], v[22:23] neg_lo:[0,1] neg_hi:[0,1]
	v_cmp_eq_f32_e32 vcc, s87, v34
	v_add_f32_e32 v19, v29, v19
	v_add_f32_e32 v18, v18, v19
	;; [unrolled: 1-line block ×3, first 2 shown]
	v_mul_f32_e32 v29, v28, v19
	v_mul_f32_e32 v20, v27, v29
	v_fma_f32 v22, v29, v27, -v20
	v_fmac_f32_e32 v22, v29, v13
	v_sub_f32_e32 v13, v21, v19
	v_add_f32_e32 v13, v18, v13
	v_add_f32_e32 v18, v20, v22
	v_sub_f32_e32 v21, v19, v18
	v_pk_add_f32 v[24:25], v[18:19], v[20:21] neg_lo:[0,1] neg_hi:[0,1]
	v_mov_b32_e32 v23, v18
	v_pk_add_f32 v[18:19], v[24:25], v[22:23] neg_lo:[0,1] neg_hi:[0,1]
	s_or_b64 vcc, s[26:27], vcc
	v_add_f32_e32 v13, v13, v19
	v_add_f32_e32 v13, v18, v13
	;; [unrolled: 1-line block ×4, first 2 shown]
	v_sub_f32_e32 v18, v19, v30
	v_mul_f32_e32 v13, v28, v13
	v_sub_f32_e32 v18, v29, v18
	v_add_f32_e32 v20, v18, v13
	v_add_f32_e32 v22, v19, v20
	v_cvt_f32_i32_e32 v18, v26
	v_mul_f32_e32 v23, v22, v22
	v_sub_f32_e32 v19, v22, v19
	v_fmamk_f32 v13, v23, 0x3e9b6dac, v53
	v_sub_f32_e32 v19, v20, v19
	v_fmaak_f32 v13, v23, v13, 0x3f2aaada
	v_ldexp_f32 v24, v19, 1
	v_mul_f32_e32 v19, v22, v23
	v_ldexp_f32 v21, v22, 1
	v_pk_mul_f32 v[22:23], v[18:19], v[12:13]
	s_nop 0
	v_fma_f32 v20, v18, s89, -v22
	v_fmac_f32_e32 v20, 0xb102e308, v18
	v_pk_add_f32 v[18:19], v[22:23], v[20:21]
	s_nop 0
	v_sub_f32_e32 v13, v19, v21
	v_sub_f32_e32 v13, v23, v13
	v_add_f32_e32 v25, v24, v13
	v_mov_b32_e32 v24, v22
	v_pk_add_f32 v[22:23], v[18:19], v[22:23] neg_lo:[0,1] neg_hi:[0,1]
	v_pk_add_f32 v[26:27], v[18:19], v[24:25]
	v_mov_b32_e32 v21, v18
	v_mov_b32_e32 v23, v27
	v_pk_add_f32 v[28:29], v[20:21], v[22:23] neg_lo:[0,1] neg_hi:[0,1]
	v_pk_add_f32 v[20:21], v[20:21], v[22:23]
	v_mov_b32_e32 v24, v25
	v_mov_b32_e32 v22, v21
	v_pk_add_f32 v[30:31], v[22:23], v[18:19] neg_lo:[0,1] neg_hi:[0,1]
	v_mov_b32_e32 v20, v27
	v_mov_b32_e32 v13, v30
	v_pk_add_f32 v[32:33], v[26:27], v[12:13] neg_lo:[0,1] neg_hi:[0,1]
	v_mov_b32_e32 v26, v19
	v_mov_b32_e32 v27, v30
	;; [unrolled: 1-line block ×3, first 2 shown]
	v_pk_add_f32 v[20:21], v[20:21], v[26:27] neg_lo:[0,1] neg_hi:[0,1]
	v_mov_b32_e32 v25, v18
	v_pk_add_f32 v[18:19], v[24:25], v[20:21] neg_lo:[0,1] neg_hi:[0,1]
	v_mov_b32_e32 v32, v28
	v_pk_add_f32 v[20:21], v[32:33], v[18:19]
	s_nop 0
	v_mov_b32_e32 v24, v21
	v_pk_add_f32 v[24:25], v[20:21], v[24:25]
	s_nop 0
	v_pk_add_f32 v[22:23], v[22:23], v[24:25]
	v_mov_b32_e32 v19, v24
	v_mov_b32_e32 v21, v22
	v_pk_add_f32 v[26:27], v[20:21], v[28:29] neg_lo:[0,1] neg_hi:[0,1]
	s_nop 0
	v_sub_f32_e32 v13, v20, v26
	v_pk_add_f32 v[18:19], v[18:19], v[26:27] neg_lo:[0,1] neg_hi:[0,1]
	v_sub_f32_e32 v13, v28, v13
	v_add_f32_e32 v13, v18, v13
	v_add_f32_e32 v13, v13, v19
	;; [unrolled: 1-line block ×3, first 2 shown]
	v_cndmask_b32_e32 v57, v13, v34, vcc
.LBB100_27:                             ;   in Loop: Header=BB100_11 Depth=1
	s_or_b64 exec, exec, s[28:29]
	v_cvt_f32_f16_sdwa v13, v16 dst_sel:DWORD dst_unused:UNUSED_PAD src0_sel:WORD_1
	v_add_f32_e32 v58, s33, v13
	v_cmp_ge_f32_e32 vcc, s83, v58
	s_and_b64 s[26:27], s[58:59], vcc
	s_and_saveexec_b64 s[28:29], s[26:27]
	s_cbranch_execz .LBB100_29
; %bb.28:                               ;   in Loop: Header=BB100_11 Depth=1
	v_mul_f32_e32 v13, 0x3fb8aa3b, v58
	v_rndne_f32_e32 v16, v13
	v_sub_f32_e32 v18, v13, v16
	v_fma_f32 v13, v58, s84, -v13
	v_fmac_f32_e32 v13, 0x32a5705f, v58
	v_add_f32_e32 v13, v18, v13
	v_cvt_i32_f32_e32 v16, v16
	v_exp_f32_e32 v13, v13
	v_cmp_ngt_f32_e32 vcc, s85, v58
	v_ldexp_f32 v13, v13, v16
	s_nop 0
	v_cndmask_b32_e32 v13, 0, v13, vcc
	v_cmp_nlt_f32_e32 vcc, s86, v58
	s_nop 1
	v_cndmask_b32_e32 v32, v54, v13, vcc
	v_add_f32_e32 v13, 1.0, v32
	v_add_f32_e32 v16, -1.0, v13
	v_sub_f32_e32 v18, v16, v13
	v_add_f32_e32 v18, 1.0, v18
	v_sub_f32_e32 v16, v32, v16
	v_add_f32_e32 v16, v16, v18
	v_frexp_mant_f32_e32 v20, v13
	v_cvt_f64_f32_e32 v[18:19], v13
	v_frexp_exp_i32_f64_e32 v18, v[18:19]
	v_cmp_gt_f32_e32 vcc, s88, v20
	v_cmp_gt_f32_e64 s[26:27], s90, v32
	s_nop 0
	v_subbrev_co_u32_e32 v26, vcc, 0, v18, vcc
	v_sub_u32_e32 v18, 0, v26
	v_ldexp_f32 v13, v13, v18
	v_ldexp_f32 v16, v16, v18
	v_add_f32_e32 v18, -1.0, v13
	v_add_f32_e32 v19, 1.0, v18
	v_sub_f32_e32 v19, v13, v19
	v_add_f32_e32 v20, v16, v19
	v_add_f32_e32 v19, 1.0, v13
	v_add_f32_e32 v21, -1.0, v19
	v_sub_f32_e32 v13, v13, v21
	v_add_f32_e32 v13, v16, v13
	v_add_f32_e32 v16, v19, v13
	v_rcp_f32_e32 v27, v16
	v_sub_f32_e32 v19, v19, v16
	v_add_f32_e32 v13, v13, v19
	v_add_f32_e32 v19, v18, v20
	v_sub_f32_e32 v18, v18, v19
	v_mul_f32_e32 v29, v19, v27
	v_add_f32_e32 v28, v20, v18
	v_mul_f32_e32 v20, v16, v29
	v_fma_f32 v22, v29, v16, -v20
	v_fmac_f32_e32 v22, v29, v13
	v_add_f32_e32 v18, v20, v22
	v_sub_f32_e32 v21, v19, v18
	v_pk_add_f32 v[24:25], v[18:19], v[20:21] neg_lo:[0,1] neg_hi:[0,1]
	v_mov_b32_e32 v23, v18
	v_pk_add_f32 v[18:19], v[24:25], v[22:23] neg_lo:[0,1] neg_hi:[0,1]
	v_cmp_eq_f32_e32 vcc, s87, v32
	v_add_f32_e32 v19, v28, v19
	v_add_f32_e32 v18, v18, v19
	;; [unrolled: 1-line block ×3, first 2 shown]
	v_mul_f32_e32 v28, v27, v19
	v_mul_f32_e32 v20, v16, v28
	v_fma_f32 v22, v28, v16, -v20
	v_fmac_f32_e32 v22, v28, v13
	v_sub_f32_e32 v13, v21, v19
	v_add_f32_e32 v13, v18, v13
	v_add_f32_e32 v18, v20, v22
	v_sub_f32_e32 v21, v19, v18
	v_pk_add_f32 v[24:25], v[18:19], v[20:21] neg_lo:[0,1] neg_hi:[0,1]
	v_mov_b32_e32 v23, v18
	v_pk_add_f32 v[18:19], v[24:25], v[22:23] neg_lo:[0,1] neg_hi:[0,1]
	v_add_f32_e32 v16, v29, v28
	v_add_f32_e32 v13, v13, v19
	;; [unrolled: 1-line block ×4, first 2 shown]
	v_sub_f32_e32 v18, v16, v29
	v_mul_f32_e32 v13, v27, v13
	v_sub_f32_e32 v18, v28, v18
	v_add_f32_e32 v19, v18, v13
	v_add_f32_e32 v20, v16, v19
	v_cvt_f32_i32_e32 v18, v26
	v_mul_f32_e32 v22, v20, v20
	v_fmamk_f32 v13, v22, 0x3e9b6dac, v53
	v_sub_f32_e32 v16, v20, v16
	v_fmaak_f32 v13, v22, v13, 0x3f2aaada
	v_sub_f32_e32 v16, v19, v16
	v_mul_f32_e32 v19, v20, v22
	v_pk_mul_f32 v[22:23], v[18:19], v[12:13]
	v_ldexp_f32 v21, v20, 1
	v_fma_f32 v20, v18, s89, -v22
	v_fmac_f32_e32 v20, 0xb102e308, v18
	v_pk_add_f32 v[18:19], v[22:23], v[20:21]
	v_ldexp_f32 v16, v16, 1
	v_sub_f32_e32 v13, v19, v21
	v_sub_f32_e32 v13, v23, v13
	v_add_f32_e32 v25, v16, v13
	v_mov_b32_e32 v24, v22
	v_pk_add_f32 v[22:23], v[18:19], v[22:23] neg_lo:[0,1] neg_hi:[0,1]
	v_pk_add_f32 v[26:27], v[18:19], v[24:25]
	v_mov_b32_e32 v21, v18
	v_mov_b32_e32 v23, v27
	v_pk_add_f32 v[28:29], v[20:21], v[22:23] neg_lo:[0,1] neg_hi:[0,1]
	v_pk_add_f32 v[20:21], v[20:21], v[22:23]
	s_or_b64 vcc, s[26:27], vcc
	v_mov_b32_e32 v16, v21
	v_pk_add_f32 v[22:23], v[16:17], v[18:19] neg_lo:[0,1] neg_hi:[0,1]
	v_mov_b32_e32 v20, v27
	v_mov_b32_e32 v13, v22
	v_pk_add_f32 v[30:31], v[26:27], v[12:13] neg_lo:[0,1] neg_hi:[0,1]
	v_mov_b32_e32 v26, v19
	v_mov_b32_e32 v27, v22
	v_mov_b32_e32 v29, v21
	v_pk_add_f32 v[20:21], v[20:21], v[26:27] neg_lo:[0,1] neg_hi:[0,1]
	v_mov_b32_e32 v22, v25
	v_mov_b32_e32 v23, v18
	v_pk_add_f32 v[18:19], v[22:23], v[20:21] neg_lo:[0,1] neg_hi:[0,1]
	v_mov_b32_e32 v30, v28
	v_pk_add_f32 v[20:21], v[30:31], v[18:19]
	s_nop 0
	v_mov_b32_e32 v22, v21
	v_pk_add_f32 v[22:23], v[20:21], v[22:23]
	s_nop 0
	v_pk_add_f32 v[24:25], v[16:17], v[22:23]
	v_mov_b32_e32 v19, v22
	v_mov_b32_e32 v21, v24
	v_pk_add_f32 v[26:27], v[20:21], v[28:29] neg_lo:[0,1] neg_hi:[0,1]
	s_nop 0
	v_sub_f32_e32 v13, v20, v26
	v_pk_add_f32 v[18:19], v[18:19], v[26:27] neg_lo:[0,1] neg_hi:[0,1]
	v_sub_f32_e32 v13, v28, v13
	v_add_f32_e32 v13, v18, v13
	v_add_f32_e32 v13, v13, v19
	;; [unrolled: 1-line block ×3, first 2 shown]
	v_cndmask_b32_e32 v58, v13, v32, vcc
.LBB100_29:                             ;   in Loop: Header=BB100_11 Depth=1
	s_or_b64 exec, exec, s[28:29]
	v_cvt_f32_f16_e32 v13, v17
	v_add_f32_e32 v19, s33, v13
	v_cmp_ge_f32_e32 vcc, s83, v19
	s_and_b64 s[26:27], s[58:59], vcc
	s_and_saveexec_b64 s[28:29], s[26:27]
	s_cbranch_execz .LBB100_31
; %bb.30:                               ;   in Loop: Header=BB100_11 Depth=1
	v_mul_f32_e32 v13, 0x3fb8aa3b, v19
	v_rndne_f32_e32 v16, v13
	v_sub_f32_e32 v18, v13, v16
	v_fma_f32 v13, v19, s84, -v13
	v_fmac_f32_e32 v13, 0x32a5705f, v19
	v_add_f32_e32 v13, v18, v13
	v_cvt_i32_f32_e32 v16, v16
	v_exp_f32_e32 v13, v13
	v_cmp_ngt_f32_e32 vcc, s85, v19
	v_ldexp_f32 v13, v13, v16
	s_nop 0
	v_cndmask_b32_e32 v13, 0, v13, vcc
	v_cmp_nlt_f32_e32 vcc, s86, v19
	s_nop 1
	v_cndmask_b32_e32 v32, v54, v13, vcc
	v_add_f32_e32 v13, 1.0, v32
	v_add_f32_e32 v16, -1.0, v13
	v_sub_f32_e32 v18, v16, v13
	v_add_f32_e32 v18, 1.0, v18
	v_sub_f32_e32 v16, v32, v16
	v_add_f32_e32 v16, v16, v18
	v_frexp_mant_f32_e32 v20, v13
	v_cvt_f64_f32_e32 v[18:19], v13
	v_frexp_exp_i32_f64_e32 v18, v[18:19]
	v_cmp_gt_f32_e32 vcc, s88, v20
	v_cmp_gt_f32_e64 s[26:27], s90, v32
	s_nop 0
	v_subbrev_co_u32_e32 v26, vcc, 0, v18, vcc
	v_sub_u32_e32 v18, 0, v26
	v_ldexp_f32 v13, v13, v18
	v_ldexp_f32 v16, v16, v18
	v_add_f32_e32 v18, -1.0, v13
	v_add_f32_e32 v19, 1.0, v18
	v_sub_f32_e32 v19, v13, v19
	v_add_f32_e32 v20, v16, v19
	v_add_f32_e32 v19, 1.0, v13
	v_add_f32_e32 v21, -1.0, v19
	v_sub_f32_e32 v13, v13, v21
	v_add_f32_e32 v13, v16, v13
	v_add_f32_e32 v16, v19, v13
	v_rcp_f32_e32 v27, v16
	v_sub_f32_e32 v19, v19, v16
	v_add_f32_e32 v13, v13, v19
	v_add_f32_e32 v19, v18, v20
	v_sub_f32_e32 v18, v18, v19
	v_mul_f32_e32 v29, v19, v27
	v_add_f32_e32 v28, v20, v18
	v_mul_f32_e32 v20, v16, v29
	v_fma_f32 v22, v29, v16, -v20
	v_fmac_f32_e32 v22, v29, v13
	v_add_f32_e32 v18, v20, v22
	v_sub_f32_e32 v21, v19, v18
	v_pk_add_f32 v[24:25], v[18:19], v[20:21] neg_lo:[0,1] neg_hi:[0,1]
	v_mov_b32_e32 v23, v18
	v_pk_add_f32 v[18:19], v[24:25], v[22:23] neg_lo:[0,1] neg_hi:[0,1]
	v_cmp_eq_f32_e32 vcc, s87, v32
	v_add_f32_e32 v19, v28, v19
	v_add_f32_e32 v18, v18, v19
	;; [unrolled: 1-line block ×3, first 2 shown]
	v_mul_f32_e32 v28, v27, v19
	v_mul_f32_e32 v20, v16, v28
	v_fma_f32 v22, v28, v16, -v20
	v_fmac_f32_e32 v22, v28, v13
	v_sub_f32_e32 v13, v21, v19
	v_add_f32_e32 v13, v18, v13
	v_add_f32_e32 v18, v20, v22
	v_sub_f32_e32 v21, v19, v18
	v_pk_add_f32 v[24:25], v[18:19], v[20:21] neg_lo:[0,1] neg_hi:[0,1]
	v_mov_b32_e32 v23, v18
	v_pk_add_f32 v[18:19], v[24:25], v[22:23] neg_lo:[0,1] neg_hi:[0,1]
	v_add_f32_e32 v16, v29, v28
	v_add_f32_e32 v13, v13, v19
	;; [unrolled: 1-line block ×4, first 2 shown]
	v_sub_f32_e32 v18, v16, v29
	v_mul_f32_e32 v13, v27, v13
	v_sub_f32_e32 v18, v28, v18
	v_add_f32_e32 v19, v18, v13
	v_add_f32_e32 v20, v16, v19
	v_cvt_f32_i32_e32 v18, v26
	v_mul_f32_e32 v22, v20, v20
	v_fmamk_f32 v13, v22, 0x3e9b6dac, v53
	v_sub_f32_e32 v16, v20, v16
	v_fmaak_f32 v13, v22, v13, 0x3f2aaada
	v_sub_f32_e32 v16, v19, v16
	v_mul_f32_e32 v19, v20, v22
	v_pk_mul_f32 v[22:23], v[18:19], v[12:13]
	v_ldexp_f32 v21, v20, 1
	v_fma_f32 v20, v18, s89, -v22
	v_fmac_f32_e32 v20, 0xb102e308, v18
	v_pk_add_f32 v[18:19], v[22:23], v[20:21]
	v_ldexp_f32 v16, v16, 1
	v_sub_f32_e32 v13, v19, v21
	v_sub_f32_e32 v13, v23, v13
	v_add_f32_e32 v25, v16, v13
	v_mov_b32_e32 v24, v22
	v_pk_add_f32 v[22:23], v[18:19], v[22:23] neg_lo:[0,1] neg_hi:[0,1]
	v_pk_add_f32 v[26:27], v[18:19], v[24:25]
	v_mov_b32_e32 v21, v18
	v_mov_b32_e32 v23, v27
	v_pk_add_f32 v[28:29], v[20:21], v[22:23] neg_lo:[0,1] neg_hi:[0,1]
	v_pk_add_f32 v[20:21], v[20:21], v[22:23]
	s_or_b64 vcc, s[26:27], vcc
	v_mov_b32_e32 v16, v21
	v_pk_add_f32 v[22:23], v[16:17], v[18:19] neg_lo:[0,1] neg_hi:[0,1]
	v_mov_b32_e32 v20, v27
	v_mov_b32_e32 v13, v22
	v_pk_add_f32 v[30:31], v[26:27], v[12:13] neg_lo:[0,1] neg_hi:[0,1]
	v_mov_b32_e32 v26, v19
	v_mov_b32_e32 v27, v22
	;; [unrolled: 1-line block ×3, first 2 shown]
	v_pk_add_f32 v[20:21], v[20:21], v[26:27] neg_lo:[0,1] neg_hi:[0,1]
	v_mov_b32_e32 v22, v25
	v_mov_b32_e32 v23, v18
	v_pk_add_f32 v[18:19], v[22:23], v[20:21] neg_lo:[0,1] neg_hi:[0,1]
	v_mov_b32_e32 v30, v28
	v_pk_add_f32 v[20:21], v[30:31], v[18:19]
	s_nop 0
	v_mov_b32_e32 v22, v21
	v_pk_add_f32 v[22:23], v[20:21], v[22:23]
	s_nop 0
	v_pk_add_f32 v[24:25], v[16:17], v[22:23]
	v_mov_b32_e32 v19, v22
	v_mov_b32_e32 v21, v24
	v_pk_add_f32 v[26:27], v[20:21], v[28:29] neg_lo:[0,1] neg_hi:[0,1]
	s_nop 0
	v_sub_f32_e32 v13, v20, v26
	v_pk_add_f32 v[18:19], v[18:19], v[26:27] neg_lo:[0,1] neg_hi:[0,1]
	v_sub_f32_e32 v13, v28, v13
	v_add_f32_e32 v13, v18, v13
	v_add_f32_e32 v13, v13, v19
	;; [unrolled: 1-line block ×3, first 2 shown]
	v_cndmask_b32_e32 v19, v13, v32, vcc
.LBB100_31:                             ;   in Loop: Header=BB100_11 Depth=1
	s_or_b64 exec, exec, s[28:29]
	v_cvt_f32_f16_sdwa v13, v17 dst_sel:DWORD dst_unused:UNUSED_PAD src0_sel:WORD_1
	v_add_f32_e32 v18, s33, v13
	v_cmp_ge_f32_e32 vcc, s83, v18
	s_and_b64 s[26:27], s[58:59], vcc
	s_and_saveexec_b64 s[28:29], s[26:27]
	s_cbranch_execz .LBB100_33
; %bb.32:                               ;   in Loop: Header=BB100_11 Depth=1
	v_mul_f32_e32 v13, 0x3fb8aa3b, v18
	v_rndne_f32_e32 v16, v13
	v_sub_f32_e32 v17, v13, v16
	v_fma_f32 v13, v18, s84, -v13
	v_fmac_f32_e32 v13, 0x32a5705f, v18
	v_add_f32_e32 v13, v17, v13
	v_cvt_i32_f32_e32 v16, v16
	v_exp_f32_e32 v13, v13
	v_cmp_ngt_f32_e32 vcc, s85, v18
	v_ldexp_f32 v13, v13, v16
	s_nop 0
	v_cndmask_b32_e32 v13, 0, v13, vcc
	v_cmp_nlt_f32_e32 vcc, s86, v18
	s_nop 1
	v_cndmask_b32_e32 v32, v54, v13, vcc
	v_add_f32_e32 v13, 1.0, v32
	v_add_f32_e32 v16, -1.0, v13
	v_sub_f32_e32 v17, v16, v13
	v_add_f32_e32 v17, 1.0, v17
	v_sub_f32_e32 v16, v32, v16
	v_add_f32_e32 v18, v16, v17
	v_frexp_mant_f32_e32 v20, v13
	v_cvt_f64_f32_e32 v[16:17], v13
	v_frexp_exp_i32_f64_e32 v16, v[16:17]
	v_cmp_gt_f32_e32 vcc, s88, v20
	v_cmp_gt_f32_e64 s[26:27], s90, v32
	s_nop 0
	v_subbrev_co_u32_e32 v26, vcc, 0, v16, vcc
	v_sub_u32_e32 v16, 0, v26
	v_ldexp_f32 v13, v13, v16
	v_ldexp_f32 v16, v18, v16
	v_add_f32_e32 v18, -1.0, v13
	v_add_f32_e32 v17, 1.0, v18
	v_sub_f32_e32 v17, v13, v17
	v_add_f32_e32 v20, v16, v17
	v_add_f32_e32 v17, 1.0, v13
	v_add_f32_e32 v21, -1.0, v17
	v_sub_f32_e32 v13, v13, v21
	v_add_f32_e32 v13, v16, v13
	v_add_f32_e32 v27, v17, v13
	v_rcp_f32_e32 v28, v27
	v_sub_f32_e32 v16, v17, v27
	v_add_f32_e32 v17, v18, v20
	v_add_f32_e32 v13, v13, v16
	v_sub_f32_e32 v16, v18, v17
	v_mul_f32_e32 v29, v17, v28
	v_add_f32_e32 v18, v20, v16
	v_mul_f32_e32 v20, v27, v29
	v_fma_f32 v22, v29, v27, -v20
	v_fmac_f32_e32 v22, v29, v13
	v_add_f32_e32 v16, v20, v22
	v_sub_f32_e32 v21, v17, v16
	v_pk_add_f32 v[24:25], v[16:17], v[20:21] neg_lo:[0,1] neg_hi:[0,1]
	v_mov_b32_e32 v23, v16
	v_pk_add_f32 v[16:17], v[24:25], v[22:23] neg_lo:[0,1] neg_hi:[0,1]
	v_cmp_eq_f32_e32 vcc, s87, v32
	v_add_f32_e32 v17, v18, v17
	v_add_f32_e32 v16, v16, v17
	;; [unrolled: 1-line block ×3, first 2 shown]
	v_mul_f32_e32 v18, v28, v17
	v_mul_f32_e32 v20, v27, v18
	v_fma_f32 v22, v18, v27, -v20
	v_fmac_f32_e32 v22, v18, v13
	v_sub_f32_e32 v13, v21, v17
	v_add_f32_e32 v13, v16, v13
	v_add_f32_e32 v16, v20, v22
	v_sub_f32_e32 v21, v17, v16
	v_pk_add_f32 v[24:25], v[16:17], v[20:21] neg_lo:[0,1] neg_hi:[0,1]
	v_mov_b32_e32 v23, v16
	v_pk_add_f32 v[16:17], v[24:25], v[22:23] neg_lo:[0,1] neg_hi:[0,1]
	s_or_b64 vcc, s[26:27], vcc
	v_add_f32_e32 v13, v13, v17
	v_add_f32_e32 v13, v16, v13
	;; [unrolled: 1-line block ×4, first 2 shown]
	v_sub_f32_e32 v16, v17, v29
	v_mul_f32_e32 v13, v28, v13
	v_sub_f32_e32 v16, v18, v16
	v_add_f32_e32 v18, v16, v13
	v_add_f32_e32 v20, v17, v18
	v_cvt_f32_i32_e32 v16, v26
	v_mul_f32_e32 v22, v20, v20
	v_sub_f32_e32 v17, v20, v17
	v_fmamk_f32 v13, v22, 0x3e9b6dac, v53
	v_sub_f32_e32 v17, v18, v17
	v_fmaak_f32 v13, v22, v13, 0x3f2aaada
	v_ldexp_f32 v18, v17, 1
	v_mul_f32_e32 v17, v20, v22
	v_pk_mul_f32 v[22:23], v[16:17], v[12:13]
	v_ldexp_f32 v21, v20, 1
	v_fma_f32 v20, v16, s89, -v22
	v_fmac_f32_e32 v20, 0xb102e308, v16
	v_pk_add_f32 v[16:17], v[22:23], v[20:21]
	v_mov_b32_e32 v24, v22
	v_sub_f32_e32 v13, v17, v21
	v_sub_f32_e32 v13, v23, v13
	v_add_f32_e32 v25, v18, v13
	v_pk_add_f32 v[22:23], v[16:17], v[22:23] neg_lo:[0,1] neg_hi:[0,1]
	v_pk_add_f32 v[26:27], v[16:17], v[24:25]
	v_mov_b32_e32 v21, v16
	v_mov_b32_e32 v23, v27
	v_pk_add_f32 v[28:29], v[20:21], v[22:23] neg_lo:[0,1] neg_hi:[0,1]
	v_pk_add_f32 v[20:21], v[20:21], v[22:23]
	s_nop 0
	v_mov_b32_e32 v18, v21
	v_pk_add_f32 v[22:23], v[18:19], v[16:17] neg_lo:[0,1] neg_hi:[0,1]
	v_mov_b32_e32 v20, v27
	v_mov_b32_e32 v13, v22
	v_pk_add_f32 v[30:31], v[26:27], v[12:13] neg_lo:[0,1] neg_hi:[0,1]
	v_mov_b32_e32 v26, v17
	v_mov_b32_e32 v27, v22
	v_mov_b32_e32 v29, v21
	v_pk_add_f32 v[20:21], v[20:21], v[26:27] neg_lo:[0,1] neg_hi:[0,1]
	v_mov_b32_e32 v22, v25
	v_mov_b32_e32 v23, v16
	v_pk_add_f32 v[16:17], v[22:23], v[20:21] neg_lo:[0,1] neg_hi:[0,1]
	v_mov_b32_e32 v30, v28
	v_pk_add_f32 v[20:21], v[30:31], v[16:17]
	s_nop 0
	v_mov_b32_e32 v22, v21
	v_pk_add_f32 v[22:23], v[20:21], v[22:23]
	s_nop 0
	v_pk_add_f32 v[24:25], v[18:19], v[22:23]
	v_mov_b32_e32 v17, v22
	v_mov_b32_e32 v21, v24
	v_pk_add_f32 v[26:27], v[20:21], v[28:29] neg_lo:[0,1] neg_hi:[0,1]
	s_nop 0
	v_sub_f32_e32 v13, v20, v26
	v_pk_add_f32 v[16:17], v[16:17], v[26:27] neg_lo:[0,1] neg_hi:[0,1]
	v_sub_f32_e32 v13, v28, v13
	v_add_f32_e32 v13, v16, v13
	v_add_f32_e32 v13, v13, v17
	;; [unrolled: 1-line block ×3, first 2 shown]
	v_cndmask_b32_e32 v18, v13, v32, vcc
.LBB100_33:                             ;   in Loop: Header=BB100_11 Depth=1
	s_or_b64 exec, exec, s[28:29]
	v_cvt_f32_f16_e32 v24, v15
	v_cvt_f32_f16_sdwa v25, v14 dst_sel:DWORD dst_unused:UNUSED_PAD src0_sel:WORD_1
	v_cvt_f32_f16_e32 v26, v14
	v_cvt_f32_f16_sdwa v13, v15 dst_sel:DWORD dst_unused:UNUSED_PAD src0_sel:WORD_1
	v_mul_f32_e32 v14, s76, v24
	v_mul_f32_e32 v17, s76, v25
	;; [unrolled: 1-line block ×4, first 2 shown]
	s_and_b64 vcc, exec, s[60:61]
	s_waitcnt lgkmcnt(0)
	; wave barrier
	s_cbranch_vccz .LBB100_75
; %bb.34:                               ;   in Loop: Header=BB100_11 Depth=1
	s_cmp_lg_u32 s97, 0
	s_cselect_b64 s[64:65], -1, 0
	s_cmp_eq_u32 s97, s82
	v_cmp_gt_u32_e32 vcc, s34, v11
	s_cselect_b64 s[66:67], -1, 0
	s_or_b64 s[26:27], s[54:55], vcc
	v_cmp_gt_u32_e32 vcc, s34, v10
	s_mov_b32 s56, 0
	v_cmp_gt_u32_e64 s[28:29], s34, v3
	s_or_b64 s[30:31], s[54:55], vcc
	v_cmp_gt_u32_e32 vcc, s34, v52
	v_mul_f32_e32 v13, v18, v13
	v_lshl_add_u64 v[20:21], s[42:43], 0, v[0:1]
	v_lshl_add_u64 v[22:23], s[46:47], 0, v[0:1]
	v_mul_f32_e32 v59, v19, v24
	v_mul_f32_e32 v60, v58, v25
	v_mul_f32_e32 v61, v57, v26
	s_or_b64 s[28:29], s[54:55], s[28:29]
	s_or_b64 s[34:35], s[54:55], vcc
	s_mov_b32 s68, s56
	s_mov_b32 s70, s56
	;; [unrolled: 1-line block ×5, first 2 shown]
	s_branch .LBB100_36
.LBB100_35:                             ;   in Loop: Header=BB100_36 Depth=2
	s_or_b64 exec, exec, s[36:37]
	v_mul_f32_e32 v26, v33, v32
	v_fma_f32 v27, v33, v35, v28
	v_cndmask_b32_e64 v28, v27, v28, s[16:17]
	v_cndmask_b32_e64 v26, v26, v33, s[16:17]
	s_waitcnt lgkmcnt(0)
	v_fmac_f32_e32 v28, v38, v26
	v_fmac_f32_e32 v29, v28, v31
	v_cvt_f32_f16_sdwa v27, v25 dst_sel:DWORD dst_unused:UNUSED_PAD src0_sel:WORD_1
	v_cvt_f32_f16_e32 v26, v25
	v_cvt_f32_f16_sdwa v25, v24 dst_sel:DWORD dst_unused:UNUSED_PAD src0_sel:WORD_1
	v_cvt_f32_f16_e32 v24, v24
	v_fmac_f32_e32 v30, v29, v37
	v_fmac_f32_e32 v34, v30, v36
	v_mov_b32_e32 v31, v34
	s_add_i32 s98, s98, 8
	s_add_i32 s63, s63, -1
	s_add_i32 s72, s72, s78
	s_add_i32 s70, s70, s48
	;; [unrolled: 1-line block ×4, first 2 shown]
	v_pk_fma_f32 v[14:15], v[30:31], v[26:27], v[14:15]
	s_cmp_eq_u32 s63, 0
	v_pk_fma_f32 v[16:17], v[28:29], v[24:25], v[16:17]
	s_cbranch_scc1 .LBB100_75
.LBB100_36:                             ;   Parent Loop BB100_11 Depth=1
                                        ; =>  This Inner Loop Header: Depth=2
	s_lshl_b64 s[36:37], s[56:57], 2
	s_add_u32 s36, s40, s36
	s_addc_u32 s37, s80, s37
	global_load_dword v30, v1, s[36:37]
	s_mov_b32 s69, s57
	v_lshl_add_u64 v[24:25], s[68:69], 1, v[20:21]
	v_mov_b32_e32 v26, 0
	v_mov_b32_e32 v27, 0
	s_and_saveexec_b64 s[36:37], s[18:19]
	s_cbranch_execnz .LBB100_48
; %bb.37:                               ;   in Loop: Header=BB100_36 Depth=2
	s_or_b64 exec, exec, s[36:37]
	s_and_saveexec_b64 s[36:37], s[20:21]
	s_cbranch_execnz .LBB100_49
.LBB100_38:                             ;   in Loop: Header=BB100_36 Depth=2
	s_or_b64 exec, exec, s[36:37]
	v_mov_b32_e32 v28, 0
	s_and_saveexec_b64 s[36:37], s[22:23]
	s_cbranch_execnz .LBB100_50
.LBB100_39:                             ;   in Loop: Header=BB100_36 Depth=2
	s_or_b64 exec, exec, s[36:37]
	s_and_saveexec_b64 s[36:37], s[24:25]
	s_cbranch_execz .LBB100_41
.LBB100_40:                             ;   in Loop: Header=BB100_36 Depth=2
	global_load_ushort v24, v[24:25], off offset:384
	s_waitcnt vmcnt(0)
	v_lshl_or_b32 v28, v24, 16, v28
.LBB100_41:                             ;   in Loop: Header=BB100_36 Depth=2
	s_or_b64 exec, exec, s[36:37]
	s_waitcnt vmcnt(0)
	ds_write_b16 v43, v27
	ds_write_b16 v44, v26 offset:128
	ds_write_b16 v45, v28 offset:256
	ds_write_b16_d16_hi v46, v28 offset:384
	; wave barrier
	ds_read_b64 v[28:29], v47
	s_mov_b32 s71, s57
	v_lshl_add_u64 v[24:25], s[70:71], 1, v[22:23]
	v_mov_b32_e32 v26, 0
	v_mov_b32_e32 v27, 0
	s_and_saveexec_b64 s[36:37], s[18:19]
	s_cbranch_execnz .LBB100_51
; %bb.42:                               ;   in Loop: Header=BB100_36 Depth=2
	s_or_b64 exec, exec, s[36:37]
	s_and_saveexec_b64 s[36:37], s[20:21]
	s_cbranch_execnz .LBB100_52
.LBB100_43:                             ;   in Loop: Header=BB100_36 Depth=2
	s_or_b64 exec, exec, s[36:37]
	v_mov_b32_e32 v31, 0
	s_and_saveexec_b64 s[36:37], s[22:23]
	s_cbranch_execnz .LBB100_53
.LBB100_44:                             ;   in Loop: Header=BB100_36 Depth=2
	s_or_b64 exec, exec, s[36:37]
	s_and_saveexec_b64 s[36:37], s[24:25]
	s_cbranch_execz .LBB100_46
.LBB100_45:                             ;   in Loop: Header=BB100_36 Depth=2
	global_load_ushort v24, v[24:25], off offset:384
	s_waitcnt vmcnt(0)
	v_lshl_or_b32 v31, v24, 16, v31
.LBB100_46:                             ;   in Loop: Header=BB100_36 Depth=2
	s_or_b64 exec, exec, s[36:37]
	s_waitcnt vmcnt(0)
	ds_write_b16 v43, v27 offset:528
	ds_write_b16 v48, v26 offset:128
	;; [unrolled: 1-line block ×3, first 2 shown]
	ds_write_b16_d16_hi v50, v31 offset:384
	; wave barrier
	ds_read_b64 v[24:25], v47 offset:528
	s_andn2_b64 vcc, exec, s[64:65]
	s_cbranch_vccnz .LBB100_54
; %bb.47:                               ;   in Loop: Header=BB100_36 Depth=2
	v_mov_b32_e32 v26, s98
	ds_read_b64 v[26:27], v26
	s_cbranch_execz .LBB100_55
	s_branch .LBB100_58
.LBB100_48:                             ;   in Loop: Header=BB100_36 Depth=2
	global_load_ushort v27, v[24:25], off
	s_or_b64 exec, exec, s[36:37]
	s_and_saveexec_b64 s[36:37], s[20:21]
	s_cbranch_execz .LBB100_38
.LBB100_49:                             ;   in Loop: Header=BB100_36 Depth=2
	global_load_ushort v26, v[24:25], off offset:128
	s_or_b64 exec, exec, s[36:37]
	v_mov_b32_e32 v28, 0
	s_and_saveexec_b64 s[36:37], s[22:23]
	s_cbranch_execz .LBB100_39
.LBB100_50:                             ;   in Loop: Header=BB100_36 Depth=2
	global_load_ushort v28, v[24:25], off offset:256
	s_or_b64 exec, exec, s[36:37]
	s_and_saveexec_b64 s[36:37], s[24:25]
	s_cbranch_execnz .LBB100_40
	s_branch .LBB100_41
.LBB100_51:                             ;   in Loop: Header=BB100_36 Depth=2
	global_load_ushort v27, v[24:25], off
	s_or_b64 exec, exec, s[36:37]
	s_and_saveexec_b64 s[36:37], s[20:21]
	s_cbranch_execz .LBB100_43
.LBB100_52:                             ;   in Loop: Header=BB100_36 Depth=2
	global_load_ushort v26, v[24:25], off offset:128
	s_or_b64 exec, exec, s[36:37]
	v_mov_b32_e32 v31, 0
	s_and_saveexec_b64 s[36:37], s[22:23]
	s_cbranch_execz .LBB100_44
.LBB100_53:                             ;   in Loop: Header=BB100_36 Depth=2
	global_load_ushort v31, v[24:25], off offset:256
	s_or_b64 exec, exec, s[36:37]
	s_and_saveexec_b64 s[36:37], s[24:25]
	s_cbranch_execnz .LBB100_45
	s_branch .LBB100_46
.LBB100_54:                             ;   in Loop: Header=BB100_36 Depth=2
                                        ; implicit-def: $vgpr27
.LBB100_55:                             ;   in Loop: Header=BB100_36 Depth=2
	s_andn2_b64 vcc, exec, s[38:39]
	s_waitcnt lgkmcnt(0)
	v_mov_b32_e32 v27, 0
	s_cbranch_vccnz .LBB100_57
; %bb.56:                               ;   in Loop: Header=BB100_36 Depth=2
	s_mov_b32 s73, s57
	s_lshl_b64 s[36:37], s[72:73], 2
	s_add_u32 s36, s45, s36
	s_addc_u32 s37, s49, s37
	global_load_dword v27, v1, s[36:37]
.LBB100_57:                             ;   in Loop: Header=BB100_36 Depth=2
	v_mov_b32_e32 v26, 1.0
.LBB100_58:                             ;   in Loop: Header=BB100_36 Depth=2
	v_mul_f32_e32 v30, 0x3fb8aa3b, v30
	s_waitcnt lgkmcnt(5)
	v_cvt_f32_f16_e32 v31, v28
	v_cvt_f32_f16_sdwa v32, v28 dst_sel:DWORD dst_unused:UNUSED_PAD src0_sel:WORD_1
	v_mul_f32_e32 v28, v30, v57
	v_cmp_gt_f32_e32 vcc, s92, v28
	v_cvt_f32_f16_e32 v36, v29
	v_cvt_f32_f16_sdwa v37, v29 dst_sel:DWORD dst_unused:UNUSED_PAD src0_sel:WORD_1
	v_cndmask_b32_e32 v28, 0, v55, vcc
	v_fmac_f32_e32 v28, v30, v57
	v_exp_f32_e32 v28, v28
	v_cndmask_b32_e32 v29, 1.0, v56, vcc
	v_mul_f32_e32 v29, v28, v29
	v_mul_f32_e32 v28, v61, v31
	;; [unrolled: 1-line block ×3, first 2 shown]
	v_cmp_gt_f32_e32 vcc, s92, v31
	v_cndmask_b32_e64 v33, 1.0, v29, s[26:27]
	v_cndmask_b32_e64 v28, 0, v28, s[26:27]
	v_cndmask_b32_e32 v31, 0, v55, vcc
	v_fmac_f32_e32 v31, v30, v58
	v_exp_f32_e32 v31, v31
	v_cndmask_b32_e32 v29, 1.0, v56, vcc
	v_mul_f32_e32 v31, v31, v29
	v_pk_mul_f32 v[34:35], v[30:31], v[18:19] op_sel_hi:[0,1]
	v_cmp_gt_f32_e32 vcc, s92, v34
	v_mul_f32_e32 v29, v60, v32
	v_cmp_gt_f32_e64 s[36:37], s92, v35
	v_cndmask_b32_e32 v32, 0, v55, vcc
	v_add_f32_e32 v32, v34, v32
	v_cndmask_b32_e64 v34, 0, v55, s[36:37]
	v_exp_f32_e32 v32, v32
	v_add_f32_e32 v34, v35, v34
	v_exp_f32_e32 v34, v34
	v_cndmask_b32_e32 v35, 1.0, v56, vcc
	v_mul_f32_e32 v32, v32, v35
	v_cndmask_b32_e64 v35, 1.0, v56, s[36:37]
	v_cndmask_b32_e64 v29, 0, v29, s[28:29]
	v_cndmask_b32_e64 v31, 1.0, v31, s[28:29]
	v_mul_f32_e32 v35, v34, v35
	v_mul_f32_e32 v30, v59, v36
	;; [unrolled: 1-line block ×3, first 2 shown]
	v_cndmask_b32_e64 v37, 1.0, v35, s[30:31]
	v_cndmask_b32_e64 v36, 1.0, v32, s[34:35]
	v_fma_f32 v32, v31, v28, v29
	v_cndmask_b32_e64 v30, 0, v30, s[30:31]
	v_mul_f32_e32 v32, v32, v37
	v_pk_add_f32 v[38:39], v[32:33], v[30:31]
	v_pk_mul_f32 v[62:63], v[32:33], v[30:31]
	v_cndmask_b32_e64 v34, 0, v34, s[34:35]
	v_mov_b32_e32 v39, v63
	v_pk_mul_f32 v[62:63], v[38:39], v[36:37]
	v_mov_b32_e32 v35, v36
	v_pk_fma_f32 v[64:65], v[38:39], v[36:37], v[34:35]
	v_pk_mul_f32 v[62:63], v[62:63], v[34:35]
	s_nop 0
	v_mov_b32_dpp v35, v64 row_shr:1 row_mask:0xf bank_mask:0xf
	v_mov_b32_dpp v32, v63 row_shr:1 row_mask:0xf bank_mask:0xf
	v_mul_f32_e32 v62, v63, v32
	v_fma_f32 v32, v63, v35, v64
	v_cndmask_b32_e64 v39, v32, v64, s[0:1]
	v_cndmask_b32_e64 v32, v32, v64, s[0:1]
	;; [unrolled: 1-line block ×4, first 2 shown]
	v_mov_b32_dpp v63, v32 row_shr:2 row_mask:0xf bank_mask:0xf
	v_mov_b32_dpp v62, v35 row_shr:2 row_mask:0xf bank_mask:0xf
	s_and_saveexec_b64 s[36:37], s[2:3]
; %bb.59:                               ;   in Loop: Header=BB100_36 Depth=2
	v_fmac_f32_e32 v32, v35, v63
	v_mul_f32_e32 v35, v35, v62
	v_mov_b32_e32 v38, v35
	v_mov_b32_e32 v39, v32
; %bb.60:                               ;   in Loop: Header=BB100_36 Depth=2
	s_or_b64 exec, exec, s[36:37]
	v_mov_b32_dpp v62, v35 row_shr:4 row_mask:0xf bank_mask:0xf
	v_mov_b32_dpp v63, v32 row_shr:4 row_mask:0xf bank_mask:0xf
	s_and_saveexec_b64 s[36:37], s[4:5]
; %bb.61:                               ;   in Loop: Header=BB100_36 Depth=2
	v_fmac_f32_e32 v32, v35, v63
	v_mul_f32_e32 v35, v35, v62
	v_mov_b32_e32 v38, v35
	v_mov_b32_e32 v39, v32
; %bb.62:                               ;   in Loop: Header=BB100_36 Depth=2
	s_or_b64 exec, exec, s[36:37]
	;; [unrolled: 10-line block ×3, first 2 shown]
	v_mov_b32_dpp v62, v35 row_bcast:15 row_mask:0xf bank_mask:0xf
	v_mov_b32_dpp v63, v32 row_bcast:15 row_mask:0xf bank_mask:0xf
	s_and_saveexec_b64 s[36:37], s[8:9]
; %bb.65:                               ;   in Loop: Header=BB100_36 Depth=2
	v_fmac_f32_e32 v32, v35, v63
	v_mul_f32_e32 v35, v35, v62
	v_mov_b32_e32 v38, v35
	v_mov_b32_e32 v39, v32
; %bb.66:                               ;   in Loop: Header=BB100_36 Depth=2
	s_or_b64 exec, exec, s[36:37]
	v_mov_b32_dpp v62, v35 row_bcast:31 row_mask:0xf bank_mask:0xf
	v_mov_b32_dpp v63, v32 row_bcast:31 row_mask:0xf bank_mask:0xf
	v_mul_f32_e32 v62, v35, v62
	v_fmac_f32_e32 v32, v35, v63
	v_cndmask_b32_e64 v38, v38, v62, s[10:11]
	v_cndmask_b32_e64 v39, v39, v32, s[10:11]
	s_and_saveexec_b64 s[36:37], s[12:13]
	s_cbranch_execz .LBB100_68
; %bb.67:                               ;   in Loop: Header=BB100_36 Depth=2
	ds_write_b64 v1, v[38:39] offset:1056
.LBB100_68:                             ;   in Loop: Header=BB100_36 Depth=2
	s_or_b64 exec, exec, s[36:37]
	ds_bpermute_b32 v32, v51, v38
	ds_bpermute_b32 v35, v51, v39
	s_waitcnt vmcnt(0) lgkmcnt(2)
	v_mov_b32_e32 v39, v27
	s_waitcnt lgkmcnt(0)
	; wave barrier
	s_waitcnt lgkmcnt(0)
	s_and_saveexec_b64 s[36:37], s[14:15]
	s_cbranch_execz .LBB100_72
; %bb.69:                               ;   in Loop: Header=BB100_36 Depth=2
	ds_read_b64 v[38:39], v1 offset:1056
	s_and_saveexec_b64 s[74:75], s[16:17]
	s_cbranch_execz .LBB100_71
; %bb.70:                               ;   in Loop: Header=BB100_36 Depth=2
	ds_write_b64 v1, v[26:27] offset:1056
.LBB100_71:                             ;   in Loop: Header=BB100_36 Depth=2
	s_or_b64 exec, exec, s[74:75]
	s_waitcnt lgkmcnt(0)
	v_fmac_f32_e32 v39, v27, v38
	v_mul_f32_e32 v26, v26, v38
	v_mov_b32_e32 v27, v39
.LBB100_72:                             ;   in Loop: Header=BB100_36 Depth=2
	s_or_b64 exec, exec, s[36:37]
	s_waitcnt lgkmcnt(0)
	; wave barrier
	ds_read_b32 v38, v1 offset:1060
	s_and_saveexec_b64 s[36:37], s[16:17]
	s_cbranch_execz .LBB100_35
; %bb.73:                               ;   in Loop: Header=BB100_36 Depth=2
	v_mov_b32_e32 v62, s98
	s_andn2_b64 vcc, exec, s[66:67]
	ds_write_b64 v62, v[26:27]
	s_cbranch_vccnz .LBB100_35
; %bb.74:                               ;   in Loop: Header=BB100_36 Depth=2
	s_mov_b32 s73, s57
	s_lshl_b64 s[74:75], s[72:73], 2
	s_add_u32 s74, s45, s74
	s_addc_u32 s75, s49, s75
	global_store_dword v1, v39, s[74:75]
	s_branch .LBB100_35
.LBB100_75:                             ;   in Loop: Header=BB100_11 Depth=1
	v_cvt_f16_f32_e32 v13, v16
	v_cvt_f16_f32_e32 v18, v14
	;; [unrolled: 1-line block ×4, first 2 shown]
	s_waitcnt lgkmcnt(0)
	; wave barrier
	v_pack_b32_f16 v19, v18, v19
	v_pack_b32_f16 v18, v13, v20
	ds_write_b64 v47, v[18:19]
	; wave barrier
	ds_read_u16 v21, v44 offset:128
	ds_read_u16 v20, v45 offset:256
	;; [unrolled: 1-line block ×3, first 2 shown]
	s_mov_b32 s63, s57
	v_lshl_add_u64 v[18:19], s[62:63], 1, v[4:5]
	s_and_saveexec_b64 s[26:27], s[18:19]
	s_cbranch_execnz .LBB100_94
; %bb.76:                               ;   in Loop: Header=BB100_11 Depth=1
	s_or_b64 exec, exec, s[26:27]
	s_and_saveexec_b64 s[26:27], s[20:21]
	s_cbranch_execnz .LBB100_95
.LBB100_77:                             ;   in Loop: Header=BB100_11 Depth=1
	s_or_b64 exec, exec, s[26:27]
	s_and_saveexec_b64 s[26:27], s[22:23]
	s_cbranch_execnz .LBB100_96
.LBB100_78:                             ;   in Loop: Header=BB100_11 Depth=1
	s_or_b64 exec, exec, s[26:27]
	s_and_saveexec_b64 s[26:27], s[24:25]
	s_cbranch_execz .LBB100_80
.LBB100_79:                             ;   in Loop: Header=BB100_11 Depth=1
	s_waitcnt lgkmcnt(0)
	global_store_short v[18:19], v13, off offset:384
.LBB100_80:                             ;   in Loop: Header=BB100_11 Depth=1
	s_or_b64 exec, exec, s[26:27]
	v_lshl_add_u64 v[18:19], s[62:63], 1, v[6:7]
	s_waitcnt lgkmcnt(0)
	v_mov_b32_e32 v13, 0
	v_mov_b32_e32 v20, 0
	s_waitcnt lgkmcnt(0)
	; wave barrier
	s_and_saveexec_b64 s[26:27], s[18:19]
	s_cbranch_execz .LBB100_82
; %bb.81:                               ;   in Loop: Header=BB100_11 Depth=1
	global_load_ushort v20, v[18:19], off
.LBB100_82:                             ;   in Loop: Header=BB100_11 Depth=1
	s_or_b64 exec, exec, s[26:27]
	s_and_saveexec_b64 s[26:27], s[20:21]
	s_cbranch_execz .LBB100_84
; %bb.83:                               ;   in Loop: Header=BB100_11 Depth=1
	global_load_ushort v13, v[18:19], off offset:128
.LBB100_84:                             ;   in Loop: Header=BB100_11 Depth=1
	s_or_b64 exec, exec, s[26:27]
	v_mov_b32_e32 v21, 0
	v_mov_b32_e32 v22, 0
	s_and_saveexec_b64 s[26:27], s[22:23]
	s_cbranch_execz .LBB100_86
; %bb.85:                               ;   in Loop: Header=BB100_11 Depth=1
	global_load_ushort v22, v[18:19], off offset:256
.LBB100_86:                             ;   in Loop: Header=BB100_11 Depth=1
	s_or_b64 exec, exec, s[26:27]
	s_and_saveexec_b64 s[26:27], s[24:25]
	s_cbranch_execz .LBB100_88
; %bb.87:                               ;   in Loop: Header=BB100_11 Depth=1
	global_load_ushort v21, v[18:19], off offset:384
.LBB100_88:                             ;   in Loop: Header=BB100_11 Depth=1
	s_or_b64 exec, exec, s[26:27]
	s_waitcnt vmcnt(0)
	ds_write_b16 v43, v20
	ds_write_b16 v44, v13 offset:128
	ds_write_b16 v45, v22 offset:256
	;; [unrolled: 1-line block ×3, first 2 shown]
	; wave barrier
	ds_read_b64 v[18:19], v47
	s_waitcnt lgkmcnt(0)
	; wave barrier
	s_waitcnt lgkmcnt(0)
	v_cvt_f32_f16_e32 v13, v19
	v_cvt_f32_f16_e32 v24, v18
	v_cvt_f32_f16_sdwa v23, v18 dst_sel:DWORD dst_unused:UNUSED_PAD src0_sel:WORD_1
	v_mul_f32_e32 v20, 0xbfb8aa3b, v13
	v_rndne_f32_e32 v21, v20
	v_fma_mix_f32 v22, v19, s93, -v20 op_sel_hi:[1,0,0]
	v_sub_f32_e32 v20, v20, v21
	v_fma_mix_f32 v22, v19, s94, v22 op_sel_hi:[1,0,0]
	v_cvt_i32_f32_e32 v21, v21
	v_add_f32_e32 v20, v20, v22
	v_exp_f32_e32 v20, v20
	v_cvt_f32_f16_sdwa v22, v19 dst_sel:DWORD dst_unused:UNUSED_PAD src0_sel:WORD_1
	v_cmp_nlt_f32_e32 vcc, s95, v13
	v_ldexp_f32 v20, v20, v21
	v_mul_f32_e32 v21, 0xbfb8aa3b, v22
	v_rndne_f32_e32 v25, v21
	v_sub_f32_e32 v26, v21, v25
	v_fma_mix_f32 v21, v19, s93, -v21 op_sel:[1,0,0] op_sel_hi:[1,0,0]
	v_cndmask_b32_e32 v20, 0, v20, vcc
	v_fma_mix_f32 v19, v19, s94, v21 op_sel:[1,0,0] op_sel_hi:[1,0,0]
	v_cvt_i32_f32_e32 v21, v25
	v_add_f32_e32 v19, v26, v19
	v_exp_f32_e32 v19, v19
	v_cmp_ngt_f32_e32 vcc, s96, v13
	v_ldexp_f32 v19, v19, v21
	v_mul_f32_e32 v21, 0xbfb8aa3b, v24
	v_rndne_f32_e32 v25, v21
	v_sub_f32_e32 v26, v21, v25
	v_fma_mix_f32 v21, v18, s93, -v21 op_sel_hi:[1,0,0]
	v_cvt_i32_f32_e32 v25, v25
	v_fma_mix_f32 v21, v18, s94, v21 op_sel_hi:[1,0,0]
	v_cndmask_b32_e32 v20, v54, v20, vcc
	v_add_f32_e32 v21, v26, v21
	v_exp_f32_e32 v26, v21
	v_cmp_nlt_f32_e32 vcc, s95, v22
	s_nop 1
	v_cndmask_b32_e32 v19, 0, v19, vcc
	v_cmp_ngt_f32_e32 vcc, s96, v22
	s_nop 1
	v_cndmask_b32_e32 v21, v54, v19, vcc
	v_ldexp_f32 v19, v26, v25
	v_mul_f32_e32 v25, 0xbfb8aa3b, v23
	v_rndne_f32_e32 v26, v25
	v_sub_f32_e32 v27, v25, v26
	v_fma_mix_f32 v25, v18, s93, -v25 op_sel:[1,0,0] op_sel_hi:[1,0,0]
	v_cvt_i32_f32_e32 v26, v26
	v_fma_mix_f32 v18, v18, s94, v25 op_sel:[1,0,0] op_sel_hi:[1,0,0]
	v_cmp_nlt_f32_e32 vcc, s95, v24
	v_add_f32_e32 v18, v27, v18
	v_exp_f32_e32 v25, v18
	v_pk_add_f32 v[20:21], v[20:21], 1.0 op_sel_hi:[1,0]
	v_cndmask_b32_e32 v18, 0, v19, vcc
	v_cmp_ngt_f32_e32 vcc, s96, v24
	v_ldexp_f32 v19, v25, v26
	v_div_scale_f32 v25, s[26:27], v21, v21, v22
	v_rcp_f32_e32 v26, v25
	v_cndmask_b32_e32 v18, v54, v18, vcc
	v_cmp_nlt_f32_e32 vcc, s95, v23
	v_fma_f32 v27, -v25, v26, 1.0
	s_nop 0
	v_cndmask_b32_e32 v19, 0, v19, vcc
	v_cmp_ngt_f32_e32 vcc, s96, v23
	v_fmac_f32_e32 v26, v27, v26
	s_nop 0
	v_cndmask_b32_e32 v19, v54, v19, vcc
	v_div_scale_f32 v27, vcc, v22, v21, v22
	v_mul_f32_e32 v28, v27, v26
	v_fma_f32 v29, -v25, v28, v27
	v_fmac_f32_e32 v28, v29, v26
	v_fma_f32 v25, -v25, v28, v27
	v_div_scale_f32 v27, s[26:27], v20, v20, v13
	v_rcp_f32_e32 v29, v27
	v_div_fmas_f32 v25, v25, v26, v28
	v_div_fixup_f32 v21, v25, v21, v22
	v_pk_add_f32 v[18:19], v[18:19], 1.0 op_sel_hi:[1,0]
	v_fma_f32 v22, -v27, v29, 1.0
	v_fmac_f32_e32 v29, v22, v29
	v_div_scale_f32 v22, vcc, v13, v20, v13
	v_mul_f32_e32 v25, v22, v29
	v_fma_f32 v26, -v27, v25, v22
	v_fmac_f32_e32 v25, v26, v29
	v_div_scale_f32 v26, s[26:27], v19, v19, v23
	v_fma_f32 v22, -v27, v25, v22
	v_rcp_f32_e32 v27, v26
	v_div_fmas_f32 v22, v22, v29, v25
	v_div_fixup_f32 v20, v22, v20, v13
	v_pk_mul_f32 v[14:15], v[14:15], v[20:21]
	v_fma_f32 v13, -v26, v27, 1.0
	v_fmac_f32_e32 v27, v13, v27
	v_div_scale_f32 v13, vcc, v23, v19, v23
	v_mul_f32_e32 v22, v13, v27
	v_fma_f32 v25, -v26, v22, v13
	v_fmac_f32_e32 v22, v25, v27
	v_div_scale_f32 v25, s[26:27], v18, v18, v24
	v_fma_f32 v13, -v26, v22, v13
	v_rcp_f32_e32 v26, v25
	v_div_fmas_f32 v13, v13, v27, v22
	v_div_fixup_f32 v19, v13, v19, v23
	v_cvt_f16_f32_e32 v14, v14
	v_fma_f32 v13, -v25, v26, 1.0
	v_fmac_f32_e32 v26, v13, v26
	v_div_scale_f32 v13, vcc, v24, v18, v24
	v_mul_f32_e32 v22, v13, v26
	v_fma_f32 v23, -v25, v22, v13
	v_fmac_f32_e32 v22, v23, v26
	v_fma_f32 v13, -v25, v22, v13
	v_div_fmas_f32 v13, v13, v26, v22
	v_div_fixup_f32 v18, v13, v18, v24
	v_pk_mul_f32 v[16:17], v[16:17], v[18:19]
	v_cvt_f16_f32_e32 v13, v15
	v_cvt_f16_f32_e32 v17, v17
	;; [unrolled: 1-line block ×3, first 2 shown]
	v_pack_b32_f16 v15, v14, v13
	v_pack_b32_f16 v14, v16, v17
	ds_write_b64 v47, v[14:15]
	; wave barrier
	ds_read_u16 v17, v44 offset:128
	ds_read_u16 v16, v45 offset:256
	;; [unrolled: 1-line block ×3, first 2 shown]
	v_lshl_add_u64 v[14:15], s[62:63], 1, v[8:9]
	s_and_saveexec_b64 s[26:27], s[18:19]
	s_cbranch_execnz .LBB100_97
; %bb.89:                               ;   in Loop: Header=BB100_11 Depth=1
	s_or_b64 exec, exec, s[26:27]
	s_and_saveexec_b64 s[18:19], s[20:21]
	s_cbranch_execnz .LBB100_98
.LBB100_90:                             ;   in Loop: Header=BB100_11 Depth=1
	s_or_b64 exec, exec, s[18:19]
	s_and_saveexec_b64 s[18:19], s[22:23]
	s_cbranch_execnz .LBB100_99
.LBB100_91:                             ;   in Loop: Header=BB100_11 Depth=1
	s_or_b64 exec, exec, s[18:19]
	s_and_saveexec_b64 s[18:19], s[24:25]
	s_cbranch_execz .LBB100_10
	s_branch .LBB100_100
.LBB100_92:                             ;   in Loop: Header=BB100_11 Depth=1
	global_load_ushort v19, v[16:17], off offset:128
	s_or_b64 exec, exec, s[26:27]
	s_and_saveexec_b64 s[26:27], s[22:23]
	s_cbranch_execz .LBB100_23
.LBB100_93:                             ;   in Loop: Header=BB100_11 Depth=1
	global_load_ushort v18, v[16:17], off offset:256
	s_or_b64 exec, exec, s[26:27]
	v_mov_b32_e32 v20, 0
	s_and_saveexec_b64 s[26:27], s[24:25]
	s_cbranch_execnz .LBB100_24
	s_branch .LBB100_25
.LBB100_94:                             ;   in Loop: Header=BB100_11 Depth=1
	ds_read_u16 v22, v43
	s_waitcnt lgkmcnt(0)
	global_store_short v[18:19], v22, off
	s_or_b64 exec, exec, s[26:27]
	s_and_saveexec_b64 s[26:27], s[20:21]
	s_cbranch_execz .LBB100_77
.LBB100_95:                             ;   in Loop: Header=BB100_11 Depth=1
	s_waitcnt lgkmcnt(2)
	global_store_short v[18:19], v21, off offset:128
	s_or_b64 exec, exec, s[26:27]
	s_and_saveexec_b64 s[26:27], s[22:23]
	s_cbranch_execz .LBB100_78
.LBB100_96:                             ;   in Loop: Header=BB100_11 Depth=1
	s_waitcnt lgkmcnt(1)
	global_store_short v[18:19], v20, off offset:256
	s_or_b64 exec, exec, s[26:27]
	s_and_saveexec_b64 s[26:27], s[24:25]
	s_cbranch_execnz .LBB100_79
	s_branch .LBB100_80
.LBB100_97:                             ;   in Loop: Header=BB100_11 Depth=1
	ds_read_u16 v18, v43
	s_waitcnt lgkmcnt(0)
	global_store_short v[14:15], v18, off
	s_or_b64 exec, exec, s[26:27]
	s_and_saveexec_b64 s[18:19], s[20:21]
	s_cbranch_execz .LBB100_90
.LBB100_98:                             ;   in Loop: Header=BB100_11 Depth=1
	s_waitcnt lgkmcnt(2)
	global_store_short v[14:15], v17, off offset:128
	s_or_b64 exec, exec, s[18:19]
	s_and_saveexec_b64 s[18:19], s[22:23]
	s_cbranch_execz .LBB100_91
.LBB100_99:                             ;   in Loop: Header=BB100_11 Depth=1
	s_waitcnt lgkmcnt(1)
	global_store_short v[14:15], v16, off offset:256
	s_or_b64 exec, exec, s[18:19]
	s_and_saveexec_b64 s[18:19], s[24:25]
	s_cbranch_execz .LBB100_10
.LBB100_100:                            ;   in Loop: Header=BB100_11 Depth=1
	s_waitcnt lgkmcnt(0)
	global_store_short v[14:15], v13, off offset:384
	s_branch .LBB100_10
.LBB100_101:
	s_endpgm
.LBB100_102:
	s_mov_b64 s[38:39], 0
	s_load_dwordx2 s[6:7], s[0:1], 0x20
	s_cmp_eq_u64 s[4:5], 0
	s_cbranch_scc0 .LBB100_2
	s_branch .LBB100_3
	.section	.rodata,"a",@progbits
	.p2align	6, 0x0
	.amdhsa_kernel _Z25selective_scan_fwd_kernelI32Selective_Scan_fwd_kernel_traitsILi64ELi4ELi1ELb0ELb1ELb1ELb1ELb1EN3c104HalfEffEEv13SSMParamsBase
		.amdhsa_group_segment_fixed_size 0
		.amdhsa_private_segment_fixed_size 0
		.amdhsa_kernarg_size 248
		.amdhsa_user_sgpr_count 2
		.amdhsa_user_sgpr_dispatch_ptr 0
		.amdhsa_user_sgpr_queue_ptr 0
		.amdhsa_user_sgpr_kernarg_segment_ptr 1
		.amdhsa_user_sgpr_dispatch_id 0
		.amdhsa_user_sgpr_kernarg_preload_length 0
		.amdhsa_user_sgpr_kernarg_preload_offset 0
		.amdhsa_user_sgpr_private_segment_size 0
		.amdhsa_uses_dynamic_stack 0
		.amdhsa_enable_private_segment 0
		.amdhsa_system_sgpr_workgroup_id_x 1
		.amdhsa_system_sgpr_workgroup_id_y 1
		.amdhsa_system_sgpr_workgroup_id_z 0
		.amdhsa_system_sgpr_workgroup_info 0
		.amdhsa_system_vgpr_workitem_id 0
		.amdhsa_next_free_vgpr 66
		.amdhsa_next_free_sgpr 99
		.amdhsa_accum_offset 68
		.amdhsa_reserve_vcc 1
		.amdhsa_float_round_mode_32 0
		.amdhsa_float_round_mode_16_64 0
		.amdhsa_float_denorm_mode_32 3
		.amdhsa_float_denorm_mode_16_64 3
		.amdhsa_dx10_clamp 1
		.amdhsa_ieee_mode 1
		.amdhsa_fp16_overflow 0
		.amdhsa_tg_split 0
		.amdhsa_exception_fp_ieee_invalid_op 0
		.amdhsa_exception_fp_denorm_src 0
		.amdhsa_exception_fp_ieee_div_zero 0
		.amdhsa_exception_fp_ieee_overflow 0
		.amdhsa_exception_fp_ieee_underflow 0
		.amdhsa_exception_fp_ieee_inexact 0
		.amdhsa_exception_int_div_zero 0
	.end_amdhsa_kernel
	.section	.text._Z25selective_scan_fwd_kernelI32Selective_Scan_fwd_kernel_traitsILi64ELi4ELi1ELb0ELb1ELb1ELb1ELb1EN3c104HalfEffEEv13SSMParamsBase,"axG",@progbits,_Z25selective_scan_fwd_kernelI32Selective_Scan_fwd_kernel_traitsILi64ELi4ELi1ELb0ELb1ELb1ELb1ELb1EN3c104HalfEffEEv13SSMParamsBase,comdat
.Lfunc_end100:
	.size	_Z25selective_scan_fwd_kernelI32Selective_Scan_fwd_kernel_traitsILi64ELi4ELi1ELb0ELb1ELb1ELb1ELb1EN3c104HalfEffEEv13SSMParamsBase, .Lfunc_end100-_Z25selective_scan_fwd_kernelI32Selective_Scan_fwd_kernel_traitsILi64ELi4ELi1ELb0ELb1ELb1ELb1ELb1EN3c104HalfEffEEv13SSMParamsBase
                                        ; -- End function
	.section	.AMDGPU.csdata,"",@progbits
; Kernel info:
; codeLenInByte = 7280
; NumSgprs: 105
; NumVgprs: 66
; NumAgprs: 0
; TotalNumVgprs: 66
; ScratchSize: 0
; MemoryBound: 0
; FloatMode: 240
; IeeeMode: 1
; LDSByteSize: 0 bytes/workgroup (compile time only)
; SGPRBlocks: 13
; VGPRBlocks: 8
; NumSGPRsForWavesPerEU: 105
; NumVGPRsForWavesPerEU: 66
; AccumOffset: 68
; Occupancy: 7
; WaveLimiterHint : 1
; COMPUTE_PGM_RSRC2:SCRATCH_EN: 0
; COMPUTE_PGM_RSRC2:USER_SGPR: 2
; COMPUTE_PGM_RSRC2:TRAP_HANDLER: 0
; COMPUTE_PGM_RSRC2:TGID_X_EN: 1
; COMPUTE_PGM_RSRC2:TGID_Y_EN: 1
; COMPUTE_PGM_RSRC2:TGID_Z_EN: 0
; COMPUTE_PGM_RSRC2:TIDIG_COMP_CNT: 0
; COMPUTE_PGM_RSRC3_GFX90A:ACCUM_OFFSET: 16
; COMPUTE_PGM_RSRC3_GFX90A:TG_SPLIT: 0
	.section	.text._Z25selective_scan_fwd_kernelI32Selective_Scan_fwd_kernel_traitsILi64ELi4ELi1ELb0ELb1ELb1ELb1ELb0EN3c104HalfEffEEv13SSMParamsBase,"axG",@progbits,_Z25selective_scan_fwd_kernelI32Selective_Scan_fwd_kernel_traitsILi64ELi4ELi1ELb0ELb1ELb1ELb1ELb0EN3c104HalfEffEEv13SSMParamsBase,comdat
	.protected	_Z25selective_scan_fwd_kernelI32Selective_Scan_fwd_kernel_traitsILi64ELi4ELi1ELb0ELb1ELb1ELb1ELb0EN3c104HalfEffEEv13SSMParamsBase ; -- Begin function _Z25selective_scan_fwd_kernelI32Selective_Scan_fwd_kernel_traitsILi64ELi4ELi1ELb0ELb1ELb1ELb1ELb0EN3c104HalfEffEEv13SSMParamsBase
	.globl	_Z25selective_scan_fwd_kernelI32Selective_Scan_fwd_kernel_traitsILi64ELi4ELi1ELb0ELb1ELb1ELb1ELb0EN3c104HalfEffEEv13SSMParamsBase
	.p2align	8
	.type	_Z25selective_scan_fwd_kernelI32Selective_Scan_fwd_kernel_traitsILi64ELi4ELi1ELb0ELb1ELb1ELb1ELb0EN3c104HalfEffEEv13SSMParamsBase,@function
_Z25selective_scan_fwd_kernelI32Selective_Scan_fwd_kernel_traitsILi64ELi4ELi1ELb0ELb1ELb1ELb1ELb0EN3c104HalfEffEEv13SSMParamsBase: ; @_Z25selective_scan_fwd_kernelI32Selective_Scan_fwd_kernel_traitsILi64ELi4ELi1ELb0ELb1ELb1ELb1ELb0EN3c104HalfEffEEv13SSMParamsBase
; %bb.0:
	s_load_dword s35, s[0:1], 0x18
	s_load_dwordx4 s[4:7], s[0:1], 0xe8
	s_mov_b32 s28, s3
	s_waitcnt lgkmcnt(0)
	s_abs_i32 s34, s35
	v_cvt_f32_u32_e32 v1, s34
	s_cmp_eq_u64 s[6:7], 0
	v_rcp_iflag_f32_e32 v1, v1
	s_nop 0
	v_mul_f32_e32 v1, 0x4f7ffffe, v1
	v_cvt_u32_f32_e32 v1, v1
	s_nop 0
	v_readfirstlane_b32 s24, v1
	s_cbranch_scc1 .LBB101_3
; %bb.1:
	s_ashr_i32 s3, s2, 31
	s_add_u32 s6, s6, s2
	s_addc_u32 s7, s7, s3
	v_mov_b32_e32 v1, 0
	global_load_ubyte v1, v1, s[6:7]
	s_waitcnt vmcnt(0)
	v_and_b32_e32 v1, 1, v1
	v_cmp_eq_u32_e64 s[38:39], 1, v1
	s_load_dwordx2 s[6:7], s[0:1], 0x20
	s_cmp_eq_u64 s[4:5], 0
	s_cbranch_scc1 .LBB101_4
.LBB101_2:
	s_ashr_i32 s3, s2, 31
	s_lshl_b64 s[8:9], s[2:3], 2
	s_add_u32 s4, s4, s8
	s_addc_u32 s5, s5, s9
	s_load_dword s30, s[4:5], 0x0
	s_waitcnt lgkmcnt(0)
	s_ashr_i32 s31, s30, 31
	s_cmp_eq_u64 s[6:7], s[30:31]
	s_cbranch_scc0 .LBB101_5
	s_branch .LBB101_102
.LBB101_3:
	s_mov_b64 s[38:39], 0
	s_load_dwordx2 s[6:7], s[0:1], 0x20
	s_cmp_eq_u64 s[4:5], 0
	s_cbranch_scc0 .LBB101_2
.LBB101_4:
	s_mov_b32 s30, s2
	s_ashr_i32 s31, s30, 31
	s_waitcnt lgkmcnt(0)
	s_cmp_eq_u64 s[6:7], s[30:31]
	s_cbranch_scc1 .LBB101_102
.LBB101_5:
	s_load_dwordx16 s[4:19], s[0:1], 0x88
	s_load_dwordx2 s[56:57], s[0:1], 0x8
	s_mov_b32 s33, 0
	s_mov_b32 s78, 0
	s_waitcnt lgkmcnt(0)
	s_cmp_eq_u64 s[10:11], 0
	s_cbranch_scc1 .LBB101_7
; %bb.6:
	s_ashr_i32 s29, s28, 31
	s_lshl_b64 s[20:21], s[28:29], 2
	s_add_u32 s10, s10, s20
	s_addc_u32 s11, s11, s21
	s_load_dword s78, s[10:11], 0x0
.LBB101_7:
	s_cmp_eq_u64 s[16:17], 0
	s_cbranch_scc1 .LBB101_9
; %bb.8:
	s_ashr_i32 s29, s28, 31
	s_lshl_b64 s[10:11], s[28:29], 2
	s_add_u32 s10, s16, s10
	s_addc_u32 s11, s17, s11
	s_load_dword s33, s[10:11], 0x0
.LBB101_9:
	s_cmp_lt_i32 s56, 1
	s_cbranch_scc1 .LBB101_102
; %bb.10:
	s_sub_i32 s3, 0, s34
	s_mul_i32 s3, s3, s24
	s_mul_hi_u32 s3, s24, s3
	s_abs_i32 s29, s28
	s_add_i32 s3, s24, s3
	s_load_dwordx8 s[40:47], s[0:1], 0x2c
	s_load_dwordx2 s[16:17], s[0:1], 0x7c
	s_load_dwordx4 s[20:23], s[0:1], 0x6c
	s_load_dwordx8 s[48:55], s[0:1], 0x4c
	s_load_dwordx2 s[10:11], s[0:1], 0xd8
	s_load_dwordx4 s[24:27], s[0:1], 0xc8
	s_load_dword s79, s[0:1], 0x84
	s_mul_hi_u32 s3, s29, s3
	s_load_dword s31, s[0:1], 0x28
	s_ashr_i32 s0, s28, 31
	s_ashr_i32 s1, s35, 31
	s_xor_b32 s0, s0, s1
	s_mul_i32 s1, s3, s34
	s_sub_i32 s1, s29, s1
	s_add_i32 s29, s3, 1
	s_sub_i32 s35, s1, s34
	s_cmp_ge_u32 s1, s34
	s_cselect_b32 s3, s29, s3
	s_cselect_b32 s1, s35, s1
	s_add_i32 s29, s3, 1
	s_cmp_ge_u32 s1, s34
	s_cselect_b32 s1, s29, s3
	s_xor_b32 s1, s1, s0
	s_waitcnt lgkmcnt(0)
	s_mul_i32 s58, s50, s2
	s_mov_b32 s59, 0
	s_sub_i32 s3, s1, s0
	s_lshl_b64 s[0:1], s[58:59], 1
	s_add_u32 s12, s12, s0
	s_mul_i32 s58, s51, s28
	s_addc_u32 s13, s13, s1
	s_lshl_b64 s[0:1], s[58:59], 1
	s_add_u32 s50, s12, s0
	s_mul_i32 s58, s52, s2
	s_addc_u32 s51, s13, s1
	;; [unrolled: 4-line block ×9, first 2 shown]
	s_lshl_b64 s[0:1], s[58:59], 2
	s_add_u32 s3, s24, s0
	s_mul_i32 s58, s17, s28
	v_mbcnt_lo_u32_b32 v2, -1, 0
	s_addc_u32 s4, s25, s1
	s_lshl_b64 s[0:1], s[58:59], 2
	v_mbcnt_hi_u32_b32 v2, -1, v2
	s_add_u32 s45, s3, s0
	v_lshrrev_b32_e32 v3, 5, v2
	s_addc_u32 s49, s4, s1
	s_add_i32 s0, s56, 0x7ff
	v_and_b32_e32 v3, 2, v3
	s_lshr_b32 s81, s0, 11
	v_add_u32_e32 v40, 64, v2
	v_or_b32_e32 v41, 0x80, v2
	v_add_u32_e32 v42, 0xc0, v2
	v_add_u32_e32 v3, v3, v2
	v_lshl_add_u32 v43, v3, 1, 0
	v_lshrrev_b32_e32 v3, 5, v40
	v_lshrrev_b32_e32 v4, 5, v41
	;; [unrolled: 1-line block ×3, first 2 shown]
	s_bitcmp1_b32 s31, 0
	v_and_b32_e32 v3, 6, v3
	v_and_b32_e32 v4, 6, v4
	v_and_b32_e32 v5, 14, v5
	s_cselect_b64 s[60:61], -1, 0
	s_cmp_gt_i32 s57, 0
	v_add_lshl_u32 v3, v3, v2, 1
	v_add_lshl_u32 v4, v4, v2, 1
	;; [unrolled: 1-line block ×3, first 2 shown]
	s_cselect_b64 s[62:63], -1, 0
	s_add_i32 s0, 0, 0x210
	s_mul_i32 s58, s20, s2
	v_add_u32_e32 v48, s0, v3
	v_add_u32_e32 v49, s0, v4
	;; [unrolled: 1-line block ×3, first 2 shown]
	s_and_b32 s3, s56, 0xff
	s_add_i32 s82, s81, -1
	s_lshl_b64 s[0:1], s[58:59], 1
	s_add_u32 s4, s18, s0
	s_mul_i32 s58, s21, s28
	s_addc_u32 s5, s19, s1
	s_lshl_b64 s[0:1], s[58:59], 1
	s_add_u32 s18, s4, s0
	s_mul_i32 s58, s54, s2
	s_addc_u32 s19, s5, s1
	;; [unrolled: 4-line block ×5, first 2 shown]
	s_lshl_b64 s[0:1], s[58:59], 1
	s_add_u32 s22, s2, s0
	v_add_u32_e32 v44, 0, v3
	s_addc_u32 s23, s4, s1
	v_and_b32_e32 v3, 15, v2
	s_cmp_eq_u32 s3, 0
	v_cmp_eq_u32_e64 s[0:1], 0, v3
	v_cmp_lt_u32_e64 s[2:3], 1, v3
	v_cmp_lt_u32_e64 s[4:5], 3, v3
	;; [unrolled: 1-line block ×3, first 2 shown]
	v_and_b32_e32 v3, 16, v2
	v_add_u32_e32 v45, 0, v4
	v_lshrrev_b32_e32 v6, 3, v2
	v_cmp_ne_u32_e64 s[8:9], 0, v3
	v_add_u32_e32 v3, -1, v2
	v_and_b32_e32 v4, 64, v2
	v_and_b32_e32 v6, 14, v6
	v_cmp_lt_i32_e32 vcc, v3, v4
	v_mov_b32_e32 v1, 0
	v_lshlrev_b32_e32 v11, 2, v0
	v_lshl_add_u32 v6, v2, 2, v6
	v_cmp_eq_u32_e64 s[12:13], 63, v0
	v_cndmask_b32_e32 v3, v3, v2, vcc
	v_cmp_gt_u32_e64 s[14:15], 64, v0
	v_cmp_eq_u32_e64 s[16:17], 0, v0
	v_lshlrev_b32_e32 v0, 1, v2
                                        ; implicit-def: $vgpr12
	v_add_u32_e32 v46, 0, v5
	v_lshl_add_u32 v47, v6, 1, 0
	s_cselect_b64 s[54:55], -1, 0
	v_cmp_lt_u32_e64 s[10:11], 31, v2
	v_lshlrev_b32_e32 v51, 2, v3
	v_lshl_add_u64 v[4:5], s[18:19], 0, v[0:1]
	v_lshl_add_u64 v[6:7], s[20:21], 0, v[0:1]
	;; [unrolled: 1-line block ×3, first 2 shown]
	v_or_b32_e32 v3, 1, v11
	v_or_b32_e32 v10, 2, v11
	;; [unrolled: 1-line block ×3, first 2 shown]
	v_lshlrev_b32_e32 v0, 1, v2
	s_mov_b32 s83, 0x41a00000
	s_mov_b32 s84, 0x3fb8aa3b
	;; [unrolled: 1-line block ×6, first 2 shown]
	v_mov_b32_e32 v53, 0x3ecc95a3
	s_mov_b32 s89, 0x3f317218
	s_mov_b32 s90, 0x33800000
	s_add_i32 s91, 0, 0x428
	s_mov_b32 s92, 0xc2fc0000
	s_mov_b32 s93, 0xbfb8aa3b
	;; [unrolled: 1-line block ×5, first 2 shown]
	v_mov_b32_e32 v54, 0x7f800000
	v_mov_b32_e32 v12, 0x3f317218
	;; [unrolled: 1-line block ×4, first 2 shown]
	s_mov_b32 s97, 0
	s_branch .LBB101_12
.LBB101_11:                             ;   in Loop: Header=BB101_12 Depth=1
	s_or_b64 exec, exec, s[18:19]
	s_add_u32 s52, s52, 0x200
	s_addc_u32 s53, s53, 0
	s_add_u32 s50, s50, 0x200
	s_addc_u32 s51, s51, 0
	;; [unrolled: 2-line block ×4, first 2 shown]
	s_add_i32 s97, s97, 1
	s_cmp_lg_u32 s97, s81
	s_cbranch_scc0 .LBB101_102
.LBB101_12:                             ; =>This Loop Header: Depth=1
                                        ;     Child Loop BB101_37 Depth 2
	s_lshl_b32 s64, s97, 8
	s_sub_i32 s34, s56, s64
	v_lshl_add_u64 v[14:15], s[50:51], 0, v[0:1]
	v_cmp_gt_u32_e64 s[18:19], s34, v2
	s_waitcnt lgkmcnt(1)
	v_mov_b32_e32 v16, 0
	s_waitcnt lgkmcnt(0)
	; wave barrier
	s_and_saveexec_b64 s[20:21], s[18:19]
	s_cbranch_execz .LBB101_14
; %bb.13:                               ;   in Loop: Header=BB101_12 Depth=1
	global_load_ushort v16, v[14:15], off
.LBB101_14:                             ;   in Loop: Header=BB101_12 Depth=1
	s_or_b64 exec, exec, s[20:21]
	v_cmp_gt_u32_e64 s[20:21], s34, v40
	v_mov_b32_e32 v17, 0
	v_mov_b32_e32 v18, 0
	s_and_saveexec_b64 s[22:23], s[20:21]
	s_cbranch_execz .LBB101_16
; %bb.15:                               ;   in Loop: Header=BB101_12 Depth=1
	global_load_ushort v18, v[14:15], off offset:128
.LBB101_16:                             ;   in Loop: Header=BB101_12 Depth=1
	s_or_b64 exec, exec, s[22:23]
	v_cmp_gt_u32_e64 s[22:23], s34, v41
	s_and_saveexec_b64 s[24:25], s[22:23]
	s_cbranch_execz .LBB101_18
; %bb.17:                               ;   in Loop: Header=BB101_12 Depth=1
	global_load_ushort v17, v[14:15], off offset:256
.LBB101_18:                             ;   in Loop: Header=BB101_12 Depth=1
	s_or_b64 exec, exec, s[24:25]
	v_cmp_gt_u32_e64 s[24:25], s34, v42
	s_waitcnt lgkmcnt(0)
	v_mov_b32_e32 v13, 0
	v_mov_b32_e32 v19, 0
	s_and_saveexec_b64 s[26:27], s[24:25]
	s_cbranch_execz .LBB101_20
; %bb.19:                               ;   in Loop: Header=BB101_12 Depth=1
	global_load_ushort v19, v[14:15], off offset:384
.LBB101_20:                             ;   in Loop: Header=BB101_12 Depth=1
	s_or_b64 exec, exec, s[26:27]
	s_waitcnt vmcnt(0)
	ds_write_b16 v43, v16
	ds_write_b16 v44, v18 offset:128
	ds_write_b16 v45, v17 offset:256
	;; [unrolled: 1-line block ×3, first 2 shown]
	; wave barrier
	ds_read_b64 v[14:15], v47
	v_lshl_add_u64 v[16:17], s[52:53], 0, v[0:1]
	s_waitcnt lgkmcnt(0)
	; wave barrier
	s_waitcnt lgkmcnt(0)
	s_and_saveexec_b64 s[26:27], s[18:19]
	s_cbranch_execz .LBB101_22
; %bb.21:                               ;   in Loop: Header=BB101_12 Depth=1
	global_load_ushort v13, v[16:17], off
.LBB101_22:                             ;   in Loop: Header=BB101_12 Depth=1
	s_or_b64 exec, exec, s[26:27]
	v_mov_b32_e32 v18, 0
	v_mov_b32_e32 v19, 0
	s_and_saveexec_b64 s[26:27], s[20:21]
	s_cbranch_execnz .LBB101_93
; %bb.23:                               ;   in Loop: Header=BB101_12 Depth=1
	s_or_b64 exec, exec, s[26:27]
	s_and_saveexec_b64 s[26:27], s[22:23]
	s_cbranch_execnz .LBB101_94
.LBB101_24:                             ;   in Loop: Header=BB101_12 Depth=1
	s_or_b64 exec, exec, s[26:27]
	v_mov_b32_e32 v20, 0
	s_and_saveexec_b64 s[26:27], s[24:25]
	s_cbranch_execz .LBB101_26
.LBB101_25:                             ;   in Loop: Header=BB101_12 Depth=1
	global_load_ushort v20, v[16:17], off offset:384
.LBB101_26:                             ;   in Loop: Header=BB101_12 Depth=1
	s_or_b64 exec, exec, s[26:27]
	s_waitcnt vmcnt(0)
	ds_write_b16 v43, v13
	ds_write_b16 v44, v19 offset:128
	ds_write_b16 v45, v18 offset:256
	ds_write_b16 v46, v20 offset:384
	; wave barrier
	ds_read_b64 v[16:17], v47
	s_waitcnt lgkmcnt(0)
	v_cvt_f32_f16_e32 v13, v16
	v_add_f32_e32 v57, s33, v13
	v_cmp_ge_f32_e32 vcc, s83, v57
	s_and_b64 s[26:27], s[60:61], vcc
	s_and_saveexec_b64 s[28:29], s[26:27]
	s_cbranch_execz .LBB101_28
; %bb.27:                               ;   in Loop: Header=BB101_12 Depth=1
	v_mul_f32_e32 v13, 0x3fb8aa3b, v57
	v_rndne_f32_e32 v18, v13
	v_sub_f32_e32 v19, v13, v18
	v_fma_f32 v13, v57, s84, -v13
	v_fmac_f32_e32 v13, 0x32a5705f, v57
	v_add_f32_e32 v13, v19, v13
	v_cvt_i32_f32_e32 v18, v18
	v_exp_f32_e32 v13, v13
	v_cmp_ngt_f32_e32 vcc, s85, v57
	v_ldexp_f32 v13, v13, v18
	s_nop 0
	v_cndmask_b32_e32 v13, 0, v13, vcc
	v_cmp_nlt_f32_e32 vcc, s86, v57
	s_nop 1
	v_cndmask_b32_e32 v34, v54, v13, vcc
	v_add_f32_e32 v13, 1.0, v34
	v_add_f32_e32 v18, -1.0, v13
	v_sub_f32_e32 v19, v18, v13
	v_add_f32_e32 v19, 1.0, v19
	v_sub_f32_e32 v18, v34, v18
	v_add_f32_e32 v20, v18, v19
	v_frexp_mant_f32_e32 v21, v13
	v_cvt_f64_f32_e32 v[18:19], v13
	v_frexp_exp_i32_f64_e32 v18, v[18:19]
	v_cmp_gt_f32_e32 vcc, s88, v21
	v_cmp_gt_f32_e64 s[26:27], s90, v34
	s_nop 0
	v_subbrev_co_u32_e32 v26, vcc, 0, v18, vcc
	v_sub_u32_e32 v18, 0, v26
	v_ldexp_f32 v13, v13, v18
	v_ldexp_f32 v18, v20, v18
	v_add_f32_e32 v20, -1.0, v13
	v_add_f32_e32 v19, 1.0, v20
	v_sub_f32_e32 v19, v13, v19
	v_add_f32_e32 v21, v18, v19
	v_add_f32_e32 v19, 1.0, v13
	v_add_f32_e32 v22, -1.0, v19
	v_sub_f32_e32 v13, v13, v22
	v_add_f32_e32 v13, v18, v13
	v_add_f32_e32 v27, v19, v13
	v_rcp_f32_e32 v28, v27
	v_sub_f32_e32 v18, v19, v27
	v_add_f32_e32 v19, v20, v21
	v_add_f32_e32 v13, v13, v18
	v_mul_f32_e32 v30, v19, v28
	v_sub_f32_e32 v18, v20, v19
	v_mul_f32_e32 v20, v27, v30
	v_fma_f32 v22, v30, v27, -v20
	v_fmac_f32_e32 v22, v30, v13
	v_add_f32_e32 v29, v21, v18
	v_add_f32_e32 v18, v20, v22
	v_sub_f32_e32 v21, v19, v18
	v_pk_add_f32 v[24:25], v[18:19], v[20:21] neg_lo:[0,1] neg_hi:[0,1]
	v_mov_b32_e32 v23, v18
	v_pk_add_f32 v[18:19], v[24:25], v[22:23] neg_lo:[0,1] neg_hi:[0,1]
	v_cmp_eq_f32_e32 vcc, s87, v34
	v_add_f32_e32 v19, v29, v19
	v_add_f32_e32 v18, v18, v19
	v_add_f32_e32 v19, v21, v18
	v_mul_f32_e32 v29, v28, v19
	v_mul_f32_e32 v20, v27, v29
	v_fma_f32 v22, v29, v27, -v20
	v_fmac_f32_e32 v22, v29, v13
	v_sub_f32_e32 v13, v21, v19
	v_add_f32_e32 v13, v18, v13
	v_add_f32_e32 v18, v20, v22
	v_sub_f32_e32 v21, v19, v18
	v_pk_add_f32 v[24:25], v[18:19], v[20:21] neg_lo:[0,1] neg_hi:[0,1]
	v_mov_b32_e32 v23, v18
	v_pk_add_f32 v[18:19], v[24:25], v[22:23] neg_lo:[0,1] neg_hi:[0,1]
	s_or_b64 vcc, s[26:27], vcc
	v_add_f32_e32 v13, v13, v19
	v_add_f32_e32 v13, v18, v13
	v_add_f32_e32 v19, v30, v29
	v_add_f32_e32 v13, v21, v13
	v_sub_f32_e32 v18, v19, v30
	v_mul_f32_e32 v13, v28, v13
	v_sub_f32_e32 v18, v29, v18
	v_add_f32_e32 v20, v18, v13
	v_add_f32_e32 v22, v19, v20
	v_cvt_f32_i32_e32 v18, v26
	v_mul_f32_e32 v23, v22, v22
	v_sub_f32_e32 v19, v22, v19
	v_fmamk_f32 v13, v23, 0x3e9b6dac, v53
	v_sub_f32_e32 v19, v20, v19
	v_fmaak_f32 v13, v23, v13, 0x3f2aaada
	v_ldexp_f32 v24, v19, 1
	v_mul_f32_e32 v19, v22, v23
	v_ldexp_f32 v21, v22, 1
	v_pk_mul_f32 v[22:23], v[18:19], v[12:13]
	s_nop 0
	v_fma_f32 v20, v18, s89, -v22
	v_fmac_f32_e32 v20, 0xb102e308, v18
	v_pk_add_f32 v[18:19], v[22:23], v[20:21]
	s_nop 0
	v_sub_f32_e32 v13, v19, v21
	v_sub_f32_e32 v13, v23, v13
	v_add_f32_e32 v25, v24, v13
	v_mov_b32_e32 v24, v22
	v_pk_add_f32 v[22:23], v[18:19], v[22:23] neg_lo:[0,1] neg_hi:[0,1]
	v_pk_add_f32 v[26:27], v[18:19], v[24:25]
	v_mov_b32_e32 v21, v18
	v_mov_b32_e32 v23, v27
	v_pk_add_f32 v[28:29], v[20:21], v[22:23] neg_lo:[0,1] neg_hi:[0,1]
	v_pk_add_f32 v[20:21], v[20:21], v[22:23]
	v_mov_b32_e32 v24, v25
	v_mov_b32_e32 v22, v21
	v_pk_add_f32 v[30:31], v[22:23], v[18:19] neg_lo:[0,1] neg_hi:[0,1]
	v_mov_b32_e32 v20, v27
	v_mov_b32_e32 v13, v30
	v_pk_add_f32 v[32:33], v[26:27], v[12:13] neg_lo:[0,1] neg_hi:[0,1]
	v_mov_b32_e32 v26, v19
	v_mov_b32_e32 v27, v30
	;; [unrolled: 1-line block ×3, first 2 shown]
	v_pk_add_f32 v[20:21], v[20:21], v[26:27] neg_lo:[0,1] neg_hi:[0,1]
	v_mov_b32_e32 v25, v18
	v_pk_add_f32 v[18:19], v[24:25], v[20:21] neg_lo:[0,1] neg_hi:[0,1]
	v_mov_b32_e32 v32, v28
	v_pk_add_f32 v[20:21], v[32:33], v[18:19]
	s_nop 0
	v_mov_b32_e32 v24, v21
	v_pk_add_f32 v[24:25], v[20:21], v[24:25]
	s_nop 0
	v_pk_add_f32 v[22:23], v[22:23], v[24:25]
	v_mov_b32_e32 v19, v24
	v_mov_b32_e32 v21, v22
	v_pk_add_f32 v[26:27], v[20:21], v[28:29] neg_lo:[0,1] neg_hi:[0,1]
	s_nop 0
	v_sub_f32_e32 v13, v20, v26
	v_pk_add_f32 v[18:19], v[18:19], v[26:27] neg_lo:[0,1] neg_hi:[0,1]
	v_sub_f32_e32 v13, v28, v13
	v_add_f32_e32 v13, v18, v13
	v_add_f32_e32 v13, v13, v19
	;; [unrolled: 1-line block ×3, first 2 shown]
	v_cndmask_b32_e32 v57, v13, v34, vcc
.LBB101_28:                             ;   in Loop: Header=BB101_12 Depth=1
	s_or_b64 exec, exec, s[28:29]
	v_cvt_f32_f16_sdwa v13, v16 dst_sel:DWORD dst_unused:UNUSED_PAD src0_sel:WORD_1
	v_add_f32_e32 v58, s33, v13
	v_cmp_ge_f32_e32 vcc, s83, v58
	s_and_b64 s[26:27], s[60:61], vcc
	s_and_saveexec_b64 s[28:29], s[26:27]
	s_cbranch_execz .LBB101_30
; %bb.29:                               ;   in Loop: Header=BB101_12 Depth=1
	v_mul_f32_e32 v13, 0x3fb8aa3b, v58
	v_rndne_f32_e32 v16, v13
	v_sub_f32_e32 v18, v13, v16
	v_fma_f32 v13, v58, s84, -v13
	v_fmac_f32_e32 v13, 0x32a5705f, v58
	v_add_f32_e32 v13, v18, v13
	v_cvt_i32_f32_e32 v16, v16
	v_exp_f32_e32 v13, v13
	v_cmp_ngt_f32_e32 vcc, s85, v58
	v_ldexp_f32 v13, v13, v16
	s_nop 0
	v_cndmask_b32_e32 v13, 0, v13, vcc
	v_cmp_nlt_f32_e32 vcc, s86, v58
	s_nop 1
	v_cndmask_b32_e32 v32, v54, v13, vcc
	v_add_f32_e32 v13, 1.0, v32
	v_add_f32_e32 v16, -1.0, v13
	v_sub_f32_e32 v18, v16, v13
	v_add_f32_e32 v18, 1.0, v18
	v_sub_f32_e32 v16, v32, v16
	v_add_f32_e32 v16, v16, v18
	v_frexp_mant_f32_e32 v20, v13
	v_cvt_f64_f32_e32 v[18:19], v13
	v_frexp_exp_i32_f64_e32 v18, v[18:19]
	v_cmp_gt_f32_e32 vcc, s88, v20
	v_cmp_gt_f32_e64 s[26:27], s90, v32
	s_nop 0
	v_subbrev_co_u32_e32 v26, vcc, 0, v18, vcc
	v_sub_u32_e32 v18, 0, v26
	v_ldexp_f32 v13, v13, v18
	v_ldexp_f32 v16, v16, v18
	v_add_f32_e32 v18, -1.0, v13
	v_add_f32_e32 v19, 1.0, v18
	v_sub_f32_e32 v19, v13, v19
	v_add_f32_e32 v20, v16, v19
	v_add_f32_e32 v19, 1.0, v13
	v_add_f32_e32 v21, -1.0, v19
	v_sub_f32_e32 v13, v13, v21
	v_add_f32_e32 v13, v16, v13
	v_add_f32_e32 v16, v19, v13
	v_rcp_f32_e32 v27, v16
	v_sub_f32_e32 v19, v19, v16
	v_add_f32_e32 v13, v13, v19
	v_add_f32_e32 v19, v18, v20
	v_sub_f32_e32 v18, v18, v19
	v_mul_f32_e32 v29, v19, v27
	v_add_f32_e32 v28, v20, v18
	v_mul_f32_e32 v20, v16, v29
	v_fma_f32 v22, v29, v16, -v20
	v_fmac_f32_e32 v22, v29, v13
	v_add_f32_e32 v18, v20, v22
	v_sub_f32_e32 v21, v19, v18
	v_pk_add_f32 v[24:25], v[18:19], v[20:21] neg_lo:[0,1] neg_hi:[0,1]
	v_mov_b32_e32 v23, v18
	v_pk_add_f32 v[18:19], v[24:25], v[22:23] neg_lo:[0,1] neg_hi:[0,1]
	v_cmp_eq_f32_e32 vcc, s87, v32
	v_add_f32_e32 v19, v28, v19
	v_add_f32_e32 v18, v18, v19
	;; [unrolled: 1-line block ×3, first 2 shown]
	v_mul_f32_e32 v28, v27, v19
	v_mul_f32_e32 v20, v16, v28
	v_fma_f32 v22, v28, v16, -v20
	v_fmac_f32_e32 v22, v28, v13
	v_sub_f32_e32 v13, v21, v19
	v_add_f32_e32 v13, v18, v13
	v_add_f32_e32 v18, v20, v22
	v_sub_f32_e32 v21, v19, v18
	v_pk_add_f32 v[24:25], v[18:19], v[20:21] neg_lo:[0,1] neg_hi:[0,1]
	v_mov_b32_e32 v23, v18
	v_pk_add_f32 v[18:19], v[24:25], v[22:23] neg_lo:[0,1] neg_hi:[0,1]
	v_add_f32_e32 v16, v29, v28
	v_add_f32_e32 v13, v13, v19
	;; [unrolled: 1-line block ×4, first 2 shown]
	v_sub_f32_e32 v18, v16, v29
	v_mul_f32_e32 v13, v27, v13
	v_sub_f32_e32 v18, v28, v18
	v_add_f32_e32 v19, v18, v13
	v_add_f32_e32 v20, v16, v19
	v_cvt_f32_i32_e32 v18, v26
	v_mul_f32_e32 v22, v20, v20
	v_fmamk_f32 v13, v22, 0x3e9b6dac, v53
	v_sub_f32_e32 v16, v20, v16
	v_fmaak_f32 v13, v22, v13, 0x3f2aaada
	v_sub_f32_e32 v16, v19, v16
	v_mul_f32_e32 v19, v20, v22
	v_pk_mul_f32 v[22:23], v[18:19], v[12:13]
	v_ldexp_f32 v21, v20, 1
	v_fma_f32 v20, v18, s89, -v22
	v_fmac_f32_e32 v20, 0xb102e308, v18
	v_pk_add_f32 v[18:19], v[22:23], v[20:21]
	v_ldexp_f32 v16, v16, 1
	v_sub_f32_e32 v13, v19, v21
	v_sub_f32_e32 v13, v23, v13
	v_add_f32_e32 v25, v16, v13
	v_mov_b32_e32 v24, v22
	v_pk_add_f32 v[22:23], v[18:19], v[22:23] neg_lo:[0,1] neg_hi:[0,1]
	v_pk_add_f32 v[26:27], v[18:19], v[24:25]
	v_mov_b32_e32 v21, v18
	v_mov_b32_e32 v23, v27
	v_pk_add_f32 v[28:29], v[20:21], v[22:23] neg_lo:[0,1] neg_hi:[0,1]
	v_pk_add_f32 v[20:21], v[20:21], v[22:23]
	s_or_b64 vcc, s[26:27], vcc
	v_mov_b32_e32 v16, v21
	v_pk_add_f32 v[22:23], v[16:17], v[18:19] neg_lo:[0,1] neg_hi:[0,1]
	v_mov_b32_e32 v20, v27
	v_mov_b32_e32 v13, v22
	v_pk_add_f32 v[30:31], v[26:27], v[12:13] neg_lo:[0,1] neg_hi:[0,1]
	v_mov_b32_e32 v26, v19
	v_mov_b32_e32 v27, v22
	;; [unrolled: 1-line block ×3, first 2 shown]
	v_pk_add_f32 v[20:21], v[20:21], v[26:27] neg_lo:[0,1] neg_hi:[0,1]
	v_mov_b32_e32 v22, v25
	v_mov_b32_e32 v23, v18
	v_pk_add_f32 v[18:19], v[22:23], v[20:21] neg_lo:[0,1] neg_hi:[0,1]
	v_mov_b32_e32 v30, v28
	v_pk_add_f32 v[20:21], v[30:31], v[18:19]
	s_nop 0
	v_mov_b32_e32 v22, v21
	v_pk_add_f32 v[22:23], v[20:21], v[22:23]
	s_nop 0
	v_pk_add_f32 v[24:25], v[16:17], v[22:23]
	v_mov_b32_e32 v19, v22
	v_mov_b32_e32 v21, v24
	v_pk_add_f32 v[26:27], v[20:21], v[28:29] neg_lo:[0,1] neg_hi:[0,1]
	s_nop 0
	v_sub_f32_e32 v13, v20, v26
	v_pk_add_f32 v[18:19], v[18:19], v[26:27] neg_lo:[0,1] neg_hi:[0,1]
	v_sub_f32_e32 v13, v28, v13
	v_add_f32_e32 v13, v18, v13
	v_add_f32_e32 v13, v13, v19
	;; [unrolled: 1-line block ×3, first 2 shown]
	v_cndmask_b32_e32 v58, v13, v32, vcc
.LBB101_30:                             ;   in Loop: Header=BB101_12 Depth=1
	s_or_b64 exec, exec, s[28:29]
	v_cvt_f32_f16_e32 v13, v17
	v_add_f32_e32 v19, s33, v13
	v_cmp_ge_f32_e32 vcc, s83, v19
	s_and_b64 s[26:27], s[60:61], vcc
	s_and_saveexec_b64 s[28:29], s[26:27]
	s_cbranch_execz .LBB101_32
; %bb.31:                               ;   in Loop: Header=BB101_12 Depth=1
	v_mul_f32_e32 v13, 0x3fb8aa3b, v19
	v_rndne_f32_e32 v16, v13
	v_sub_f32_e32 v18, v13, v16
	v_fma_f32 v13, v19, s84, -v13
	v_fmac_f32_e32 v13, 0x32a5705f, v19
	v_add_f32_e32 v13, v18, v13
	v_cvt_i32_f32_e32 v16, v16
	v_exp_f32_e32 v13, v13
	v_cmp_ngt_f32_e32 vcc, s85, v19
	v_ldexp_f32 v13, v13, v16
	s_nop 0
	v_cndmask_b32_e32 v13, 0, v13, vcc
	v_cmp_nlt_f32_e32 vcc, s86, v19
	s_nop 1
	v_cndmask_b32_e32 v32, v54, v13, vcc
	v_add_f32_e32 v13, 1.0, v32
	v_add_f32_e32 v16, -1.0, v13
	v_sub_f32_e32 v18, v16, v13
	v_add_f32_e32 v18, 1.0, v18
	v_sub_f32_e32 v16, v32, v16
	v_add_f32_e32 v16, v16, v18
	v_frexp_mant_f32_e32 v20, v13
	v_cvt_f64_f32_e32 v[18:19], v13
	v_frexp_exp_i32_f64_e32 v18, v[18:19]
	v_cmp_gt_f32_e32 vcc, s88, v20
	v_cmp_gt_f32_e64 s[26:27], s90, v32
	s_nop 0
	v_subbrev_co_u32_e32 v26, vcc, 0, v18, vcc
	v_sub_u32_e32 v18, 0, v26
	v_ldexp_f32 v13, v13, v18
	v_ldexp_f32 v16, v16, v18
	v_add_f32_e32 v18, -1.0, v13
	v_add_f32_e32 v19, 1.0, v18
	v_sub_f32_e32 v19, v13, v19
	v_add_f32_e32 v20, v16, v19
	v_add_f32_e32 v19, 1.0, v13
	v_add_f32_e32 v21, -1.0, v19
	v_sub_f32_e32 v13, v13, v21
	v_add_f32_e32 v13, v16, v13
	v_add_f32_e32 v16, v19, v13
	v_rcp_f32_e32 v27, v16
	v_sub_f32_e32 v19, v19, v16
	v_add_f32_e32 v13, v13, v19
	v_add_f32_e32 v19, v18, v20
	v_sub_f32_e32 v18, v18, v19
	v_mul_f32_e32 v29, v19, v27
	v_add_f32_e32 v28, v20, v18
	v_mul_f32_e32 v20, v16, v29
	v_fma_f32 v22, v29, v16, -v20
	v_fmac_f32_e32 v22, v29, v13
	v_add_f32_e32 v18, v20, v22
	v_sub_f32_e32 v21, v19, v18
	v_pk_add_f32 v[24:25], v[18:19], v[20:21] neg_lo:[0,1] neg_hi:[0,1]
	v_mov_b32_e32 v23, v18
	v_pk_add_f32 v[18:19], v[24:25], v[22:23] neg_lo:[0,1] neg_hi:[0,1]
	v_cmp_eq_f32_e32 vcc, s87, v32
	v_add_f32_e32 v19, v28, v19
	v_add_f32_e32 v18, v18, v19
	;; [unrolled: 1-line block ×3, first 2 shown]
	v_mul_f32_e32 v28, v27, v19
	v_mul_f32_e32 v20, v16, v28
	v_fma_f32 v22, v28, v16, -v20
	v_fmac_f32_e32 v22, v28, v13
	v_sub_f32_e32 v13, v21, v19
	v_add_f32_e32 v13, v18, v13
	v_add_f32_e32 v18, v20, v22
	v_sub_f32_e32 v21, v19, v18
	v_pk_add_f32 v[24:25], v[18:19], v[20:21] neg_lo:[0,1] neg_hi:[0,1]
	v_mov_b32_e32 v23, v18
	v_pk_add_f32 v[18:19], v[24:25], v[22:23] neg_lo:[0,1] neg_hi:[0,1]
	v_add_f32_e32 v16, v29, v28
	v_add_f32_e32 v13, v13, v19
	;; [unrolled: 1-line block ×4, first 2 shown]
	v_sub_f32_e32 v18, v16, v29
	v_mul_f32_e32 v13, v27, v13
	v_sub_f32_e32 v18, v28, v18
	v_add_f32_e32 v19, v18, v13
	v_add_f32_e32 v20, v16, v19
	v_cvt_f32_i32_e32 v18, v26
	v_mul_f32_e32 v22, v20, v20
	v_fmamk_f32 v13, v22, 0x3e9b6dac, v53
	v_sub_f32_e32 v16, v20, v16
	v_fmaak_f32 v13, v22, v13, 0x3f2aaada
	v_sub_f32_e32 v16, v19, v16
	v_mul_f32_e32 v19, v20, v22
	v_pk_mul_f32 v[22:23], v[18:19], v[12:13]
	v_ldexp_f32 v21, v20, 1
	v_fma_f32 v20, v18, s89, -v22
	v_fmac_f32_e32 v20, 0xb102e308, v18
	v_pk_add_f32 v[18:19], v[22:23], v[20:21]
	v_ldexp_f32 v16, v16, 1
	v_sub_f32_e32 v13, v19, v21
	v_sub_f32_e32 v13, v23, v13
	v_add_f32_e32 v25, v16, v13
	v_mov_b32_e32 v24, v22
	v_pk_add_f32 v[22:23], v[18:19], v[22:23] neg_lo:[0,1] neg_hi:[0,1]
	v_pk_add_f32 v[26:27], v[18:19], v[24:25]
	v_mov_b32_e32 v21, v18
	v_mov_b32_e32 v23, v27
	v_pk_add_f32 v[28:29], v[20:21], v[22:23] neg_lo:[0,1] neg_hi:[0,1]
	v_pk_add_f32 v[20:21], v[20:21], v[22:23]
	s_or_b64 vcc, s[26:27], vcc
	v_mov_b32_e32 v16, v21
	v_pk_add_f32 v[22:23], v[16:17], v[18:19] neg_lo:[0,1] neg_hi:[0,1]
	v_mov_b32_e32 v20, v27
	v_mov_b32_e32 v13, v22
	v_pk_add_f32 v[30:31], v[26:27], v[12:13] neg_lo:[0,1] neg_hi:[0,1]
	v_mov_b32_e32 v26, v19
	v_mov_b32_e32 v27, v22
	;; [unrolled: 1-line block ×3, first 2 shown]
	v_pk_add_f32 v[20:21], v[20:21], v[26:27] neg_lo:[0,1] neg_hi:[0,1]
	v_mov_b32_e32 v22, v25
	v_mov_b32_e32 v23, v18
	v_pk_add_f32 v[18:19], v[22:23], v[20:21] neg_lo:[0,1] neg_hi:[0,1]
	v_mov_b32_e32 v30, v28
	v_pk_add_f32 v[20:21], v[30:31], v[18:19]
	s_nop 0
	v_mov_b32_e32 v22, v21
	v_pk_add_f32 v[22:23], v[20:21], v[22:23]
	s_nop 0
	v_pk_add_f32 v[24:25], v[16:17], v[22:23]
	v_mov_b32_e32 v19, v22
	v_mov_b32_e32 v21, v24
	v_pk_add_f32 v[26:27], v[20:21], v[28:29] neg_lo:[0,1] neg_hi:[0,1]
	s_nop 0
	v_sub_f32_e32 v13, v20, v26
	v_pk_add_f32 v[18:19], v[18:19], v[26:27] neg_lo:[0,1] neg_hi:[0,1]
	v_sub_f32_e32 v13, v28, v13
	v_add_f32_e32 v13, v18, v13
	v_add_f32_e32 v13, v13, v19
	;; [unrolled: 1-line block ×3, first 2 shown]
	v_cndmask_b32_e32 v19, v13, v32, vcc
.LBB101_32:                             ;   in Loop: Header=BB101_12 Depth=1
	s_or_b64 exec, exec, s[28:29]
	v_cvt_f32_f16_sdwa v13, v17 dst_sel:DWORD dst_unused:UNUSED_PAD src0_sel:WORD_1
	v_add_f32_e32 v18, s33, v13
	v_cmp_ge_f32_e32 vcc, s83, v18
	s_and_b64 s[26:27], s[60:61], vcc
	s_and_saveexec_b64 s[28:29], s[26:27]
	s_cbranch_execz .LBB101_34
; %bb.33:                               ;   in Loop: Header=BB101_12 Depth=1
	v_mul_f32_e32 v13, 0x3fb8aa3b, v18
	v_rndne_f32_e32 v16, v13
	v_sub_f32_e32 v17, v13, v16
	v_fma_f32 v13, v18, s84, -v13
	v_fmac_f32_e32 v13, 0x32a5705f, v18
	v_add_f32_e32 v13, v17, v13
	v_cvt_i32_f32_e32 v16, v16
	v_exp_f32_e32 v13, v13
	v_cmp_ngt_f32_e32 vcc, s85, v18
	v_ldexp_f32 v13, v13, v16
	s_nop 0
	v_cndmask_b32_e32 v13, 0, v13, vcc
	v_cmp_nlt_f32_e32 vcc, s86, v18
	s_nop 1
	v_cndmask_b32_e32 v32, v54, v13, vcc
	v_add_f32_e32 v13, 1.0, v32
	v_add_f32_e32 v16, -1.0, v13
	v_sub_f32_e32 v17, v16, v13
	v_add_f32_e32 v17, 1.0, v17
	v_sub_f32_e32 v16, v32, v16
	v_add_f32_e32 v18, v16, v17
	v_frexp_mant_f32_e32 v20, v13
	v_cvt_f64_f32_e32 v[16:17], v13
	v_frexp_exp_i32_f64_e32 v16, v[16:17]
	v_cmp_gt_f32_e32 vcc, s88, v20
	v_cmp_gt_f32_e64 s[26:27], s90, v32
	s_nop 0
	v_subbrev_co_u32_e32 v26, vcc, 0, v16, vcc
	v_sub_u32_e32 v16, 0, v26
	v_ldexp_f32 v13, v13, v16
	v_ldexp_f32 v16, v18, v16
	v_add_f32_e32 v18, -1.0, v13
	v_add_f32_e32 v17, 1.0, v18
	v_sub_f32_e32 v17, v13, v17
	v_add_f32_e32 v20, v16, v17
	v_add_f32_e32 v17, 1.0, v13
	v_add_f32_e32 v21, -1.0, v17
	v_sub_f32_e32 v13, v13, v21
	v_add_f32_e32 v13, v16, v13
	v_add_f32_e32 v27, v17, v13
	v_rcp_f32_e32 v28, v27
	v_sub_f32_e32 v16, v17, v27
	v_add_f32_e32 v17, v18, v20
	v_add_f32_e32 v13, v13, v16
	v_sub_f32_e32 v16, v18, v17
	v_mul_f32_e32 v29, v17, v28
	v_add_f32_e32 v18, v20, v16
	v_mul_f32_e32 v20, v27, v29
	v_fma_f32 v22, v29, v27, -v20
	v_fmac_f32_e32 v22, v29, v13
	v_add_f32_e32 v16, v20, v22
	v_sub_f32_e32 v21, v17, v16
	v_pk_add_f32 v[24:25], v[16:17], v[20:21] neg_lo:[0,1] neg_hi:[0,1]
	v_mov_b32_e32 v23, v16
	v_pk_add_f32 v[16:17], v[24:25], v[22:23] neg_lo:[0,1] neg_hi:[0,1]
	v_cmp_eq_f32_e32 vcc, s87, v32
	v_add_f32_e32 v17, v18, v17
	v_add_f32_e32 v16, v16, v17
	;; [unrolled: 1-line block ×3, first 2 shown]
	v_mul_f32_e32 v18, v28, v17
	v_mul_f32_e32 v20, v27, v18
	v_fma_f32 v22, v18, v27, -v20
	v_fmac_f32_e32 v22, v18, v13
	v_sub_f32_e32 v13, v21, v17
	v_add_f32_e32 v13, v16, v13
	v_add_f32_e32 v16, v20, v22
	v_sub_f32_e32 v21, v17, v16
	v_pk_add_f32 v[24:25], v[16:17], v[20:21] neg_lo:[0,1] neg_hi:[0,1]
	v_mov_b32_e32 v23, v16
	v_pk_add_f32 v[16:17], v[24:25], v[22:23] neg_lo:[0,1] neg_hi:[0,1]
	s_or_b64 vcc, s[26:27], vcc
	v_add_f32_e32 v13, v13, v17
	v_add_f32_e32 v13, v16, v13
	;; [unrolled: 1-line block ×4, first 2 shown]
	v_sub_f32_e32 v16, v17, v29
	v_mul_f32_e32 v13, v28, v13
	v_sub_f32_e32 v16, v18, v16
	v_add_f32_e32 v18, v16, v13
	v_add_f32_e32 v20, v17, v18
	v_cvt_f32_i32_e32 v16, v26
	v_mul_f32_e32 v22, v20, v20
	v_sub_f32_e32 v17, v20, v17
	v_fmamk_f32 v13, v22, 0x3e9b6dac, v53
	v_sub_f32_e32 v17, v18, v17
	v_fmaak_f32 v13, v22, v13, 0x3f2aaada
	v_ldexp_f32 v18, v17, 1
	v_mul_f32_e32 v17, v20, v22
	v_pk_mul_f32 v[22:23], v[16:17], v[12:13]
	v_ldexp_f32 v21, v20, 1
	v_fma_f32 v20, v16, s89, -v22
	v_fmac_f32_e32 v20, 0xb102e308, v16
	v_pk_add_f32 v[16:17], v[22:23], v[20:21]
	v_mov_b32_e32 v24, v22
	v_sub_f32_e32 v13, v17, v21
	v_sub_f32_e32 v13, v23, v13
	v_add_f32_e32 v25, v18, v13
	v_pk_add_f32 v[22:23], v[16:17], v[22:23] neg_lo:[0,1] neg_hi:[0,1]
	v_pk_add_f32 v[26:27], v[16:17], v[24:25]
	v_mov_b32_e32 v21, v16
	v_mov_b32_e32 v23, v27
	v_pk_add_f32 v[28:29], v[20:21], v[22:23] neg_lo:[0,1] neg_hi:[0,1]
	v_pk_add_f32 v[20:21], v[20:21], v[22:23]
	s_nop 0
	v_mov_b32_e32 v18, v21
	v_pk_add_f32 v[22:23], v[18:19], v[16:17] neg_lo:[0,1] neg_hi:[0,1]
	v_mov_b32_e32 v20, v27
	v_mov_b32_e32 v13, v22
	v_pk_add_f32 v[30:31], v[26:27], v[12:13] neg_lo:[0,1] neg_hi:[0,1]
	v_mov_b32_e32 v26, v17
	v_mov_b32_e32 v27, v22
	;; [unrolled: 1-line block ×3, first 2 shown]
	v_pk_add_f32 v[20:21], v[20:21], v[26:27] neg_lo:[0,1] neg_hi:[0,1]
	v_mov_b32_e32 v22, v25
	v_mov_b32_e32 v23, v16
	v_pk_add_f32 v[16:17], v[22:23], v[20:21] neg_lo:[0,1] neg_hi:[0,1]
	v_mov_b32_e32 v30, v28
	v_pk_add_f32 v[20:21], v[30:31], v[16:17]
	s_nop 0
	v_mov_b32_e32 v22, v21
	v_pk_add_f32 v[22:23], v[20:21], v[22:23]
	s_nop 0
	v_pk_add_f32 v[24:25], v[18:19], v[22:23]
	v_mov_b32_e32 v17, v22
	v_mov_b32_e32 v21, v24
	v_pk_add_f32 v[26:27], v[20:21], v[28:29] neg_lo:[0,1] neg_hi:[0,1]
	s_nop 0
	v_sub_f32_e32 v13, v20, v26
	v_pk_add_f32 v[16:17], v[16:17], v[26:27] neg_lo:[0,1] neg_hi:[0,1]
	v_sub_f32_e32 v13, v28, v13
	v_add_f32_e32 v13, v16, v13
	v_add_f32_e32 v13, v13, v17
	;; [unrolled: 1-line block ×3, first 2 shown]
	v_cndmask_b32_e32 v18, v13, v32, vcc
.LBB101_34:                             ;   in Loop: Header=BB101_12 Depth=1
	s_or_b64 exec, exec, s[28:29]
	v_cvt_f32_f16_e32 v24, v15
	v_cvt_f32_f16_sdwa v25, v14 dst_sel:DWORD dst_unused:UNUSED_PAD src0_sel:WORD_1
	v_cvt_f32_f16_e32 v26, v14
	v_cvt_f32_f16_sdwa v13, v15 dst_sel:DWORD dst_unused:UNUSED_PAD src0_sel:WORD_1
	v_mul_f32_e32 v14, s78, v24
	v_mul_f32_e32 v17, s78, v25
	;; [unrolled: 1-line block ×4, first 2 shown]
	s_and_b64 vcc, exec, s[62:63]
	s_waitcnt lgkmcnt(0)
	; wave barrier
	s_cbranch_vccz .LBB101_76
; %bb.35:                               ;   in Loop: Header=BB101_12 Depth=1
	s_cmp_lg_u32 s97, 0
	s_cselect_b64 s[66:67], -1, 0
	s_cmp_eq_u32 s97, s82
	v_cmp_gt_u32_e32 vcc, s34, v11
	s_cselect_b64 s[68:69], -1, 0
	s_or_b64 s[26:27], s[54:55], vcc
	v_cmp_gt_u32_e32 vcc, s34, v10
	s_mov_b32 s58, 0
	v_cmp_gt_u32_e64 s[28:29], s34, v3
	s_or_b64 s[30:31], s[54:55], vcc
	v_cmp_gt_u32_e32 vcc, s34, v52
	v_mul_f32_e32 v13, v18, v13
	v_lshl_add_u64 v[20:21], s[42:43], 0, v[0:1]
	v_lshl_add_u64 v[22:23], s[46:47], 0, v[0:1]
	v_mul_f32_e32 v59, v19, v24
	v_mul_f32_e32 v60, v58, v25
	;; [unrolled: 1-line block ×3, first 2 shown]
	s_or_b64 s[28:29], s[54:55], s[28:29]
	s_or_b64 s[34:35], s[54:55], vcc
	s_mov_b32 s70, s58
	s_mov_b32 s72, s58
	s_mov_b32 s74, s58
	s_mov_b32 s65, s57
	s_mov_b32 s98, s91
	s_branch .LBB101_37
.LBB101_36:                             ;   in Loop: Header=BB101_37 Depth=2
	s_or_b64 exec, exec, s[36:37]
	v_mul_f32_e32 v26, v33, v32
	v_fma_f32 v27, v33, v35, v28
	v_cndmask_b32_e64 v28, v27, v28, s[16:17]
	v_cndmask_b32_e64 v26, v26, v33, s[16:17]
	s_waitcnt lgkmcnt(0)
	v_fmac_f32_e32 v28, v38, v26
	v_fmac_f32_e32 v29, v28, v31
	v_cvt_f32_f16_sdwa v27, v25 dst_sel:DWORD dst_unused:UNUSED_PAD src0_sel:WORD_1
	v_cvt_f32_f16_e32 v26, v25
	v_cvt_f32_f16_sdwa v25, v24 dst_sel:DWORD dst_unused:UNUSED_PAD src0_sel:WORD_1
	v_cvt_f32_f16_e32 v24, v24
	v_fmac_f32_e32 v30, v29, v37
	v_fmac_f32_e32 v34, v30, v36
	v_mov_b32_e32 v31, v34
	s_add_i32 s98, s98, 8
	s_add_i32 s65, s65, -1
	s_add_i32 s74, s74, s79
	s_add_i32 s72, s72, s48
	;; [unrolled: 1-line block ×4, first 2 shown]
	v_pk_fma_f32 v[14:15], v[30:31], v[26:27], v[14:15]
	s_cmp_eq_u32 s65, 0
	v_pk_fma_f32 v[16:17], v[28:29], v[24:25], v[16:17]
	s_cbranch_scc1 .LBB101_76
.LBB101_37:                             ;   Parent Loop BB101_12 Depth=1
                                        ; =>  This Inner Loop Header: Depth=2
	s_lshl_b64 s[36:37], s[58:59], 2
	s_add_u32 s36, s40, s36
	s_addc_u32 s37, s80, s37
	global_load_dword v30, v1, s[36:37]
	s_mov_b32 s71, s59
	v_lshl_add_u64 v[24:25], s[70:71], 1, v[20:21]
	v_mov_b32_e32 v26, 0
	v_mov_b32_e32 v27, 0
	s_and_saveexec_b64 s[36:37], s[18:19]
	s_cbranch_execnz .LBB101_49
; %bb.38:                               ;   in Loop: Header=BB101_37 Depth=2
	s_or_b64 exec, exec, s[36:37]
	s_and_saveexec_b64 s[36:37], s[20:21]
	s_cbranch_execnz .LBB101_50
.LBB101_39:                             ;   in Loop: Header=BB101_37 Depth=2
	s_or_b64 exec, exec, s[36:37]
	v_mov_b32_e32 v28, 0
	s_and_saveexec_b64 s[36:37], s[22:23]
	s_cbranch_execnz .LBB101_51
.LBB101_40:                             ;   in Loop: Header=BB101_37 Depth=2
	s_or_b64 exec, exec, s[36:37]
	s_and_saveexec_b64 s[36:37], s[24:25]
	s_cbranch_execz .LBB101_42
.LBB101_41:                             ;   in Loop: Header=BB101_37 Depth=2
	global_load_ushort v24, v[24:25], off offset:384
	s_waitcnt vmcnt(0)
	v_lshl_or_b32 v28, v24, 16, v28
.LBB101_42:                             ;   in Loop: Header=BB101_37 Depth=2
	s_or_b64 exec, exec, s[36:37]
	s_waitcnt vmcnt(0)
	ds_write_b16 v43, v27
	ds_write_b16 v44, v26 offset:128
	ds_write_b16 v45, v28 offset:256
	ds_write_b16_d16_hi v46, v28 offset:384
	; wave barrier
	ds_read_b64 v[28:29], v47
	s_mov_b32 s73, s59
	v_lshl_add_u64 v[24:25], s[72:73], 1, v[22:23]
	v_mov_b32_e32 v26, 0
	v_mov_b32_e32 v27, 0
	s_and_saveexec_b64 s[36:37], s[18:19]
	s_cbranch_execnz .LBB101_52
; %bb.43:                               ;   in Loop: Header=BB101_37 Depth=2
	s_or_b64 exec, exec, s[36:37]
	s_and_saveexec_b64 s[36:37], s[20:21]
	s_cbranch_execnz .LBB101_53
.LBB101_44:                             ;   in Loop: Header=BB101_37 Depth=2
	s_or_b64 exec, exec, s[36:37]
	v_mov_b32_e32 v31, 0
	s_and_saveexec_b64 s[36:37], s[22:23]
	s_cbranch_execnz .LBB101_54
.LBB101_45:                             ;   in Loop: Header=BB101_37 Depth=2
	s_or_b64 exec, exec, s[36:37]
	s_and_saveexec_b64 s[36:37], s[24:25]
	s_cbranch_execz .LBB101_47
.LBB101_46:                             ;   in Loop: Header=BB101_37 Depth=2
	global_load_ushort v24, v[24:25], off offset:384
	s_waitcnt vmcnt(0)
	v_lshl_or_b32 v31, v24, 16, v31
.LBB101_47:                             ;   in Loop: Header=BB101_37 Depth=2
	s_or_b64 exec, exec, s[36:37]
	s_waitcnt vmcnt(0)
	ds_write_b16 v43, v27 offset:528
	ds_write_b16 v48, v26 offset:128
	;; [unrolled: 1-line block ×3, first 2 shown]
	ds_write_b16_d16_hi v50, v31 offset:384
	; wave barrier
	ds_read_b64 v[24:25], v47 offset:528
	s_andn2_b64 vcc, exec, s[66:67]
	s_cbranch_vccnz .LBB101_55
; %bb.48:                               ;   in Loop: Header=BB101_37 Depth=2
	v_mov_b32_e32 v26, s98
	ds_read_b64 v[26:27], v26
	s_cbranch_execz .LBB101_56
	s_branch .LBB101_59
.LBB101_49:                             ;   in Loop: Header=BB101_37 Depth=2
	global_load_ushort v27, v[24:25], off
	s_or_b64 exec, exec, s[36:37]
	s_and_saveexec_b64 s[36:37], s[20:21]
	s_cbranch_execz .LBB101_39
.LBB101_50:                             ;   in Loop: Header=BB101_37 Depth=2
	global_load_ushort v26, v[24:25], off offset:128
	s_or_b64 exec, exec, s[36:37]
	v_mov_b32_e32 v28, 0
	s_and_saveexec_b64 s[36:37], s[22:23]
	s_cbranch_execz .LBB101_40
.LBB101_51:                             ;   in Loop: Header=BB101_37 Depth=2
	global_load_ushort v28, v[24:25], off offset:256
	s_or_b64 exec, exec, s[36:37]
	s_and_saveexec_b64 s[36:37], s[24:25]
	s_cbranch_execnz .LBB101_41
	s_branch .LBB101_42
.LBB101_52:                             ;   in Loop: Header=BB101_37 Depth=2
	global_load_ushort v27, v[24:25], off
	s_or_b64 exec, exec, s[36:37]
	s_and_saveexec_b64 s[36:37], s[20:21]
	s_cbranch_execz .LBB101_44
.LBB101_53:                             ;   in Loop: Header=BB101_37 Depth=2
	global_load_ushort v26, v[24:25], off offset:128
	s_or_b64 exec, exec, s[36:37]
	v_mov_b32_e32 v31, 0
	s_and_saveexec_b64 s[36:37], s[22:23]
	s_cbranch_execz .LBB101_45
.LBB101_54:                             ;   in Loop: Header=BB101_37 Depth=2
	global_load_ushort v31, v[24:25], off offset:256
	s_or_b64 exec, exec, s[36:37]
	s_and_saveexec_b64 s[36:37], s[24:25]
	s_cbranch_execnz .LBB101_46
	s_branch .LBB101_47
.LBB101_55:                             ;   in Loop: Header=BB101_37 Depth=2
                                        ; implicit-def: $vgpr27
.LBB101_56:                             ;   in Loop: Header=BB101_37 Depth=2
	s_andn2_b64 vcc, exec, s[38:39]
	s_waitcnt lgkmcnt(0)
	v_mov_b32_e32 v27, 0
	s_cbranch_vccnz .LBB101_58
; %bb.57:                               ;   in Loop: Header=BB101_37 Depth=2
	s_mov_b32 s75, s59
	s_lshl_b64 s[36:37], s[74:75], 2
	s_add_u32 s36, s45, s36
	s_addc_u32 s37, s49, s37
	global_load_dword v27, v1, s[36:37]
.LBB101_58:                             ;   in Loop: Header=BB101_37 Depth=2
	v_mov_b32_e32 v26, 1.0
.LBB101_59:                             ;   in Loop: Header=BB101_37 Depth=2
	v_mul_f32_e32 v30, 0x3fb8aa3b, v30
	s_waitcnt lgkmcnt(5)
	v_cvt_f32_f16_e32 v31, v28
	v_cvt_f32_f16_sdwa v32, v28 dst_sel:DWORD dst_unused:UNUSED_PAD src0_sel:WORD_1
	v_mul_f32_e32 v28, v30, v57
	v_cmp_gt_f32_e32 vcc, s92, v28
	v_cvt_f32_f16_e32 v36, v29
	v_cvt_f32_f16_sdwa v37, v29 dst_sel:DWORD dst_unused:UNUSED_PAD src0_sel:WORD_1
	v_cndmask_b32_e32 v28, 0, v55, vcc
	v_fmac_f32_e32 v28, v30, v57
	v_exp_f32_e32 v28, v28
	v_cndmask_b32_e32 v29, 1.0, v56, vcc
	v_mul_f32_e32 v29, v28, v29
	v_mul_f32_e32 v28, v61, v31
	;; [unrolled: 1-line block ×3, first 2 shown]
	v_cmp_gt_f32_e32 vcc, s92, v31
	v_cndmask_b32_e64 v33, 1.0, v29, s[26:27]
	v_cndmask_b32_e64 v28, 0, v28, s[26:27]
	v_cndmask_b32_e32 v31, 0, v55, vcc
	v_fmac_f32_e32 v31, v30, v58
	v_exp_f32_e32 v31, v31
	v_cndmask_b32_e32 v29, 1.0, v56, vcc
	v_mul_f32_e32 v31, v31, v29
	v_pk_mul_f32 v[34:35], v[30:31], v[18:19] op_sel_hi:[0,1]
	v_cmp_gt_f32_e32 vcc, s92, v34
	v_mul_f32_e32 v29, v60, v32
	v_cmp_gt_f32_e64 s[36:37], s92, v35
	v_cndmask_b32_e32 v32, 0, v55, vcc
	v_add_f32_e32 v32, v34, v32
	v_cndmask_b32_e64 v34, 0, v55, s[36:37]
	v_exp_f32_e32 v32, v32
	v_add_f32_e32 v34, v35, v34
	v_exp_f32_e32 v34, v34
	v_cndmask_b32_e32 v35, 1.0, v56, vcc
	v_mul_f32_e32 v32, v32, v35
	v_cndmask_b32_e64 v35, 1.0, v56, s[36:37]
	v_cndmask_b32_e64 v29, 0, v29, s[28:29]
	v_cndmask_b32_e64 v31, 1.0, v31, s[28:29]
	v_mul_f32_e32 v35, v34, v35
	v_mul_f32_e32 v30, v59, v36
	;; [unrolled: 1-line block ×3, first 2 shown]
	v_cndmask_b32_e64 v37, 1.0, v35, s[30:31]
	v_cndmask_b32_e64 v36, 1.0, v32, s[34:35]
	v_fma_f32 v32, v31, v28, v29
	v_cndmask_b32_e64 v30, 0, v30, s[30:31]
	v_mul_f32_e32 v32, v32, v37
	v_pk_add_f32 v[38:39], v[32:33], v[30:31]
	v_pk_mul_f32 v[62:63], v[32:33], v[30:31]
	v_cndmask_b32_e64 v34, 0, v34, s[34:35]
	v_mov_b32_e32 v39, v63
	v_pk_mul_f32 v[62:63], v[38:39], v[36:37]
	v_mov_b32_e32 v35, v36
	v_pk_fma_f32 v[64:65], v[38:39], v[36:37], v[34:35]
	v_pk_mul_f32 v[62:63], v[62:63], v[34:35]
	s_nop 0
	v_mov_b32_dpp v35, v64 row_shr:1 row_mask:0xf bank_mask:0xf
	v_mov_b32_dpp v32, v63 row_shr:1 row_mask:0xf bank_mask:0xf
	v_mul_f32_e32 v62, v63, v32
	v_fma_f32 v32, v63, v35, v64
	v_cndmask_b32_e64 v39, v32, v64, s[0:1]
	v_cndmask_b32_e64 v32, v32, v64, s[0:1]
	;; [unrolled: 1-line block ×4, first 2 shown]
	v_mov_b32_dpp v63, v32 row_shr:2 row_mask:0xf bank_mask:0xf
	v_mov_b32_dpp v62, v35 row_shr:2 row_mask:0xf bank_mask:0xf
	s_and_saveexec_b64 s[36:37], s[2:3]
; %bb.60:                               ;   in Loop: Header=BB101_37 Depth=2
	v_fmac_f32_e32 v32, v35, v63
	v_mul_f32_e32 v35, v35, v62
	v_mov_b32_e32 v38, v35
	v_mov_b32_e32 v39, v32
; %bb.61:                               ;   in Loop: Header=BB101_37 Depth=2
	s_or_b64 exec, exec, s[36:37]
	v_mov_b32_dpp v62, v35 row_shr:4 row_mask:0xf bank_mask:0xf
	v_mov_b32_dpp v63, v32 row_shr:4 row_mask:0xf bank_mask:0xf
	s_and_saveexec_b64 s[36:37], s[4:5]
; %bb.62:                               ;   in Loop: Header=BB101_37 Depth=2
	v_fmac_f32_e32 v32, v35, v63
	v_mul_f32_e32 v35, v35, v62
	v_mov_b32_e32 v38, v35
	v_mov_b32_e32 v39, v32
; %bb.63:                               ;   in Loop: Header=BB101_37 Depth=2
	s_or_b64 exec, exec, s[36:37]
	v_mov_b32_dpp v62, v35 row_shr:8 row_mask:0xf bank_mask:0xf
	v_mov_b32_dpp v63, v32 row_shr:8 row_mask:0xf bank_mask:0xf
	s_and_saveexec_b64 s[36:37], s[6:7]
; %bb.64:                               ;   in Loop: Header=BB101_37 Depth=2
	v_fmac_f32_e32 v32, v35, v63
	v_mul_f32_e32 v35, v35, v62
	v_mov_b32_e32 v38, v35
	v_mov_b32_e32 v39, v32
; %bb.65:                               ;   in Loop: Header=BB101_37 Depth=2
	s_or_b64 exec, exec, s[36:37]
	v_mov_b32_dpp v62, v35 row_bcast:15 row_mask:0xf bank_mask:0xf
	v_mov_b32_dpp v63, v32 row_bcast:15 row_mask:0xf bank_mask:0xf
	s_and_saveexec_b64 s[36:37], s[8:9]
; %bb.66:                               ;   in Loop: Header=BB101_37 Depth=2
	v_fmac_f32_e32 v32, v35, v63
	v_mul_f32_e32 v35, v35, v62
	v_mov_b32_e32 v38, v35
	v_mov_b32_e32 v39, v32
; %bb.67:                               ;   in Loop: Header=BB101_37 Depth=2
	s_or_b64 exec, exec, s[36:37]
	v_mov_b32_dpp v62, v35 row_bcast:31 row_mask:0xf bank_mask:0xf
	v_mov_b32_dpp v63, v32 row_bcast:31 row_mask:0xf bank_mask:0xf
	v_mul_f32_e32 v62, v35, v62
	v_fmac_f32_e32 v32, v35, v63
	v_cndmask_b32_e64 v38, v38, v62, s[10:11]
	v_cndmask_b32_e64 v39, v39, v32, s[10:11]
	s_and_saveexec_b64 s[36:37], s[12:13]
	s_cbranch_execz .LBB101_69
; %bb.68:                               ;   in Loop: Header=BB101_37 Depth=2
	ds_write_b64 v1, v[38:39] offset:1056
.LBB101_69:                             ;   in Loop: Header=BB101_37 Depth=2
	s_or_b64 exec, exec, s[36:37]
	ds_bpermute_b32 v32, v51, v38
	ds_bpermute_b32 v35, v51, v39
	s_waitcnt vmcnt(0) lgkmcnt(2)
	v_mov_b32_e32 v39, v27
	s_waitcnt lgkmcnt(0)
	; wave barrier
	s_waitcnt lgkmcnt(0)
	s_and_saveexec_b64 s[36:37], s[14:15]
	s_cbranch_execz .LBB101_73
; %bb.70:                               ;   in Loop: Header=BB101_37 Depth=2
	ds_read_b64 v[38:39], v1 offset:1056
	s_and_saveexec_b64 s[76:77], s[16:17]
	s_cbranch_execz .LBB101_72
; %bb.71:                               ;   in Loop: Header=BB101_37 Depth=2
	ds_write_b64 v1, v[26:27] offset:1056
.LBB101_72:                             ;   in Loop: Header=BB101_37 Depth=2
	s_or_b64 exec, exec, s[76:77]
	s_waitcnt lgkmcnt(0)
	v_fmac_f32_e32 v39, v27, v38
	v_mul_f32_e32 v26, v26, v38
	v_mov_b32_e32 v27, v39
.LBB101_73:                             ;   in Loop: Header=BB101_37 Depth=2
	s_or_b64 exec, exec, s[36:37]
	s_waitcnt lgkmcnt(0)
	; wave barrier
	ds_read_b32 v38, v1 offset:1060
	s_and_saveexec_b64 s[36:37], s[16:17]
	s_cbranch_execz .LBB101_36
; %bb.74:                               ;   in Loop: Header=BB101_37 Depth=2
	v_mov_b32_e32 v62, s98
	s_andn2_b64 vcc, exec, s[68:69]
	ds_write_b64 v62, v[26:27]
	s_cbranch_vccnz .LBB101_36
; %bb.75:                               ;   in Loop: Header=BB101_37 Depth=2
	s_mov_b32 s75, s59
	s_lshl_b64 s[76:77], s[74:75], 2
	s_add_u32 s76, s45, s76
	s_addc_u32 s77, s49, s77
	global_store_dword v1, v39, s[76:77]
	s_branch .LBB101_36
.LBB101_76:                             ;   in Loop: Header=BB101_12 Depth=1
	v_cvt_f16_f32_e32 v13, v16
	v_cvt_f16_f32_e32 v18, v14
	;; [unrolled: 1-line block ×4, first 2 shown]
	s_waitcnt lgkmcnt(0)
	; wave barrier
	v_pack_b32_f16 v19, v18, v19
	v_pack_b32_f16 v18, v13, v20
	ds_write_b64 v47, v[18:19]
	; wave barrier
	ds_read_u16 v21, v44 offset:128
	ds_read_u16 v20, v45 offset:256
	;; [unrolled: 1-line block ×3, first 2 shown]
	s_mov_b32 s65, s59
	v_lshl_add_u64 v[18:19], s[64:65], 1, v[4:5]
	s_and_saveexec_b64 s[26:27], s[18:19]
	s_cbranch_execnz .LBB101_95
; %bb.77:                               ;   in Loop: Header=BB101_12 Depth=1
	s_or_b64 exec, exec, s[26:27]
	s_and_saveexec_b64 s[26:27], s[20:21]
	s_cbranch_execnz .LBB101_96
.LBB101_78:                             ;   in Loop: Header=BB101_12 Depth=1
	s_or_b64 exec, exec, s[26:27]
	s_and_saveexec_b64 s[26:27], s[22:23]
	s_cbranch_execnz .LBB101_97
.LBB101_79:                             ;   in Loop: Header=BB101_12 Depth=1
	s_or_b64 exec, exec, s[26:27]
	s_and_saveexec_b64 s[26:27], s[24:25]
	s_cbranch_execz .LBB101_81
.LBB101_80:                             ;   in Loop: Header=BB101_12 Depth=1
	s_waitcnt lgkmcnt(0)
	global_store_short v[18:19], v13, off offset:384
.LBB101_81:                             ;   in Loop: Header=BB101_12 Depth=1
	s_or_b64 exec, exec, s[26:27]
	v_lshl_add_u64 v[18:19], s[64:65], 1, v[6:7]
	s_waitcnt lgkmcnt(0)
	v_mov_b32_e32 v13, 0
	v_mov_b32_e32 v20, 0
	s_waitcnt lgkmcnt(0)
	; wave barrier
	s_and_saveexec_b64 s[26:27], s[18:19]
	s_cbranch_execz .LBB101_83
; %bb.82:                               ;   in Loop: Header=BB101_12 Depth=1
	global_load_ushort v20, v[18:19], off
.LBB101_83:                             ;   in Loop: Header=BB101_12 Depth=1
	s_or_b64 exec, exec, s[26:27]
	s_and_saveexec_b64 s[26:27], s[20:21]
	s_cbranch_execz .LBB101_85
; %bb.84:                               ;   in Loop: Header=BB101_12 Depth=1
	global_load_ushort v13, v[18:19], off offset:128
.LBB101_85:                             ;   in Loop: Header=BB101_12 Depth=1
	s_or_b64 exec, exec, s[26:27]
	v_mov_b32_e32 v21, 0
	v_mov_b32_e32 v22, 0
	s_and_saveexec_b64 s[26:27], s[22:23]
	s_cbranch_execz .LBB101_87
; %bb.86:                               ;   in Loop: Header=BB101_12 Depth=1
	global_load_ushort v22, v[18:19], off offset:256
.LBB101_87:                             ;   in Loop: Header=BB101_12 Depth=1
	s_or_b64 exec, exec, s[26:27]
	s_and_saveexec_b64 s[26:27], s[24:25]
	s_cbranch_execz .LBB101_89
; %bb.88:                               ;   in Loop: Header=BB101_12 Depth=1
	global_load_ushort v21, v[18:19], off offset:384
.LBB101_89:                             ;   in Loop: Header=BB101_12 Depth=1
	s_or_b64 exec, exec, s[26:27]
	s_waitcnt vmcnt(0)
	ds_write_b16 v43, v20
	ds_write_b16 v44, v13 offset:128
	ds_write_b16 v45, v22 offset:256
	;; [unrolled: 1-line block ×3, first 2 shown]
	; wave barrier
	ds_read_b64 v[18:19], v47
	s_waitcnt lgkmcnt(0)
	; wave barrier
	s_waitcnt lgkmcnt(0)
	v_cvt_f32_f16_e32 v13, v19
	v_cvt_f32_f16_e32 v24, v18
	v_cvt_f32_f16_sdwa v23, v18 dst_sel:DWORD dst_unused:UNUSED_PAD src0_sel:WORD_1
	v_mul_f32_e32 v20, 0xbfb8aa3b, v13
	v_rndne_f32_e32 v21, v20
	v_fma_mix_f32 v22, v19, s93, -v20 op_sel_hi:[1,0,0]
	v_sub_f32_e32 v20, v20, v21
	v_fma_mix_f32 v22, v19, s94, v22 op_sel_hi:[1,0,0]
	v_cvt_i32_f32_e32 v21, v21
	v_add_f32_e32 v20, v20, v22
	v_exp_f32_e32 v20, v20
	v_cvt_f32_f16_sdwa v22, v19 dst_sel:DWORD dst_unused:UNUSED_PAD src0_sel:WORD_1
	v_cmp_nlt_f32_e32 vcc, s95, v13
	v_ldexp_f32 v20, v20, v21
	v_mul_f32_e32 v21, 0xbfb8aa3b, v22
	v_rndne_f32_e32 v25, v21
	v_sub_f32_e32 v26, v21, v25
	v_fma_mix_f32 v21, v19, s93, -v21 op_sel:[1,0,0] op_sel_hi:[1,0,0]
	v_cndmask_b32_e32 v20, 0, v20, vcc
	v_fma_mix_f32 v19, v19, s94, v21 op_sel:[1,0,0] op_sel_hi:[1,0,0]
	v_cvt_i32_f32_e32 v21, v25
	v_add_f32_e32 v19, v26, v19
	v_exp_f32_e32 v19, v19
	v_cmp_ngt_f32_e32 vcc, s96, v13
	v_ldexp_f32 v19, v19, v21
	v_mul_f32_e32 v21, 0xbfb8aa3b, v24
	v_rndne_f32_e32 v25, v21
	v_sub_f32_e32 v26, v21, v25
	v_fma_mix_f32 v21, v18, s93, -v21 op_sel_hi:[1,0,0]
	v_cvt_i32_f32_e32 v25, v25
	v_fma_mix_f32 v21, v18, s94, v21 op_sel_hi:[1,0,0]
	v_cndmask_b32_e32 v20, v54, v20, vcc
	v_add_f32_e32 v21, v26, v21
	v_exp_f32_e32 v26, v21
	v_cmp_nlt_f32_e32 vcc, s95, v22
	s_nop 1
	v_cndmask_b32_e32 v19, 0, v19, vcc
	v_cmp_ngt_f32_e32 vcc, s96, v22
	s_nop 1
	v_cndmask_b32_e32 v21, v54, v19, vcc
	v_ldexp_f32 v19, v26, v25
	v_mul_f32_e32 v25, 0xbfb8aa3b, v23
	v_rndne_f32_e32 v26, v25
	v_sub_f32_e32 v27, v25, v26
	v_fma_mix_f32 v25, v18, s93, -v25 op_sel:[1,0,0] op_sel_hi:[1,0,0]
	v_cvt_i32_f32_e32 v26, v26
	v_fma_mix_f32 v18, v18, s94, v25 op_sel:[1,0,0] op_sel_hi:[1,0,0]
	v_cmp_nlt_f32_e32 vcc, s95, v24
	v_add_f32_e32 v18, v27, v18
	v_exp_f32_e32 v25, v18
	v_pk_add_f32 v[20:21], v[20:21], 1.0 op_sel_hi:[1,0]
	v_cndmask_b32_e32 v18, 0, v19, vcc
	v_cmp_ngt_f32_e32 vcc, s96, v24
	v_ldexp_f32 v19, v25, v26
	v_div_scale_f32 v25, s[26:27], v21, v21, v22
	v_rcp_f32_e32 v26, v25
	v_cndmask_b32_e32 v18, v54, v18, vcc
	v_cmp_nlt_f32_e32 vcc, s95, v23
	v_fma_f32 v27, -v25, v26, 1.0
	s_nop 0
	v_cndmask_b32_e32 v19, 0, v19, vcc
	v_cmp_ngt_f32_e32 vcc, s96, v23
	v_fmac_f32_e32 v26, v27, v26
	s_nop 0
	v_cndmask_b32_e32 v19, v54, v19, vcc
	v_div_scale_f32 v27, vcc, v22, v21, v22
	v_mul_f32_e32 v28, v27, v26
	v_fma_f32 v29, -v25, v28, v27
	v_fmac_f32_e32 v28, v29, v26
	v_fma_f32 v25, -v25, v28, v27
	v_div_scale_f32 v27, s[26:27], v20, v20, v13
	v_rcp_f32_e32 v29, v27
	v_div_fmas_f32 v25, v25, v26, v28
	v_div_fixup_f32 v21, v25, v21, v22
	v_pk_add_f32 v[18:19], v[18:19], 1.0 op_sel_hi:[1,0]
	v_fma_f32 v22, -v27, v29, 1.0
	v_fmac_f32_e32 v29, v22, v29
	v_div_scale_f32 v22, vcc, v13, v20, v13
	v_mul_f32_e32 v25, v22, v29
	v_fma_f32 v26, -v27, v25, v22
	v_fmac_f32_e32 v25, v26, v29
	v_div_scale_f32 v26, s[26:27], v19, v19, v23
	v_fma_f32 v22, -v27, v25, v22
	v_rcp_f32_e32 v27, v26
	v_div_fmas_f32 v22, v22, v29, v25
	v_div_fixup_f32 v20, v22, v20, v13
	v_pk_mul_f32 v[14:15], v[14:15], v[20:21]
	v_fma_f32 v13, -v26, v27, 1.0
	v_fmac_f32_e32 v27, v13, v27
	v_div_scale_f32 v13, vcc, v23, v19, v23
	v_mul_f32_e32 v22, v13, v27
	v_fma_f32 v25, -v26, v22, v13
	v_fmac_f32_e32 v22, v25, v27
	v_div_scale_f32 v25, s[26:27], v18, v18, v24
	v_fma_f32 v13, -v26, v22, v13
	v_rcp_f32_e32 v26, v25
	v_div_fmas_f32 v13, v13, v27, v22
	v_div_fixup_f32 v19, v13, v19, v23
	v_cvt_f16_f32_e32 v14, v14
	v_fma_f32 v13, -v25, v26, 1.0
	v_fmac_f32_e32 v26, v13, v26
	v_div_scale_f32 v13, vcc, v24, v18, v24
	v_mul_f32_e32 v22, v13, v26
	v_fma_f32 v23, -v25, v22, v13
	v_fmac_f32_e32 v22, v23, v26
	v_fma_f32 v13, -v25, v22, v13
	v_div_fmas_f32 v13, v13, v26, v22
	v_div_fixup_f32 v18, v13, v18, v24
	v_pk_mul_f32 v[16:17], v[16:17], v[18:19]
	v_cvt_f16_f32_e32 v13, v15
	v_cvt_f16_f32_e32 v17, v17
	;; [unrolled: 1-line block ×3, first 2 shown]
	v_pack_b32_f16 v15, v14, v13
	v_pack_b32_f16 v14, v16, v17
	ds_write_b64 v47, v[14:15]
	; wave barrier
	ds_read_u16 v17, v44 offset:128
	ds_read_u16 v16, v45 offset:256
	;; [unrolled: 1-line block ×3, first 2 shown]
	v_lshl_add_u64 v[14:15], s[64:65], 1, v[8:9]
	s_and_saveexec_b64 s[26:27], s[18:19]
	s_cbranch_execnz .LBB101_98
; %bb.90:                               ;   in Loop: Header=BB101_12 Depth=1
	s_or_b64 exec, exec, s[26:27]
	s_and_saveexec_b64 s[18:19], s[20:21]
	s_cbranch_execnz .LBB101_99
.LBB101_91:                             ;   in Loop: Header=BB101_12 Depth=1
	s_or_b64 exec, exec, s[18:19]
	s_and_saveexec_b64 s[18:19], s[22:23]
	s_cbranch_execnz .LBB101_100
.LBB101_92:                             ;   in Loop: Header=BB101_12 Depth=1
	s_or_b64 exec, exec, s[18:19]
	s_and_saveexec_b64 s[18:19], s[24:25]
	s_cbranch_execz .LBB101_11
	s_branch .LBB101_101
.LBB101_93:                             ;   in Loop: Header=BB101_12 Depth=1
	global_load_ushort v19, v[16:17], off offset:128
	s_or_b64 exec, exec, s[26:27]
	s_and_saveexec_b64 s[26:27], s[22:23]
	s_cbranch_execz .LBB101_24
.LBB101_94:                             ;   in Loop: Header=BB101_12 Depth=1
	global_load_ushort v18, v[16:17], off offset:256
	s_or_b64 exec, exec, s[26:27]
	v_mov_b32_e32 v20, 0
	s_and_saveexec_b64 s[26:27], s[24:25]
	s_cbranch_execnz .LBB101_25
	s_branch .LBB101_26
.LBB101_95:                             ;   in Loop: Header=BB101_12 Depth=1
	ds_read_u16 v22, v43
	s_waitcnt lgkmcnt(0)
	global_store_short v[18:19], v22, off
	s_or_b64 exec, exec, s[26:27]
	s_and_saveexec_b64 s[26:27], s[20:21]
	s_cbranch_execz .LBB101_78
.LBB101_96:                             ;   in Loop: Header=BB101_12 Depth=1
	s_waitcnt lgkmcnt(2)
	global_store_short v[18:19], v21, off offset:128
	s_or_b64 exec, exec, s[26:27]
	s_and_saveexec_b64 s[26:27], s[22:23]
	s_cbranch_execz .LBB101_79
.LBB101_97:                             ;   in Loop: Header=BB101_12 Depth=1
	s_waitcnt lgkmcnt(1)
	global_store_short v[18:19], v20, off offset:256
	s_or_b64 exec, exec, s[26:27]
	s_and_saveexec_b64 s[26:27], s[24:25]
	s_cbranch_execnz .LBB101_80
	s_branch .LBB101_81
.LBB101_98:                             ;   in Loop: Header=BB101_12 Depth=1
	ds_read_u16 v18, v43
	s_waitcnt lgkmcnt(0)
	global_store_short v[14:15], v18, off
	s_or_b64 exec, exec, s[26:27]
	s_and_saveexec_b64 s[18:19], s[20:21]
	s_cbranch_execz .LBB101_91
.LBB101_99:                             ;   in Loop: Header=BB101_12 Depth=1
	s_waitcnt lgkmcnt(2)
	global_store_short v[14:15], v17, off offset:128
	s_or_b64 exec, exec, s[18:19]
	s_and_saveexec_b64 s[18:19], s[22:23]
	s_cbranch_execz .LBB101_92
.LBB101_100:                            ;   in Loop: Header=BB101_12 Depth=1
	s_waitcnt lgkmcnt(1)
	global_store_short v[14:15], v16, off offset:256
	s_or_b64 exec, exec, s[18:19]
	s_and_saveexec_b64 s[18:19], s[24:25]
	s_cbranch_execz .LBB101_11
.LBB101_101:                            ;   in Loop: Header=BB101_12 Depth=1
	s_waitcnt lgkmcnt(0)
	global_store_short v[14:15], v13, off offset:384
	s_branch .LBB101_11
.LBB101_102:
	s_endpgm
	.section	.rodata,"a",@progbits
	.p2align	6, 0x0
	.amdhsa_kernel _Z25selective_scan_fwd_kernelI32Selective_Scan_fwd_kernel_traitsILi64ELi4ELi1ELb0ELb1ELb1ELb1ELb0EN3c104HalfEffEEv13SSMParamsBase
		.amdhsa_group_segment_fixed_size 0
		.amdhsa_private_segment_fixed_size 0
		.amdhsa_kernarg_size 248
		.amdhsa_user_sgpr_count 2
		.amdhsa_user_sgpr_dispatch_ptr 0
		.amdhsa_user_sgpr_queue_ptr 0
		.amdhsa_user_sgpr_kernarg_segment_ptr 1
		.amdhsa_user_sgpr_dispatch_id 0
		.amdhsa_user_sgpr_kernarg_preload_length 0
		.amdhsa_user_sgpr_kernarg_preload_offset 0
		.amdhsa_user_sgpr_private_segment_size 0
		.amdhsa_uses_dynamic_stack 0
		.amdhsa_enable_private_segment 0
		.amdhsa_system_sgpr_workgroup_id_x 1
		.amdhsa_system_sgpr_workgroup_id_y 1
		.amdhsa_system_sgpr_workgroup_id_z 0
		.amdhsa_system_sgpr_workgroup_info 0
		.amdhsa_system_vgpr_workitem_id 0
		.amdhsa_next_free_vgpr 66
		.amdhsa_next_free_sgpr 99
		.amdhsa_accum_offset 68
		.amdhsa_reserve_vcc 1
		.amdhsa_float_round_mode_32 0
		.amdhsa_float_round_mode_16_64 0
		.amdhsa_float_denorm_mode_32 3
		.amdhsa_float_denorm_mode_16_64 3
		.amdhsa_dx10_clamp 1
		.amdhsa_ieee_mode 1
		.amdhsa_fp16_overflow 0
		.amdhsa_tg_split 0
		.amdhsa_exception_fp_ieee_invalid_op 0
		.amdhsa_exception_fp_denorm_src 0
		.amdhsa_exception_fp_ieee_div_zero 0
		.amdhsa_exception_fp_ieee_overflow 0
		.amdhsa_exception_fp_ieee_underflow 0
		.amdhsa_exception_fp_ieee_inexact 0
		.amdhsa_exception_int_div_zero 0
	.end_amdhsa_kernel
	.section	.text._Z25selective_scan_fwd_kernelI32Selective_Scan_fwd_kernel_traitsILi64ELi4ELi1ELb0ELb1ELb1ELb1ELb0EN3c104HalfEffEEv13SSMParamsBase,"axG",@progbits,_Z25selective_scan_fwd_kernelI32Selective_Scan_fwd_kernel_traitsILi64ELi4ELi1ELb0ELb1ELb1ELb1ELb0EN3c104HalfEffEEv13SSMParamsBase,comdat
.Lfunc_end101:
	.size	_Z25selective_scan_fwd_kernelI32Selective_Scan_fwd_kernel_traitsILi64ELi4ELi1ELb0ELb1ELb1ELb1ELb0EN3c104HalfEffEEv13SSMParamsBase, .Lfunc_end101-_Z25selective_scan_fwd_kernelI32Selective_Scan_fwd_kernel_traitsILi64ELi4ELi1ELb0ELb1ELb1ELb1ELb0EN3c104HalfEffEEv13SSMParamsBase
                                        ; -- End function
	.section	.AMDGPU.csdata,"",@progbits
; Kernel info:
; codeLenInByte = 7288
; NumSgprs: 105
; NumVgprs: 66
; NumAgprs: 0
; TotalNumVgprs: 66
; ScratchSize: 0
; MemoryBound: 0
; FloatMode: 240
; IeeeMode: 1
; LDSByteSize: 0 bytes/workgroup (compile time only)
; SGPRBlocks: 13
; VGPRBlocks: 8
; NumSGPRsForWavesPerEU: 105
; NumVGPRsForWavesPerEU: 66
; AccumOffset: 68
; Occupancy: 7
; WaveLimiterHint : 0
; COMPUTE_PGM_RSRC2:SCRATCH_EN: 0
; COMPUTE_PGM_RSRC2:USER_SGPR: 2
; COMPUTE_PGM_RSRC2:TRAP_HANDLER: 0
; COMPUTE_PGM_RSRC2:TGID_X_EN: 1
; COMPUTE_PGM_RSRC2:TGID_Y_EN: 1
; COMPUTE_PGM_RSRC2:TGID_Z_EN: 0
; COMPUTE_PGM_RSRC2:TIDIG_COMP_CNT: 0
; COMPUTE_PGM_RSRC3_GFX90A:ACCUM_OFFSET: 16
; COMPUTE_PGM_RSRC3_GFX90A:TG_SPLIT: 0
	.section	.text._Z25selective_scan_fwd_kernelI32Selective_Scan_fwd_kernel_traitsILi64ELi4ELi1ELb0ELb1ELb1ELb0ELb1EN3c104HalfEffEEv13SSMParamsBase,"axG",@progbits,_Z25selective_scan_fwd_kernelI32Selective_Scan_fwd_kernel_traitsILi64ELi4ELi1ELb0ELb1ELb1ELb0ELb1EN3c104HalfEffEEv13SSMParamsBase,comdat
	.protected	_Z25selective_scan_fwd_kernelI32Selective_Scan_fwd_kernel_traitsILi64ELi4ELi1ELb0ELb1ELb1ELb0ELb1EN3c104HalfEffEEv13SSMParamsBase ; -- Begin function _Z25selective_scan_fwd_kernelI32Selective_Scan_fwd_kernel_traitsILi64ELi4ELi1ELb0ELb1ELb1ELb0ELb1EN3c104HalfEffEEv13SSMParamsBase
	.globl	_Z25selective_scan_fwd_kernelI32Selective_Scan_fwd_kernel_traitsILi64ELi4ELi1ELb0ELb1ELb1ELb0ELb1EN3c104HalfEffEEv13SSMParamsBase
	.p2align	8
	.type	_Z25selective_scan_fwd_kernelI32Selective_Scan_fwd_kernel_traitsILi64ELi4ELi1ELb0ELb1ELb1ELb0ELb1EN3c104HalfEffEEv13SSMParamsBase,@function
_Z25selective_scan_fwd_kernelI32Selective_Scan_fwd_kernel_traitsILi64ELi4ELi1ELb0ELb1ELb1ELb0ELb1EN3c104HalfEffEEv13SSMParamsBase: ; @_Z25selective_scan_fwd_kernelI32Selective_Scan_fwd_kernel_traitsILi64ELi4ELi1ELb0ELb1ELb1ELb0ELb1EN3c104HalfEffEEv13SSMParamsBase
; %bb.0:
	s_load_dword s27, s[0:1], 0x18
	s_load_dwordx4 s[4:7], s[0:1], 0xe0
	s_load_dwordx2 s[10:11], s[0:1], 0xf0
	s_mov_b32 s20, s3
	s_ashr_i32 s3, s2, 31
	s_waitcnt lgkmcnt(0)
	s_abs_i32 s26, s27
	v_cvt_f32_u32_e32 v1, s26
	s_lshl_b64 s[8:9], s[2:3], 2
	s_add_u32 s24, s4, s8
	s_addc_u32 s25, s5, s9
	v_rcp_iflag_f32_e32 v1, v1
	s_cmp_eq_u64 s[10:11], 0
	v_mul_f32_e32 v1, 0x4f7ffffe, v1
	v_cvt_u32_f32_e32 v1, v1
	s_nop 0
	v_readfirstlane_b32 s28, v1
	s_cbranch_scc1 .LBB102_86
; %bb.1:
	s_add_u32 s4, s10, s2
	s_addc_u32 s5, s11, s3
	v_mov_b32_e32 v1, 0
	global_load_ubyte v1, v1, s[4:5]
	s_waitcnt vmcnt(0)
	v_and_b32_e32 v1, 1, v1
	v_cmp_eq_u32_e64 s[52:53], 1, v1
	s_load_dwordx2 s[4:5], s[0:1], 0x20
	s_cmp_eq_u64 s[6:7], 0
	s_cbranch_scc1 .LBB102_3
.LBB102_2:
	s_add_u32 s2, s6, s8
	s_addc_u32 s3, s7, s9
	s_load_dword s2, s[2:3], 0x0
	s_waitcnt lgkmcnt(0)
	s_ashr_i32 s3, s2, 31
.LBB102_3:
	s_waitcnt lgkmcnt(0)
	s_cmp_eq_u64 s[4:5], s[2:3]
	s_cbranch_scc1 .LBB102_85
; %bb.4:
	s_load_dwordx16 s[4:19], s[0:1], 0x88
	s_load_dwordx2 s[22:23], s[24:25], 0x0
	s_mov_b32 s33, 0
	s_mov_b32 s78, 0
	s_waitcnt lgkmcnt(0)
	s_cmp_eq_u64 s[10:11], 0
	s_cbranch_scc1 .LBB102_6
; %bb.5:
	s_ashr_i32 s21, s20, 31
	s_lshl_b64 s[24:25], s[20:21], 2
	s_add_u32 s10, s10, s24
	s_addc_u32 s11, s11, s25
	s_load_dword s78, s[10:11], 0x0
.LBB102_6:
	s_cmp_eq_u64 s[16:17], 0
	s_cbranch_scc1 .LBB102_8
; %bb.7:
	s_ashr_i32 s21, s20, 31
	s_lshl_b64 s[10:11], s[20:21], 2
	s_add_u32 s10, s16, s10
	s_addc_u32 s11, s17, s11
	s_load_dword s33, s[10:11], 0x0
.LBB102_8:
	s_sub_i32 s79, s23, s22
	s_cmp_lt_i32 s79, 1
	s_cbranch_scc1 .LBB102_85
; %bb.9:
	s_sub_i32 s3, 0, s26
	s_mul_i32 s3, s3, s28
	s_mul_hi_u32 s3, s28, s3
	s_load_dwordx8 s[40:47], s[0:1], 0x2c
	s_load_dwordx2 s[16:17], s[0:1], 0x5c
	s_load_dwordx4 s[48:51], s[0:1], 0x4c
	s_abs_i32 s21, s20
	s_add_i32 s28, s28, s3
	s_load_dwordx4 s[36:39], s[0:1], 0x7c
	s_load_dwordx2 s[10:11], s[0:1], 0x6c
	s_load_dwordx2 s[24:25], s[0:1], 0xc8
	s_mul_hi_u32 s3, s21, s28
	s_waitcnt lgkmcnt(0)
	s_load_dword s39, s[0:1], 0xc
	s_load_dword s23, s[0:1], 0x28
	s_ashr_i32 s0, s20, 31
	s_ashr_i32 s1, s27, 31
	s_xor_b32 s0, s0, s1
	s_mul_i32 s1, s3, s26
	s_sub_i32 s1, s21, s1
	s_add_i32 s21, s3, 1
	s_sub_i32 s27, s1, s26
	s_cmp_ge_u32 s1, s26
	s_cselect_b32 s3, s21, s3
	s_cselect_b32 s1, s27, s1
	s_add_i32 s21, s3, 1
	s_cmp_ge_u32 s1, s26
	s_cselect_b32 s1, s21, s3
	s_xor_b32 s1, s1, s0
	s_mul_i32 s54, s22, s50
	s_mov_b32 s55, 0
	s_sub_i32 s3, s1, s0
	s_lshl_b64 s[0:1], s[54:55], 1
	s_add_u32 s12, s12, s0
	s_mul_i32 s54, s51, s20
	s_addc_u32 s13, s13, s1
	s_lshl_b64 s[0:1], s[54:55], 1
	s_add_u32 s50, s12, s0
	s_mul_i32 s54, s22, s16
	s_addc_u32 s51, s13, s1
	;; [unrolled: 4-line block ×9, first 2 shown]
	s_lshl_b64 s[0:1], s[54:55], 2
	s_add_u32 s2, s24, s0
	s_mul_i32 s54, s37, s20
	v_mbcnt_lo_u32_b32 v2, -1, 0
	s_addc_u32 s3, s25, s1
	s_lshl_b64 s[0:1], s[54:55], 2
	v_mbcnt_hi_u32_b32 v2, -1, v2
	s_add_u32 s45, s2, s0
	v_lshrrev_b32_e32 v3, 5, v2
	s_addc_u32 s49, s3, s1
	s_add_i32 s0, s79, 0x7ff
	v_and_b32_e32 v3, 2, v3
	s_lshr_b32 s81, s0, 11
	v_add_u32_e32 v36, 64, v2
	v_or_b32_e32 v37, 0x80, v2
	v_add_u32_e32 v38, 0xc0, v2
	v_add_u32_e32 v3, v3, v2
	v_lshl_add_u32 v39, v3, 1, 0
	v_lshrrev_b32_e32 v3, 5, v36
	v_lshrrev_b32_e32 v4, 5, v37
	;; [unrolled: 1-line block ×3, first 2 shown]
	s_waitcnt lgkmcnt(0)
	s_bitcmp1_b32 s23, 0
	v_and_b32_e32 v3, 6, v3
	v_and_b32_e32 v4, 6, v4
	;; [unrolled: 1-line block ×3, first 2 shown]
	s_cselect_b64 s[58:59], -1, 0
	s_cmp_gt_i32 s39, 0
	v_add_lshl_u32 v3, v3, v2, 1
	v_add_lshl_u32 v4, v4, v2, 1
	;; [unrolled: 1-line block ×3, first 2 shown]
	s_cselect_b64 s[60:61], -1, 0
	s_add_i32 s0, 0, 0x210
	s_mul_i32 s54, s22, s10
	v_add_u32_e32 v44, s0, v3
	v_add_u32_e32 v45, s0, v4
	;; [unrolled: 1-line block ×3, first 2 shown]
	s_and_b32 s2, s79, 0xff
	s_add_i32 s82, s81, -1
	s_lshl_b64 s[0:1], s[54:55], 1
	s_add_u32 s3, s18, s0
	s_mul_i32 s54, s11, s20
	s_addc_u32 s4, s19, s1
	s_lshl_b64 s[0:1], s[54:55], 1
	s_add_u32 s18, s3, s0
	v_add_u32_e32 v40, 0, v3
	s_addc_u32 s19, s4, s1
	v_and_b32_e32 v3, 15, v2
	s_cmp_eq_u32 s2, 0
	v_cmp_eq_u32_e64 s[0:1], 0, v3
	v_cmp_lt_u32_e64 s[2:3], 1, v3
	v_cmp_lt_u32_e64 s[4:5], 3, v3
	;; [unrolled: 1-line block ×3, first 2 shown]
	v_and_b32_e32 v3, 16, v2
	v_add_u32_e32 v41, 0, v4
	v_lshrrev_b32_e32 v6, 3, v2
	v_cmp_ne_u32_e64 s[8:9], 0, v3
	v_add_u32_e32 v3, -1, v2
	v_and_b32_e32 v4, 64, v2
	v_and_b32_e32 v6, 14, v6
	v_cmp_lt_i32_e32 vcc, v3, v4
	v_mov_b32_e32 v1, 0
	v_lshlrev_b32_e32 v7, 2, v0
	v_lshl_add_u32 v6, v2, 2, v6
	v_cmp_eq_u32_e64 s[12:13], 63, v0
	v_cndmask_b32_e32 v3, v3, v2, vcc
	v_cmp_gt_u32_e64 s[14:15], 64, v0
	v_cmp_eq_u32_e64 s[16:17], 0, v0
	v_lshlrev_b32_e32 v0, 1, v2
                                        ; implicit-def: $vgpr8
	v_add_u32_e32 v42, 0, v5
	v_lshl_add_u32 v43, v6, 1, 0
	s_cselect_b64 s[62:63], -1, 0
	v_cmp_lt_u32_e64 s[10:11], 31, v2
	v_lshlrev_b32_e32 v47, 2, v3
	v_lshl_add_u64 v[4:5], s[18:19], 0, v[0:1]
	v_or_b32_e32 v3, 1, v7
	v_or_b32_e32 v6, 2, v7
	;; [unrolled: 1-line block ×3, first 2 shown]
	v_lshlrev_b32_e32 v0, 1, v2
	s_mov_b32 s83, 0x41a00000
	s_mov_b32 s84, 0x3fb8aa3b
	;; [unrolled: 1-line block ×6, first 2 shown]
	v_mov_b32_e32 v49, 0x3ecc95a3
	s_mov_b32 s89, 0x3f317218
	s_mov_b32 s90, 0x33800000
	s_add_i32 s91, 0, 0x428
	s_mov_b32 s92, 0xc2fc0000
	v_mov_b32_e32 v50, 0x7f800000
	v_mov_b32_e32 v8, 0x3f317218
	;; [unrolled: 1-line block ×4, first 2 shown]
	s_mov_b32 s93, 0
	s_branch .LBB102_11
.LBB102_10:                             ;   in Loop: Header=BB102_11 Depth=1
	s_or_b64 exec, exec, s[18:19]
	s_add_u32 s56, s56, 0x200
	s_addc_u32 s57, s57, 0
	s_add_u32 s50, s50, 0x200
	s_addc_u32 s51, s51, 0
	;; [unrolled: 2-line block ×4, first 2 shown]
	s_add_i32 s93, s93, 1
	s_cmp_eq_u32 s93, s81
	s_cbranch_scc1 .LBB102_85
.LBB102_11:                             ; =>This Loop Header: Depth=1
                                        ;     Child Loop BB102_36 Depth 2
	s_lshl_b32 s64, s93, 8
	s_sub_i32 s34, s79, s64
	v_lshl_add_u64 v[10:11], s[50:51], 0, v[0:1]
	v_cmp_gt_u32_e64 s[18:19], s34, v2
	s_waitcnt lgkmcnt(1)
	v_mov_b32_e32 v12, 0
	s_waitcnt lgkmcnt(0)
	; wave barrier
	s_and_saveexec_b64 s[20:21], s[18:19]
	s_cbranch_execz .LBB102_13
; %bb.12:                               ;   in Loop: Header=BB102_11 Depth=1
	global_load_ushort v12, v[10:11], off
.LBB102_13:                             ;   in Loop: Header=BB102_11 Depth=1
	s_or_b64 exec, exec, s[20:21]
	v_cmp_gt_u32_e64 s[20:21], s34, v36
	v_mov_b32_e32 v13, 0
	v_mov_b32_e32 v14, 0
	s_and_saveexec_b64 s[22:23], s[20:21]
	s_cbranch_execz .LBB102_15
; %bb.14:                               ;   in Loop: Header=BB102_11 Depth=1
	global_load_ushort v14, v[10:11], off offset:128
.LBB102_15:                             ;   in Loop: Header=BB102_11 Depth=1
	s_or_b64 exec, exec, s[22:23]
	v_cmp_gt_u32_e64 s[22:23], s34, v37
	s_and_saveexec_b64 s[24:25], s[22:23]
	s_cbranch_execz .LBB102_17
; %bb.16:                               ;   in Loop: Header=BB102_11 Depth=1
	global_load_ushort v13, v[10:11], off offset:256
.LBB102_17:                             ;   in Loop: Header=BB102_11 Depth=1
	s_or_b64 exec, exec, s[24:25]
	v_cmp_gt_u32_e64 s[24:25], s34, v38
	s_waitcnt lgkmcnt(0)
	v_mov_b32_e32 v9, 0
	v_mov_b32_e32 v15, 0
	s_and_saveexec_b64 s[26:27], s[24:25]
	s_cbranch_execz .LBB102_19
; %bb.18:                               ;   in Loop: Header=BB102_11 Depth=1
	global_load_ushort v15, v[10:11], off offset:384
.LBB102_19:                             ;   in Loop: Header=BB102_11 Depth=1
	s_or_b64 exec, exec, s[26:27]
	s_waitcnt vmcnt(0)
	ds_write_b16 v39, v12
	ds_write_b16 v40, v14 offset:128
	ds_write_b16 v41, v13 offset:256
	;; [unrolled: 1-line block ×3, first 2 shown]
	; wave barrier
	ds_read_b64 v[12:13], v43
	v_lshl_add_u64 v[10:11], s[56:57], 0, v[0:1]
	s_waitcnt lgkmcnt(0)
	; wave barrier
	s_waitcnt lgkmcnt(0)
	s_and_saveexec_b64 s[26:27], s[18:19]
	s_cbranch_execz .LBB102_21
; %bb.20:                               ;   in Loop: Header=BB102_11 Depth=1
	global_load_ushort v9, v[10:11], off
.LBB102_21:                             ;   in Loop: Header=BB102_11 Depth=1
	s_or_b64 exec, exec, s[26:27]
	v_mov_b32_e32 v14, 0
	v_mov_b32_e32 v15, 0
	s_and_saveexec_b64 s[26:27], s[20:21]
	s_cbranch_execnz .LBB102_79
; %bb.22:                               ;   in Loop: Header=BB102_11 Depth=1
	s_or_b64 exec, exec, s[26:27]
	s_and_saveexec_b64 s[26:27], s[22:23]
	s_cbranch_execnz .LBB102_80
.LBB102_23:                             ;   in Loop: Header=BB102_11 Depth=1
	s_or_b64 exec, exec, s[26:27]
	v_mov_b32_e32 v16, 0
	s_and_saveexec_b64 s[26:27], s[24:25]
	s_cbranch_execz .LBB102_25
.LBB102_24:                             ;   in Loop: Header=BB102_11 Depth=1
	global_load_ushort v16, v[10:11], off offset:384
.LBB102_25:                             ;   in Loop: Header=BB102_11 Depth=1
	s_or_b64 exec, exec, s[26:27]
	s_waitcnt vmcnt(0)
	ds_write_b16 v39, v9
	ds_write_b16 v40, v15 offset:128
	ds_write_b16 v41, v14 offset:256
	;; [unrolled: 1-line block ×3, first 2 shown]
	; wave barrier
	ds_read_b64 v[14:15], v43
	s_waitcnt lgkmcnt(0)
	v_cvt_f32_f16_e32 v9, v14
	v_add_f32_e32 v53, s33, v9
	v_cmp_ge_f32_e32 vcc, s83, v53
	s_and_b64 s[26:27], s[58:59], vcc
	s_and_saveexec_b64 s[28:29], s[26:27]
	s_cbranch_execz .LBB102_27
; %bb.26:                               ;   in Loop: Header=BB102_11 Depth=1
	v_mul_f32_e32 v9, 0x3fb8aa3b, v53
	v_rndne_f32_e32 v10, v9
	v_sub_f32_e32 v11, v9, v10
	v_fma_f32 v9, v53, s84, -v9
	v_fmac_f32_e32 v9, 0x32a5705f, v53
	v_add_f32_e32 v9, v11, v9
	v_cvt_i32_f32_e32 v10, v10
	v_exp_f32_e32 v9, v9
	v_cmp_ngt_f32_e32 vcc, s85, v53
	v_ldexp_f32 v9, v9, v10
	s_nop 0
	v_cndmask_b32_e32 v9, 0, v9, vcc
	v_cmp_nlt_f32_e32 vcc, s86, v53
	s_nop 1
	v_cndmask_b32_e32 v30, v50, v9, vcc
	v_add_f32_e32 v9, 1.0, v30
	v_add_f32_e32 v10, -1.0, v9
	v_sub_f32_e32 v11, v10, v9
	v_add_f32_e32 v11, 1.0, v11
	v_sub_f32_e32 v10, v30, v10
	v_add_f32_e32 v16, v10, v11
	v_frexp_mant_f32_e32 v17, v9
	v_cvt_f64_f32_e32 v[10:11], v9
	v_frexp_exp_i32_f64_e32 v10, v[10:11]
	v_cmp_gt_f32_e32 vcc, s88, v17
	v_cmp_gt_f32_e64 s[26:27], s90, v30
	s_nop 0
	v_subbrev_co_u32_e32 v22, vcc, 0, v10, vcc
	v_sub_u32_e32 v10, 0, v22
	v_ldexp_f32 v9, v9, v10
	v_ldexp_f32 v10, v16, v10
	v_add_f32_e32 v16, -1.0, v9
	v_add_f32_e32 v11, 1.0, v16
	v_sub_f32_e32 v11, v9, v11
	v_add_f32_e32 v17, v10, v11
	v_add_f32_e32 v11, 1.0, v9
	v_add_f32_e32 v18, -1.0, v11
	v_sub_f32_e32 v9, v9, v18
	v_add_f32_e32 v9, v10, v9
	v_add_f32_e32 v23, v11, v9
	v_rcp_f32_e32 v24, v23
	v_sub_f32_e32 v10, v11, v23
	v_add_f32_e32 v11, v16, v17
	v_add_f32_e32 v9, v9, v10
	v_mul_f32_e32 v26, v11, v24
	v_sub_f32_e32 v10, v16, v11
	v_mul_f32_e32 v16, v23, v26
	v_fma_f32 v18, v26, v23, -v16
	v_fmac_f32_e32 v18, v26, v9
	v_add_f32_e32 v25, v17, v10
	v_add_f32_e32 v10, v16, v18
	v_sub_f32_e32 v17, v11, v10
	v_pk_add_f32 v[20:21], v[10:11], v[16:17] neg_lo:[0,1] neg_hi:[0,1]
	v_mov_b32_e32 v19, v10
	v_pk_add_f32 v[10:11], v[20:21], v[18:19] neg_lo:[0,1] neg_hi:[0,1]
	v_cmp_eq_f32_e32 vcc, s87, v30
	v_add_f32_e32 v11, v25, v11
	v_add_f32_e32 v10, v10, v11
	v_add_f32_e32 v11, v17, v10
	v_mul_f32_e32 v25, v24, v11
	v_mul_f32_e32 v16, v23, v25
	v_fma_f32 v18, v25, v23, -v16
	v_fmac_f32_e32 v18, v25, v9
	v_sub_f32_e32 v9, v17, v11
	v_add_f32_e32 v9, v10, v9
	v_add_f32_e32 v10, v16, v18
	v_sub_f32_e32 v17, v11, v10
	v_pk_add_f32 v[20:21], v[10:11], v[16:17] neg_lo:[0,1] neg_hi:[0,1]
	v_mov_b32_e32 v19, v10
	v_pk_add_f32 v[10:11], v[20:21], v[18:19] neg_lo:[0,1] neg_hi:[0,1]
	s_or_b64 vcc, s[26:27], vcc
	v_add_f32_e32 v9, v9, v11
	v_add_f32_e32 v9, v10, v9
	;; [unrolled: 1-line block ×4, first 2 shown]
	v_sub_f32_e32 v10, v11, v26
	v_mul_f32_e32 v9, v24, v9
	v_sub_f32_e32 v10, v25, v10
	v_add_f32_e32 v16, v10, v9
	v_add_f32_e32 v18, v11, v16
	v_cvt_f32_i32_e32 v10, v22
	v_mul_f32_e32 v19, v18, v18
	v_sub_f32_e32 v11, v18, v11
	v_fmamk_f32 v9, v19, 0x3e9b6dac, v49
	v_sub_f32_e32 v11, v16, v11
	v_fmaak_f32 v9, v19, v9, 0x3f2aaada
	v_ldexp_f32 v20, v11, 1
	v_mul_f32_e32 v11, v18, v19
	v_ldexp_f32 v17, v18, 1
	v_pk_mul_f32 v[18:19], v[10:11], v[8:9]
	s_nop 0
	v_fma_f32 v16, v10, s89, -v18
	v_fmac_f32_e32 v16, 0xb102e308, v10
	v_pk_add_f32 v[10:11], v[18:19], v[16:17]
	s_nop 0
	v_sub_f32_e32 v9, v11, v17
	v_sub_f32_e32 v9, v19, v9
	v_add_f32_e32 v21, v20, v9
	v_mov_b32_e32 v20, v18
	v_pk_add_f32 v[18:19], v[10:11], v[18:19] neg_lo:[0,1] neg_hi:[0,1]
	v_pk_add_f32 v[22:23], v[10:11], v[20:21]
	v_mov_b32_e32 v17, v10
	v_mov_b32_e32 v19, v23
	v_pk_add_f32 v[24:25], v[16:17], v[18:19] neg_lo:[0,1] neg_hi:[0,1]
	v_pk_add_f32 v[16:17], v[16:17], v[18:19]
	v_mov_b32_e32 v20, v21
	v_mov_b32_e32 v18, v17
	v_pk_add_f32 v[26:27], v[18:19], v[10:11] neg_lo:[0,1] neg_hi:[0,1]
	v_mov_b32_e32 v16, v23
	v_mov_b32_e32 v9, v26
	v_pk_add_f32 v[28:29], v[22:23], v[8:9] neg_lo:[0,1] neg_hi:[0,1]
	v_mov_b32_e32 v22, v11
	v_mov_b32_e32 v23, v26
	;; [unrolled: 1-line block ×3, first 2 shown]
	v_pk_add_f32 v[16:17], v[16:17], v[22:23] neg_lo:[0,1] neg_hi:[0,1]
	v_mov_b32_e32 v21, v10
	v_pk_add_f32 v[10:11], v[20:21], v[16:17] neg_lo:[0,1] neg_hi:[0,1]
	v_mov_b32_e32 v28, v24
	v_pk_add_f32 v[16:17], v[28:29], v[10:11]
	s_nop 0
	v_mov_b32_e32 v20, v17
	v_pk_add_f32 v[20:21], v[16:17], v[20:21]
	s_nop 0
	v_pk_add_f32 v[18:19], v[18:19], v[20:21]
	v_mov_b32_e32 v11, v20
	v_mov_b32_e32 v17, v18
	v_pk_add_f32 v[22:23], v[16:17], v[24:25] neg_lo:[0,1] neg_hi:[0,1]
	s_nop 0
	v_sub_f32_e32 v9, v16, v22
	v_pk_add_f32 v[10:11], v[10:11], v[22:23] neg_lo:[0,1] neg_hi:[0,1]
	v_sub_f32_e32 v9, v24, v9
	v_add_f32_e32 v9, v10, v9
	v_add_f32_e32 v9, v9, v11
	;; [unrolled: 1-line block ×3, first 2 shown]
	v_cndmask_b32_e32 v53, v9, v30, vcc
.LBB102_27:                             ;   in Loop: Header=BB102_11 Depth=1
	s_or_b64 exec, exec, s[28:29]
	v_cvt_f32_f16_sdwa v9, v14 dst_sel:DWORD dst_unused:UNUSED_PAD src0_sel:WORD_1
	v_add_f32_e32 v54, s33, v9
	v_cmp_ge_f32_e32 vcc, s83, v54
	s_and_b64 s[26:27], s[58:59], vcc
	s_and_saveexec_b64 s[28:29], s[26:27]
	s_cbranch_execz .LBB102_29
; %bb.28:                               ;   in Loop: Header=BB102_11 Depth=1
	v_mul_f32_e32 v9, 0x3fb8aa3b, v54
	v_rndne_f32_e32 v10, v9
	v_sub_f32_e32 v11, v9, v10
	v_fma_f32 v9, v54, s84, -v9
	v_fmac_f32_e32 v9, 0x32a5705f, v54
	v_add_f32_e32 v9, v11, v9
	v_cvt_i32_f32_e32 v10, v10
	v_exp_f32_e32 v9, v9
	v_cmp_ngt_f32_e32 vcc, s85, v54
	v_ldexp_f32 v9, v9, v10
	s_nop 0
	v_cndmask_b32_e32 v9, 0, v9, vcc
	v_cmp_nlt_f32_e32 vcc, s86, v54
	s_nop 1
	v_cndmask_b32_e32 v28, v50, v9, vcc
	v_add_f32_e32 v9, 1.0, v28
	v_add_f32_e32 v10, -1.0, v9
	v_sub_f32_e32 v11, v10, v9
	v_add_f32_e32 v11, 1.0, v11
	v_sub_f32_e32 v10, v28, v10
	v_add_f32_e32 v14, v10, v11
	v_frexp_mant_f32_e32 v16, v9
	v_cvt_f64_f32_e32 v[10:11], v9
	v_frexp_exp_i32_f64_e32 v10, v[10:11]
	v_cmp_gt_f32_e32 vcc, s88, v16
	v_cmp_gt_f32_e64 s[26:27], s90, v28
	s_nop 0
	v_subbrev_co_u32_e32 v22, vcc, 0, v10, vcc
	v_sub_u32_e32 v10, 0, v22
	v_ldexp_f32 v9, v9, v10
	v_ldexp_f32 v10, v14, v10
	v_add_f32_e32 v14, -1.0, v9
	v_add_f32_e32 v11, 1.0, v14
	v_sub_f32_e32 v11, v9, v11
	v_add_f32_e32 v16, v10, v11
	v_add_f32_e32 v11, 1.0, v9
	v_add_f32_e32 v17, -1.0, v11
	v_sub_f32_e32 v9, v9, v17
	v_add_f32_e32 v9, v10, v9
	v_add_f32_e32 v23, v11, v9
	v_rcp_f32_e32 v24, v23
	v_sub_f32_e32 v10, v11, v23
	v_add_f32_e32 v11, v14, v16
	v_add_f32_e32 v9, v9, v10
	v_sub_f32_e32 v10, v14, v11
	v_mul_f32_e32 v25, v11, v24
	v_add_f32_e32 v14, v16, v10
	v_mul_f32_e32 v16, v23, v25
	v_fma_f32 v18, v25, v23, -v16
	v_fmac_f32_e32 v18, v25, v9
	v_add_f32_e32 v10, v16, v18
	v_sub_f32_e32 v17, v11, v10
	v_pk_add_f32 v[20:21], v[10:11], v[16:17] neg_lo:[0,1] neg_hi:[0,1]
	v_mov_b32_e32 v19, v10
	v_pk_add_f32 v[10:11], v[20:21], v[18:19] neg_lo:[0,1] neg_hi:[0,1]
	v_cmp_eq_f32_e32 vcc, s87, v28
	v_add_f32_e32 v11, v14, v11
	v_add_f32_e32 v10, v10, v11
	;; [unrolled: 1-line block ×3, first 2 shown]
	v_mul_f32_e32 v14, v24, v11
	v_mul_f32_e32 v16, v23, v14
	v_fma_f32 v18, v14, v23, -v16
	v_fmac_f32_e32 v18, v14, v9
	v_sub_f32_e32 v9, v17, v11
	v_add_f32_e32 v9, v10, v9
	v_add_f32_e32 v10, v16, v18
	v_sub_f32_e32 v17, v11, v10
	v_pk_add_f32 v[20:21], v[10:11], v[16:17] neg_lo:[0,1] neg_hi:[0,1]
	v_mov_b32_e32 v19, v10
	v_pk_add_f32 v[10:11], v[20:21], v[18:19] neg_lo:[0,1] neg_hi:[0,1]
	s_or_b64 vcc, s[26:27], vcc
	v_add_f32_e32 v9, v9, v11
	v_add_f32_e32 v9, v10, v9
	;; [unrolled: 1-line block ×4, first 2 shown]
	v_sub_f32_e32 v10, v11, v25
	v_mul_f32_e32 v9, v24, v9
	v_sub_f32_e32 v10, v14, v10
	v_add_f32_e32 v14, v10, v9
	v_add_f32_e32 v16, v11, v14
	v_cvt_f32_i32_e32 v10, v22
	v_mul_f32_e32 v18, v16, v16
	v_sub_f32_e32 v11, v16, v11
	v_fmamk_f32 v9, v18, 0x3e9b6dac, v49
	v_sub_f32_e32 v11, v14, v11
	v_fmaak_f32 v9, v18, v9, 0x3f2aaada
	v_ldexp_f32 v14, v11, 1
	v_mul_f32_e32 v11, v16, v18
	v_pk_mul_f32 v[18:19], v[10:11], v[8:9]
	v_ldexp_f32 v17, v16, 1
	v_fma_f32 v16, v10, s89, -v18
	v_fmac_f32_e32 v16, 0xb102e308, v10
	v_pk_add_f32 v[10:11], v[18:19], v[16:17]
	v_mov_b32_e32 v20, v18
	v_sub_f32_e32 v9, v11, v17
	v_sub_f32_e32 v9, v19, v9
	v_add_f32_e32 v21, v14, v9
	v_pk_add_f32 v[18:19], v[10:11], v[18:19] neg_lo:[0,1] neg_hi:[0,1]
	v_pk_add_f32 v[22:23], v[10:11], v[20:21]
	v_mov_b32_e32 v17, v10
	v_mov_b32_e32 v19, v23
	v_pk_add_f32 v[24:25], v[16:17], v[18:19] neg_lo:[0,1] neg_hi:[0,1]
	v_pk_add_f32 v[16:17], v[16:17], v[18:19]
	s_nop 0
	v_mov_b32_e32 v14, v17
	v_pk_add_f32 v[18:19], v[14:15], v[10:11] neg_lo:[0,1] neg_hi:[0,1]
	v_mov_b32_e32 v16, v23
	v_mov_b32_e32 v9, v18
	v_pk_add_f32 v[26:27], v[22:23], v[8:9] neg_lo:[0,1] neg_hi:[0,1]
	v_mov_b32_e32 v22, v11
	v_mov_b32_e32 v23, v18
	;; [unrolled: 1-line block ×3, first 2 shown]
	v_pk_add_f32 v[16:17], v[16:17], v[22:23] neg_lo:[0,1] neg_hi:[0,1]
	v_mov_b32_e32 v18, v21
	v_mov_b32_e32 v19, v10
	v_pk_add_f32 v[10:11], v[18:19], v[16:17] neg_lo:[0,1] neg_hi:[0,1]
	v_mov_b32_e32 v26, v24
	v_pk_add_f32 v[16:17], v[26:27], v[10:11]
	s_nop 0
	v_mov_b32_e32 v18, v17
	v_pk_add_f32 v[18:19], v[16:17], v[18:19]
	s_nop 0
	v_pk_add_f32 v[20:21], v[14:15], v[18:19]
	v_mov_b32_e32 v11, v18
	v_mov_b32_e32 v17, v20
	v_pk_add_f32 v[22:23], v[16:17], v[24:25] neg_lo:[0,1] neg_hi:[0,1]
	s_nop 0
	v_sub_f32_e32 v9, v16, v22
	v_pk_add_f32 v[10:11], v[10:11], v[22:23] neg_lo:[0,1] neg_hi:[0,1]
	v_sub_f32_e32 v9, v24, v9
	v_add_f32_e32 v9, v10, v9
	v_add_f32_e32 v9, v9, v11
	;; [unrolled: 1-line block ×3, first 2 shown]
	v_cndmask_b32_e32 v54, v9, v28, vcc
.LBB102_29:                             ;   in Loop: Header=BB102_11 Depth=1
	s_or_b64 exec, exec, s[28:29]
	v_cvt_f32_f16_e32 v9, v15
	v_add_f32_e32 v11, s33, v9
	v_cmp_ge_f32_e32 vcc, s83, v11
	s_and_b64 s[26:27], s[58:59], vcc
	s_and_saveexec_b64 s[28:29], s[26:27]
	s_cbranch_execz .LBB102_31
; %bb.30:                               ;   in Loop: Header=BB102_11 Depth=1
	v_mul_f32_e32 v9, 0x3fb8aa3b, v11
	v_rndne_f32_e32 v10, v9
	v_sub_f32_e32 v14, v9, v10
	v_fma_f32 v9, v11, s84, -v9
	v_fmac_f32_e32 v9, 0x32a5705f, v11
	v_add_f32_e32 v9, v14, v9
	v_cvt_i32_f32_e32 v10, v10
	v_exp_f32_e32 v9, v9
	v_cmp_ngt_f32_e32 vcc, s85, v11
	v_ldexp_f32 v9, v9, v10
	s_nop 0
	v_cndmask_b32_e32 v9, 0, v9, vcc
	v_cmp_nlt_f32_e32 vcc, s86, v11
	s_nop 1
	v_cndmask_b32_e32 v28, v50, v9, vcc
	v_add_f32_e32 v9, 1.0, v28
	v_add_f32_e32 v10, -1.0, v9
	v_sub_f32_e32 v11, v10, v9
	v_add_f32_e32 v11, 1.0, v11
	v_sub_f32_e32 v10, v28, v10
	v_add_f32_e32 v14, v10, v11
	v_frexp_mant_f32_e32 v16, v9
	v_cvt_f64_f32_e32 v[10:11], v9
	v_frexp_exp_i32_f64_e32 v10, v[10:11]
	v_cmp_gt_f32_e32 vcc, s88, v16
	v_cmp_gt_f32_e64 s[26:27], s90, v28
	s_nop 0
	v_subbrev_co_u32_e32 v22, vcc, 0, v10, vcc
	v_sub_u32_e32 v10, 0, v22
	v_ldexp_f32 v9, v9, v10
	v_ldexp_f32 v10, v14, v10
	v_add_f32_e32 v14, -1.0, v9
	v_add_f32_e32 v11, 1.0, v14
	v_sub_f32_e32 v11, v9, v11
	v_add_f32_e32 v16, v10, v11
	v_add_f32_e32 v11, 1.0, v9
	v_add_f32_e32 v17, -1.0, v11
	v_sub_f32_e32 v9, v9, v17
	v_add_f32_e32 v9, v10, v9
	v_add_f32_e32 v23, v11, v9
	v_rcp_f32_e32 v24, v23
	v_sub_f32_e32 v10, v11, v23
	v_add_f32_e32 v11, v14, v16
	v_add_f32_e32 v9, v9, v10
	v_sub_f32_e32 v10, v14, v11
	v_mul_f32_e32 v25, v11, v24
	v_add_f32_e32 v14, v16, v10
	v_mul_f32_e32 v16, v23, v25
	v_fma_f32 v18, v25, v23, -v16
	v_fmac_f32_e32 v18, v25, v9
	v_add_f32_e32 v10, v16, v18
	v_sub_f32_e32 v17, v11, v10
	v_pk_add_f32 v[20:21], v[10:11], v[16:17] neg_lo:[0,1] neg_hi:[0,1]
	v_mov_b32_e32 v19, v10
	v_pk_add_f32 v[10:11], v[20:21], v[18:19] neg_lo:[0,1] neg_hi:[0,1]
	v_cmp_eq_f32_e32 vcc, s87, v28
	v_add_f32_e32 v11, v14, v11
	v_add_f32_e32 v10, v10, v11
	v_add_f32_e32 v11, v17, v10
	v_mul_f32_e32 v14, v24, v11
	v_mul_f32_e32 v16, v23, v14
	v_fma_f32 v18, v14, v23, -v16
	v_fmac_f32_e32 v18, v14, v9
	v_sub_f32_e32 v9, v17, v11
	v_add_f32_e32 v9, v10, v9
	v_add_f32_e32 v10, v16, v18
	v_sub_f32_e32 v17, v11, v10
	v_pk_add_f32 v[20:21], v[10:11], v[16:17] neg_lo:[0,1] neg_hi:[0,1]
	v_mov_b32_e32 v19, v10
	v_pk_add_f32 v[10:11], v[20:21], v[18:19] neg_lo:[0,1] neg_hi:[0,1]
	s_or_b64 vcc, s[26:27], vcc
	v_add_f32_e32 v9, v9, v11
	v_add_f32_e32 v9, v10, v9
	;; [unrolled: 1-line block ×4, first 2 shown]
	v_sub_f32_e32 v10, v11, v25
	v_mul_f32_e32 v9, v24, v9
	v_sub_f32_e32 v10, v14, v10
	v_add_f32_e32 v14, v10, v9
	v_add_f32_e32 v16, v11, v14
	v_cvt_f32_i32_e32 v10, v22
	v_mul_f32_e32 v18, v16, v16
	v_sub_f32_e32 v11, v16, v11
	v_fmamk_f32 v9, v18, 0x3e9b6dac, v49
	v_sub_f32_e32 v11, v14, v11
	v_fmaak_f32 v9, v18, v9, 0x3f2aaada
	v_ldexp_f32 v14, v11, 1
	v_mul_f32_e32 v11, v16, v18
	v_pk_mul_f32 v[18:19], v[10:11], v[8:9]
	v_ldexp_f32 v17, v16, 1
	v_fma_f32 v16, v10, s89, -v18
	v_fmac_f32_e32 v16, 0xb102e308, v10
	v_pk_add_f32 v[10:11], v[18:19], v[16:17]
	v_mov_b32_e32 v20, v18
	v_sub_f32_e32 v9, v11, v17
	v_sub_f32_e32 v9, v19, v9
	v_add_f32_e32 v21, v14, v9
	v_pk_add_f32 v[18:19], v[10:11], v[18:19] neg_lo:[0,1] neg_hi:[0,1]
	v_pk_add_f32 v[22:23], v[10:11], v[20:21]
	v_mov_b32_e32 v17, v10
	v_mov_b32_e32 v19, v23
	v_pk_add_f32 v[24:25], v[16:17], v[18:19] neg_lo:[0,1] neg_hi:[0,1]
	v_pk_add_f32 v[16:17], v[16:17], v[18:19]
	s_nop 0
	v_mov_b32_e32 v14, v17
	v_pk_add_f32 v[18:19], v[14:15], v[10:11] neg_lo:[0,1] neg_hi:[0,1]
	v_mov_b32_e32 v16, v23
	v_mov_b32_e32 v9, v18
	v_pk_add_f32 v[26:27], v[22:23], v[8:9] neg_lo:[0,1] neg_hi:[0,1]
	v_mov_b32_e32 v22, v11
	v_mov_b32_e32 v23, v18
	;; [unrolled: 1-line block ×3, first 2 shown]
	v_pk_add_f32 v[16:17], v[16:17], v[22:23] neg_lo:[0,1] neg_hi:[0,1]
	v_mov_b32_e32 v18, v21
	v_mov_b32_e32 v19, v10
	v_pk_add_f32 v[10:11], v[18:19], v[16:17] neg_lo:[0,1] neg_hi:[0,1]
	v_mov_b32_e32 v26, v24
	v_pk_add_f32 v[16:17], v[26:27], v[10:11]
	s_nop 0
	v_mov_b32_e32 v18, v17
	v_pk_add_f32 v[18:19], v[16:17], v[18:19]
	s_nop 0
	v_pk_add_f32 v[20:21], v[14:15], v[18:19]
	v_mov_b32_e32 v11, v18
	v_mov_b32_e32 v17, v20
	v_pk_add_f32 v[22:23], v[16:17], v[24:25] neg_lo:[0,1] neg_hi:[0,1]
	s_nop 0
	v_sub_f32_e32 v9, v16, v22
	v_pk_add_f32 v[10:11], v[10:11], v[22:23] neg_lo:[0,1] neg_hi:[0,1]
	v_sub_f32_e32 v9, v24, v9
	v_add_f32_e32 v9, v10, v9
	v_add_f32_e32 v9, v9, v11
	;; [unrolled: 1-line block ×3, first 2 shown]
	v_cndmask_b32_e32 v11, v9, v28, vcc
.LBB102_31:                             ;   in Loop: Header=BB102_11 Depth=1
	s_or_b64 exec, exec, s[28:29]
	v_cvt_f32_f16_sdwa v9, v15 dst_sel:DWORD dst_unused:UNUSED_PAD src0_sel:WORD_1
	v_add_f32_e32 v10, s33, v9
	v_cmp_ge_f32_e32 vcc, s83, v10
	s_and_b64 s[26:27], s[58:59], vcc
	s_and_saveexec_b64 s[28:29], s[26:27]
	s_cbranch_execz .LBB102_33
; %bb.32:                               ;   in Loop: Header=BB102_11 Depth=1
	v_mul_f32_e32 v9, 0x3fb8aa3b, v10
	v_rndne_f32_e32 v14, v9
	v_sub_f32_e32 v15, v9, v14
	v_fma_f32 v9, v10, s84, -v9
	v_fmac_f32_e32 v9, 0x32a5705f, v10
	v_add_f32_e32 v9, v15, v9
	v_cvt_i32_f32_e32 v14, v14
	v_exp_f32_e32 v9, v9
	v_cmp_ngt_f32_e32 vcc, s85, v10
	v_ldexp_f32 v9, v9, v14
	s_nop 0
	v_cndmask_b32_e32 v9, 0, v9, vcc
	v_cmp_nlt_f32_e32 vcc, s86, v10
	s_nop 1
	v_cndmask_b32_e32 v28, v50, v9, vcc
	v_add_f32_e32 v9, 1.0, v28
	v_add_f32_e32 v10, -1.0, v9
	v_sub_f32_e32 v14, v10, v9
	v_add_f32_e32 v14, 1.0, v14
	v_sub_f32_e32 v10, v28, v10
	v_add_f32_e32 v10, v10, v14
	v_frexp_mant_f32_e32 v16, v9
	v_cvt_f64_f32_e32 v[14:15], v9
	v_frexp_exp_i32_f64_e32 v14, v[14:15]
	v_cmp_gt_f32_e32 vcc, s88, v16
	v_cmp_gt_f32_e64 s[26:27], s90, v28
	s_nop 0
	v_subbrev_co_u32_e32 v22, vcc, 0, v14, vcc
	v_sub_u32_e32 v14, 0, v22
	v_ldexp_f32 v9, v9, v14
	v_ldexp_f32 v10, v10, v14
	v_add_f32_e32 v14, -1.0, v9
	v_add_f32_e32 v15, 1.0, v14
	v_sub_f32_e32 v15, v9, v15
	v_add_f32_e32 v16, v10, v15
	v_add_f32_e32 v15, 1.0, v9
	v_add_f32_e32 v17, -1.0, v15
	v_sub_f32_e32 v9, v9, v17
	v_add_f32_e32 v9, v10, v9
	v_add_f32_e32 v10, v15, v9
	v_rcp_f32_e32 v23, v10
	v_sub_f32_e32 v15, v15, v10
	v_add_f32_e32 v9, v9, v15
	v_add_f32_e32 v15, v14, v16
	v_sub_f32_e32 v14, v14, v15
	v_mul_f32_e32 v25, v15, v23
	v_add_f32_e32 v24, v16, v14
	v_mul_f32_e32 v16, v10, v25
	v_fma_f32 v18, v25, v10, -v16
	v_fmac_f32_e32 v18, v25, v9
	v_add_f32_e32 v14, v16, v18
	v_sub_f32_e32 v17, v15, v14
	v_pk_add_f32 v[20:21], v[14:15], v[16:17] neg_lo:[0,1] neg_hi:[0,1]
	v_mov_b32_e32 v19, v14
	v_pk_add_f32 v[14:15], v[20:21], v[18:19] neg_lo:[0,1] neg_hi:[0,1]
	v_cmp_eq_f32_e32 vcc, s87, v28
	v_add_f32_e32 v15, v24, v15
	v_add_f32_e32 v14, v14, v15
	;; [unrolled: 1-line block ×3, first 2 shown]
	v_mul_f32_e32 v24, v23, v15
	v_mul_f32_e32 v16, v10, v24
	v_fma_f32 v18, v24, v10, -v16
	v_fmac_f32_e32 v18, v24, v9
	v_sub_f32_e32 v9, v17, v15
	v_add_f32_e32 v9, v14, v9
	v_add_f32_e32 v14, v16, v18
	v_sub_f32_e32 v17, v15, v14
	v_pk_add_f32 v[20:21], v[14:15], v[16:17] neg_lo:[0,1] neg_hi:[0,1]
	v_mov_b32_e32 v19, v14
	v_pk_add_f32 v[14:15], v[20:21], v[18:19] neg_lo:[0,1] neg_hi:[0,1]
	v_add_f32_e32 v10, v25, v24
	v_add_f32_e32 v9, v9, v15
	;; [unrolled: 1-line block ×4, first 2 shown]
	v_sub_f32_e32 v14, v10, v25
	v_mul_f32_e32 v9, v23, v9
	v_sub_f32_e32 v14, v24, v14
	v_add_f32_e32 v15, v14, v9
	v_add_f32_e32 v16, v10, v15
	v_cvt_f32_i32_e32 v14, v22
	v_mul_f32_e32 v18, v16, v16
	v_fmamk_f32 v9, v18, 0x3e9b6dac, v49
	v_sub_f32_e32 v10, v16, v10
	v_fmaak_f32 v9, v18, v9, 0x3f2aaada
	v_sub_f32_e32 v10, v15, v10
	v_mul_f32_e32 v15, v16, v18
	v_pk_mul_f32 v[18:19], v[14:15], v[8:9]
	v_ldexp_f32 v17, v16, 1
	v_fma_f32 v16, v14, s89, -v18
	v_fmac_f32_e32 v16, 0xb102e308, v14
	v_pk_add_f32 v[14:15], v[18:19], v[16:17]
	v_ldexp_f32 v10, v10, 1
	v_sub_f32_e32 v9, v15, v17
	v_sub_f32_e32 v9, v19, v9
	v_add_f32_e32 v21, v10, v9
	v_mov_b32_e32 v20, v18
	v_pk_add_f32 v[18:19], v[14:15], v[18:19] neg_lo:[0,1] neg_hi:[0,1]
	v_pk_add_f32 v[22:23], v[14:15], v[20:21]
	v_mov_b32_e32 v17, v14
	v_mov_b32_e32 v19, v23
	v_pk_add_f32 v[24:25], v[16:17], v[18:19] neg_lo:[0,1] neg_hi:[0,1]
	v_pk_add_f32 v[16:17], v[16:17], v[18:19]
	s_or_b64 vcc, s[26:27], vcc
	v_mov_b32_e32 v10, v17
	v_pk_add_f32 v[18:19], v[10:11], v[14:15] neg_lo:[0,1] neg_hi:[0,1]
	v_mov_b32_e32 v16, v23
	v_mov_b32_e32 v9, v18
	v_pk_add_f32 v[26:27], v[22:23], v[8:9] neg_lo:[0,1] neg_hi:[0,1]
	v_mov_b32_e32 v22, v15
	v_mov_b32_e32 v23, v18
	;; [unrolled: 1-line block ×3, first 2 shown]
	v_pk_add_f32 v[16:17], v[16:17], v[22:23] neg_lo:[0,1] neg_hi:[0,1]
	v_mov_b32_e32 v18, v21
	v_mov_b32_e32 v19, v14
	v_pk_add_f32 v[14:15], v[18:19], v[16:17] neg_lo:[0,1] neg_hi:[0,1]
	v_mov_b32_e32 v26, v24
	v_pk_add_f32 v[16:17], v[26:27], v[14:15]
	s_nop 0
	v_mov_b32_e32 v18, v17
	v_pk_add_f32 v[18:19], v[16:17], v[18:19]
	s_nop 0
	v_pk_add_f32 v[20:21], v[10:11], v[18:19]
	v_mov_b32_e32 v15, v18
	v_mov_b32_e32 v17, v20
	v_pk_add_f32 v[22:23], v[16:17], v[24:25] neg_lo:[0,1] neg_hi:[0,1]
	s_nop 0
	v_sub_f32_e32 v9, v16, v22
	v_pk_add_f32 v[14:15], v[14:15], v[22:23] neg_lo:[0,1] neg_hi:[0,1]
	v_sub_f32_e32 v9, v24, v9
	v_add_f32_e32 v9, v14, v9
	v_add_f32_e32 v9, v9, v15
	;; [unrolled: 1-line block ×3, first 2 shown]
	v_cndmask_b32_e32 v10, v9, v28, vcc
.LBB102_33:                             ;   in Loop: Header=BB102_11 Depth=1
	s_or_b64 exec, exec, s[28:29]
	v_cvt_f32_f16_e32 v20, v13
	v_cvt_f32_f16_sdwa v21, v12 dst_sel:DWORD dst_unused:UNUSED_PAD src0_sel:WORD_1
	v_cvt_f32_f16_e32 v22, v12
	v_cvt_f32_f16_sdwa v9, v13 dst_sel:DWORD dst_unused:UNUSED_PAD src0_sel:WORD_1
	v_mul_f32_e32 v14, s78, v20
	v_mul_f32_e32 v13, s78, v21
	;; [unrolled: 1-line block ×4, first 2 shown]
	s_and_b64 vcc, exec, s[60:61]
	s_waitcnt lgkmcnt(0)
	; wave barrier
	s_cbranch_vccz .LBB102_75
; %bb.34:                               ;   in Loop: Header=BB102_11 Depth=1
	s_cmp_lg_u32 s93, 0
	s_cselect_b64 s[66:67], -1, 0
	s_cmp_eq_u32 s93, s82
	v_cmp_gt_u32_e32 vcc, s34, v7
	s_cselect_b64 s[68:69], -1, 0
	s_or_b64 s[26:27], s[62:63], vcc
	v_cmp_gt_u32_e32 vcc, s34, v6
	s_mov_b32 s54, 0
	v_cmp_gt_u32_e64 s[28:29], s34, v3
	s_or_b64 s[30:31], s[62:63], vcc
	v_cmp_gt_u32_e32 vcc, s34, v48
	v_mul_f32_e32 v9, v10, v9
	v_lshl_add_u64 v[16:17], s[42:43], 0, v[0:1]
	v_lshl_add_u64 v[18:19], s[46:47], 0, v[0:1]
	v_mul_f32_e32 v55, v11, v20
	v_mul_f32_e32 v56, v54, v21
	v_mul_f32_e32 v57, v53, v22
	s_or_b64 s[28:29], s[62:63], s[28:29]
	s_or_b64 s[34:35], s[62:63], vcc
	s_mov_b32 s70, s54
	s_mov_b32 s72, s54
	;; [unrolled: 1-line block ×5, first 2 shown]
	s_branch .LBB102_36
.LBB102_35:                             ;   in Loop: Header=BB102_36 Depth=2
	s_or_b64 exec, exec, s[36:37]
	v_mul_f32_e32 v22, v29, v28
	v_fma_f32 v23, v29, v31, v24
	v_cndmask_b32_e64 v24, v23, v24, s[16:17]
	v_cndmask_b32_e64 v22, v22, v29, s[16:17]
	s_waitcnt lgkmcnt(0)
	v_fmac_f32_e32 v24, v34, v22
	v_fmac_f32_e32 v25, v24, v27
	v_cvt_f32_f16_sdwa v23, v21 dst_sel:DWORD dst_unused:UNUSED_PAD src0_sel:WORD_1
	v_cvt_f32_f16_e32 v22, v21
	v_cvt_f32_f16_sdwa v21, v20 dst_sel:DWORD dst_unused:UNUSED_PAD src0_sel:WORD_1
	v_cvt_f32_f16_e32 v20, v20
	v_fmac_f32_e32 v26, v25, v33
	v_fmac_f32_e32 v30, v26, v32
	v_mov_b32_e32 v27, v30
	s_add_i32 s94, s94, 8
	s_add_i32 s65, s65, -1
	s_add_i32 s74, s74, s38
	s_add_i32 s72, s72, s48
	;; [unrolled: 1-line block ×4, first 2 shown]
	v_pk_fma_f32 v[14:15], v[26:27], v[22:23], v[14:15]
	s_cmp_eq_u32 s65, 0
	v_pk_fma_f32 v[12:13], v[24:25], v[20:21], v[12:13]
	s_cbranch_scc1 .LBB102_75
.LBB102_36:                             ;   Parent Loop BB102_11 Depth=1
                                        ; =>  This Inner Loop Header: Depth=2
	s_lshl_b64 s[36:37], s[54:55], 2
	s_add_u32 s36, s40, s36
	s_addc_u32 s37, s80, s37
	global_load_dword v26, v1, s[36:37]
	s_mov_b32 s71, s55
	v_lshl_add_u64 v[20:21], s[70:71], 1, v[16:17]
	v_mov_b32_e32 v22, 0
	v_mov_b32_e32 v23, 0
	s_and_saveexec_b64 s[36:37], s[18:19]
	s_cbranch_execnz .LBB102_48
; %bb.37:                               ;   in Loop: Header=BB102_36 Depth=2
	s_or_b64 exec, exec, s[36:37]
	s_and_saveexec_b64 s[36:37], s[20:21]
	s_cbranch_execnz .LBB102_49
.LBB102_38:                             ;   in Loop: Header=BB102_36 Depth=2
	s_or_b64 exec, exec, s[36:37]
	v_mov_b32_e32 v24, 0
	s_and_saveexec_b64 s[36:37], s[22:23]
	s_cbranch_execnz .LBB102_50
.LBB102_39:                             ;   in Loop: Header=BB102_36 Depth=2
	s_or_b64 exec, exec, s[36:37]
	s_and_saveexec_b64 s[36:37], s[24:25]
	s_cbranch_execz .LBB102_41
.LBB102_40:                             ;   in Loop: Header=BB102_36 Depth=2
	global_load_ushort v20, v[20:21], off offset:384
	s_waitcnt vmcnt(0)
	v_lshl_or_b32 v24, v20, 16, v24
.LBB102_41:                             ;   in Loop: Header=BB102_36 Depth=2
	s_or_b64 exec, exec, s[36:37]
	s_waitcnt vmcnt(0)
	ds_write_b16 v39, v23
	ds_write_b16 v40, v22 offset:128
	ds_write_b16 v41, v24 offset:256
	ds_write_b16_d16_hi v42, v24 offset:384
	; wave barrier
	ds_read_b64 v[24:25], v43
	s_mov_b32 s73, s55
	v_lshl_add_u64 v[20:21], s[72:73], 1, v[18:19]
	v_mov_b32_e32 v22, 0
	v_mov_b32_e32 v23, 0
	s_and_saveexec_b64 s[36:37], s[18:19]
	s_cbranch_execnz .LBB102_51
; %bb.42:                               ;   in Loop: Header=BB102_36 Depth=2
	s_or_b64 exec, exec, s[36:37]
	s_and_saveexec_b64 s[36:37], s[20:21]
	s_cbranch_execnz .LBB102_52
.LBB102_43:                             ;   in Loop: Header=BB102_36 Depth=2
	s_or_b64 exec, exec, s[36:37]
	v_mov_b32_e32 v27, 0
	s_and_saveexec_b64 s[36:37], s[22:23]
	s_cbranch_execnz .LBB102_53
.LBB102_44:                             ;   in Loop: Header=BB102_36 Depth=2
	s_or_b64 exec, exec, s[36:37]
	s_and_saveexec_b64 s[36:37], s[24:25]
	s_cbranch_execz .LBB102_46
.LBB102_45:                             ;   in Loop: Header=BB102_36 Depth=2
	global_load_ushort v20, v[20:21], off offset:384
	s_waitcnt vmcnt(0)
	v_lshl_or_b32 v27, v20, 16, v27
.LBB102_46:                             ;   in Loop: Header=BB102_36 Depth=2
	s_or_b64 exec, exec, s[36:37]
	s_waitcnt vmcnt(0)
	ds_write_b16 v39, v23 offset:528
	ds_write_b16 v44, v22 offset:128
	;; [unrolled: 1-line block ×3, first 2 shown]
	ds_write_b16_d16_hi v46, v27 offset:384
	; wave barrier
	ds_read_b64 v[20:21], v43 offset:528
	s_andn2_b64 vcc, exec, s[66:67]
	s_cbranch_vccnz .LBB102_54
; %bb.47:                               ;   in Loop: Header=BB102_36 Depth=2
	v_mov_b32_e32 v22, s94
	ds_read_b64 v[22:23], v22
	s_cbranch_execz .LBB102_55
	s_branch .LBB102_58
.LBB102_48:                             ;   in Loop: Header=BB102_36 Depth=2
	global_load_ushort v23, v[20:21], off
	s_or_b64 exec, exec, s[36:37]
	s_and_saveexec_b64 s[36:37], s[20:21]
	s_cbranch_execz .LBB102_38
.LBB102_49:                             ;   in Loop: Header=BB102_36 Depth=2
	global_load_ushort v22, v[20:21], off offset:128
	s_or_b64 exec, exec, s[36:37]
	v_mov_b32_e32 v24, 0
	s_and_saveexec_b64 s[36:37], s[22:23]
	s_cbranch_execz .LBB102_39
.LBB102_50:                             ;   in Loop: Header=BB102_36 Depth=2
	global_load_ushort v24, v[20:21], off offset:256
	s_or_b64 exec, exec, s[36:37]
	s_and_saveexec_b64 s[36:37], s[24:25]
	s_cbranch_execnz .LBB102_40
	s_branch .LBB102_41
.LBB102_51:                             ;   in Loop: Header=BB102_36 Depth=2
	global_load_ushort v23, v[20:21], off
	s_or_b64 exec, exec, s[36:37]
	s_and_saveexec_b64 s[36:37], s[20:21]
	s_cbranch_execz .LBB102_43
.LBB102_52:                             ;   in Loop: Header=BB102_36 Depth=2
	global_load_ushort v22, v[20:21], off offset:128
	s_or_b64 exec, exec, s[36:37]
	v_mov_b32_e32 v27, 0
	s_and_saveexec_b64 s[36:37], s[22:23]
	s_cbranch_execz .LBB102_44
.LBB102_53:                             ;   in Loop: Header=BB102_36 Depth=2
	global_load_ushort v27, v[20:21], off offset:256
	s_or_b64 exec, exec, s[36:37]
	s_and_saveexec_b64 s[36:37], s[24:25]
	s_cbranch_execnz .LBB102_45
	s_branch .LBB102_46
.LBB102_54:                             ;   in Loop: Header=BB102_36 Depth=2
                                        ; implicit-def: $vgpr23
.LBB102_55:                             ;   in Loop: Header=BB102_36 Depth=2
	s_andn2_b64 vcc, exec, s[52:53]
	s_waitcnt lgkmcnt(0)
	v_mov_b32_e32 v23, 0
	s_cbranch_vccnz .LBB102_57
; %bb.56:                               ;   in Loop: Header=BB102_36 Depth=2
	s_mov_b32 s75, s55
	s_lshl_b64 s[36:37], s[74:75], 2
	s_add_u32 s36, s45, s36
	s_addc_u32 s37, s49, s37
	global_load_dword v23, v1, s[36:37]
.LBB102_57:                             ;   in Loop: Header=BB102_36 Depth=2
	v_mov_b32_e32 v22, 1.0
.LBB102_58:                             ;   in Loop: Header=BB102_36 Depth=2
	v_mul_f32_e32 v26, 0x3fb8aa3b, v26
	s_waitcnt lgkmcnt(5)
	v_cvt_f32_f16_e32 v27, v24
	v_cvt_f32_f16_sdwa v28, v24 dst_sel:DWORD dst_unused:UNUSED_PAD src0_sel:WORD_1
	v_mul_f32_e32 v24, v26, v53
	v_cmp_gt_f32_e32 vcc, s92, v24
	v_cvt_f32_f16_e32 v32, v25
	v_cvt_f32_f16_sdwa v33, v25 dst_sel:DWORD dst_unused:UNUSED_PAD src0_sel:WORD_1
	v_cndmask_b32_e32 v24, 0, v51, vcc
	v_fmac_f32_e32 v24, v26, v53
	v_exp_f32_e32 v24, v24
	v_cndmask_b32_e32 v25, 1.0, v52, vcc
	v_mul_f32_e32 v25, v24, v25
	v_mul_f32_e32 v24, v57, v27
	v_mul_f32_e32 v27, v26, v54
	v_cmp_gt_f32_e32 vcc, s92, v27
	v_cndmask_b32_e64 v29, 1.0, v25, s[26:27]
	v_cndmask_b32_e64 v24, 0, v24, s[26:27]
	v_cndmask_b32_e32 v27, 0, v51, vcc
	v_fmac_f32_e32 v27, v26, v54
	v_exp_f32_e32 v27, v27
	v_cndmask_b32_e32 v25, 1.0, v52, vcc
	v_mul_f32_e32 v27, v27, v25
	v_pk_mul_f32 v[30:31], v[26:27], v[10:11] op_sel_hi:[0,1]
	v_cmp_gt_f32_e32 vcc, s92, v30
	v_mul_f32_e32 v25, v56, v28
	v_cmp_gt_f32_e64 s[36:37], s92, v31
	v_cndmask_b32_e32 v28, 0, v51, vcc
	v_add_f32_e32 v28, v30, v28
	v_cndmask_b32_e64 v30, 0, v51, s[36:37]
	v_exp_f32_e32 v28, v28
	v_add_f32_e32 v30, v31, v30
	v_exp_f32_e32 v30, v30
	v_cndmask_b32_e32 v31, 1.0, v52, vcc
	v_mul_f32_e32 v28, v28, v31
	v_cndmask_b32_e64 v31, 1.0, v52, s[36:37]
	v_cndmask_b32_e64 v25, 0, v25, s[28:29]
	v_cndmask_b32_e64 v27, 1.0, v27, s[28:29]
	v_mul_f32_e32 v31, v30, v31
	v_mul_f32_e32 v26, v55, v32
	;; [unrolled: 1-line block ×3, first 2 shown]
	v_cndmask_b32_e64 v33, 1.0, v31, s[30:31]
	v_cndmask_b32_e64 v32, 1.0, v28, s[34:35]
	v_fma_f32 v28, v27, v24, v25
	v_cndmask_b32_e64 v26, 0, v26, s[30:31]
	v_mul_f32_e32 v28, v28, v33
	v_pk_add_f32 v[34:35], v[28:29], v[26:27]
	v_pk_mul_f32 v[58:59], v[28:29], v[26:27]
	v_cndmask_b32_e64 v30, 0, v30, s[34:35]
	v_mov_b32_e32 v35, v59
	v_pk_mul_f32 v[58:59], v[34:35], v[32:33]
	v_mov_b32_e32 v31, v32
	v_pk_fma_f32 v[60:61], v[34:35], v[32:33], v[30:31]
	v_pk_mul_f32 v[58:59], v[58:59], v[30:31]
	s_nop 0
	v_mov_b32_dpp v31, v60 row_shr:1 row_mask:0xf bank_mask:0xf
	v_mov_b32_dpp v28, v59 row_shr:1 row_mask:0xf bank_mask:0xf
	v_mul_f32_e32 v58, v59, v28
	v_fma_f32 v28, v59, v31, v60
	v_cndmask_b32_e64 v35, v28, v60, s[0:1]
	v_cndmask_b32_e64 v28, v28, v60, s[0:1]
	;; [unrolled: 1-line block ×4, first 2 shown]
	v_mov_b32_dpp v59, v28 row_shr:2 row_mask:0xf bank_mask:0xf
	v_mov_b32_dpp v58, v31 row_shr:2 row_mask:0xf bank_mask:0xf
	s_and_saveexec_b64 s[36:37], s[2:3]
; %bb.59:                               ;   in Loop: Header=BB102_36 Depth=2
	v_fmac_f32_e32 v28, v31, v59
	v_mul_f32_e32 v31, v31, v58
	v_mov_b32_e32 v34, v31
	v_mov_b32_e32 v35, v28
; %bb.60:                               ;   in Loop: Header=BB102_36 Depth=2
	s_or_b64 exec, exec, s[36:37]
	v_mov_b32_dpp v58, v31 row_shr:4 row_mask:0xf bank_mask:0xf
	v_mov_b32_dpp v59, v28 row_shr:4 row_mask:0xf bank_mask:0xf
	s_and_saveexec_b64 s[36:37], s[4:5]
; %bb.61:                               ;   in Loop: Header=BB102_36 Depth=2
	v_fmac_f32_e32 v28, v31, v59
	v_mul_f32_e32 v31, v31, v58
	v_mov_b32_e32 v34, v31
	v_mov_b32_e32 v35, v28
; %bb.62:                               ;   in Loop: Header=BB102_36 Depth=2
	s_or_b64 exec, exec, s[36:37]
	;; [unrolled: 10-line block ×3, first 2 shown]
	v_mov_b32_dpp v58, v31 row_bcast:15 row_mask:0xf bank_mask:0xf
	v_mov_b32_dpp v59, v28 row_bcast:15 row_mask:0xf bank_mask:0xf
	s_and_saveexec_b64 s[36:37], s[8:9]
; %bb.65:                               ;   in Loop: Header=BB102_36 Depth=2
	v_fmac_f32_e32 v28, v31, v59
	v_mul_f32_e32 v31, v31, v58
	v_mov_b32_e32 v34, v31
	v_mov_b32_e32 v35, v28
; %bb.66:                               ;   in Loop: Header=BB102_36 Depth=2
	s_or_b64 exec, exec, s[36:37]
	v_mov_b32_dpp v58, v31 row_bcast:31 row_mask:0xf bank_mask:0xf
	v_mov_b32_dpp v59, v28 row_bcast:31 row_mask:0xf bank_mask:0xf
	v_mul_f32_e32 v58, v31, v58
	v_fmac_f32_e32 v28, v31, v59
	v_cndmask_b32_e64 v34, v34, v58, s[10:11]
	v_cndmask_b32_e64 v35, v35, v28, s[10:11]
	s_and_saveexec_b64 s[36:37], s[12:13]
	s_cbranch_execz .LBB102_68
; %bb.67:                               ;   in Loop: Header=BB102_36 Depth=2
	ds_write_b64 v1, v[34:35] offset:1056
.LBB102_68:                             ;   in Loop: Header=BB102_36 Depth=2
	s_or_b64 exec, exec, s[36:37]
	ds_bpermute_b32 v28, v47, v34
	ds_bpermute_b32 v31, v47, v35
	s_waitcnt vmcnt(0) lgkmcnt(2)
	v_mov_b32_e32 v35, v23
	s_waitcnt lgkmcnt(0)
	; wave barrier
	s_waitcnt lgkmcnt(0)
	s_and_saveexec_b64 s[36:37], s[14:15]
	s_cbranch_execz .LBB102_72
; %bb.69:                               ;   in Loop: Header=BB102_36 Depth=2
	ds_read_b64 v[34:35], v1 offset:1056
	s_and_saveexec_b64 s[76:77], s[16:17]
	s_cbranch_execz .LBB102_71
; %bb.70:                               ;   in Loop: Header=BB102_36 Depth=2
	ds_write_b64 v1, v[22:23] offset:1056
.LBB102_71:                             ;   in Loop: Header=BB102_36 Depth=2
	s_or_b64 exec, exec, s[76:77]
	s_waitcnt lgkmcnt(0)
	v_fmac_f32_e32 v35, v23, v34
	v_mul_f32_e32 v22, v22, v34
	v_mov_b32_e32 v23, v35
.LBB102_72:                             ;   in Loop: Header=BB102_36 Depth=2
	s_or_b64 exec, exec, s[36:37]
	s_waitcnt lgkmcnt(0)
	; wave barrier
	ds_read_b32 v34, v1 offset:1060
	s_and_saveexec_b64 s[36:37], s[16:17]
	s_cbranch_execz .LBB102_35
; %bb.73:                               ;   in Loop: Header=BB102_36 Depth=2
	v_mov_b32_e32 v58, s94
	s_andn2_b64 vcc, exec, s[68:69]
	ds_write_b64 v58, v[22:23]
	s_cbranch_vccnz .LBB102_35
; %bb.74:                               ;   in Loop: Header=BB102_36 Depth=2
	s_mov_b32 s75, s55
	s_lshl_b64 s[76:77], s[74:75], 2
	s_add_u32 s76, s45, s76
	s_addc_u32 s77, s49, s77
	global_store_dword v1, v35, s[76:77]
	s_branch .LBB102_35
.LBB102_75:                             ;   in Loop: Header=BB102_11 Depth=1
	v_cvt_f16_f32_e32 v9, v15
	v_cvt_f16_f32_e32 v10, v14
	;; [unrolled: 1-line block ×4, first 2 shown]
	v_pack_b32_f16 v11, v10, v9
	; wave barrier
	v_pack_b32_f16 v10, v12, v13
	ds_write_b64 v43, v[10:11]
	; wave barrier
	ds_read_u16 v13, v40 offset:128
	ds_read_u16 v12, v41 offset:256
	;; [unrolled: 1-line block ×3, first 2 shown]
	s_mov_b32 s65, s55
	v_lshl_add_u64 v[10:11], s[64:65], 1, v[4:5]
	s_and_saveexec_b64 s[26:27], s[18:19]
	s_cbranch_execnz .LBB102_81
; %bb.76:                               ;   in Loop: Header=BB102_11 Depth=1
	s_or_b64 exec, exec, s[26:27]
	s_and_saveexec_b64 s[18:19], s[20:21]
	s_cbranch_execnz .LBB102_82
.LBB102_77:                             ;   in Loop: Header=BB102_11 Depth=1
	s_or_b64 exec, exec, s[18:19]
	s_and_saveexec_b64 s[18:19], s[22:23]
	s_cbranch_execnz .LBB102_83
.LBB102_78:                             ;   in Loop: Header=BB102_11 Depth=1
	s_or_b64 exec, exec, s[18:19]
	s_and_saveexec_b64 s[18:19], s[24:25]
	s_cbranch_execz .LBB102_10
	s_branch .LBB102_84
.LBB102_79:                             ;   in Loop: Header=BB102_11 Depth=1
	global_load_ushort v15, v[10:11], off offset:128
	s_or_b64 exec, exec, s[26:27]
	s_and_saveexec_b64 s[26:27], s[22:23]
	s_cbranch_execz .LBB102_23
.LBB102_80:                             ;   in Loop: Header=BB102_11 Depth=1
	global_load_ushort v14, v[10:11], off offset:256
	s_or_b64 exec, exec, s[26:27]
	v_mov_b32_e32 v16, 0
	s_and_saveexec_b64 s[26:27], s[24:25]
	s_cbranch_execnz .LBB102_24
	s_branch .LBB102_25
.LBB102_81:                             ;   in Loop: Header=BB102_11 Depth=1
	ds_read_u16 v14, v39
	s_waitcnt lgkmcnt(0)
	global_store_short v[10:11], v14, off
	s_or_b64 exec, exec, s[26:27]
	s_and_saveexec_b64 s[18:19], s[20:21]
	s_cbranch_execz .LBB102_77
.LBB102_82:                             ;   in Loop: Header=BB102_11 Depth=1
	s_waitcnt lgkmcnt(2)
	global_store_short v[10:11], v13, off offset:128
	s_or_b64 exec, exec, s[18:19]
	s_and_saveexec_b64 s[18:19], s[22:23]
	s_cbranch_execz .LBB102_78
.LBB102_83:                             ;   in Loop: Header=BB102_11 Depth=1
	s_waitcnt lgkmcnt(1)
	global_store_short v[10:11], v12, off offset:256
	s_or_b64 exec, exec, s[18:19]
	s_and_saveexec_b64 s[18:19], s[24:25]
	s_cbranch_execz .LBB102_10
.LBB102_84:                             ;   in Loop: Header=BB102_11 Depth=1
	s_waitcnt lgkmcnt(0)
	global_store_short v[10:11], v9, off offset:384
	s_branch .LBB102_10
.LBB102_85:
	s_endpgm
.LBB102_86:
	s_mov_b64 s[52:53], 0
	s_load_dwordx2 s[4:5], s[0:1], 0x20
	s_cmp_eq_u64 s[6:7], 0
	s_cbranch_scc0 .LBB102_2
	s_branch .LBB102_3
	.section	.rodata,"a",@progbits
	.p2align	6, 0x0
	.amdhsa_kernel _Z25selective_scan_fwd_kernelI32Selective_Scan_fwd_kernel_traitsILi64ELi4ELi1ELb0ELb1ELb1ELb0ELb1EN3c104HalfEffEEv13SSMParamsBase
		.amdhsa_group_segment_fixed_size 0
		.amdhsa_private_segment_fixed_size 0
		.amdhsa_kernarg_size 248
		.amdhsa_user_sgpr_count 2
		.amdhsa_user_sgpr_dispatch_ptr 0
		.amdhsa_user_sgpr_queue_ptr 0
		.amdhsa_user_sgpr_kernarg_segment_ptr 1
		.amdhsa_user_sgpr_dispatch_id 0
		.amdhsa_user_sgpr_kernarg_preload_length 0
		.amdhsa_user_sgpr_kernarg_preload_offset 0
		.amdhsa_user_sgpr_private_segment_size 0
		.amdhsa_uses_dynamic_stack 0
		.amdhsa_enable_private_segment 0
		.amdhsa_system_sgpr_workgroup_id_x 1
		.amdhsa_system_sgpr_workgroup_id_y 1
		.amdhsa_system_sgpr_workgroup_id_z 0
		.amdhsa_system_sgpr_workgroup_info 0
		.amdhsa_system_vgpr_workitem_id 0
		.amdhsa_next_free_vgpr 62
		.amdhsa_next_free_sgpr 95
		.amdhsa_accum_offset 64
		.amdhsa_reserve_vcc 1
		.amdhsa_float_round_mode_32 0
		.amdhsa_float_round_mode_16_64 0
		.amdhsa_float_denorm_mode_32 3
		.amdhsa_float_denorm_mode_16_64 3
		.amdhsa_dx10_clamp 1
		.amdhsa_ieee_mode 1
		.amdhsa_fp16_overflow 0
		.amdhsa_tg_split 0
		.amdhsa_exception_fp_ieee_invalid_op 0
		.amdhsa_exception_fp_denorm_src 0
		.amdhsa_exception_fp_ieee_div_zero 0
		.amdhsa_exception_fp_ieee_overflow 0
		.amdhsa_exception_fp_ieee_underflow 0
		.amdhsa_exception_fp_ieee_inexact 0
		.amdhsa_exception_int_div_zero 0
	.end_amdhsa_kernel
	.section	.text._Z25selective_scan_fwd_kernelI32Selective_Scan_fwd_kernel_traitsILi64ELi4ELi1ELb0ELb1ELb1ELb0ELb1EN3c104HalfEffEEv13SSMParamsBase,"axG",@progbits,_Z25selective_scan_fwd_kernelI32Selective_Scan_fwd_kernel_traitsILi64ELi4ELi1ELb0ELb1ELb1ELb0ELb1EN3c104HalfEffEEv13SSMParamsBase,comdat
.Lfunc_end102:
	.size	_Z25selective_scan_fwd_kernelI32Selective_Scan_fwd_kernel_traitsILi64ELi4ELi1ELb0ELb1ELb1ELb0ELb1EN3c104HalfEffEEv13SSMParamsBase, .Lfunc_end102-_Z25selective_scan_fwd_kernelI32Selective_Scan_fwd_kernel_traitsILi64ELi4ELi1ELb0ELb1ELb1ELb0ELb1EN3c104HalfEffEEv13SSMParamsBase
                                        ; -- End function
	.section	.AMDGPU.csdata,"",@progbits
; Kernel info:
; codeLenInByte = 6164
; NumSgprs: 101
; NumVgprs: 62
; NumAgprs: 0
; TotalNumVgprs: 62
; ScratchSize: 0
; MemoryBound: 0
; FloatMode: 240
; IeeeMode: 1
; LDSByteSize: 0 bytes/workgroup (compile time only)
; SGPRBlocks: 12
; VGPRBlocks: 7
; NumSGPRsForWavesPerEU: 101
; NumVGPRsForWavesPerEU: 62
; AccumOffset: 64
; Occupancy: 7
; WaveLimiterHint : 1
; COMPUTE_PGM_RSRC2:SCRATCH_EN: 0
; COMPUTE_PGM_RSRC2:USER_SGPR: 2
; COMPUTE_PGM_RSRC2:TRAP_HANDLER: 0
; COMPUTE_PGM_RSRC2:TGID_X_EN: 1
; COMPUTE_PGM_RSRC2:TGID_Y_EN: 1
; COMPUTE_PGM_RSRC2:TGID_Z_EN: 0
; COMPUTE_PGM_RSRC2:TIDIG_COMP_CNT: 0
; COMPUTE_PGM_RSRC3_GFX90A:ACCUM_OFFSET: 15
; COMPUTE_PGM_RSRC3_GFX90A:TG_SPLIT: 0
	.section	.text._Z25selective_scan_fwd_kernelI32Selective_Scan_fwd_kernel_traitsILi64ELi4ELi1ELb0ELb1ELb1ELb0ELb0EN3c104HalfEffEEv13SSMParamsBase,"axG",@progbits,_Z25selective_scan_fwd_kernelI32Selective_Scan_fwd_kernel_traitsILi64ELi4ELi1ELb0ELb1ELb1ELb0ELb0EN3c104HalfEffEEv13SSMParamsBase,comdat
	.protected	_Z25selective_scan_fwd_kernelI32Selective_Scan_fwd_kernel_traitsILi64ELi4ELi1ELb0ELb1ELb1ELb0ELb0EN3c104HalfEffEEv13SSMParamsBase ; -- Begin function _Z25selective_scan_fwd_kernelI32Selective_Scan_fwd_kernel_traitsILi64ELi4ELi1ELb0ELb1ELb1ELb0ELb0EN3c104HalfEffEEv13SSMParamsBase
	.globl	_Z25selective_scan_fwd_kernelI32Selective_Scan_fwd_kernel_traitsILi64ELi4ELi1ELb0ELb1ELb1ELb0ELb0EN3c104HalfEffEEv13SSMParamsBase
	.p2align	8
	.type	_Z25selective_scan_fwd_kernelI32Selective_Scan_fwd_kernel_traitsILi64ELi4ELi1ELb0ELb1ELb1ELb0ELb0EN3c104HalfEffEEv13SSMParamsBase,@function
_Z25selective_scan_fwd_kernelI32Selective_Scan_fwd_kernel_traitsILi64ELi4ELi1ELb0ELb1ELb1ELb0ELb0EN3c104HalfEffEEv13SSMParamsBase: ; @_Z25selective_scan_fwd_kernelI32Selective_Scan_fwd_kernel_traitsILi64ELi4ELi1ELb0ELb1ELb1ELb0ELb0EN3c104HalfEffEEv13SSMParamsBase
; %bb.0:
	s_load_dword s25, s[0:1], 0x18
	s_load_dwordx4 s[4:7], s[0:1], 0xe8
	s_mov_b32 s20, s3
	s_waitcnt lgkmcnt(0)
	s_abs_i32 s24, s25
	v_cvt_f32_u32_e32 v1, s24
	s_cmp_eq_u64 s[6:7], 0
	v_rcp_iflag_f32_e32 v1, v1
	s_nop 0
	v_mul_f32_e32 v1, 0x4f7ffffe, v1
	v_cvt_u32_f32_e32 v1, v1
	s_nop 0
	v_readfirstlane_b32 s26, v1
	s_cbranch_scc1 .LBB103_3
; %bb.1:
	s_ashr_i32 s3, s2, 31
	s_add_u32 s6, s6, s2
	s_addc_u32 s7, s7, s3
	v_mov_b32_e32 v1, 0
	global_load_ubyte v1, v1, s[6:7]
	s_waitcnt vmcnt(0)
	v_and_b32_e32 v1, 1, v1
	v_cmp_eq_u32_e64 s[52:53], 1, v1
	s_load_dwordx2 s[6:7], s[0:1], 0x20
	s_cmp_eq_u64 s[4:5], 0
	s_cbranch_scc1 .LBB103_4
.LBB103_2:
	s_ashr_i32 s3, s2, 31
	s_lshl_b64 s[8:9], s[2:3], 2
	s_add_u32 s4, s4, s8
	s_addc_u32 s5, s5, s9
	s_load_dword s22, s[4:5], 0x0
	s_waitcnt lgkmcnt(0)
	s_ashr_i32 s23, s22, 31
	s_cmp_eq_u64 s[6:7], s[22:23]
	s_cbranch_scc0 .LBB103_5
	s_branch .LBB103_86
.LBB103_3:
	s_mov_b64 s[52:53], 0
	s_load_dwordx2 s[6:7], s[0:1], 0x20
	s_cmp_eq_u64 s[4:5], 0
	s_cbranch_scc0 .LBB103_2
.LBB103_4:
	s_mov_b32 s22, s2
	s_ashr_i32 s23, s22, 31
	s_waitcnt lgkmcnt(0)
	s_cmp_eq_u64 s[6:7], s[22:23]
	s_cbranch_scc1 .LBB103_86
.LBB103_5:
	s_load_dwordx16 s[4:19], s[0:1], 0x88
	s_load_dwordx2 s[54:55], s[0:1], 0x8
	s_mov_b32 s33, 0
	s_mov_b32 s80, 0
	s_waitcnt lgkmcnt(0)
	s_cmp_eq_u64 s[10:11], 0
	s_cbranch_scc1 .LBB103_7
; %bb.6:
	s_ashr_i32 s21, s20, 31
	s_lshl_b64 s[28:29], s[20:21], 2
	s_add_u32 s10, s10, s28
	s_addc_u32 s11, s11, s29
	s_load_dword s80, s[10:11], 0x0
.LBB103_7:
	s_cmp_eq_u64 s[16:17], 0
	s_cbranch_scc1 .LBB103_9
; %bb.8:
	s_ashr_i32 s21, s20, 31
	s_lshl_b64 s[10:11], s[20:21], 2
	s_add_u32 s10, s16, s10
	s_addc_u32 s11, s17, s11
	s_load_dword s33, s[10:11], 0x0
.LBB103_9:
	s_cmp_lt_i32 s54, 1
	s_cbranch_scc1 .LBB103_86
; %bb.10:
	s_sub_i32 s3, 0, s24
	s_mul_i32 s3, s3, s26
	s_mul_hi_u32 s3, s26, s3
	s_abs_i32 s21, s20
	s_add_i32 s3, s26, s3
	s_load_dwordx8 s[40:47], s[0:1], 0x2c
	s_load_dwordx2 s[16:17], s[0:1], 0x5c
	s_load_dwordx4 s[48:51], s[0:1], 0x4c
	s_load_dwordx4 s[36:39], s[0:1], 0x7c
	s_load_dwordx2 s[10:11], s[0:1], 0x6c
	s_load_dwordx2 s[26:27], s[0:1], 0xc8
	s_mul_hi_u32 s3, s21, s3
	s_load_dword s23, s[0:1], 0x28
	s_ashr_i32 s0, s20, 31
	s_ashr_i32 s1, s25, 31
	s_xor_b32 s0, s0, s1
	s_mul_i32 s1, s3, s24
	s_sub_i32 s1, s21, s1
	s_add_i32 s21, s3, 1
	s_sub_i32 s25, s1, s24
	s_cmp_ge_u32 s1, s24
	s_cselect_b32 s3, s21, s3
	s_cselect_b32 s1, s25, s1
	s_add_i32 s21, s3, 1
	s_cmp_ge_u32 s1, s24
	s_cselect_b32 s1, s21, s3
	s_xor_b32 s1, s1, s0
	s_waitcnt lgkmcnt(0)
	s_mul_i32 s56, s50, s2
	s_mov_b32 s57, 0
	s_sub_i32 s3, s1, s0
	s_lshl_b64 s[0:1], s[56:57], 1
	s_add_u32 s12, s12, s0
	s_mul_i32 s56, s51, s20
	s_addc_u32 s13, s13, s1
	s_lshl_b64 s[0:1], s[56:57], 1
	s_add_u32 s50, s12, s0
	s_mul_i32 s56, s16, s2
	s_addc_u32 s51, s13, s1
	;; [unrolled: 4-line block ×9, first 2 shown]
	s_lshl_b64 s[0:1], s[56:57], 2
	s_add_u32 s3, s26, s0
	s_mul_i32 s56, s37, s20
	v_mbcnt_lo_u32_b32 v2, -1, 0
	s_addc_u32 s4, s27, s1
	s_lshl_b64 s[0:1], s[56:57], 2
	v_mbcnt_hi_u32_b32 v2, -1, v2
	s_add_u32 s45, s3, s0
	v_lshrrev_b32_e32 v3, 5, v2
	s_addc_u32 s49, s4, s1
	s_add_i32 s0, s54, 0x7ff
	v_and_b32_e32 v3, 2, v3
	s_lshr_b32 s81, s0, 11
	v_add_u32_e32 v36, 64, v2
	v_or_b32_e32 v37, 0x80, v2
	v_add_u32_e32 v38, 0xc0, v2
	v_add_u32_e32 v3, v3, v2
	v_lshl_add_u32 v39, v3, 1, 0
	v_lshrrev_b32_e32 v3, 5, v36
	v_lshrrev_b32_e32 v4, 5, v37
	;; [unrolled: 1-line block ×3, first 2 shown]
	s_bitcmp1_b32 s23, 0
	v_and_b32_e32 v3, 6, v3
	v_and_b32_e32 v4, 6, v4
	;; [unrolled: 1-line block ×3, first 2 shown]
	s_cselect_b64 s[60:61], -1, 0
	s_cmp_gt_i32 s55, 0
	v_add_lshl_u32 v3, v3, v2, 1
	v_add_lshl_u32 v4, v4, v2, 1
	;; [unrolled: 1-line block ×3, first 2 shown]
	s_cselect_b64 s[62:63], -1, 0
	s_add_i32 s0, 0, 0x210
	s_mul_i32 s56, s10, s2
	v_add_u32_e32 v44, s0, v3
	v_add_u32_e32 v45, s0, v4
	;; [unrolled: 1-line block ×3, first 2 shown]
	s_and_b32 s3, s54, 0xff
	s_add_i32 s82, s81, -1
	s_lshl_b64 s[0:1], s[56:57], 1
	s_add_u32 s2, s18, s0
	s_mul_i32 s56, s11, s20
	s_addc_u32 s4, s19, s1
	s_lshl_b64 s[0:1], s[56:57], 1
	s_add_u32 s18, s2, s0
	v_add_u32_e32 v40, 0, v3
	s_addc_u32 s19, s4, s1
	v_and_b32_e32 v3, 15, v2
	s_cmp_eq_u32 s3, 0
	v_cmp_eq_u32_e64 s[0:1], 0, v3
	v_cmp_lt_u32_e64 s[2:3], 1, v3
	v_cmp_lt_u32_e64 s[4:5], 3, v3
	;; [unrolled: 1-line block ×3, first 2 shown]
	v_and_b32_e32 v3, 16, v2
	v_add_u32_e32 v41, 0, v4
	v_lshrrev_b32_e32 v6, 3, v2
	v_cmp_ne_u32_e64 s[8:9], 0, v3
	v_add_u32_e32 v3, -1, v2
	v_and_b32_e32 v4, 64, v2
	v_and_b32_e32 v6, 14, v6
	v_cmp_lt_i32_e32 vcc, v3, v4
	v_mov_b32_e32 v1, 0
	v_lshlrev_b32_e32 v7, 2, v0
	v_lshl_add_u32 v6, v2, 2, v6
	v_cmp_eq_u32_e64 s[12:13], 63, v0
	v_cndmask_b32_e32 v3, v3, v2, vcc
	v_cmp_gt_u32_e64 s[14:15], 64, v0
	v_cmp_eq_u32_e64 s[16:17], 0, v0
	v_lshlrev_b32_e32 v0, 1, v2
                                        ; implicit-def: $vgpr8
	v_add_u32_e32 v42, 0, v5
	v_lshl_add_u32 v43, v6, 1, 0
	s_cselect_b64 s[64:65], -1, 0
	v_cmp_lt_u32_e64 s[10:11], 31, v2
	v_lshlrev_b32_e32 v47, 2, v3
	v_lshl_add_u64 v[4:5], s[18:19], 0, v[0:1]
	v_or_b32_e32 v3, 1, v7
	v_or_b32_e32 v6, 2, v7
	;; [unrolled: 1-line block ×3, first 2 shown]
	v_lshlrev_b32_e32 v0, 1, v2
	s_mov_b32 s83, 0x41a00000
	s_mov_b32 s84, 0x3fb8aa3b
	;; [unrolled: 1-line block ×6, first 2 shown]
	v_mov_b32_e32 v49, 0x3ecc95a3
	s_mov_b32 s89, 0x3f317218
	s_mov_b32 s90, 0x33800000
	s_add_i32 s91, 0, 0x428
	s_mov_b32 s92, 0xc2fc0000
	v_mov_b32_e32 v50, 0x7f800000
	v_mov_b32_e32 v8, 0x3f317218
	;; [unrolled: 1-line block ×4, first 2 shown]
	s_mov_b32 s93, 0
	s_branch .LBB103_12
.LBB103_11:                             ;   in Loop: Header=BB103_12 Depth=1
	s_or_b64 exec, exec, s[18:19]
	s_add_u32 s58, s58, 0x200
	s_addc_u32 s59, s59, 0
	s_add_u32 s50, s50, 0x200
	s_addc_u32 s51, s51, 0
	s_add_u32 s42, s42, 0x200
	s_addc_u32 s43, s43, 0
	s_add_u32 s46, s46, 0x200
	s_addc_u32 s47, s47, 0
	s_add_i32 s93, s93, 1
	s_cmp_eq_u32 s93, s81
	s_cbranch_scc1 .LBB103_86
.LBB103_12:                             ; =>This Loop Header: Depth=1
                                        ;     Child Loop BB103_37 Depth 2
	s_lshl_b32 s66, s93, 8
	s_sub_i32 s34, s54, s66
	v_lshl_add_u64 v[10:11], s[50:51], 0, v[0:1]
	v_cmp_gt_u32_e64 s[18:19], s34, v2
	s_waitcnt lgkmcnt(1)
	v_mov_b32_e32 v12, 0
	s_waitcnt lgkmcnt(0)
	; wave barrier
	s_and_saveexec_b64 s[20:21], s[18:19]
	s_cbranch_execz .LBB103_14
; %bb.13:                               ;   in Loop: Header=BB103_12 Depth=1
	global_load_ushort v12, v[10:11], off
.LBB103_14:                             ;   in Loop: Header=BB103_12 Depth=1
	s_or_b64 exec, exec, s[20:21]
	v_cmp_gt_u32_e64 s[20:21], s34, v36
	v_mov_b32_e32 v13, 0
	v_mov_b32_e32 v14, 0
	s_and_saveexec_b64 s[22:23], s[20:21]
	s_cbranch_execz .LBB103_16
; %bb.15:                               ;   in Loop: Header=BB103_12 Depth=1
	global_load_ushort v14, v[10:11], off offset:128
.LBB103_16:                             ;   in Loop: Header=BB103_12 Depth=1
	s_or_b64 exec, exec, s[22:23]
	v_cmp_gt_u32_e64 s[22:23], s34, v37
	s_and_saveexec_b64 s[24:25], s[22:23]
	s_cbranch_execz .LBB103_18
; %bb.17:                               ;   in Loop: Header=BB103_12 Depth=1
	global_load_ushort v13, v[10:11], off offset:256
.LBB103_18:                             ;   in Loop: Header=BB103_12 Depth=1
	s_or_b64 exec, exec, s[24:25]
	v_cmp_gt_u32_e64 s[24:25], s34, v38
	s_waitcnt lgkmcnt(0)
	v_mov_b32_e32 v9, 0
	v_mov_b32_e32 v15, 0
	s_and_saveexec_b64 s[26:27], s[24:25]
	s_cbranch_execz .LBB103_20
; %bb.19:                               ;   in Loop: Header=BB103_12 Depth=1
	global_load_ushort v15, v[10:11], off offset:384
.LBB103_20:                             ;   in Loop: Header=BB103_12 Depth=1
	s_or_b64 exec, exec, s[26:27]
	s_waitcnt vmcnt(0)
	ds_write_b16 v39, v12
	ds_write_b16 v40, v14 offset:128
	ds_write_b16 v41, v13 offset:256
	;; [unrolled: 1-line block ×3, first 2 shown]
	; wave barrier
	ds_read_b64 v[12:13], v43
	v_lshl_add_u64 v[10:11], s[58:59], 0, v[0:1]
	s_waitcnt lgkmcnt(0)
	; wave barrier
	s_waitcnt lgkmcnt(0)
	s_and_saveexec_b64 s[26:27], s[18:19]
	s_cbranch_execz .LBB103_22
; %bb.21:                               ;   in Loop: Header=BB103_12 Depth=1
	global_load_ushort v9, v[10:11], off
.LBB103_22:                             ;   in Loop: Header=BB103_12 Depth=1
	s_or_b64 exec, exec, s[26:27]
	v_mov_b32_e32 v14, 0
	v_mov_b32_e32 v15, 0
	s_and_saveexec_b64 s[26:27], s[20:21]
	s_cbranch_execnz .LBB103_80
; %bb.23:                               ;   in Loop: Header=BB103_12 Depth=1
	s_or_b64 exec, exec, s[26:27]
	s_and_saveexec_b64 s[26:27], s[22:23]
	s_cbranch_execnz .LBB103_81
.LBB103_24:                             ;   in Loop: Header=BB103_12 Depth=1
	s_or_b64 exec, exec, s[26:27]
	v_mov_b32_e32 v16, 0
	s_and_saveexec_b64 s[26:27], s[24:25]
	s_cbranch_execz .LBB103_26
.LBB103_25:                             ;   in Loop: Header=BB103_12 Depth=1
	global_load_ushort v16, v[10:11], off offset:384
.LBB103_26:                             ;   in Loop: Header=BB103_12 Depth=1
	s_or_b64 exec, exec, s[26:27]
	s_waitcnt vmcnt(0)
	ds_write_b16 v39, v9
	ds_write_b16 v40, v15 offset:128
	ds_write_b16 v41, v14 offset:256
	;; [unrolled: 1-line block ×3, first 2 shown]
	; wave barrier
	ds_read_b64 v[14:15], v43
	s_waitcnt lgkmcnt(0)
	v_cvt_f32_f16_e32 v9, v14
	v_add_f32_e32 v53, s33, v9
	v_cmp_ge_f32_e32 vcc, s83, v53
	s_and_b64 s[26:27], s[60:61], vcc
	s_and_saveexec_b64 s[28:29], s[26:27]
	s_cbranch_execz .LBB103_28
; %bb.27:                               ;   in Loop: Header=BB103_12 Depth=1
	v_mul_f32_e32 v9, 0x3fb8aa3b, v53
	v_rndne_f32_e32 v10, v9
	v_sub_f32_e32 v11, v9, v10
	v_fma_f32 v9, v53, s84, -v9
	v_fmac_f32_e32 v9, 0x32a5705f, v53
	v_add_f32_e32 v9, v11, v9
	v_cvt_i32_f32_e32 v10, v10
	v_exp_f32_e32 v9, v9
	v_cmp_ngt_f32_e32 vcc, s85, v53
	v_ldexp_f32 v9, v9, v10
	s_nop 0
	v_cndmask_b32_e32 v9, 0, v9, vcc
	v_cmp_nlt_f32_e32 vcc, s86, v53
	s_nop 1
	v_cndmask_b32_e32 v30, v50, v9, vcc
	v_add_f32_e32 v9, 1.0, v30
	v_add_f32_e32 v10, -1.0, v9
	v_sub_f32_e32 v11, v10, v9
	v_add_f32_e32 v11, 1.0, v11
	v_sub_f32_e32 v10, v30, v10
	v_add_f32_e32 v16, v10, v11
	v_frexp_mant_f32_e32 v17, v9
	v_cvt_f64_f32_e32 v[10:11], v9
	v_frexp_exp_i32_f64_e32 v10, v[10:11]
	v_cmp_gt_f32_e32 vcc, s88, v17
	v_cmp_gt_f32_e64 s[26:27], s90, v30
	s_nop 0
	v_subbrev_co_u32_e32 v22, vcc, 0, v10, vcc
	v_sub_u32_e32 v10, 0, v22
	v_ldexp_f32 v9, v9, v10
	v_ldexp_f32 v10, v16, v10
	v_add_f32_e32 v16, -1.0, v9
	v_add_f32_e32 v11, 1.0, v16
	v_sub_f32_e32 v11, v9, v11
	v_add_f32_e32 v17, v10, v11
	v_add_f32_e32 v11, 1.0, v9
	v_add_f32_e32 v18, -1.0, v11
	v_sub_f32_e32 v9, v9, v18
	v_add_f32_e32 v9, v10, v9
	v_add_f32_e32 v23, v11, v9
	v_rcp_f32_e32 v24, v23
	v_sub_f32_e32 v10, v11, v23
	v_add_f32_e32 v11, v16, v17
	v_add_f32_e32 v9, v9, v10
	v_mul_f32_e32 v26, v11, v24
	v_sub_f32_e32 v10, v16, v11
	v_mul_f32_e32 v16, v23, v26
	v_fma_f32 v18, v26, v23, -v16
	v_fmac_f32_e32 v18, v26, v9
	v_add_f32_e32 v25, v17, v10
	v_add_f32_e32 v10, v16, v18
	v_sub_f32_e32 v17, v11, v10
	v_pk_add_f32 v[20:21], v[10:11], v[16:17] neg_lo:[0,1] neg_hi:[0,1]
	v_mov_b32_e32 v19, v10
	v_pk_add_f32 v[10:11], v[20:21], v[18:19] neg_lo:[0,1] neg_hi:[0,1]
	v_cmp_eq_f32_e32 vcc, s87, v30
	v_add_f32_e32 v11, v25, v11
	v_add_f32_e32 v10, v10, v11
	;; [unrolled: 1-line block ×3, first 2 shown]
	v_mul_f32_e32 v25, v24, v11
	v_mul_f32_e32 v16, v23, v25
	v_fma_f32 v18, v25, v23, -v16
	v_fmac_f32_e32 v18, v25, v9
	v_sub_f32_e32 v9, v17, v11
	v_add_f32_e32 v9, v10, v9
	v_add_f32_e32 v10, v16, v18
	v_sub_f32_e32 v17, v11, v10
	v_pk_add_f32 v[20:21], v[10:11], v[16:17] neg_lo:[0,1] neg_hi:[0,1]
	v_mov_b32_e32 v19, v10
	v_pk_add_f32 v[10:11], v[20:21], v[18:19] neg_lo:[0,1] neg_hi:[0,1]
	s_or_b64 vcc, s[26:27], vcc
	v_add_f32_e32 v9, v9, v11
	v_add_f32_e32 v9, v10, v9
	;; [unrolled: 1-line block ×4, first 2 shown]
	v_sub_f32_e32 v10, v11, v26
	v_mul_f32_e32 v9, v24, v9
	v_sub_f32_e32 v10, v25, v10
	v_add_f32_e32 v16, v10, v9
	v_add_f32_e32 v18, v11, v16
	v_cvt_f32_i32_e32 v10, v22
	v_mul_f32_e32 v19, v18, v18
	v_sub_f32_e32 v11, v18, v11
	v_fmamk_f32 v9, v19, 0x3e9b6dac, v49
	v_sub_f32_e32 v11, v16, v11
	v_fmaak_f32 v9, v19, v9, 0x3f2aaada
	v_ldexp_f32 v20, v11, 1
	v_mul_f32_e32 v11, v18, v19
	v_ldexp_f32 v17, v18, 1
	v_pk_mul_f32 v[18:19], v[10:11], v[8:9]
	s_nop 0
	v_fma_f32 v16, v10, s89, -v18
	v_fmac_f32_e32 v16, 0xb102e308, v10
	v_pk_add_f32 v[10:11], v[18:19], v[16:17]
	s_nop 0
	v_sub_f32_e32 v9, v11, v17
	v_sub_f32_e32 v9, v19, v9
	v_add_f32_e32 v21, v20, v9
	v_mov_b32_e32 v20, v18
	v_pk_add_f32 v[18:19], v[10:11], v[18:19] neg_lo:[0,1] neg_hi:[0,1]
	v_pk_add_f32 v[22:23], v[10:11], v[20:21]
	v_mov_b32_e32 v17, v10
	v_mov_b32_e32 v19, v23
	v_pk_add_f32 v[24:25], v[16:17], v[18:19] neg_lo:[0,1] neg_hi:[0,1]
	v_pk_add_f32 v[16:17], v[16:17], v[18:19]
	v_mov_b32_e32 v20, v21
	v_mov_b32_e32 v18, v17
	v_pk_add_f32 v[26:27], v[18:19], v[10:11] neg_lo:[0,1] neg_hi:[0,1]
	v_mov_b32_e32 v16, v23
	v_mov_b32_e32 v9, v26
	v_pk_add_f32 v[28:29], v[22:23], v[8:9] neg_lo:[0,1] neg_hi:[0,1]
	v_mov_b32_e32 v22, v11
	v_mov_b32_e32 v23, v26
	;; [unrolled: 1-line block ×3, first 2 shown]
	v_pk_add_f32 v[16:17], v[16:17], v[22:23] neg_lo:[0,1] neg_hi:[0,1]
	v_mov_b32_e32 v21, v10
	v_pk_add_f32 v[10:11], v[20:21], v[16:17] neg_lo:[0,1] neg_hi:[0,1]
	v_mov_b32_e32 v28, v24
	v_pk_add_f32 v[16:17], v[28:29], v[10:11]
	s_nop 0
	v_mov_b32_e32 v20, v17
	v_pk_add_f32 v[20:21], v[16:17], v[20:21]
	s_nop 0
	v_pk_add_f32 v[18:19], v[18:19], v[20:21]
	v_mov_b32_e32 v11, v20
	v_mov_b32_e32 v17, v18
	v_pk_add_f32 v[22:23], v[16:17], v[24:25] neg_lo:[0,1] neg_hi:[0,1]
	s_nop 0
	v_sub_f32_e32 v9, v16, v22
	v_pk_add_f32 v[10:11], v[10:11], v[22:23] neg_lo:[0,1] neg_hi:[0,1]
	v_sub_f32_e32 v9, v24, v9
	v_add_f32_e32 v9, v10, v9
	v_add_f32_e32 v9, v9, v11
	;; [unrolled: 1-line block ×3, first 2 shown]
	v_cndmask_b32_e32 v53, v9, v30, vcc
.LBB103_28:                             ;   in Loop: Header=BB103_12 Depth=1
	s_or_b64 exec, exec, s[28:29]
	v_cvt_f32_f16_sdwa v9, v14 dst_sel:DWORD dst_unused:UNUSED_PAD src0_sel:WORD_1
	v_add_f32_e32 v54, s33, v9
	v_cmp_ge_f32_e32 vcc, s83, v54
	s_and_b64 s[26:27], s[60:61], vcc
	s_and_saveexec_b64 s[28:29], s[26:27]
	s_cbranch_execz .LBB103_30
; %bb.29:                               ;   in Loop: Header=BB103_12 Depth=1
	v_mul_f32_e32 v9, 0x3fb8aa3b, v54
	v_rndne_f32_e32 v10, v9
	v_sub_f32_e32 v11, v9, v10
	v_fma_f32 v9, v54, s84, -v9
	v_fmac_f32_e32 v9, 0x32a5705f, v54
	v_add_f32_e32 v9, v11, v9
	v_cvt_i32_f32_e32 v10, v10
	v_exp_f32_e32 v9, v9
	v_cmp_ngt_f32_e32 vcc, s85, v54
	v_ldexp_f32 v9, v9, v10
	s_nop 0
	v_cndmask_b32_e32 v9, 0, v9, vcc
	v_cmp_nlt_f32_e32 vcc, s86, v54
	s_nop 1
	v_cndmask_b32_e32 v28, v50, v9, vcc
	v_add_f32_e32 v9, 1.0, v28
	v_add_f32_e32 v10, -1.0, v9
	v_sub_f32_e32 v11, v10, v9
	v_add_f32_e32 v11, 1.0, v11
	v_sub_f32_e32 v10, v28, v10
	v_add_f32_e32 v14, v10, v11
	v_frexp_mant_f32_e32 v16, v9
	v_cvt_f64_f32_e32 v[10:11], v9
	v_frexp_exp_i32_f64_e32 v10, v[10:11]
	v_cmp_gt_f32_e32 vcc, s88, v16
	v_cmp_gt_f32_e64 s[26:27], s90, v28
	s_nop 0
	v_subbrev_co_u32_e32 v22, vcc, 0, v10, vcc
	v_sub_u32_e32 v10, 0, v22
	v_ldexp_f32 v9, v9, v10
	v_ldexp_f32 v10, v14, v10
	v_add_f32_e32 v14, -1.0, v9
	v_add_f32_e32 v11, 1.0, v14
	v_sub_f32_e32 v11, v9, v11
	v_add_f32_e32 v16, v10, v11
	v_add_f32_e32 v11, 1.0, v9
	v_add_f32_e32 v17, -1.0, v11
	v_sub_f32_e32 v9, v9, v17
	v_add_f32_e32 v9, v10, v9
	v_add_f32_e32 v23, v11, v9
	v_rcp_f32_e32 v24, v23
	v_sub_f32_e32 v10, v11, v23
	v_add_f32_e32 v11, v14, v16
	v_add_f32_e32 v9, v9, v10
	v_sub_f32_e32 v10, v14, v11
	v_mul_f32_e32 v25, v11, v24
	v_add_f32_e32 v14, v16, v10
	v_mul_f32_e32 v16, v23, v25
	v_fma_f32 v18, v25, v23, -v16
	v_fmac_f32_e32 v18, v25, v9
	v_add_f32_e32 v10, v16, v18
	v_sub_f32_e32 v17, v11, v10
	v_pk_add_f32 v[20:21], v[10:11], v[16:17] neg_lo:[0,1] neg_hi:[0,1]
	v_mov_b32_e32 v19, v10
	v_pk_add_f32 v[10:11], v[20:21], v[18:19] neg_lo:[0,1] neg_hi:[0,1]
	v_cmp_eq_f32_e32 vcc, s87, v28
	v_add_f32_e32 v11, v14, v11
	v_add_f32_e32 v10, v10, v11
	;; [unrolled: 1-line block ×3, first 2 shown]
	v_mul_f32_e32 v14, v24, v11
	v_mul_f32_e32 v16, v23, v14
	v_fma_f32 v18, v14, v23, -v16
	v_fmac_f32_e32 v18, v14, v9
	v_sub_f32_e32 v9, v17, v11
	v_add_f32_e32 v9, v10, v9
	v_add_f32_e32 v10, v16, v18
	v_sub_f32_e32 v17, v11, v10
	v_pk_add_f32 v[20:21], v[10:11], v[16:17] neg_lo:[0,1] neg_hi:[0,1]
	v_mov_b32_e32 v19, v10
	v_pk_add_f32 v[10:11], v[20:21], v[18:19] neg_lo:[0,1] neg_hi:[0,1]
	s_or_b64 vcc, s[26:27], vcc
	v_add_f32_e32 v9, v9, v11
	v_add_f32_e32 v9, v10, v9
	v_add_f32_e32 v11, v25, v14
	v_add_f32_e32 v9, v17, v9
	v_sub_f32_e32 v10, v11, v25
	v_mul_f32_e32 v9, v24, v9
	v_sub_f32_e32 v10, v14, v10
	v_add_f32_e32 v14, v10, v9
	v_add_f32_e32 v16, v11, v14
	v_cvt_f32_i32_e32 v10, v22
	v_mul_f32_e32 v18, v16, v16
	v_sub_f32_e32 v11, v16, v11
	v_fmamk_f32 v9, v18, 0x3e9b6dac, v49
	v_sub_f32_e32 v11, v14, v11
	v_fmaak_f32 v9, v18, v9, 0x3f2aaada
	v_ldexp_f32 v14, v11, 1
	v_mul_f32_e32 v11, v16, v18
	v_pk_mul_f32 v[18:19], v[10:11], v[8:9]
	v_ldexp_f32 v17, v16, 1
	v_fma_f32 v16, v10, s89, -v18
	v_fmac_f32_e32 v16, 0xb102e308, v10
	v_pk_add_f32 v[10:11], v[18:19], v[16:17]
	v_mov_b32_e32 v20, v18
	v_sub_f32_e32 v9, v11, v17
	v_sub_f32_e32 v9, v19, v9
	v_add_f32_e32 v21, v14, v9
	v_pk_add_f32 v[18:19], v[10:11], v[18:19] neg_lo:[0,1] neg_hi:[0,1]
	v_pk_add_f32 v[22:23], v[10:11], v[20:21]
	v_mov_b32_e32 v17, v10
	v_mov_b32_e32 v19, v23
	v_pk_add_f32 v[24:25], v[16:17], v[18:19] neg_lo:[0,1] neg_hi:[0,1]
	v_pk_add_f32 v[16:17], v[16:17], v[18:19]
	s_nop 0
	v_mov_b32_e32 v14, v17
	v_pk_add_f32 v[18:19], v[14:15], v[10:11] neg_lo:[0,1] neg_hi:[0,1]
	v_mov_b32_e32 v16, v23
	v_mov_b32_e32 v9, v18
	v_pk_add_f32 v[26:27], v[22:23], v[8:9] neg_lo:[0,1] neg_hi:[0,1]
	v_mov_b32_e32 v22, v11
	v_mov_b32_e32 v23, v18
	;; [unrolled: 1-line block ×3, first 2 shown]
	v_pk_add_f32 v[16:17], v[16:17], v[22:23] neg_lo:[0,1] neg_hi:[0,1]
	v_mov_b32_e32 v18, v21
	v_mov_b32_e32 v19, v10
	v_pk_add_f32 v[10:11], v[18:19], v[16:17] neg_lo:[0,1] neg_hi:[0,1]
	v_mov_b32_e32 v26, v24
	v_pk_add_f32 v[16:17], v[26:27], v[10:11]
	s_nop 0
	v_mov_b32_e32 v18, v17
	v_pk_add_f32 v[18:19], v[16:17], v[18:19]
	s_nop 0
	v_pk_add_f32 v[20:21], v[14:15], v[18:19]
	v_mov_b32_e32 v11, v18
	v_mov_b32_e32 v17, v20
	v_pk_add_f32 v[22:23], v[16:17], v[24:25] neg_lo:[0,1] neg_hi:[0,1]
	s_nop 0
	v_sub_f32_e32 v9, v16, v22
	v_pk_add_f32 v[10:11], v[10:11], v[22:23] neg_lo:[0,1] neg_hi:[0,1]
	v_sub_f32_e32 v9, v24, v9
	v_add_f32_e32 v9, v10, v9
	v_add_f32_e32 v9, v9, v11
	;; [unrolled: 1-line block ×3, first 2 shown]
	v_cndmask_b32_e32 v54, v9, v28, vcc
.LBB103_30:                             ;   in Loop: Header=BB103_12 Depth=1
	s_or_b64 exec, exec, s[28:29]
	v_cvt_f32_f16_e32 v9, v15
	v_add_f32_e32 v11, s33, v9
	v_cmp_ge_f32_e32 vcc, s83, v11
	s_and_b64 s[26:27], s[60:61], vcc
	s_and_saveexec_b64 s[28:29], s[26:27]
	s_cbranch_execz .LBB103_32
; %bb.31:                               ;   in Loop: Header=BB103_12 Depth=1
	v_mul_f32_e32 v9, 0x3fb8aa3b, v11
	v_rndne_f32_e32 v10, v9
	v_sub_f32_e32 v14, v9, v10
	v_fma_f32 v9, v11, s84, -v9
	v_fmac_f32_e32 v9, 0x32a5705f, v11
	v_add_f32_e32 v9, v14, v9
	v_cvt_i32_f32_e32 v10, v10
	v_exp_f32_e32 v9, v9
	v_cmp_ngt_f32_e32 vcc, s85, v11
	v_ldexp_f32 v9, v9, v10
	s_nop 0
	v_cndmask_b32_e32 v9, 0, v9, vcc
	v_cmp_nlt_f32_e32 vcc, s86, v11
	s_nop 1
	v_cndmask_b32_e32 v28, v50, v9, vcc
	v_add_f32_e32 v9, 1.0, v28
	v_add_f32_e32 v10, -1.0, v9
	v_sub_f32_e32 v11, v10, v9
	v_add_f32_e32 v11, 1.0, v11
	v_sub_f32_e32 v10, v28, v10
	v_add_f32_e32 v14, v10, v11
	v_frexp_mant_f32_e32 v16, v9
	v_cvt_f64_f32_e32 v[10:11], v9
	v_frexp_exp_i32_f64_e32 v10, v[10:11]
	v_cmp_gt_f32_e32 vcc, s88, v16
	v_cmp_gt_f32_e64 s[26:27], s90, v28
	s_nop 0
	v_subbrev_co_u32_e32 v22, vcc, 0, v10, vcc
	v_sub_u32_e32 v10, 0, v22
	v_ldexp_f32 v9, v9, v10
	v_ldexp_f32 v10, v14, v10
	v_add_f32_e32 v14, -1.0, v9
	v_add_f32_e32 v11, 1.0, v14
	v_sub_f32_e32 v11, v9, v11
	v_add_f32_e32 v16, v10, v11
	v_add_f32_e32 v11, 1.0, v9
	v_add_f32_e32 v17, -1.0, v11
	v_sub_f32_e32 v9, v9, v17
	v_add_f32_e32 v9, v10, v9
	v_add_f32_e32 v23, v11, v9
	v_rcp_f32_e32 v24, v23
	v_sub_f32_e32 v10, v11, v23
	v_add_f32_e32 v11, v14, v16
	v_add_f32_e32 v9, v9, v10
	v_sub_f32_e32 v10, v14, v11
	v_mul_f32_e32 v25, v11, v24
	v_add_f32_e32 v14, v16, v10
	v_mul_f32_e32 v16, v23, v25
	v_fma_f32 v18, v25, v23, -v16
	v_fmac_f32_e32 v18, v25, v9
	v_add_f32_e32 v10, v16, v18
	v_sub_f32_e32 v17, v11, v10
	v_pk_add_f32 v[20:21], v[10:11], v[16:17] neg_lo:[0,1] neg_hi:[0,1]
	v_mov_b32_e32 v19, v10
	v_pk_add_f32 v[10:11], v[20:21], v[18:19] neg_lo:[0,1] neg_hi:[0,1]
	v_cmp_eq_f32_e32 vcc, s87, v28
	v_add_f32_e32 v11, v14, v11
	v_add_f32_e32 v10, v10, v11
	;; [unrolled: 1-line block ×3, first 2 shown]
	v_mul_f32_e32 v14, v24, v11
	v_mul_f32_e32 v16, v23, v14
	v_fma_f32 v18, v14, v23, -v16
	v_fmac_f32_e32 v18, v14, v9
	v_sub_f32_e32 v9, v17, v11
	v_add_f32_e32 v9, v10, v9
	v_add_f32_e32 v10, v16, v18
	v_sub_f32_e32 v17, v11, v10
	v_pk_add_f32 v[20:21], v[10:11], v[16:17] neg_lo:[0,1] neg_hi:[0,1]
	v_mov_b32_e32 v19, v10
	v_pk_add_f32 v[10:11], v[20:21], v[18:19] neg_lo:[0,1] neg_hi:[0,1]
	s_or_b64 vcc, s[26:27], vcc
	v_add_f32_e32 v9, v9, v11
	v_add_f32_e32 v9, v10, v9
	;; [unrolled: 1-line block ×4, first 2 shown]
	v_sub_f32_e32 v10, v11, v25
	v_mul_f32_e32 v9, v24, v9
	v_sub_f32_e32 v10, v14, v10
	v_add_f32_e32 v14, v10, v9
	v_add_f32_e32 v16, v11, v14
	v_cvt_f32_i32_e32 v10, v22
	v_mul_f32_e32 v18, v16, v16
	v_sub_f32_e32 v11, v16, v11
	v_fmamk_f32 v9, v18, 0x3e9b6dac, v49
	v_sub_f32_e32 v11, v14, v11
	v_fmaak_f32 v9, v18, v9, 0x3f2aaada
	v_ldexp_f32 v14, v11, 1
	v_mul_f32_e32 v11, v16, v18
	v_pk_mul_f32 v[18:19], v[10:11], v[8:9]
	v_ldexp_f32 v17, v16, 1
	v_fma_f32 v16, v10, s89, -v18
	v_fmac_f32_e32 v16, 0xb102e308, v10
	v_pk_add_f32 v[10:11], v[18:19], v[16:17]
	v_mov_b32_e32 v20, v18
	v_sub_f32_e32 v9, v11, v17
	v_sub_f32_e32 v9, v19, v9
	v_add_f32_e32 v21, v14, v9
	v_pk_add_f32 v[18:19], v[10:11], v[18:19] neg_lo:[0,1] neg_hi:[0,1]
	v_pk_add_f32 v[22:23], v[10:11], v[20:21]
	v_mov_b32_e32 v17, v10
	v_mov_b32_e32 v19, v23
	v_pk_add_f32 v[24:25], v[16:17], v[18:19] neg_lo:[0,1] neg_hi:[0,1]
	v_pk_add_f32 v[16:17], v[16:17], v[18:19]
	s_nop 0
	v_mov_b32_e32 v14, v17
	v_pk_add_f32 v[18:19], v[14:15], v[10:11] neg_lo:[0,1] neg_hi:[0,1]
	v_mov_b32_e32 v16, v23
	v_mov_b32_e32 v9, v18
	v_pk_add_f32 v[26:27], v[22:23], v[8:9] neg_lo:[0,1] neg_hi:[0,1]
	v_mov_b32_e32 v22, v11
	v_mov_b32_e32 v23, v18
	;; [unrolled: 1-line block ×3, first 2 shown]
	v_pk_add_f32 v[16:17], v[16:17], v[22:23] neg_lo:[0,1] neg_hi:[0,1]
	v_mov_b32_e32 v18, v21
	v_mov_b32_e32 v19, v10
	v_pk_add_f32 v[10:11], v[18:19], v[16:17] neg_lo:[0,1] neg_hi:[0,1]
	v_mov_b32_e32 v26, v24
	v_pk_add_f32 v[16:17], v[26:27], v[10:11]
	s_nop 0
	v_mov_b32_e32 v18, v17
	v_pk_add_f32 v[18:19], v[16:17], v[18:19]
	s_nop 0
	v_pk_add_f32 v[20:21], v[14:15], v[18:19]
	v_mov_b32_e32 v11, v18
	v_mov_b32_e32 v17, v20
	v_pk_add_f32 v[22:23], v[16:17], v[24:25] neg_lo:[0,1] neg_hi:[0,1]
	s_nop 0
	v_sub_f32_e32 v9, v16, v22
	v_pk_add_f32 v[10:11], v[10:11], v[22:23] neg_lo:[0,1] neg_hi:[0,1]
	v_sub_f32_e32 v9, v24, v9
	v_add_f32_e32 v9, v10, v9
	v_add_f32_e32 v9, v9, v11
	;; [unrolled: 1-line block ×3, first 2 shown]
	v_cndmask_b32_e32 v11, v9, v28, vcc
.LBB103_32:                             ;   in Loop: Header=BB103_12 Depth=1
	s_or_b64 exec, exec, s[28:29]
	v_cvt_f32_f16_sdwa v9, v15 dst_sel:DWORD dst_unused:UNUSED_PAD src0_sel:WORD_1
	v_add_f32_e32 v10, s33, v9
	v_cmp_ge_f32_e32 vcc, s83, v10
	s_and_b64 s[26:27], s[60:61], vcc
	s_and_saveexec_b64 s[28:29], s[26:27]
	s_cbranch_execz .LBB103_34
; %bb.33:                               ;   in Loop: Header=BB103_12 Depth=1
	v_mul_f32_e32 v9, 0x3fb8aa3b, v10
	v_rndne_f32_e32 v14, v9
	v_sub_f32_e32 v15, v9, v14
	v_fma_f32 v9, v10, s84, -v9
	v_fmac_f32_e32 v9, 0x32a5705f, v10
	v_add_f32_e32 v9, v15, v9
	v_cvt_i32_f32_e32 v14, v14
	v_exp_f32_e32 v9, v9
	v_cmp_ngt_f32_e32 vcc, s85, v10
	v_ldexp_f32 v9, v9, v14
	s_nop 0
	v_cndmask_b32_e32 v9, 0, v9, vcc
	v_cmp_nlt_f32_e32 vcc, s86, v10
	s_nop 1
	v_cndmask_b32_e32 v28, v50, v9, vcc
	v_add_f32_e32 v9, 1.0, v28
	v_add_f32_e32 v10, -1.0, v9
	v_sub_f32_e32 v14, v10, v9
	v_add_f32_e32 v14, 1.0, v14
	v_sub_f32_e32 v10, v28, v10
	v_add_f32_e32 v10, v10, v14
	v_frexp_mant_f32_e32 v16, v9
	v_cvt_f64_f32_e32 v[14:15], v9
	v_frexp_exp_i32_f64_e32 v14, v[14:15]
	v_cmp_gt_f32_e32 vcc, s88, v16
	v_cmp_gt_f32_e64 s[26:27], s90, v28
	s_nop 0
	v_subbrev_co_u32_e32 v22, vcc, 0, v14, vcc
	v_sub_u32_e32 v14, 0, v22
	v_ldexp_f32 v9, v9, v14
	v_ldexp_f32 v10, v10, v14
	v_add_f32_e32 v14, -1.0, v9
	v_add_f32_e32 v15, 1.0, v14
	v_sub_f32_e32 v15, v9, v15
	v_add_f32_e32 v16, v10, v15
	v_add_f32_e32 v15, 1.0, v9
	v_add_f32_e32 v17, -1.0, v15
	v_sub_f32_e32 v9, v9, v17
	v_add_f32_e32 v9, v10, v9
	v_add_f32_e32 v10, v15, v9
	v_rcp_f32_e32 v23, v10
	v_sub_f32_e32 v15, v15, v10
	v_add_f32_e32 v9, v9, v15
	v_add_f32_e32 v15, v14, v16
	v_sub_f32_e32 v14, v14, v15
	v_mul_f32_e32 v25, v15, v23
	v_add_f32_e32 v24, v16, v14
	v_mul_f32_e32 v16, v10, v25
	v_fma_f32 v18, v25, v10, -v16
	v_fmac_f32_e32 v18, v25, v9
	v_add_f32_e32 v14, v16, v18
	v_sub_f32_e32 v17, v15, v14
	v_pk_add_f32 v[20:21], v[14:15], v[16:17] neg_lo:[0,1] neg_hi:[0,1]
	v_mov_b32_e32 v19, v14
	v_pk_add_f32 v[14:15], v[20:21], v[18:19] neg_lo:[0,1] neg_hi:[0,1]
	v_cmp_eq_f32_e32 vcc, s87, v28
	v_add_f32_e32 v15, v24, v15
	v_add_f32_e32 v14, v14, v15
	;; [unrolled: 1-line block ×3, first 2 shown]
	v_mul_f32_e32 v24, v23, v15
	v_mul_f32_e32 v16, v10, v24
	v_fma_f32 v18, v24, v10, -v16
	v_fmac_f32_e32 v18, v24, v9
	v_sub_f32_e32 v9, v17, v15
	v_add_f32_e32 v9, v14, v9
	v_add_f32_e32 v14, v16, v18
	v_sub_f32_e32 v17, v15, v14
	v_pk_add_f32 v[20:21], v[14:15], v[16:17] neg_lo:[0,1] neg_hi:[0,1]
	v_mov_b32_e32 v19, v14
	v_pk_add_f32 v[14:15], v[20:21], v[18:19] neg_lo:[0,1] neg_hi:[0,1]
	v_add_f32_e32 v10, v25, v24
	v_add_f32_e32 v9, v9, v15
	;; [unrolled: 1-line block ×4, first 2 shown]
	v_sub_f32_e32 v14, v10, v25
	v_mul_f32_e32 v9, v23, v9
	v_sub_f32_e32 v14, v24, v14
	v_add_f32_e32 v15, v14, v9
	v_add_f32_e32 v16, v10, v15
	v_cvt_f32_i32_e32 v14, v22
	v_mul_f32_e32 v18, v16, v16
	v_fmamk_f32 v9, v18, 0x3e9b6dac, v49
	v_sub_f32_e32 v10, v16, v10
	v_fmaak_f32 v9, v18, v9, 0x3f2aaada
	v_sub_f32_e32 v10, v15, v10
	v_mul_f32_e32 v15, v16, v18
	v_pk_mul_f32 v[18:19], v[14:15], v[8:9]
	v_ldexp_f32 v17, v16, 1
	v_fma_f32 v16, v14, s89, -v18
	v_fmac_f32_e32 v16, 0xb102e308, v14
	v_pk_add_f32 v[14:15], v[18:19], v[16:17]
	v_ldexp_f32 v10, v10, 1
	v_sub_f32_e32 v9, v15, v17
	v_sub_f32_e32 v9, v19, v9
	v_add_f32_e32 v21, v10, v9
	v_mov_b32_e32 v20, v18
	v_pk_add_f32 v[18:19], v[14:15], v[18:19] neg_lo:[0,1] neg_hi:[0,1]
	v_pk_add_f32 v[22:23], v[14:15], v[20:21]
	v_mov_b32_e32 v17, v14
	v_mov_b32_e32 v19, v23
	v_pk_add_f32 v[24:25], v[16:17], v[18:19] neg_lo:[0,1] neg_hi:[0,1]
	v_pk_add_f32 v[16:17], v[16:17], v[18:19]
	s_or_b64 vcc, s[26:27], vcc
	v_mov_b32_e32 v10, v17
	v_pk_add_f32 v[18:19], v[10:11], v[14:15] neg_lo:[0,1] neg_hi:[0,1]
	v_mov_b32_e32 v16, v23
	v_mov_b32_e32 v9, v18
	v_pk_add_f32 v[26:27], v[22:23], v[8:9] neg_lo:[0,1] neg_hi:[0,1]
	v_mov_b32_e32 v22, v15
	v_mov_b32_e32 v23, v18
	;; [unrolled: 1-line block ×3, first 2 shown]
	v_pk_add_f32 v[16:17], v[16:17], v[22:23] neg_lo:[0,1] neg_hi:[0,1]
	v_mov_b32_e32 v18, v21
	v_mov_b32_e32 v19, v14
	v_pk_add_f32 v[14:15], v[18:19], v[16:17] neg_lo:[0,1] neg_hi:[0,1]
	v_mov_b32_e32 v26, v24
	v_pk_add_f32 v[16:17], v[26:27], v[14:15]
	s_nop 0
	v_mov_b32_e32 v18, v17
	v_pk_add_f32 v[18:19], v[16:17], v[18:19]
	s_nop 0
	v_pk_add_f32 v[20:21], v[10:11], v[18:19]
	v_mov_b32_e32 v15, v18
	v_mov_b32_e32 v17, v20
	v_pk_add_f32 v[22:23], v[16:17], v[24:25] neg_lo:[0,1] neg_hi:[0,1]
	s_nop 0
	v_sub_f32_e32 v9, v16, v22
	v_pk_add_f32 v[14:15], v[14:15], v[22:23] neg_lo:[0,1] neg_hi:[0,1]
	v_sub_f32_e32 v9, v24, v9
	v_add_f32_e32 v9, v14, v9
	v_add_f32_e32 v9, v9, v15
	;; [unrolled: 1-line block ×3, first 2 shown]
	v_cndmask_b32_e32 v10, v9, v28, vcc
.LBB103_34:                             ;   in Loop: Header=BB103_12 Depth=1
	s_or_b64 exec, exec, s[28:29]
	v_cvt_f32_f16_e32 v20, v13
	v_cvt_f32_f16_sdwa v21, v12 dst_sel:DWORD dst_unused:UNUSED_PAD src0_sel:WORD_1
	v_cvt_f32_f16_e32 v22, v12
	v_cvt_f32_f16_sdwa v9, v13 dst_sel:DWORD dst_unused:UNUSED_PAD src0_sel:WORD_1
	v_mul_f32_e32 v14, s80, v20
	v_mul_f32_e32 v13, s80, v21
	;; [unrolled: 1-line block ×4, first 2 shown]
	s_and_b64 vcc, exec, s[62:63]
	s_waitcnt lgkmcnt(0)
	; wave barrier
	s_cbranch_vccz .LBB103_76
; %bb.35:                               ;   in Loop: Header=BB103_12 Depth=1
	s_cmp_lg_u32 s93, 0
	s_cselect_b64 s[68:69], -1, 0
	s_cmp_eq_u32 s93, s82
	v_cmp_gt_u32_e32 vcc, s34, v7
	s_cselect_b64 s[70:71], -1, 0
	s_or_b64 s[26:27], s[64:65], vcc
	v_cmp_gt_u32_e32 vcc, s34, v6
	s_mov_b32 s56, 0
	v_cmp_gt_u32_e64 s[28:29], s34, v3
	s_or_b64 s[30:31], s[64:65], vcc
	v_cmp_gt_u32_e32 vcc, s34, v48
	v_mul_f32_e32 v9, v10, v9
	v_lshl_add_u64 v[16:17], s[42:43], 0, v[0:1]
	v_lshl_add_u64 v[18:19], s[46:47], 0, v[0:1]
	v_mul_f32_e32 v55, v11, v20
	v_mul_f32_e32 v56, v54, v21
	;; [unrolled: 1-line block ×3, first 2 shown]
	s_or_b64 s[28:29], s[64:65], s[28:29]
	s_or_b64 s[34:35], s[64:65], vcc
	s_mov_b32 s72, s56
	s_mov_b32 s74, s56
	;; [unrolled: 1-line block ×5, first 2 shown]
	s_branch .LBB103_37
.LBB103_36:                             ;   in Loop: Header=BB103_37 Depth=2
	s_or_b64 exec, exec, s[36:37]
	v_mul_f32_e32 v22, v29, v28
	v_fma_f32 v23, v29, v31, v24
	v_cndmask_b32_e64 v24, v23, v24, s[16:17]
	v_cndmask_b32_e64 v22, v22, v29, s[16:17]
	s_waitcnt lgkmcnt(0)
	v_fmac_f32_e32 v24, v34, v22
	v_fmac_f32_e32 v25, v24, v27
	v_cvt_f32_f16_sdwa v23, v21 dst_sel:DWORD dst_unused:UNUSED_PAD src0_sel:WORD_1
	v_cvt_f32_f16_e32 v22, v21
	v_cvt_f32_f16_sdwa v21, v20 dst_sel:DWORD dst_unused:UNUSED_PAD src0_sel:WORD_1
	v_cvt_f32_f16_e32 v20, v20
	v_fmac_f32_e32 v26, v25, v33
	v_fmac_f32_e32 v30, v26, v32
	v_mov_b32_e32 v27, v30
	s_add_i32 s94, s94, 8
	s_add_i32 s67, s67, -1
	s_add_i32 s76, s76, s38
	s_add_i32 s74, s74, s48
	;; [unrolled: 1-line block ×4, first 2 shown]
	v_pk_fma_f32 v[14:15], v[26:27], v[22:23], v[14:15]
	s_cmp_eq_u32 s67, 0
	v_pk_fma_f32 v[12:13], v[24:25], v[20:21], v[12:13]
	s_cbranch_scc1 .LBB103_76
.LBB103_37:                             ;   Parent Loop BB103_12 Depth=1
                                        ; =>  This Inner Loop Header: Depth=2
	s_lshl_b64 s[36:37], s[56:57], 2
	s_add_u32 s36, s39, s36
	s_addc_u32 s37, s40, s37
	global_load_dword v26, v1, s[36:37]
	s_mov_b32 s73, s57
	v_lshl_add_u64 v[20:21], s[72:73], 1, v[16:17]
	v_mov_b32_e32 v22, 0
	v_mov_b32_e32 v23, 0
	s_and_saveexec_b64 s[36:37], s[18:19]
	s_cbranch_execnz .LBB103_49
; %bb.38:                               ;   in Loop: Header=BB103_37 Depth=2
	s_or_b64 exec, exec, s[36:37]
	s_and_saveexec_b64 s[36:37], s[20:21]
	s_cbranch_execnz .LBB103_50
.LBB103_39:                             ;   in Loop: Header=BB103_37 Depth=2
	s_or_b64 exec, exec, s[36:37]
	v_mov_b32_e32 v24, 0
	s_and_saveexec_b64 s[36:37], s[22:23]
	s_cbranch_execnz .LBB103_51
.LBB103_40:                             ;   in Loop: Header=BB103_37 Depth=2
	s_or_b64 exec, exec, s[36:37]
	s_and_saveexec_b64 s[36:37], s[24:25]
	s_cbranch_execz .LBB103_42
.LBB103_41:                             ;   in Loop: Header=BB103_37 Depth=2
	global_load_ushort v20, v[20:21], off offset:384
	s_waitcnt vmcnt(0)
	v_lshl_or_b32 v24, v20, 16, v24
.LBB103_42:                             ;   in Loop: Header=BB103_37 Depth=2
	s_or_b64 exec, exec, s[36:37]
	s_waitcnt vmcnt(0)
	ds_write_b16 v39, v23
	ds_write_b16 v40, v22 offset:128
	ds_write_b16 v41, v24 offset:256
	ds_write_b16_d16_hi v42, v24 offset:384
	; wave barrier
	ds_read_b64 v[24:25], v43
	s_mov_b32 s75, s57
	v_lshl_add_u64 v[20:21], s[74:75], 1, v[18:19]
	v_mov_b32_e32 v22, 0
	v_mov_b32_e32 v23, 0
	s_and_saveexec_b64 s[36:37], s[18:19]
	s_cbranch_execnz .LBB103_52
; %bb.43:                               ;   in Loop: Header=BB103_37 Depth=2
	s_or_b64 exec, exec, s[36:37]
	s_and_saveexec_b64 s[36:37], s[20:21]
	s_cbranch_execnz .LBB103_53
.LBB103_44:                             ;   in Loop: Header=BB103_37 Depth=2
	s_or_b64 exec, exec, s[36:37]
	v_mov_b32_e32 v27, 0
	s_and_saveexec_b64 s[36:37], s[22:23]
	s_cbranch_execnz .LBB103_54
.LBB103_45:                             ;   in Loop: Header=BB103_37 Depth=2
	s_or_b64 exec, exec, s[36:37]
	s_and_saveexec_b64 s[36:37], s[24:25]
	s_cbranch_execz .LBB103_47
.LBB103_46:                             ;   in Loop: Header=BB103_37 Depth=2
	global_load_ushort v20, v[20:21], off offset:384
	s_waitcnt vmcnt(0)
	v_lshl_or_b32 v27, v20, 16, v27
.LBB103_47:                             ;   in Loop: Header=BB103_37 Depth=2
	s_or_b64 exec, exec, s[36:37]
	s_waitcnt vmcnt(0)
	ds_write_b16 v39, v23 offset:528
	ds_write_b16 v44, v22 offset:128
	ds_write_b16 v45, v27 offset:256
	ds_write_b16_d16_hi v46, v27 offset:384
	; wave barrier
	ds_read_b64 v[20:21], v43 offset:528
	s_andn2_b64 vcc, exec, s[68:69]
	s_cbranch_vccnz .LBB103_55
; %bb.48:                               ;   in Loop: Header=BB103_37 Depth=2
	v_mov_b32_e32 v22, s94
	ds_read_b64 v[22:23], v22
	s_cbranch_execz .LBB103_56
	s_branch .LBB103_59
.LBB103_49:                             ;   in Loop: Header=BB103_37 Depth=2
	global_load_ushort v23, v[20:21], off
	s_or_b64 exec, exec, s[36:37]
	s_and_saveexec_b64 s[36:37], s[20:21]
	s_cbranch_execz .LBB103_39
.LBB103_50:                             ;   in Loop: Header=BB103_37 Depth=2
	global_load_ushort v22, v[20:21], off offset:128
	s_or_b64 exec, exec, s[36:37]
	v_mov_b32_e32 v24, 0
	s_and_saveexec_b64 s[36:37], s[22:23]
	s_cbranch_execz .LBB103_40
.LBB103_51:                             ;   in Loop: Header=BB103_37 Depth=2
	global_load_ushort v24, v[20:21], off offset:256
	s_or_b64 exec, exec, s[36:37]
	s_and_saveexec_b64 s[36:37], s[24:25]
	s_cbranch_execnz .LBB103_41
	s_branch .LBB103_42
.LBB103_52:                             ;   in Loop: Header=BB103_37 Depth=2
	global_load_ushort v23, v[20:21], off
	s_or_b64 exec, exec, s[36:37]
	s_and_saveexec_b64 s[36:37], s[20:21]
	s_cbranch_execz .LBB103_44
.LBB103_53:                             ;   in Loop: Header=BB103_37 Depth=2
	global_load_ushort v22, v[20:21], off offset:128
	s_or_b64 exec, exec, s[36:37]
	v_mov_b32_e32 v27, 0
	s_and_saveexec_b64 s[36:37], s[22:23]
	s_cbranch_execz .LBB103_45
.LBB103_54:                             ;   in Loop: Header=BB103_37 Depth=2
	global_load_ushort v27, v[20:21], off offset:256
	s_or_b64 exec, exec, s[36:37]
	s_and_saveexec_b64 s[36:37], s[24:25]
	s_cbranch_execnz .LBB103_46
	s_branch .LBB103_47
.LBB103_55:                             ;   in Loop: Header=BB103_37 Depth=2
                                        ; implicit-def: $vgpr23
.LBB103_56:                             ;   in Loop: Header=BB103_37 Depth=2
	s_andn2_b64 vcc, exec, s[52:53]
	s_waitcnt lgkmcnt(0)
	v_mov_b32_e32 v23, 0
	s_cbranch_vccnz .LBB103_58
; %bb.57:                               ;   in Loop: Header=BB103_37 Depth=2
	s_mov_b32 s77, s57
	s_lshl_b64 s[36:37], s[76:77], 2
	s_add_u32 s36, s45, s36
	s_addc_u32 s37, s49, s37
	global_load_dword v23, v1, s[36:37]
.LBB103_58:                             ;   in Loop: Header=BB103_37 Depth=2
	v_mov_b32_e32 v22, 1.0
.LBB103_59:                             ;   in Loop: Header=BB103_37 Depth=2
	v_mul_f32_e32 v26, 0x3fb8aa3b, v26
	s_waitcnt lgkmcnt(5)
	v_cvt_f32_f16_e32 v27, v24
	v_cvt_f32_f16_sdwa v28, v24 dst_sel:DWORD dst_unused:UNUSED_PAD src0_sel:WORD_1
	v_mul_f32_e32 v24, v26, v53
	v_cmp_gt_f32_e32 vcc, s92, v24
	v_cvt_f32_f16_e32 v32, v25
	v_cvt_f32_f16_sdwa v33, v25 dst_sel:DWORD dst_unused:UNUSED_PAD src0_sel:WORD_1
	v_cndmask_b32_e32 v24, 0, v51, vcc
	v_fmac_f32_e32 v24, v26, v53
	v_exp_f32_e32 v24, v24
	v_cndmask_b32_e32 v25, 1.0, v52, vcc
	v_mul_f32_e32 v25, v24, v25
	v_mul_f32_e32 v24, v57, v27
	;; [unrolled: 1-line block ×3, first 2 shown]
	v_cmp_gt_f32_e32 vcc, s92, v27
	v_cndmask_b32_e64 v29, 1.0, v25, s[26:27]
	v_cndmask_b32_e64 v24, 0, v24, s[26:27]
	v_cndmask_b32_e32 v27, 0, v51, vcc
	v_fmac_f32_e32 v27, v26, v54
	v_exp_f32_e32 v27, v27
	v_cndmask_b32_e32 v25, 1.0, v52, vcc
	v_mul_f32_e32 v27, v27, v25
	v_pk_mul_f32 v[30:31], v[26:27], v[10:11] op_sel_hi:[0,1]
	v_cmp_gt_f32_e32 vcc, s92, v30
	v_mul_f32_e32 v25, v56, v28
	v_cmp_gt_f32_e64 s[36:37], s92, v31
	v_cndmask_b32_e32 v28, 0, v51, vcc
	v_add_f32_e32 v28, v30, v28
	v_cndmask_b32_e64 v30, 0, v51, s[36:37]
	v_exp_f32_e32 v28, v28
	v_add_f32_e32 v30, v31, v30
	v_exp_f32_e32 v30, v30
	v_cndmask_b32_e32 v31, 1.0, v52, vcc
	v_mul_f32_e32 v28, v28, v31
	v_cndmask_b32_e64 v31, 1.0, v52, s[36:37]
	v_cndmask_b32_e64 v25, 0, v25, s[28:29]
	v_cndmask_b32_e64 v27, 1.0, v27, s[28:29]
	v_mul_f32_e32 v31, v30, v31
	v_mul_f32_e32 v26, v55, v32
	;; [unrolled: 1-line block ×3, first 2 shown]
	v_cndmask_b32_e64 v33, 1.0, v31, s[30:31]
	v_cndmask_b32_e64 v32, 1.0, v28, s[34:35]
	v_fma_f32 v28, v27, v24, v25
	v_cndmask_b32_e64 v26, 0, v26, s[30:31]
	v_mul_f32_e32 v28, v28, v33
	v_pk_add_f32 v[34:35], v[28:29], v[26:27]
	v_pk_mul_f32 v[58:59], v[28:29], v[26:27]
	v_cndmask_b32_e64 v30, 0, v30, s[34:35]
	v_mov_b32_e32 v35, v59
	v_pk_mul_f32 v[58:59], v[34:35], v[32:33]
	v_mov_b32_e32 v31, v32
	v_pk_fma_f32 v[60:61], v[34:35], v[32:33], v[30:31]
	v_pk_mul_f32 v[58:59], v[58:59], v[30:31]
	s_nop 0
	v_mov_b32_dpp v31, v60 row_shr:1 row_mask:0xf bank_mask:0xf
	v_mov_b32_dpp v28, v59 row_shr:1 row_mask:0xf bank_mask:0xf
	v_mul_f32_e32 v58, v59, v28
	v_fma_f32 v28, v59, v31, v60
	v_cndmask_b32_e64 v35, v28, v60, s[0:1]
	v_cndmask_b32_e64 v28, v28, v60, s[0:1]
	;; [unrolled: 1-line block ×4, first 2 shown]
	v_mov_b32_dpp v59, v28 row_shr:2 row_mask:0xf bank_mask:0xf
	v_mov_b32_dpp v58, v31 row_shr:2 row_mask:0xf bank_mask:0xf
	s_and_saveexec_b64 s[36:37], s[2:3]
; %bb.60:                               ;   in Loop: Header=BB103_37 Depth=2
	v_fmac_f32_e32 v28, v31, v59
	v_mul_f32_e32 v31, v31, v58
	v_mov_b32_e32 v34, v31
	v_mov_b32_e32 v35, v28
; %bb.61:                               ;   in Loop: Header=BB103_37 Depth=2
	s_or_b64 exec, exec, s[36:37]
	v_mov_b32_dpp v58, v31 row_shr:4 row_mask:0xf bank_mask:0xf
	v_mov_b32_dpp v59, v28 row_shr:4 row_mask:0xf bank_mask:0xf
	s_and_saveexec_b64 s[36:37], s[4:5]
; %bb.62:                               ;   in Loop: Header=BB103_37 Depth=2
	v_fmac_f32_e32 v28, v31, v59
	v_mul_f32_e32 v31, v31, v58
	v_mov_b32_e32 v34, v31
	v_mov_b32_e32 v35, v28
; %bb.63:                               ;   in Loop: Header=BB103_37 Depth=2
	s_or_b64 exec, exec, s[36:37]
	;; [unrolled: 10-line block ×3, first 2 shown]
	v_mov_b32_dpp v58, v31 row_bcast:15 row_mask:0xf bank_mask:0xf
	v_mov_b32_dpp v59, v28 row_bcast:15 row_mask:0xf bank_mask:0xf
	s_and_saveexec_b64 s[36:37], s[8:9]
; %bb.66:                               ;   in Loop: Header=BB103_37 Depth=2
	v_fmac_f32_e32 v28, v31, v59
	v_mul_f32_e32 v31, v31, v58
	v_mov_b32_e32 v34, v31
	v_mov_b32_e32 v35, v28
; %bb.67:                               ;   in Loop: Header=BB103_37 Depth=2
	s_or_b64 exec, exec, s[36:37]
	v_mov_b32_dpp v58, v31 row_bcast:31 row_mask:0xf bank_mask:0xf
	v_mov_b32_dpp v59, v28 row_bcast:31 row_mask:0xf bank_mask:0xf
	v_mul_f32_e32 v58, v31, v58
	v_fmac_f32_e32 v28, v31, v59
	v_cndmask_b32_e64 v34, v34, v58, s[10:11]
	v_cndmask_b32_e64 v35, v35, v28, s[10:11]
	s_and_saveexec_b64 s[36:37], s[12:13]
	s_cbranch_execz .LBB103_69
; %bb.68:                               ;   in Loop: Header=BB103_37 Depth=2
	ds_write_b64 v1, v[34:35] offset:1056
.LBB103_69:                             ;   in Loop: Header=BB103_37 Depth=2
	s_or_b64 exec, exec, s[36:37]
	ds_bpermute_b32 v28, v47, v34
	ds_bpermute_b32 v31, v47, v35
	s_waitcnt vmcnt(0) lgkmcnt(2)
	v_mov_b32_e32 v35, v23
	s_waitcnt lgkmcnt(0)
	; wave barrier
	s_waitcnt lgkmcnt(0)
	s_and_saveexec_b64 s[36:37], s[14:15]
	s_cbranch_execz .LBB103_73
; %bb.70:                               ;   in Loop: Header=BB103_37 Depth=2
	ds_read_b64 v[34:35], v1 offset:1056
	s_and_saveexec_b64 s[78:79], s[16:17]
	s_cbranch_execz .LBB103_72
; %bb.71:                               ;   in Loop: Header=BB103_37 Depth=2
	ds_write_b64 v1, v[22:23] offset:1056
.LBB103_72:                             ;   in Loop: Header=BB103_37 Depth=2
	s_or_b64 exec, exec, s[78:79]
	s_waitcnt lgkmcnt(0)
	v_fmac_f32_e32 v35, v23, v34
	v_mul_f32_e32 v22, v22, v34
	v_mov_b32_e32 v23, v35
.LBB103_73:                             ;   in Loop: Header=BB103_37 Depth=2
	s_or_b64 exec, exec, s[36:37]
	s_waitcnt lgkmcnt(0)
	; wave barrier
	ds_read_b32 v34, v1 offset:1060
	s_and_saveexec_b64 s[36:37], s[16:17]
	s_cbranch_execz .LBB103_36
; %bb.74:                               ;   in Loop: Header=BB103_37 Depth=2
	v_mov_b32_e32 v58, s94
	s_andn2_b64 vcc, exec, s[70:71]
	ds_write_b64 v58, v[22:23]
	s_cbranch_vccnz .LBB103_36
; %bb.75:                               ;   in Loop: Header=BB103_37 Depth=2
	s_mov_b32 s77, s57
	s_lshl_b64 s[78:79], s[76:77], 2
	s_add_u32 s78, s45, s78
	s_addc_u32 s79, s49, s79
	global_store_dword v1, v35, s[78:79]
	s_branch .LBB103_36
.LBB103_76:                             ;   in Loop: Header=BB103_12 Depth=1
	v_cvt_f16_f32_e32 v9, v15
	v_cvt_f16_f32_e32 v10, v14
	;; [unrolled: 1-line block ×4, first 2 shown]
	v_pack_b32_f16 v11, v10, v9
	; wave barrier
	v_pack_b32_f16 v10, v12, v13
	ds_write_b64 v43, v[10:11]
	; wave barrier
	ds_read_u16 v13, v40 offset:128
	ds_read_u16 v12, v41 offset:256
	;; [unrolled: 1-line block ×3, first 2 shown]
	s_mov_b32 s67, s57
	v_lshl_add_u64 v[10:11], s[66:67], 1, v[4:5]
	s_and_saveexec_b64 s[26:27], s[18:19]
	s_cbranch_execnz .LBB103_82
; %bb.77:                               ;   in Loop: Header=BB103_12 Depth=1
	s_or_b64 exec, exec, s[26:27]
	s_and_saveexec_b64 s[18:19], s[20:21]
	s_cbranch_execnz .LBB103_83
.LBB103_78:                             ;   in Loop: Header=BB103_12 Depth=1
	s_or_b64 exec, exec, s[18:19]
	s_and_saveexec_b64 s[18:19], s[22:23]
	s_cbranch_execnz .LBB103_84
.LBB103_79:                             ;   in Loop: Header=BB103_12 Depth=1
	s_or_b64 exec, exec, s[18:19]
	s_and_saveexec_b64 s[18:19], s[24:25]
	s_cbranch_execz .LBB103_11
	s_branch .LBB103_85
.LBB103_80:                             ;   in Loop: Header=BB103_12 Depth=1
	global_load_ushort v15, v[10:11], off offset:128
	s_or_b64 exec, exec, s[26:27]
	s_and_saveexec_b64 s[26:27], s[22:23]
	s_cbranch_execz .LBB103_24
.LBB103_81:                             ;   in Loop: Header=BB103_12 Depth=1
	global_load_ushort v14, v[10:11], off offset:256
	s_or_b64 exec, exec, s[26:27]
	v_mov_b32_e32 v16, 0
	s_and_saveexec_b64 s[26:27], s[24:25]
	s_cbranch_execnz .LBB103_25
	s_branch .LBB103_26
.LBB103_82:                             ;   in Loop: Header=BB103_12 Depth=1
	ds_read_u16 v14, v39
	s_waitcnt lgkmcnt(0)
	global_store_short v[10:11], v14, off
	s_or_b64 exec, exec, s[26:27]
	s_and_saveexec_b64 s[18:19], s[20:21]
	s_cbranch_execz .LBB103_78
.LBB103_83:                             ;   in Loop: Header=BB103_12 Depth=1
	s_waitcnt lgkmcnt(2)
	global_store_short v[10:11], v13, off offset:128
	s_or_b64 exec, exec, s[18:19]
	s_and_saveexec_b64 s[18:19], s[22:23]
	s_cbranch_execz .LBB103_79
.LBB103_84:                             ;   in Loop: Header=BB103_12 Depth=1
	s_waitcnt lgkmcnt(1)
	global_store_short v[10:11], v12, off offset:256
	s_or_b64 exec, exec, s[18:19]
	s_and_saveexec_b64 s[18:19], s[24:25]
	s_cbranch_execz .LBB103_11
.LBB103_85:                             ;   in Loop: Header=BB103_12 Depth=1
	s_waitcnt lgkmcnt(0)
	global_store_short v[10:11], v9, off offset:384
	s_branch .LBB103_11
.LBB103_86:
	s_endpgm
	.section	.rodata,"a",@progbits
	.p2align	6, 0x0
	.amdhsa_kernel _Z25selective_scan_fwd_kernelI32Selective_Scan_fwd_kernel_traitsILi64ELi4ELi1ELb0ELb1ELb1ELb0ELb0EN3c104HalfEffEEv13SSMParamsBase
		.amdhsa_group_segment_fixed_size 0
		.amdhsa_private_segment_fixed_size 0
		.amdhsa_kernarg_size 248
		.amdhsa_user_sgpr_count 2
		.amdhsa_user_sgpr_dispatch_ptr 0
		.amdhsa_user_sgpr_queue_ptr 0
		.amdhsa_user_sgpr_kernarg_segment_ptr 1
		.amdhsa_user_sgpr_dispatch_id 0
		.amdhsa_user_sgpr_kernarg_preload_length 0
		.amdhsa_user_sgpr_kernarg_preload_offset 0
		.amdhsa_user_sgpr_private_segment_size 0
		.amdhsa_uses_dynamic_stack 0
		.amdhsa_enable_private_segment 0
		.amdhsa_system_sgpr_workgroup_id_x 1
		.amdhsa_system_sgpr_workgroup_id_y 1
		.amdhsa_system_sgpr_workgroup_id_z 0
		.amdhsa_system_sgpr_workgroup_info 0
		.amdhsa_system_vgpr_workitem_id 0
		.amdhsa_next_free_vgpr 62
		.amdhsa_next_free_sgpr 95
		.amdhsa_accum_offset 64
		.amdhsa_reserve_vcc 1
		.amdhsa_float_round_mode_32 0
		.amdhsa_float_round_mode_16_64 0
		.amdhsa_float_denorm_mode_32 3
		.amdhsa_float_denorm_mode_16_64 3
		.amdhsa_dx10_clamp 1
		.amdhsa_ieee_mode 1
		.amdhsa_fp16_overflow 0
		.amdhsa_tg_split 0
		.amdhsa_exception_fp_ieee_invalid_op 0
		.amdhsa_exception_fp_denorm_src 0
		.amdhsa_exception_fp_ieee_div_zero 0
		.amdhsa_exception_fp_ieee_overflow 0
		.amdhsa_exception_fp_ieee_underflow 0
		.amdhsa_exception_fp_ieee_inexact 0
		.amdhsa_exception_int_div_zero 0
	.end_amdhsa_kernel
	.section	.text._Z25selective_scan_fwd_kernelI32Selective_Scan_fwd_kernel_traitsILi64ELi4ELi1ELb0ELb1ELb1ELb0ELb0EN3c104HalfEffEEv13SSMParamsBase,"axG",@progbits,_Z25selective_scan_fwd_kernelI32Selective_Scan_fwd_kernel_traitsILi64ELi4ELi1ELb0ELb1ELb1ELb0ELb0EN3c104HalfEffEEv13SSMParamsBase,comdat
.Lfunc_end103:
	.size	_Z25selective_scan_fwd_kernelI32Selective_Scan_fwd_kernel_traitsILi64ELi4ELi1ELb0ELb1ELb1ELb0ELb0EN3c104HalfEffEEv13SSMParamsBase, .Lfunc_end103-_Z25selective_scan_fwd_kernelI32Selective_Scan_fwd_kernel_traitsILi64ELi4ELi1ELb0ELb1ELb1ELb0ELb0EN3c104HalfEffEEv13SSMParamsBase
                                        ; -- End function
	.section	.AMDGPU.csdata,"",@progbits
; Kernel info:
; codeLenInByte = 6156
; NumSgprs: 101
; NumVgprs: 62
; NumAgprs: 0
; TotalNumVgprs: 62
; ScratchSize: 0
; MemoryBound: 0
; FloatMode: 240
; IeeeMode: 1
; LDSByteSize: 0 bytes/workgroup (compile time only)
; SGPRBlocks: 12
; VGPRBlocks: 7
; NumSGPRsForWavesPerEU: 101
; NumVGPRsForWavesPerEU: 62
; AccumOffset: 64
; Occupancy: 7
; WaveLimiterHint : 0
; COMPUTE_PGM_RSRC2:SCRATCH_EN: 0
; COMPUTE_PGM_RSRC2:USER_SGPR: 2
; COMPUTE_PGM_RSRC2:TRAP_HANDLER: 0
; COMPUTE_PGM_RSRC2:TGID_X_EN: 1
; COMPUTE_PGM_RSRC2:TGID_Y_EN: 1
; COMPUTE_PGM_RSRC2:TGID_Z_EN: 0
; COMPUTE_PGM_RSRC2:TIDIG_COMP_CNT: 0
; COMPUTE_PGM_RSRC3_GFX90A:ACCUM_OFFSET: 15
; COMPUTE_PGM_RSRC3_GFX90A:TG_SPLIT: 0
	.section	.text._Z25selective_scan_fwd_kernelI32Selective_Scan_fwd_kernel_traitsILi64ELi8ELi1ELb1ELb1ELb1ELb1ELb1EN3c104HalfEffEEv13SSMParamsBase,"axG",@progbits,_Z25selective_scan_fwd_kernelI32Selective_Scan_fwd_kernel_traitsILi64ELi8ELi1ELb1ELb1ELb1ELb1ELb1EN3c104HalfEffEEv13SSMParamsBase,comdat
	.protected	_Z25selective_scan_fwd_kernelI32Selective_Scan_fwd_kernel_traitsILi64ELi8ELi1ELb1ELb1ELb1ELb1ELb1EN3c104HalfEffEEv13SSMParamsBase ; -- Begin function _Z25selective_scan_fwd_kernelI32Selective_Scan_fwd_kernel_traitsILi64ELi8ELi1ELb1ELb1ELb1ELb1ELb1EN3c104HalfEffEEv13SSMParamsBase
	.globl	_Z25selective_scan_fwd_kernelI32Selective_Scan_fwd_kernel_traitsILi64ELi8ELi1ELb1ELb1ELb1ELb1ELb1EN3c104HalfEffEEv13SSMParamsBase
	.p2align	8
	.type	_Z25selective_scan_fwd_kernelI32Selective_Scan_fwd_kernel_traitsILi64ELi8ELi1ELb1ELb1ELb1ELb1ELb1EN3c104HalfEffEEv13SSMParamsBase,@function
_Z25selective_scan_fwd_kernelI32Selective_Scan_fwd_kernel_traitsILi64ELi8ELi1ELb1ELb1ELb1ELb1ELb1EN3c104HalfEffEEv13SSMParamsBase: ; @_Z25selective_scan_fwd_kernelI32Selective_Scan_fwd_kernel_traitsILi64ELi8ELi1ELb1ELb1ELb1ELb1ELb1EN3c104HalfEffEEv13SSMParamsBase
; %bb.0:
	s_load_dword s37, s[0:1], 0x18
	s_load_dwordx4 s[4:7], s[0:1], 0xe8
	s_load_dwordx8 s[20:27], s[0:1], 0xc8
	s_mov_b32 s34, s3
	s_ashr_i32 s3, s2, 31
	s_lshl_b64 s[8:9], s[2:3], 2
	s_waitcnt lgkmcnt(0)
	s_abs_i32 s36, s37
	v_cvt_f32_u32_e32 v1, s36
	s_add_u32 s28, s26, s8
	s_addc_u32 s29, s27, s9
	s_cmp_eq_u64 s[6:7], 0
	v_rcp_iflag_f32_e32 v1, v1
	s_nop 0
	v_mul_f32_e32 v1, 0x4f7ffffe, v1
	v_cvt_u32_f32_e32 v1, v1
	s_nop 0
	v_readfirstlane_b32 s38, v1
	s_cbranch_scc1 .LBB104_169
; %bb.1:
	s_add_u32 s6, s6, s2
	s_addc_u32 s7, s7, s3
	v_mov_b32_e32 v1, 0
	global_load_ubyte v1, v1, s[6:7]
	s_waitcnt vmcnt(0)
	v_and_b32_e32 v1, 1, v1
	v_cmp_eq_u32_e64 s[68:69], 1, v1
	s_load_dwordx2 s[6:7], s[0:1], 0x20
	s_cmp_eq_u64 s[4:5], 0
	s_cbranch_scc1 .LBB104_3
.LBB104_2:
	s_add_u32 s2, s4, s8
	s_addc_u32 s3, s5, s9
	s_load_dword s2, s[2:3], 0x0
	s_waitcnt lgkmcnt(0)
	s_ashr_i32 s3, s2, 31
.LBB104_3:
	s_waitcnt lgkmcnt(0)
	s_cmp_eq_u64 s[6:7], s[2:3]
	s_cbranch_scc1 .LBB104_168
; %bb.4:
	s_load_dwordx16 s[4:19], s[0:1], 0x88
	s_load_dwordx2 s[26:27], s[28:29], 0x0
	s_mov_b32 s33, 0
	s_mov_b32 s92, 0
	s_waitcnt lgkmcnt(0)
	s_cmp_eq_u64 s[10:11], 0
	s_cbranch_scc1 .LBB104_6
; %bb.5:
	s_ashr_i32 s35, s34, 31
	s_lshl_b64 s[28:29], s[34:35], 2
	s_add_u32 s10, s10, s28
	s_addc_u32 s11, s11, s29
	s_load_dword s92, s[10:11], 0x0
.LBB104_6:
	s_cmp_eq_u64 s[16:17], 0
	s_cbranch_scc1 .LBB104_8
; %bb.7:
	s_ashr_i32 s35, s34, 31
	s_lshl_b64 s[10:11], s[34:35], 2
	s_add_u32 s10, s16, s10
	s_addc_u32 s11, s17, s11
	s_load_dword s33, s[10:11], 0x0
.LBB104_8:
	s_sub_i32 s35, s27, s26
	s_cmp_lt_i32 s35, 1
	s_cbranch_scc1 .LBB104_168
; %bb.9:
	s_sub_i32 s3, 0, s36
	s_mul_i32 s3, s3, s38
	s_mul_hi_u32 s3, s38, s3
	s_abs_i32 s16, s34
	s_add_i32 s38, s38, s3
	s_load_dwordx8 s[52:59], s[0:1], 0x2c
	s_load_dwordx2 s[10:11], s[0:1], 0x7c
	s_load_dwordx4 s[28:31], s[0:1], 0x6c
	s_load_dwordx8 s[60:67], s[0:1], 0x4c
	s_load_dword s94, s[0:1], 0x84
	s_mul_hi_u32 s3, s16, s38
	s_load_dword s38, s[0:1], 0xc
	s_load_dword s17, s[0:1], 0x28
	s_ashr_i32 s0, s34, 31
	s_ashr_i32 s1, s37, 31
	s_xor_b32 s0, s0, s1
	s_mul_i32 s1, s3, s36
	s_sub_i32 s1, s16, s1
	s_add_i32 s16, s3, 1
	s_sub_i32 s27, s1, s36
	s_cmp_ge_u32 s1, s36
	s_cselect_b32 s3, s16, s3
	s_cselect_b32 s1, s27, s1
	s_add_i32 s16, s3, 1
	s_cmp_ge_u32 s1, s36
	s_cselect_b32 s1, s16, s3
	s_xor_b32 s1, s1, s0
	s_waitcnt lgkmcnt(0)
	s_mul_i32 s70, s26, s62
	s_mov_b32 s71, 0
	s_sub_i32 s3, s1, s0
	s_lshl_b64 s[0:1], s[70:71], 1
	s_add_u32 s12, s12, s0
	s_mul_i32 s70, s63, s34
	s_addc_u32 s13, s13, s1
	s_lshl_b64 s[0:1], s[70:71], 1
	s_add_u32 s62, s12, s0
	s_mul_i32 s70, s26, s64
	s_addc_u32 s63, s13, s1
	;; [unrolled: 4-line block ×10, first 2 shown]
	s_lshl_b64 s[0:1], s[70:71], 2
	v_mbcnt_lo_u32_b32 v1, -1, 0
	s_add_u32 s57, s2, s0
	v_mbcnt_hi_u32_b32 v10, -1, v1
	s_addc_u32 s61, s3, s1
	s_add_i32 s0, s35, 0x7ff
	v_lshrrev_b32_e32 v1, 5, v10
	s_lshr_b32 s1, s0, 11
	v_and_b32_e32 v1, 2, v1
	v_add_u32_e32 v40, 64, v10
	v_or_b32_e32 v41, 0x80, v10
	v_add_u32_e32 v42, 0xc0, v10
	v_or_b32_e32 v43, 0x100, v10
	v_add_u32_e32 v44, 0x140, v10
	v_or_b32_e32 v45, 0x180, v10
	v_add_u32_e32 v46, 0x1c0, v10
	v_add_u32_e32 v1, v1, v10
	s_bitcmp1_b32 s17, 0
	v_lshl_add_u32 v47, v1, 1, 0
	v_lshrrev_b32_e32 v1, 5, v40
	v_lshrrev_b32_e32 v2, 5, v41
	;; [unrolled: 1-line block ×7, first 2 shown]
	s_cselect_b64 s[72:73], -1, 0
                                        ; implicit-def: $vgpr95 : SGPR spill to VGPR lane
	s_cmp_gt_i32 s38, 0
	v_and_b32_e32 v1, 6, v1
	v_and_b32_e32 v2, 6, v2
	;; [unrolled: 1-line block ×7, first 2 shown]
	v_writelane_b32 v95, s38, 0
	s_cselect_b64 s[2:3], -1, 0
	v_add_lshl_u32 v1, v1, v10, 1
	v_add_lshl_u32 v2, v2, v10, 1
	;; [unrolled: 1-line block ×7, first 2 shown]
	v_writelane_b32 v95, s2, 1
	s_add_i32 s0, 0, 0x420
	v_add_u32_e32 v56, s0, v1
	v_writelane_b32 v95, s3, 2
	v_add_u32_e32 v57, s0, v2
	v_add_u32_e32 v58, s0, v3
	;; [unrolled: 1-line block ×6, first 2 shown]
	s_and_b32 s0, s35, 0x1ff
	v_writelane_b32 v95, s35, 3
	s_cmp_eq_u32 s0, 0
	s_cselect_b64 s[76:77], -1, 0
	v_writelane_b32 v95, s1, 4
	s_add_i32 s0, s1, -1
	s_mul_i32 s70, s26, s28
	v_writelane_b32 v95, s0, 5
	s_lshl_b64 s[0:1], s[70:71], 1
	s_add_u32 s14, s18, s0
	s_mul_i32 s70, s29, s34
	s_addc_u32 s15, s19, s1
	s_lshl_b64 s[12:13], s[70:71], 1
	s_add_u32 s18, s14, s12
	s_mul_i32 s70, s26, s66
	s_addc_u32 s19, s15, s13
	s_lshl_b64 s[12:13], s[70:71], 1
	s_add_u32 s14, s22, s12
	s_mul_i32 s70, s67, s34
	v_lshrrev_b32_e32 v8, 2, v10
	s_addc_u32 s15, s23, s13
	s_lshl_b64 s[12:13], s[70:71], 1
	v_and_b32_e32 v8, 30, v8
	s_add_u32 s20, s14, s12
	s_mul_i32 s70, s26, s30
	v_lshl_add_u32 v8, v10, 3, v8
	s_addc_u32 s21, s15, s13
	s_lshl_b64 s[14:15], s[70:71], 1
	v_mov_b32_e32 v9, 0
	v_add_u32_e32 v48, 0, v1
	v_lshl_add_u32 v55, v8, 1, 0
	v_and_b32_e32 v1, 15, v10
	s_add_u32 s22, s24, s14
	v_lshlrev_b32_e32 v8, 1, v10
	s_mul_i32 s70, s31, s34
	v_cmp_ne_u32_e64 s[0:1], 0, v1
	v_cmp_lt_u32_e64 s[2:3], 1, v1
	v_cmp_lt_u32_e64 s[4:5], 3, v1
	;; [unrolled: 1-line block ×3, first 2 shown]
	v_and_b32_e32 v1, 16, v10
	s_addc_u32 s23, s25, s15
	v_lshl_add_u64 v[12:13], s[18:19], 0, v[8:9]
	s_lshl_b64 s[18:19], s[70:71], 1
	v_add_u32_e32 v49, 0, v2
	v_cmp_ne_u32_e64 s[8:9], 0, v1
	v_add_u32_e32 v1, -1, v10
	v_and_b32_e32 v2, 64, v10
	s_add_u32 s18, s22, s18
	v_cmp_lt_i32_e32 vcc, v1, v2
	s_addc_u32 s19, s23, s19
	v_lshlrev_b32_e32 v11, 3, v0
	v_cndmask_b32_e32 v1, v1, v10, vcc
	v_lshl_add_u64 v[16:17], s[18:19], 0, v[8:9]
	s_add_i32 s18, 0, 0x848
	v_add_u32_e32 v50, 0, v3
	v_add_u32_e32 v51, 0, v4
	v_add_u32_e32 v52, 0, v5
	v_add_u32_e32 v53, 0, v6
	v_add_u32_e32 v54, 0, v7
	v_cmp_lt_u32_e64 s[10:11], 31, v10
	v_cmp_eq_u32_e64 s[12:13], 63, v0
	v_lshlrev_b32_e32 v63, 2, v1
	v_cmp_gt_u32_e64 s[14:15], 64, v0
	v_cmp_eq_u32_e64 s[16:17], 0, v0
	v_lshl_add_u64 v[14:15], s[20:21], 0, v[8:9]
	v_or_b32_e32 v70, 7, v11
	v_lshlrev_b32_e32 v8, 1, v10
	s_mov_b32 s40, 0x41a00000
	s_mov_b32 s41, 0x3fb8aa3b
	;; [unrolled: 1-line block ×6, first 2 shown]
	v_mov_b32_e32 v71, 0x3ecc95a3
	s_mov_b32 s46, 0x3f317218
	s_mov_b32 s47, 0x33800000
	v_writelane_b32 v95, s18, 6
	s_mov_b32 s98, 0xc2fc0000
	s_mov_b32 s74, 0xbfb8aa3b
	;; [unrolled: 1-line block ×5, first 2 shown]
	v_mov_b32_e32 v72, 0x7f800000
	v_mov_b32_e32 v18, 0x3f317218
	;; [unrolled: 1-line block ×4, first 2 shown]
	s_mov_b32 s95, 0
                                        ; implicit-def: $vgpr0
	s_branch .LBB104_11
.LBB104_10:                             ;   in Loop: Header=BB104_11 Depth=1
	s_or_b64 exec, exec, s[18:19]
	s_add_u32 s64, s64, 0x400
	s_addc_u32 s65, s65, 0
	s_add_u32 s62, s62, 0x400
	s_addc_u32 s63, s63, 0
	;; [unrolled: 2-line block ×4, first 2 shown]
	s_add_i32 s95, s95, 1
	v_readlane_b32 s18, v95, 4
	s_cmp_lg_u32 s95, s18
	s_cbranch_scc0 .LBB104_168
.LBB104_11:                             ; =>This Loop Header: Depth=1
                                        ;     Child Loop BB104_60 Depth 2
	s_lshl_b32 s66, s95, 9
	v_readlane_b32 s18, v95, 3
	s_sub_i32 s50, s18, s66
	v_lshl_add_u64 v[0:1], s[62:63], 0, v[8:9]
	v_cmp_gt_u32_e64 s[18:19], s50, v10
	s_waitcnt lgkmcnt(0)
	v_mov_b32_e32 v2, 0
	s_waitcnt lgkmcnt(0)
	; wave barrier
	s_and_saveexec_b64 s[20:21], s[18:19]
	s_cbranch_execz .LBB104_13
; %bb.12:                               ;   in Loop: Header=BB104_11 Depth=1
	global_load_ushort v2, v[0:1], off
.LBB104_13:                             ;   in Loop: Header=BB104_11 Depth=1
	s_or_b64 exec, exec, s[20:21]
	v_cmp_gt_u32_e64 s[20:21], s50, v40
	v_mov_b32_e32 v3, 0
	v_mov_b32_e32 v4, 0
	s_and_saveexec_b64 s[22:23], s[20:21]
	s_cbranch_execz .LBB104_15
; %bb.14:                               ;   in Loop: Header=BB104_11 Depth=1
	global_load_ushort v4, v[0:1], off offset:128
.LBB104_15:                             ;   in Loop: Header=BB104_11 Depth=1
	s_or_b64 exec, exec, s[22:23]
	v_cmp_gt_u32_e64 s[22:23], s50, v41
	s_and_saveexec_b64 s[24:25], s[22:23]
	s_cbranch_execz .LBB104_17
; %bb.16:                               ;   in Loop: Header=BB104_11 Depth=1
	global_load_ushort v3, v[0:1], off offset:256
.LBB104_17:                             ;   in Loop: Header=BB104_11 Depth=1
	s_or_b64 exec, exec, s[24:25]
	v_cmp_gt_u32_e64 s[24:25], s50, v42
	v_mov_b32_e32 v5, 0
	v_mov_b32_e32 v7, 0
	s_and_saveexec_b64 s[26:27], s[24:25]
	s_cbranch_execz .LBB104_19
; %bb.18:                               ;   in Loop: Header=BB104_11 Depth=1
	global_load_ushort v7, v[0:1], off offset:384
.LBB104_19:                             ;   in Loop: Header=BB104_11 Depth=1
	s_or_b64 exec, exec, s[26:27]
	v_cmp_gt_u32_e64 s[26:27], s50, v43
	s_and_saveexec_b64 s[28:29], s[26:27]
	s_cbranch_execz .LBB104_21
; %bb.20:                               ;   in Loop: Header=BB104_11 Depth=1
	global_load_ushort v5, v[0:1], off offset:512
.LBB104_21:                             ;   in Loop: Header=BB104_11 Depth=1
	;; [unrolled: 16-line block ×3, first 2 shown]
	s_or_b64 exec, exec, s[34:35]
	v_cmp_gt_u32_e64 s[34:35], s50, v46
	v_mov_b32_e32 v6, 0
	v_mov_b32_e32 v21, 0
	s_and_saveexec_b64 s[36:37], s[34:35]
	s_cbranch_execz .LBB104_27
; %bb.26:                               ;   in Loop: Header=BB104_11 Depth=1
	global_load_ushort v21, v[0:1], off offset:896
.LBB104_27:                             ;   in Loop: Header=BB104_11 Depth=1
	s_or_b64 exec, exec, s[36:37]
	s_waitcnt vmcnt(0)
	ds_write_b16 v47, v2
	ds_write_b16 v48, v4 offset:128
	ds_write_b16 v49, v3 offset:256
	;; [unrolled: 1-line block ×7, first 2 shown]
	; wave barrier
	ds_read_b128 v[0:3], v55
	v_lshl_add_u64 v[4:5], s[64:65], 0, v[8:9]
	s_waitcnt lgkmcnt(0)
	; wave barrier
	s_waitcnt lgkmcnt(0)
	s_and_saveexec_b64 s[36:37], s[18:19]
	s_cbranch_execz .LBB104_29
; %bb.28:                               ;   in Loop: Header=BB104_11 Depth=1
	global_load_ushort v6, v[4:5], off
.LBB104_29:                             ;   in Loop: Header=BB104_11 Depth=1
	s_or_b64 exec, exec, s[36:37]
	v_mov_b32_e32 v7, 0
	v_mov_b32_e32 v19, 0
	s_and_saveexec_b64 s[36:37], s[20:21]
	s_cbranch_execz .LBB104_31
; %bb.30:                               ;   in Loop: Header=BB104_11 Depth=1
	global_load_ushort v19, v[4:5], off offset:128
.LBB104_31:                             ;   in Loop: Header=BB104_11 Depth=1
	s_or_b64 exec, exec, s[36:37]
	s_and_saveexec_b64 s[36:37], s[22:23]
	s_cbranch_execz .LBB104_33
; %bb.32:                               ;   in Loop: Header=BB104_11 Depth=1
	global_load_ushort v7, v[4:5], off offset:256
.LBB104_33:                             ;   in Loop: Header=BB104_11 Depth=1
	s_or_b64 exec, exec, s[36:37]
	v_mov_b32_e32 v20, 0
	v_mov_b32_e32 v21, 0
	s_and_saveexec_b64 s[36:37], s[24:25]
	s_cbranch_execz .LBB104_35
; %bb.34:                               ;   in Loop: Header=BB104_11 Depth=1
	global_load_ushort v21, v[4:5], off offset:384
.LBB104_35:                             ;   in Loop: Header=BB104_11 Depth=1
	s_or_b64 exec, exec, s[36:37]
	s_and_saveexec_b64 s[36:37], s[26:27]
	s_cbranch_execz .LBB104_37
; %bb.36:                               ;   in Loop: Header=BB104_11 Depth=1
	global_load_ushort v20, v[4:5], off offset:512
.LBB104_37:                             ;   in Loop: Header=BB104_11 Depth=1
	s_or_b64 exec, exec, s[36:37]
	v_mov_b32_e32 v22, 0
	v_mov_b32_e32 v23, 0
	s_and_saveexec_b64 s[36:37], s[28:29]
	s_cbranch_execnz .LBB104_151
; %bb.38:                               ;   in Loop: Header=BB104_11 Depth=1
	s_or_b64 exec, exec, s[36:37]
	s_and_saveexec_b64 s[36:37], s[30:31]
	s_cbranch_execnz .LBB104_152
.LBB104_39:                             ;   in Loop: Header=BB104_11 Depth=1
	s_or_b64 exec, exec, s[36:37]
	v_mov_b32_e32 v24, 0
	s_and_saveexec_b64 s[36:37], s[34:35]
	s_cbranch_execz .LBB104_41
.LBB104_40:                             ;   in Loop: Header=BB104_11 Depth=1
	global_load_ushort v24, v[4:5], off offset:896
.LBB104_41:                             ;   in Loop: Header=BB104_11 Depth=1
	s_or_b64 exec, exec, s[36:37]
	s_waitcnt vmcnt(0)
	ds_write_b16 v47, v6
	ds_write_b16 v48, v19 offset:128
	ds_write_b16 v49, v7 offset:256
	;; [unrolled: 1-line block ×7, first 2 shown]
	; wave barrier
	ds_read_b128 v[4:7], v55
	s_waitcnt lgkmcnt(0)
	v_cvt_f32_f16_e32 v19, v4
	v_add_f32_e32 v75, s33, v19
	v_cmp_ge_f32_e32 vcc, s40, v75
	s_and_b64 s[36:37], s[72:73], vcc
	s_and_saveexec_b64 s[38:39], s[36:37]
	s_cbranch_execz .LBB104_43
; %bb.42:                               ;   in Loop: Header=BB104_11 Depth=1
	v_mul_f32_e32 v19, 0x3fb8aa3b, v75
	v_rndne_f32_e32 v20, v19
	v_sub_f32_e32 v21, v19, v20
	v_fma_f32 v19, v75, s41, -v19
	v_fmac_f32_e32 v19, 0x32a5705f, v75
	v_add_f32_e32 v19, v21, v19
	v_cvt_i32_f32_e32 v20, v20
	v_exp_f32_e32 v19, v19
	v_cmp_ngt_f32_e32 vcc, s42, v75
	v_ldexp_f32 v19, v19, v20
	s_nop 0
	v_cndmask_b32_e32 v19, 0, v19, vcc
	v_cmp_nlt_f32_e32 vcc, s43, v75
	s_nop 1
	v_cndmask_b32_e32 v36, v72, v19, vcc
	v_add_f32_e32 v19, 1.0, v36
	v_add_f32_e32 v20, -1.0, v19
	v_sub_f32_e32 v21, v20, v19
	v_add_f32_e32 v21, 1.0, v21
	v_sub_f32_e32 v20, v36, v20
	v_add_f32_e32 v22, v20, v21
	v_frexp_mant_f32_e32 v23, v19
	v_cvt_f64_f32_e32 v[20:21], v19
	v_frexp_exp_i32_f64_e32 v20, v[20:21]
	v_cmp_gt_f32_e32 vcc, s45, v23
	v_cmp_gt_f32_e64 s[36:37], s47, v36
	s_nop 0
	v_subbrev_co_u32_e32 v28, vcc, 0, v20, vcc
	v_sub_u32_e32 v20, 0, v28
	v_ldexp_f32 v19, v19, v20
	v_ldexp_f32 v20, v22, v20
	v_add_f32_e32 v22, -1.0, v19
	v_add_f32_e32 v21, 1.0, v22
	v_sub_f32_e32 v21, v19, v21
	v_add_f32_e32 v23, v20, v21
	v_add_f32_e32 v21, 1.0, v19
	v_add_f32_e32 v24, -1.0, v21
	v_sub_f32_e32 v19, v19, v24
	v_add_f32_e32 v19, v20, v19
	v_add_f32_e32 v29, v21, v19
	v_rcp_f32_e32 v30, v29
	v_sub_f32_e32 v20, v21, v29
	v_add_f32_e32 v21, v22, v23
	v_add_f32_e32 v19, v19, v20
	v_mul_f32_e32 v32, v21, v30
	v_sub_f32_e32 v20, v22, v21
	v_mul_f32_e32 v22, v29, v32
	v_fma_f32 v24, v32, v29, -v22
	v_fmac_f32_e32 v24, v32, v19
	v_add_f32_e32 v31, v23, v20
	v_add_f32_e32 v20, v22, v24
	v_sub_f32_e32 v23, v21, v20
	v_pk_add_f32 v[26:27], v[20:21], v[22:23] neg_lo:[0,1] neg_hi:[0,1]
	v_mov_b32_e32 v25, v20
	v_pk_add_f32 v[20:21], v[26:27], v[24:25] neg_lo:[0,1] neg_hi:[0,1]
	v_cmp_eq_f32_e32 vcc, s44, v36
	v_add_f32_e32 v21, v31, v21
	v_add_f32_e32 v20, v20, v21
	;; [unrolled: 1-line block ×3, first 2 shown]
	v_mul_f32_e32 v31, v30, v21
	v_mul_f32_e32 v22, v29, v31
	v_fma_f32 v24, v31, v29, -v22
	v_fmac_f32_e32 v24, v31, v19
	v_sub_f32_e32 v19, v23, v21
	v_add_f32_e32 v19, v20, v19
	v_add_f32_e32 v20, v22, v24
	v_sub_f32_e32 v23, v21, v20
	v_pk_add_f32 v[26:27], v[20:21], v[22:23] neg_lo:[0,1] neg_hi:[0,1]
	v_mov_b32_e32 v25, v20
	v_pk_add_f32 v[20:21], v[26:27], v[24:25] neg_lo:[0,1] neg_hi:[0,1]
	s_or_b64 vcc, s[36:37], vcc
	v_add_f32_e32 v19, v19, v21
	v_add_f32_e32 v19, v20, v19
	;; [unrolled: 1-line block ×4, first 2 shown]
	v_sub_f32_e32 v20, v21, v32
	v_mul_f32_e32 v19, v30, v19
	v_sub_f32_e32 v20, v31, v20
	v_add_f32_e32 v22, v20, v19
	v_add_f32_e32 v24, v21, v22
	v_cvt_f32_i32_e32 v20, v28
	v_mul_f32_e32 v25, v24, v24
	v_sub_f32_e32 v21, v24, v21
	v_fmamk_f32 v19, v25, 0x3e9b6dac, v71
	v_sub_f32_e32 v21, v22, v21
	v_fmaak_f32 v19, v25, v19, 0x3f2aaada
	v_ldexp_f32 v26, v21, 1
	v_mul_f32_e32 v21, v24, v25
	v_ldexp_f32 v23, v24, 1
	v_pk_mul_f32 v[24:25], v[20:21], v[18:19]
	s_nop 0
	v_fma_f32 v22, v20, s46, -v24
	v_fmac_f32_e32 v22, 0xb102e308, v20
	v_pk_add_f32 v[20:21], v[24:25], v[22:23]
	s_nop 0
	v_sub_f32_e32 v19, v21, v23
	v_sub_f32_e32 v19, v25, v19
	v_add_f32_e32 v27, v26, v19
	v_mov_b32_e32 v26, v24
	v_pk_add_f32 v[24:25], v[20:21], v[24:25] neg_lo:[0,1] neg_hi:[0,1]
	v_pk_add_f32 v[28:29], v[20:21], v[26:27]
	v_mov_b32_e32 v23, v20
	v_mov_b32_e32 v25, v29
	v_pk_add_f32 v[30:31], v[22:23], v[24:25] neg_lo:[0,1] neg_hi:[0,1]
	v_pk_add_f32 v[22:23], v[22:23], v[24:25]
	v_mov_b32_e32 v26, v27
	v_mov_b32_e32 v24, v23
	v_pk_add_f32 v[32:33], v[24:25], v[20:21] neg_lo:[0,1] neg_hi:[0,1]
	v_mov_b32_e32 v22, v29
	v_mov_b32_e32 v19, v32
	v_pk_add_f32 v[34:35], v[28:29], v[18:19] neg_lo:[0,1] neg_hi:[0,1]
	v_mov_b32_e32 v28, v21
	v_mov_b32_e32 v29, v32
	;; [unrolled: 1-line block ×3, first 2 shown]
	v_pk_add_f32 v[22:23], v[22:23], v[28:29] neg_lo:[0,1] neg_hi:[0,1]
	v_mov_b32_e32 v27, v20
	v_pk_add_f32 v[20:21], v[26:27], v[22:23] neg_lo:[0,1] neg_hi:[0,1]
	v_mov_b32_e32 v34, v30
	v_pk_add_f32 v[22:23], v[34:35], v[20:21]
	s_nop 0
	v_mov_b32_e32 v26, v23
	v_pk_add_f32 v[26:27], v[22:23], v[26:27]
	s_nop 0
	v_pk_add_f32 v[24:25], v[24:25], v[26:27]
	v_mov_b32_e32 v21, v26
	v_mov_b32_e32 v23, v24
	v_pk_add_f32 v[28:29], v[22:23], v[30:31] neg_lo:[0,1] neg_hi:[0,1]
	s_nop 0
	v_sub_f32_e32 v19, v22, v28
	v_pk_add_f32 v[20:21], v[20:21], v[28:29] neg_lo:[0,1] neg_hi:[0,1]
	v_sub_f32_e32 v19, v30, v19
	v_add_f32_e32 v19, v20, v19
	v_add_f32_e32 v19, v19, v21
	;; [unrolled: 1-line block ×3, first 2 shown]
	v_cndmask_b32_e32 v75, v19, v36, vcc
.LBB104_43:                             ;   in Loop: Header=BB104_11 Depth=1
	s_or_b64 exec, exec, s[38:39]
	v_cvt_f32_f16_sdwa v4, v4 dst_sel:DWORD dst_unused:UNUSED_PAD src0_sel:WORD_1
	v_add_f32_e32 v76, s33, v4
	v_cmp_ge_f32_e32 vcc, s40, v76
	s_and_b64 s[36:37], s[72:73], vcc
	s_and_saveexec_b64 s[38:39], s[36:37]
	s_cbranch_execz .LBB104_45
; %bb.44:                               ;   in Loop: Header=BB104_11 Depth=1
	v_mul_f32_e32 v4, 0x3fb8aa3b, v76
	v_rndne_f32_e32 v19, v4
	v_sub_f32_e32 v20, v4, v19
	v_fma_f32 v4, v76, s41, -v4
	v_fmac_f32_e32 v4, 0x32a5705f, v76
	v_add_f32_e32 v4, v20, v4
	v_cvt_i32_f32_e32 v19, v19
	v_exp_f32_e32 v4, v4
	v_cmp_ngt_f32_e32 vcc, s42, v76
	v_ldexp_f32 v4, v4, v19
	s_nop 0
	v_cndmask_b32_e32 v4, 0, v4, vcc
	v_cmp_nlt_f32_e32 vcc, s43, v76
	s_nop 1
	v_cndmask_b32_e32 v34, v72, v4, vcc
	v_add_f32_e32 v4, 1.0, v34
	v_add_f32_e32 v19, -1.0, v4
	v_sub_f32_e32 v20, v19, v4
	v_add_f32_e32 v20, 1.0, v20
	v_sub_f32_e32 v19, v34, v19
	v_add_f32_e32 v19, v19, v20
	v_frexp_mant_f32_e32 v22, v4
	v_cvt_f64_f32_e32 v[20:21], v4
	v_frexp_exp_i32_f64_e32 v20, v[20:21]
	v_cmp_gt_f32_e32 vcc, s45, v22
	v_cmp_gt_f32_e64 s[36:37], s47, v34
	s_nop 0
	v_subbrev_co_u32_e32 v28, vcc, 0, v20, vcc
	v_sub_u32_e32 v20, 0, v28
	v_ldexp_f32 v4, v4, v20
	v_ldexp_f32 v19, v19, v20
	v_add_f32_e32 v20, -1.0, v4
	v_add_f32_e32 v21, 1.0, v20
	v_sub_f32_e32 v21, v4, v21
	v_add_f32_e32 v22, v19, v21
	v_add_f32_e32 v21, 1.0, v4
	v_add_f32_e32 v23, -1.0, v21
	v_sub_f32_e32 v4, v4, v23
	v_add_f32_e32 v4, v19, v4
	v_add_f32_e32 v19, v21, v4
	v_rcp_f32_e32 v29, v19
	v_sub_f32_e32 v21, v21, v19
	v_add_f32_e32 v4, v4, v21
	v_add_f32_e32 v21, v20, v22
	v_sub_f32_e32 v20, v20, v21
	v_mul_f32_e32 v31, v21, v29
	v_add_f32_e32 v30, v22, v20
	v_mul_f32_e32 v22, v19, v31
	v_fma_f32 v24, v31, v19, -v22
	v_fmac_f32_e32 v24, v31, v4
	v_add_f32_e32 v20, v22, v24
	v_sub_f32_e32 v23, v21, v20
	v_pk_add_f32 v[26:27], v[20:21], v[22:23] neg_lo:[0,1] neg_hi:[0,1]
	v_mov_b32_e32 v25, v20
	v_pk_add_f32 v[20:21], v[26:27], v[24:25] neg_lo:[0,1] neg_hi:[0,1]
	v_cmp_eq_f32_e32 vcc, s44, v34
	v_add_f32_e32 v21, v30, v21
	v_add_f32_e32 v20, v20, v21
	;; [unrolled: 1-line block ×3, first 2 shown]
	v_mul_f32_e32 v30, v29, v21
	v_mul_f32_e32 v22, v19, v30
	v_fma_f32 v24, v30, v19, -v22
	v_fmac_f32_e32 v24, v30, v4
	v_sub_f32_e32 v4, v23, v21
	v_add_f32_e32 v4, v20, v4
	v_add_f32_e32 v20, v22, v24
	v_sub_f32_e32 v23, v21, v20
	v_pk_add_f32 v[26:27], v[20:21], v[22:23] neg_lo:[0,1] neg_hi:[0,1]
	v_mov_b32_e32 v25, v20
	v_pk_add_f32 v[20:21], v[26:27], v[24:25] neg_lo:[0,1] neg_hi:[0,1]
	s_or_b64 vcc, s[36:37], vcc
	v_add_f32_e32 v4, v4, v21
	v_add_f32_e32 v4, v20, v4
	;; [unrolled: 1-line block ×4, first 2 shown]
	v_sub_f32_e32 v19, v21, v31
	v_mul_f32_e32 v4, v29, v4
	v_sub_f32_e32 v19, v30, v19
	v_add_f32_e32 v4, v19, v4
	v_add_f32_e32 v22, v21, v4
	v_cvt_f32_i32_e32 v20, v28
	v_mul_f32_e32 v24, v22, v22
	v_fmamk_f32 v19, v24, 0x3e9b6dac, v71
	v_sub_f32_e32 v21, v22, v21
	v_fmaak_f32 v19, v24, v19, 0x3f2aaada
	v_sub_f32_e32 v4, v4, v21
	v_mul_f32_e32 v21, v22, v24
	v_pk_mul_f32 v[24:25], v[20:21], v[18:19]
	v_ldexp_f32 v23, v22, 1
	v_fma_f32 v22, v20, s46, -v24
	v_fmac_f32_e32 v22, 0xb102e308, v20
	v_pk_add_f32 v[20:21], v[24:25], v[22:23]
	v_ldexp_f32 v4, v4, 1
	v_sub_f32_e32 v19, v21, v23
	v_sub_f32_e32 v19, v25, v19
	v_add_f32_e32 v27, v4, v19
	v_mov_b32_e32 v26, v24
	v_pk_add_f32 v[24:25], v[20:21], v[24:25] neg_lo:[0,1] neg_hi:[0,1]
	v_pk_add_f32 v[28:29], v[20:21], v[26:27]
	v_mov_b32_e32 v23, v20
	v_mov_b32_e32 v25, v29
	v_pk_add_f32 v[30:31], v[22:23], v[24:25] neg_lo:[0,1] neg_hi:[0,1]
	v_pk_add_f32 v[22:23], v[22:23], v[24:25]
	s_nop 0
	v_mov_b32_e32 v4, v23
	v_pk_add_f32 v[24:25], v[4:5], v[20:21] neg_lo:[0,1] neg_hi:[0,1]
	v_mov_b32_e32 v22, v29
	v_mov_b32_e32 v19, v24
	v_pk_add_f32 v[32:33], v[28:29], v[18:19] neg_lo:[0,1] neg_hi:[0,1]
	v_mov_b32_e32 v28, v21
	v_mov_b32_e32 v29, v24
	;; [unrolled: 1-line block ×3, first 2 shown]
	v_pk_add_f32 v[22:23], v[22:23], v[28:29] neg_lo:[0,1] neg_hi:[0,1]
	v_mov_b32_e32 v24, v27
	v_mov_b32_e32 v25, v20
	v_pk_add_f32 v[20:21], v[24:25], v[22:23] neg_lo:[0,1] neg_hi:[0,1]
	v_mov_b32_e32 v32, v30
	v_pk_add_f32 v[22:23], v[32:33], v[20:21]
	s_nop 0
	v_mov_b32_e32 v24, v23
	v_pk_add_f32 v[24:25], v[22:23], v[24:25]
	s_nop 0
	v_pk_add_f32 v[26:27], v[4:5], v[24:25]
	v_mov_b32_e32 v21, v24
	v_mov_b32_e32 v23, v26
	v_pk_add_f32 v[28:29], v[22:23], v[30:31] neg_lo:[0,1] neg_hi:[0,1]
	s_nop 0
	v_sub_f32_e32 v4, v22, v28
	v_pk_add_f32 v[20:21], v[20:21], v[28:29] neg_lo:[0,1] neg_hi:[0,1]
	v_sub_f32_e32 v4, v30, v4
	v_add_f32_e32 v4, v20, v4
	v_add_f32_e32 v4, v4, v21
	;; [unrolled: 1-line block ×3, first 2 shown]
	v_cndmask_b32_e32 v76, v4, v34, vcc
.LBB104_45:                             ;   in Loop: Header=BB104_11 Depth=1
	s_or_b64 exec, exec, s[38:39]
	v_cvt_f32_f16_e32 v4, v5
	v_add_f32_e32 v77, s33, v4
	v_cmp_ge_f32_e32 vcc, s40, v77
	s_and_b64 s[36:37], s[72:73], vcc
	s_and_saveexec_b64 s[38:39], s[36:37]
	s_cbranch_execz .LBB104_47
; %bb.46:                               ;   in Loop: Header=BB104_11 Depth=1
	v_mul_f32_e32 v4, 0x3fb8aa3b, v77
	v_rndne_f32_e32 v19, v4
	v_sub_f32_e32 v20, v4, v19
	v_fma_f32 v4, v77, s41, -v4
	v_fmac_f32_e32 v4, 0x32a5705f, v77
	v_add_f32_e32 v4, v20, v4
	v_cvt_i32_f32_e32 v19, v19
	v_exp_f32_e32 v4, v4
	v_cmp_ngt_f32_e32 vcc, s42, v77
	v_ldexp_f32 v4, v4, v19
	s_nop 0
	v_cndmask_b32_e32 v4, 0, v4, vcc
	v_cmp_nlt_f32_e32 vcc, s43, v77
	s_nop 1
	v_cndmask_b32_e32 v34, v72, v4, vcc
	v_add_f32_e32 v4, 1.0, v34
	v_add_f32_e32 v19, -1.0, v4
	v_sub_f32_e32 v20, v19, v4
	v_add_f32_e32 v20, 1.0, v20
	v_sub_f32_e32 v19, v34, v19
	v_add_f32_e32 v19, v19, v20
	v_frexp_mant_f32_e32 v22, v4
	v_cvt_f64_f32_e32 v[20:21], v4
	v_frexp_exp_i32_f64_e32 v20, v[20:21]
	v_cmp_gt_f32_e32 vcc, s45, v22
	v_cmp_gt_f32_e64 s[36:37], s47, v34
	s_nop 0
	v_subbrev_co_u32_e32 v28, vcc, 0, v20, vcc
	v_sub_u32_e32 v20, 0, v28
	v_ldexp_f32 v4, v4, v20
	v_ldexp_f32 v19, v19, v20
	v_add_f32_e32 v20, -1.0, v4
	v_add_f32_e32 v21, 1.0, v20
	v_sub_f32_e32 v21, v4, v21
	v_add_f32_e32 v22, v19, v21
	v_add_f32_e32 v21, 1.0, v4
	v_add_f32_e32 v23, -1.0, v21
	v_sub_f32_e32 v4, v4, v23
	v_add_f32_e32 v4, v19, v4
	v_add_f32_e32 v19, v21, v4
	v_rcp_f32_e32 v29, v19
	v_sub_f32_e32 v21, v21, v19
	v_add_f32_e32 v4, v4, v21
	v_add_f32_e32 v21, v20, v22
	v_sub_f32_e32 v20, v20, v21
	v_mul_f32_e32 v31, v21, v29
	v_add_f32_e32 v30, v22, v20
	v_mul_f32_e32 v22, v19, v31
	v_fma_f32 v24, v31, v19, -v22
	v_fmac_f32_e32 v24, v31, v4
	v_add_f32_e32 v20, v22, v24
	v_sub_f32_e32 v23, v21, v20
	v_pk_add_f32 v[26:27], v[20:21], v[22:23] neg_lo:[0,1] neg_hi:[0,1]
	v_mov_b32_e32 v25, v20
	v_pk_add_f32 v[20:21], v[26:27], v[24:25] neg_lo:[0,1] neg_hi:[0,1]
	v_cmp_eq_f32_e32 vcc, s44, v34
	v_add_f32_e32 v21, v30, v21
	v_add_f32_e32 v20, v20, v21
	;; [unrolled: 1-line block ×3, first 2 shown]
	v_mul_f32_e32 v30, v29, v21
	v_mul_f32_e32 v22, v19, v30
	v_fma_f32 v24, v30, v19, -v22
	v_fmac_f32_e32 v24, v30, v4
	v_sub_f32_e32 v4, v23, v21
	v_add_f32_e32 v4, v20, v4
	v_add_f32_e32 v20, v22, v24
	v_sub_f32_e32 v23, v21, v20
	v_pk_add_f32 v[26:27], v[20:21], v[22:23] neg_lo:[0,1] neg_hi:[0,1]
	v_mov_b32_e32 v25, v20
	v_pk_add_f32 v[20:21], v[26:27], v[24:25] neg_lo:[0,1] neg_hi:[0,1]
	s_or_b64 vcc, s[36:37], vcc
	v_add_f32_e32 v4, v4, v21
	v_add_f32_e32 v4, v20, v4
	;; [unrolled: 1-line block ×4, first 2 shown]
	v_sub_f32_e32 v19, v21, v31
	v_mul_f32_e32 v4, v29, v4
	v_sub_f32_e32 v19, v30, v19
	v_add_f32_e32 v4, v19, v4
	v_add_f32_e32 v22, v21, v4
	v_cvt_f32_i32_e32 v20, v28
	v_mul_f32_e32 v24, v22, v22
	v_fmamk_f32 v19, v24, 0x3e9b6dac, v71
	v_sub_f32_e32 v21, v22, v21
	v_fmaak_f32 v19, v24, v19, 0x3f2aaada
	v_sub_f32_e32 v4, v4, v21
	v_mul_f32_e32 v21, v22, v24
	v_pk_mul_f32 v[24:25], v[20:21], v[18:19]
	v_ldexp_f32 v23, v22, 1
	v_fma_f32 v22, v20, s46, -v24
	v_fmac_f32_e32 v22, 0xb102e308, v20
	v_pk_add_f32 v[20:21], v[24:25], v[22:23]
	v_ldexp_f32 v4, v4, 1
	v_sub_f32_e32 v19, v21, v23
	v_sub_f32_e32 v19, v25, v19
	v_add_f32_e32 v27, v4, v19
	v_mov_b32_e32 v26, v24
	v_pk_add_f32 v[24:25], v[20:21], v[24:25] neg_lo:[0,1] neg_hi:[0,1]
	v_pk_add_f32 v[28:29], v[20:21], v[26:27]
	v_mov_b32_e32 v23, v20
	v_mov_b32_e32 v25, v29
	v_pk_add_f32 v[30:31], v[22:23], v[24:25] neg_lo:[0,1] neg_hi:[0,1]
	v_pk_add_f32 v[22:23], v[22:23], v[24:25]
	s_nop 0
	v_mov_b32_e32 v4, v23
	v_pk_add_f32 v[24:25], v[4:5], v[20:21] neg_lo:[0,1] neg_hi:[0,1]
	v_mov_b32_e32 v22, v29
	v_mov_b32_e32 v19, v24
	v_pk_add_f32 v[32:33], v[28:29], v[18:19] neg_lo:[0,1] neg_hi:[0,1]
	v_mov_b32_e32 v28, v21
	v_mov_b32_e32 v29, v24
	;; [unrolled: 1-line block ×3, first 2 shown]
	v_pk_add_f32 v[22:23], v[22:23], v[28:29] neg_lo:[0,1] neg_hi:[0,1]
	v_mov_b32_e32 v24, v27
	v_mov_b32_e32 v25, v20
	v_pk_add_f32 v[20:21], v[24:25], v[22:23] neg_lo:[0,1] neg_hi:[0,1]
	v_mov_b32_e32 v32, v30
	v_pk_add_f32 v[22:23], v[32:33], v[20:21]
	s_nop 0
	v_mov_b32_e32 v24, v23
	v_pk_add_f32 v[24:25], v[22:23], v[24:25]
	s_nop 0
	v_pk_add_f32 v[26:27], v[4:5], v[24:25]
	v_mov_b32_e32 v21, v24
	v_mov_b32_e32 v23, v26
	v_pk_add_f32 v[28:29], v[22:23], v[30:31] neg_lo:[0,1] neg_hi:[0,1]
	s_nop 0
	v_sub_f32_e32 v4, v22, v28
	v_pk_add_f32 v[20:21], v[20:21], v[28:29] neg_lo:[0,1] neg_hi:[0,1]
	v_sub_f32_e32 v4, v30, v4
	v_add_f32_e32 v4, v20, v4
	v_add_f32_e32 v4, v4, v21
	;; [unrolled: 1-line block ×3, first 2 shown]
	v_cndmask_b32_e32 v77, v4, v34, vcc
.LBB104_47:                             ;   in Loop: Header=BB104_11 Depth=1
	s_or_b64 exec, exec, s[38:39]
	v_cvt_f32_f16_sdwa v4, v5 dst_sel:DWORD dst_unused:UNUSED_PAD src0_sel:WORD_1
	v_add_f32_e32 v78, s33, v4
	v_cmp_ge_f32_e32 vcc, s40, v78
	s_and_b64 s[36:37], s[72:73], vcc
	s_and_saveexec_b64 s[38:39], s[36:37]
	s_cbranch_execz .LBB104_49
; %bb.48:                               ;   in Loop: Header=BB104_11 Depth=1
	v_mul_f32_e32 v4, 0x3fb8aa3b, v78
	v_rndne_f32_e32 v5, v4
	v_sub_f32_e32 v19, v4, v5
	v_fma_f32 v4, v78, s41, -v4
	v_fmac_f32_e32 v4, 0x32a5705f, v78
	v_add_f32_e32 v4, v19, v4
	v_cvt_i32_f32_e32 v5, v5
	v_exp_f32_e32 v4, v4
	v_cmp_ngt_f32_e32 vcc, s42, v78
	v_ldexp_f32 v4, v4, v5
	s_nop 0
	v_cndmask_b32_e32 v4, 0, v4, vcc
	v_cmp_nlt_f32_e32 vcc, s43, v78
	s_nop 1
	v_cndmask_b32_e32 v34, v72, v4, vcc
	v_add_f32_e32 v19, 1.0, v34
	v_add_f32_e32 v4, -1.0, v19
	v_sub_f32_e32 v5, v4, v19
	v_add_f32_e32 v5, 1.0, v5
	v_sub_f32_e32 v4, v34, v4
	v_add_f32_e32 v20, v4, v5
	v_frexp_mant_f32_e32 v21, v19
	v_cvt_f64_f32_e32 v[4:5], v19
	v_frexp_exp_i32_f64_e32 v4, v[4:5]
	v_cmp_gt_f32_e32 vcc, s45, v21
	v_cmp_gt_f32_e64 s[36:37], s47, v34
	s_nop 0
	v_subbrev_co_u32_e32 v26, vcc, 0, v4, vcc
	v_sub_u32_e32 v4, 0, v26
	v_ldexp_f32 v5, v19, v4
	v_add_f32_e32 v19, -1.0, v5
	v_add_f32_e32 v21, 1.0, v5
	v_ldexp_f32 v4, v20, v4
	v_add_f32_e32 v20, 1.0, v19
	v_add_f32_e32 v22, -1.0, v21
	v_sub_f32_e32 v20, v5, v20
	v_sub_f32_e32 v5, v5, v22
	v_add_f32_e32 v20, v4, v20
	v_add_f32_e32 v4, v4, v5
	;; [unrolled: 1-line block ×3, first 2 shown]
	v_rcp_f32_e32 v29, v27
	v_sub_f32_e32 v5, v21, v27
	v_add_f32_e32 v28, v4, v5
	v_add_f32_e32 v5, v19, v20
	v_sub_f32_e32 v4, v19, v5
	v_mul_f32_e32 v30, v5, v29
	v_add_f32_e32 v19, v20, v4
	v_mul_f32_e32 v20, v27, v30
	v_fma_f32 v22, v30, v27, -v20
	v_fmac_f32_e32 v22, v30, v28
	v_add_f32_e32 v4, v20, v22
	v_sub_f32_e32 v21, v5, v4
	v_pk_add_f32 v[24:25], v[4:5], v[20:21] neg_lo:[0,1] neg_hi:[0,1]
	v_mov_b32_e32 v23, v4
	v_pk_add_f32 v[4:5], v[24:25], v[22:23] neg_lo:[0,1] neg_hi:[0,1]
	v_cmp_eq_f32_e32 vcc, s44, v34
	v_add_f32_e32 v5, v19, v5
	v_add_f32_e32 v4, v4, v5
	;; [unrolled: 1-line block ×3, first 2 shown]
	v_mul_f32_e32 v19, v29, v5
	v_mul_f32_e32 v20, v27, v19
	v_fma_f32 v22, v19, v27, -v20
	v_fmac_f32_e32 v22, v19, v28
	v_sub_f32_e32 v21, v21, v5
	v_add_f32_e32 v27, v4, v21
	v_add_f32_e32 v4, v20, v22
	v_sub_f32_e32 v21, v5, v4
	v_pk_add_f32 v[24:25], v[4:5], v[20:21] neg_lo:[0,1] neg_hi:[0,1]
	v_mov_b32_e32 v23, v4
	v_pk_add_f32 v[4:5], v[24:25], v[22:23] neg_lo:[0,1] neg_hi:[0,1]
	s_or_b64 vcc, s[36:37], vcc
	v_add_f32_e32 v5, v27, v5
	v_add_f32_e32 v4, v4, v5
	;; [unrolled: 1-line block ×4, first 2 shown]
	v_sub_f32_e32 v20, v5, v30
	v_mul_f32_e32 v4, v29, v4
	v_sub_f32_e32 v19, v19, v20
	v_add_f32_e32 v20, v19, v4
	v_add_f32_e32 v22, v5, v20
	v_mul_f32_e32 v23, v22, v22
	v_fmamk_f32 v4, v23, 0x3e9b6dac, v71
	v_fmaak_f32 v19, v23, v4, 0x3f2aaada
	v_cvt_f32_i32_e32 v4, v26
	v_sub_f32_e32 v5, v22, v5
	v_sub_f32_e32 v5, v20, v5
	v_ldexp_f32 v24, v5, 1
	v_mul_f32_e32 v5, v22, v23
	v_ldexp_f32 v21, v22, 1
	v_pk_mul_f32 v[22:23], v[4:5], v[18:19]
	s_nop 0
	v_fma_f32 v20, v4, s46, -v22
	v_fmac_f32_e32 v20, 0xb102e308, v4
	v_pk_add_f32 v[4:5], v[22:23], v[20:21]
	s_nop 0
	v_sub_f32_e32 v19, v5, v21
	v_sub_f32_e32 v19, v23, v19
	v_add_f32_e32 v25, v24, v19
	v_mov_b32_e32 v24, v22
	v_pk_add_f32 v[22:23], v[4:5], v[22:23] neg_lo:[0,1] neg_hi:[0,1]
	v_pk_add_f32 v[26:27], v[4:5], v[24:25]
	v_mov_b32_e32 v21, v4
	v_mov_b32_e32 v23, v27
	v_pk_add_f32 v[28:29], v[20:21], v[22:23] neg_lo:[0,1] neg_hi:[0,1]
	v_pk_add_f32 v[20:21], v[20:21], v[22:23]
	v_mov_b32_e32 v24, v25
	v_mov_b32_e32 v22, v21
	v_pk_add_f32 v[30:31], v[22:23], v[4:5] neg_lo:[0,1] neg_hi:[0,1]
	v_mov_b32_e32 v20, v27
	v_mov_b32_e32 v19, v30
	v_pk_add_f32 v[32:33], v[26:27], v[18:19] neg_lo:[0,1] neg_hi:[0,1]
	v_mov_b32_e32 v26, v5
	v_mov_b32_e32 v27, v30
	;; [unrolled: 1-line block ×3, first 2 shown]
	v_pk_add_f32 v[20:21], v[20:21], v[26:27] neg_lo:[0,1] neg_hi:[0,1]
	v_mov_b32_e32 v25, v4
	v_pk_add_f32 v[4:5], v[24:25], v[20:21] neg_lo:[0,1] neg_hi:[0,1]
	v_mov_b32_e32 v32, v28
	v_pk_add_f32 v[20:21], v[32:33], v[4:5]
	s_nop 0
	v_mov_b32_e32 v24, v21
	v_pk_add_f32 v[24:25], v[20:21], v[24:25]
	s_nop 0
	v_pk_add_f32 v[22:23], v[22:23], v[24:25]
	v_mov_b32_e32 v5, v24
	v_mov_b32_e32 v21, v22
	v_pk_add_f32 v[26:27], v[20:21], v[28:29] neg_lo:[0,1] neg_hi:[0,1]
	s_nop 0
	v_sub_f32_e32 v19, v20, v26
	v_pk_add_f32 v[4:5], v[4:5], v[26:27] neg_lo:[0,1] neg_hi:[0,1]
	v_sub_f32_e32 v19, v28, v19
	v_add_f32_e32 v4, v4, v19
	v_add_f32_e32 v4, v4, v5
	;; [unrolled: 1-line block ×3, first 2 shown]
	v_cndmask_b32_e32 v78, v4, v34, vcc
.LBB104_49:                             ;   in Loop: Header=BB104_11 Depth=1
	s_or_b64 exec, exec, s[38:39]
	v_cvt_f32_f16_e32 v4, v6
	v_add_f32_e32 v79, s33, v4
	v_cmp_ge_f32_e32 vcc, s40, v79
	s_and_b64 s[36:37], s[72:73], vcc
	s_and_saveexec_b64 s[38:39], s[36:37]
	s_cbranch_execz .LBB104_51
; %bb.50:                               ;   in Loop: Header=BB104_11 Depth=1
	v_mul_f32_e32 v4, 0x3fb8aa3b, v79
	v_rndne_f32_e32 v5, v4
	v_sub_f32_e32 v19, v4, v5
	v_fma_f32 v4, v79, s41, -v4
	v_fmac_f32_e32 v4, 0x32a5705f, v79
	v_add_f32_e32 v4, v19, v4
	v_cvt_i32_f32_e32 v5, v5
	v_exp_f32_e32 v4, v4
	v_cmp_ngt_f32_e32 vcc, s42, v79
	v_ldexp_f32 v4, v4, v5
	s_nop 0
	v_cndmask_b32_e32 v4, 0, v4, vcc
	v_cmp_nlt_f32_e32 vcc, s43, v79
	s_nop 1
	v_cndmask_b32_e32 v34, v72, v4, vcc
	v_add_f32_e32 v19, 1.0, v34
	v_add_f32_e32 v4, -1.0, v19
	v_sub_f32_e32 v5, v4, v19
	v_add_f32_e32 v5, 1.0, v5
	v_sub_f32_e32 v4, v34, v4
	v_add_f32_e32 v20, v4, v5
	v_frexp_mant_f32_e32 v21, v19
	v_cvt_f64_f32_e32 v[4:5], v19
	v_frexp_exp_i32_f64_e32 v4, v[4:5]
	v_cmp_gt_f32_e32 vcc, s45, v21
	v_cmp_gt_f32_e64 s[36:37], s47, v34
	s_nop 0
	v_subbrev_co_u32_e32 v26, vcc, 0, v4, vcc
	v_sub_u32_e32 v4, 0, v26
	v_ldexp_f32 v5, v19, v4
	v_add_f32_e32 v19, -1.0, v5
	v_add_f32_e32 v21, 1.0, v5
	v_ldexp_f32 v4, v20, v4
	v_add_f32_e32 v20, 1.0, v19
	v_add_f32_e32 v22, -1.0, v21
	v_sub_f32_e32 v20, v5, v20
	v_sub_f32_e32 v5, v5, v22
	v_add_f32_e32 v20, v4, v20
	v_add_f32_e32 v4, v4, v5
	;; [unrolled: 1-line block ×3, first 2 shown]
	v_rcp_f32_e32 v29, v27
	v_sub_f32_e32 v5, v21, v27
	v_add_f32_e32 v28, v4, v5
	v_add_f32_e32 v5, v19, v20
	v_sub_f32_e32 v4, v19, v5
	v_mul_f32_e32 v30, v5, v29
	v_add_f32_e32 v19, v20, v4
	v_mul_f32_e32 v20, v27, v30
	v_fma_f32 v22, v30, v27, -v20
	v_fmac_f32_e32 v22, v30, v28
	v_add_f32_e32 v4, v20, v22
	v_sub_f32_e32 v21, v5, v4
	v_pk_add_f32 v[24:25], v[4:5], v[20:21] neg_lo:[0,1] neg_hi:[0,1]
	v_mov_b32_e32 v23, v4
	v_pk_add_f32 v[4:5], v[24:25], v[22:23] neg_lo:[0,1] neg_hi:[0,1]
	v_cmp_eq_f32_e32 vcc, s44, v34
	v_add_f32_e32 v5, v19, v5
	v_add_f32_e32 v4, v4, v5
	;; [unrolled: 1-line block ×3, first 2 shown]
	v_mul_f32_e32 v19, v29, v5
	v_mul_f32_e32 v20, v27, v19
	v_fma_f32 v22, v19, v27, -v20
	v_fmac_f32_e32 v22, v19, v28
	v_sub_f32_e32 v21, v21, v5
	v_add_f32_e32 v27, v4, v21
	v_add_f32_e32 v4, v20, v22
	v_sub_f32_e32 v21, v5, v4
	v_pk_add_f32 v[24:25], v[4:5], v[20:21] neg_lo:[0,1] neg_hi:[0,1]
	v_mov_b32_e32 v23, v4
	v_pk_add_f32 v[4:5], v[24:25], v[22:23] neg_lo:[0,1] neg_hi:[0,1]
	s_or_b64 vcc, s[36:37], vcc
	v_add_f32_e32 v5, v27, v5
	v_add_f32_e32 v4, v4, v5
	;; [unrolled: 1-line block ×4, first 2 shown]
	v_sub_f32_e32 v20, v5, v30
	v_mul_f32_e32 v4, v29, v4
	v_sub_f32_e32 v19, v19, v20
	v_add_f32_e32 v20, v19, v4
	v_add_f32_e32 v22, v5, v20
	v_mul_f32_e32 v23, v22, v22
	v_fmamk_f32 v4, v23, 0x3e9b6dac, v71
	v_fmaak_f32 v19, v23, v4, 0x3f2aaada
	v_cvt_f32_i32_e32 v4, v26
	v_sub_f32_e32 v5, v22, v5
	v_sub_f32_e32 v5, v20, v5
	v_ldexp_f32 v24, v5, 1
	v_mul_f32_e32 v5, v22, v23
	v_ldexp_f32 v21, v22, 1
	v_pk_mul_f32 v[22:23], v[4:5], v[18:19]
	s_nop 0
	v_fma_f32 v20, v4, s46, -v22
	v_fmac_f32_e32 v20, 0xb102e308, v4
	v_pk_add_f32 v[4:5], v[22:23], v[20:21]
	s_nop 0
	v_sub_f32_e32 v19, v5, v21
	v_sub_f32_e32 v19, v23, v19
	v_add_f32_e32 v25, v24, v19
	v_mov_b32_e32 v24, v22
	v_pk_add_f32 v[22:23], v[4:5], v[22:23] neg_lo:[0,1] neg_hi:[0,1]
	v_pk_add_f32 v[26:27], v[4:5], v[24:25]
	v_mov_b32_e32 v21, v4
	v_mov_b32_e32 v23, v27
	v_pk_add_f32 v[28:29], v[20:21], v[22:23] neg_lo:[0,1] neg_hi:[0,1]
	v_pk_add_f32 v[20:21], v[20:21], v[22:23]
	v_mov_b32_e32 v24, v25
	v_mov_b32_e32 v22, v21
	v_pk_add_f32 v[30:31], v[22:23], v[4:5] neg_lo:[0,1] neg_hi:[0,1]
	v_mov_b32_e32 v20, v27
	v_mov_b32_e32 v19, v30
	v_pk_add_f32 v[32:33], v[26:27], v[18:19] neg_lo:[0,1] neg_hi:[0,1]
	v_mov_b32_e32 v26, v5
	v_mov_b32_e32 v27, v30
	;; [unrolled: 1-line block ×3, first 2 shown]
	v_pk_add_f32 v[20:21], v[20:21], v[26:27] neg_lo:[0,1] neg_hi:[0,1]
	v_mov_b32_e32 v25, v4
	v_pk_add_f32 v[4:5], v[24:25], v[20:21] neg_lo:[0,1] neg_hi:[0,1]
	v_mov_b32_e32 v32, v28
	v_pk_add_f32 v[20:21], v[32:33], v[4:5]
	s_nop 0
	v_mov_b32_e32 v24, v21
	v_pk_add_f32 v[24:25], v[20:21], v[24:25]
	s_nop 0
	v_pk_add_f32 v[22:23], v[22:23], v[24:25]
	v_mov_b32_e32 v5, v24
	v_mov_b32_e32 v21, v22
	v_pk_add_f32 v[26:27], v[20:21], v[28:29] neg_lo:[0,1] neg_hi:[0,1]
	s_nop 0
	v_sub_f32_e32 v19, v20, v26
	v_pk_add_f32 v[4:5], v[4:5], v[26:27] neg_lo:[0,1] neg_hi:[0,1]
	v_sub_f32_e32 v19, v28, v19
	v_add_f32_e32 v4, v4, v19
	v_add_f32_e32 v4, v4, v5
	;; [unrolled: 1-line block ×3, first 2 shown]
	v_cndmask_b32_e32 v79, v4, v34, vcc
.LBB104_51:                             ;   in Loop: Header=BB104_11 Depth=1
	s_or_b64 exec, exec, s[38:39]
	v_cvt_f32_f16_sdwa v4, v6 dst_sel:DWORD dst_unused:UNUSED_PAD src0_sel:WORD_1
	v_add_f32_e32 v80, s33, v4
	v_cmp_ge_f32_e32 vcc, s40, v80
	s_and_b64 s[36:37], s[72:73], vcc
	s_and_saveexec_b64 s[38:39], s[36:37]
	s_cbranch_execz .LBB104_53
; %bb.52:                               ;   in Loop: Header=BB104_11 Depth=1
	v_mul_f32_e32 v4, 0x3fb8aa3b, v80
	v_rndne_f32_e32 v5, v4
	v_sub_f32_e32 v6, v4, v5
	v_fma_f32 v4, v80, s41, -v4
	v_fmac_f32_e32 v4, 0x32a5705f, v80
	v_add_f32_e32 v4, v6, v4
	v_cvt_i32_f32_e32 v5, v5
	v_exp_f32_e32 v4, v4
	v_cmp_ngt_f32_e32 vcc, s42, v80
	v_ldexp_f32 v4, v4, v5
	s_nop 0
	v_cndmask_b32_e32 v4, 0, v4, vcc
	v_cmp_nlt_f32_e32 vcc, s43, v80
	s_nop 1
	v_cndmask_b32_e32 v32, v72, v4, vcc
	v_add_f32_e32 v6, 1.0, v32
	v_add_f32_e32 v4, -1.0, v6
	v_sub_f32_e32 v5, v4, v6
	v_add_f32_e32 v5, 1.0, v5
	v_sub_f32_e32 v4, v32, v4
	v_add_f32_e32 v19, v4, v5
	v_frexp_mant_f32_e32 v20, v6
	v_cvt_f64_f32_e32 v[4:5], v6
	v_frexp_exp_i32_f64_e32 v4, v[4:5]
	v_cmp_gt_f32_e32 vcc, s45, v20
	v_cmp_gt_f32_e64 s[36:37], s47, v32
	s_nop 0
	v_subbrev_co_u32_e32 v26, vcc, 0, v4, vcc
	v_sub_u32_e32 v4, 0, v26
	v_ldexp_f32 v5, v6, v4
	v_add_f32_e32 v6, -1.0, v5
	v_add_f32_e32 v20, 1.0, v5
	v_ldexp_f32 v4, v19, v4
	v_add_f32_e32 v19, 1.0, v6
	v_add_f32_e32 v21, -1.0, v20
	v_sub_f32_e32 v19, v5, v19
	v_sub_f32_e32 v5, v5, v21
	v_add_f32_e32 v19, v4, v19
	v_add_f32_e32 v4, v4, v5
	;; [unrolled: 1-line block ×3, first 2 shown]
	v_rcp_f32_e32 v29, v27
	v_sub_f32_e32 v5, v20, v27
	v_add_f32_e32 v28, v4, v5
	v_add_f32_e32 v5, v6, v19
	v_sub_f32_e32 v4, v6, v5
	v_add_f32_e32 v6, v19, v4
	v_mul_f32_e32 v19, v5, v29
	v_mul_f32_e32 v20, v27, v19
	v_fma_f32 v22, v19, v27, -v20
	v_fmac_f32_e32 v22, v19, v28
	v_add_f32_e32 v4, v20, v22
	v_sub_f32_e32 v21, v5, v4
	v_pk_add_f32 v[24:25], v[4:5], v[20:21] neg_lo:[0,1] neg_hi:[0,1]
	v_mov_b32_e32 v23, v4
	v_pk_add_f32 v[4:5], v[24:25], v[22:23] neg_lo:[0,1] neg_hi:[0,1]
	v_cmp_eq_f32_e32 vcc, s44, v32
	v_add_f32_e32 v5, v6, v5
	v_add_f32_e32 v4, v4, v5
	;; [unrolled: 1-line block ×3, first 2 shown]
	v_mul_f32_e32 v6, v29, v5
	v_mul_f32_e32 v20, v27, v6
	v_fma_f32 v22, v6, v27, -v20
	v_fmac_f32_e32 v22, v6, v28
	v_sub_f32_e32 v21, v21, v5
	v_add_f32_e32 v27, v4, v21
	v_add_f32_e32 v4, v20, v22
	v_sub_f32_e32 v21, v5, v4
	v_pk_add_f32 v[24:25], v[4:5], v[20:21] neg_lo:[0,1] neg_hi:[0,1]
	v_mov_b32_e32 v23, v4
	v_pk_add_f32 v[4:5], v[24:25], v[22:23] neg_lo:[0,1] neg_hi:[0,1]
	s_or_b64 vcc, s[36:37], vcc
	v_add_f32_e32 v5, v27, v5
	v_add_f32_e32 v4, v4, v5
	;; [unrolled: 1-line block ×4, first 2 shown]
	v_sub_f32_e32 v19, v5, v19
	v_mul_f32_e32 v4, v29, v4
	v_sub_f32_e32 v6, v6, v19
	v_add_f32_e32 v6, v6, v4
	v_add_f32_e32 v20, v5, v6
	v_mul_f32_e32 v22, v20, v20
	v_fmamk_f32 v4, v22, 0x3e9b6dac, v71
	v_fmaak_f32 v19, v22, v4, 0x3f2aaada
	v_cvt_f32_i32_e32 v4, v26
	v_sub_f32_e32 v5, v20, v5
	v_sub_f32_e32 v5, v6, v5
	v_ldexp_f32 v6, v5, 1
	v_mul_f32_e32 v5, v20, v22
	v_pk_mul_f32 v[22:23], v[4:5], v[18:19]
	v_ldexp_f32 v21, v20, 1
	v_fma_f32 v20, v4, s46, -v22
	v_fmac_f32_e32 v20, 0xb102e308, v4
	v_pk_add_f32 v[4:5], v[22:23], v[20:21]
	v_mov_b32_e32 v24, v22
	v_sub_f32_e32 v19, v5, v21
	v_sub_f32_e32 v19, v23, v19
	v_add_f32_e32 v25, v6, v19
	v_pk_add_f32 v[22:23], v[4:5], v[22:23] neg_lo:[0,1] neg_hi:[0,1]
	v_pk_add_f32 v[26:27], v[4:5], v[24:25]
	v_mov_b32_e32 v21, v4
	v_mov_b32_e32 v23, v27
	v_pk_add_f32 v[28:29], v[20:21], v[22:23] neg_lo:[0,1] neg_hi:[0,1]
	v_pk_add_f32 v[20:21], v[20:21], v[22:23]
	s_nop 0
	v_mov_b32_e32 v6, v21
	v_pk_add_f32 v[22:23], v[6:7], v[4:5] neg_lo:[0,1] neg_hi:[0,1]
	v_mov_b32_e32 v20, v27
	v_mov_b32_e32 v19, v22
	v_pk_add_f32 v[30:31], v[26:27], v[18:19] neg_lo:[0,1] neg_hi:[0,1]
	v_mov_b32_e32 v26, v5
	v_mov_b32_e32 v27, v22
	;; [unrolled: 1-line block ×3, first 2 shown]
	v_pk_add_f32 v[20:21], v[20:21], v[26:27] neg_lo:[0,1] neg_hi:[0,1]
	v_mov_b32_e32 v22, v25
	v_mov_b32_e32 v23, v4
	v_pk_add_f32 v[4:5], v[22:23], v[20:21] neg_lo:[0,1] neg_hi:[0,1]
	v_mov_b32_e32 v30, v28
	v_pk_add_f32 v[20:21], v[30:31], v[4:5]
	s_nop 0
	v_mov_b32_e32 v22, v21
	v_pk_add_f32 v[22:23], v[20:21], v[22:23]
	s_nop 0
	v_pk_add_f32 v[24:25], v[6:7], v[22:23]
	v_mov_b32_e32 v5, v22
	v_mov_b32_e32 v21, v24
	v_pk_add_f32 v[26:27], v[20:21], v[28:29] neg_lo:[0,1] neg_hi:[0,1]
	s_nop 0
	v_sub_f32_e32 v6, v20, v26
	v_pk_add_f32 v[4:5], v[4:5], v[26:27] neg_lo:[0,1] neg_hi:[0,1]
	v_sub_f32_e32 v6, v28, v6
	v_add_f32_e32 v4, v4, v6
	v_add_f32_e32 v4, v4, v5
	;; [unrolled: 1-line block ×3, first 2 shown]
	v_cndmask_b32_e32 v80, v4, v32, vcc
.LBB104_53:                             ;   in Loop: Header=BB104_11 Depth=1
	s_or_b64 exec, exec, s[38:39]
	v_cvt_f32_f16_e32 v4, v7
	v_add_f32_e32 v81, s33, v4
	v_cmp_ge_f32_e32 vcc, s40, v81
	s_and_b64 s[36:37], s[72:73], vcc
	s_and_saveexec_b64 s[38:39], s[36:37]
	s_cbranch_execz .LBB104_55
; %bb.54:                               ;   in Loop: Header=BB104_11 Depth=1
	v_mul_f32_e32 v4, 0x3fb8aa3b, v81
	v_rndne_f32_e32 v5, v4
	v_sub_f32_e32 v6, v4, v5
	v_fma_f32 v4, v81, s41, -v4
	v_fmac_f32_e32 v4, 0x32a5705f, v81
	v_add_f32_e32 v4, v6, v4
	v_cvt_i32_f32_e32 v5, v5
	v_exp_f32_e32 v4, v4
	v_cmp_ngt_f32_e32 vcc, s42, v81
	v_ldexp_f32 v4, v4, v5
	s_nop 0
	v_cndmask_b32_e32 v4, 0, v4, vcc
	v_cmp_nlt_f32_e32 vcc, s43, v81
	s_nop 1
	v_cndmask_b32_e32 v32, v72, v4, vcc
	v_add_f32_e32 v6, 1.0, v32
	v_add_f32_e32 v4, -1.0, v6
	v_sub_f32_e32 v5, v4, v6
	v_add_f32_e32 v5, 1.0, v5
	v_sub_f32_e32 v4, v32, v4
	v_add_f32_e32 v19, v4, v5
	v_frexp_mant_f32_e32 v20, v6
	v_cvt_f64_f32_e32 v[4:5], v6
	v_frexp_exp_i32_f64_e32 v4, v[4:5]
	v_cmp_gt_f32_e32 vcc, s45, v20
	v_cmp_gt_f32_e64 s[36:37], s47, v32
	s_nop 0
	v_subbrev_co_u32_e32 v26, vcc, 0, v4, vcc
	v_sub_u32_e32 v4, 0, v26
	v_ldexp_f32 v5, v6, v4
	v_add_f32_e32 v6, -1.0, v5
	v_add_f32_e32 v20, 1.0, v5
	v_ldexp_f32 v4, v19, v4
	v_add_f32_e32 v19, 1.0, v6
	v_add_f32_e32 v21, -1.0, v20
	v_sub_f32_e32 v19, v5, v19
	v_sub_f32_e32 v5, v5, v21
	v_add_f32_e32 v19, v4, v19
	v_add_f32_e32 v4, v4, v5
	v_add_f32_e32 v27, v20, v4
	v_rcp_f32_e32 v29, v27
	v_sub_f32_e32 v5, v20, v27
	v_add_f32_e32 v28, v4, v5
	v_add_f32_e32 v5, v6, v19
	v_sub_f32_e32 v4, v6, v5
	v_add_f32_e32 v6, v19, v4
	v_mul_f32_e32 v19, v5, v29
	v_mul_f32_e32 v20, v27, v19
	v_fma_f32 v22, v19, v27, -v20
	v_fmac_f32_e32 v22, v19, v28
	v_add_f32_e32 v4, v20, v22
	v_sub_f32_e32 v21, v5, v4
	v_pk_add_f32 v[24:25], v[4:5], v[20:21] neg_lo:[0,1] neg_hi:[0,1]
	v_mov_b32_e32 v23, v4
	v_pk_add_f32 v[4:5], v[24:25], v[22:23] neg_lo:[0,1] neg_hi:[0,1]
	v_cmp_eq_f32_e32 vcc, s44, v32
	v_add_f32_e32 v5, v6, v5
	v_add_f32_e32 v4, v4, v5
	;; [unrolled: 1-line block ×3, first 2 shown]
	v_mul_f32_e32 v6, v29, v5
	v_mul_f32_e32 v20, v27, v6
	v_fma_f32 v22, v6, v27, -v20
	v_fmac_f32_e32 v22, v6, v28
	v_sub_f32_e32 v21, v21, v5
	v_add_f32_e32 v27, v4, v21
	v_add_f32_e32 v4, v20, v22
	v_sub_f32_e32 v21, v5, v4
	v_pk_add_f32 v[24:25], v[4:5], v[20:21] neg_lo:[0,1] neg_hi:[0,1]
	v_mov_b32_e32 v23, v4
	v_pk_add_f32 v[4:5], v[24:25], v[22:23] neg_lo:[0,1] neg_hi:[0,1]
	s_or_b64 vcc, s[36:37], vcc
	v_add_f32_e32 v5, v27, v5
	v_add_f32_e32 v4, v4, v5
	;; [unrolled: 1-line block ×4, first 2 shown]
	v_sub_f32_e32 v19, v5, v19
	v_mul_f32_e32 v4, v29, v4
	v_sub_f32_e32 v6, v6, v19
	v_add_f32_e32 v6, v6, v4
	v_add_f32_e32 v20, v5, v6
	v_mul_f32_e32 v22, v20, v20
	v_fmamk_f32 v4, v22, 0x3e9b6dac, v71
	v_fmaak_f32 v19, v22, v4, 0x3f2aaada
	v_cvt_f32_i32_e32 v4, v26
	v_sub_f32_e32 v5, v20, v5
	v_sub_f32_e32 v5, v6, v5
	v_ldexp_f32 v6, v5, 1
	v_mul_f32_e32 v5, v20, v22
	v_pk_mul_f32 v[22:23], v[4:5], v[18:19]
	v_ldexp_f32 v21, v20, 1
	v_fma_f32 v20, v4, s46, -v22
	v_fmac_f32_e32 v20, 0xb102e308, v4
	v_pk_add_f32 v[4:5], v[22:23], v[20:21]
	v_mov_b32_e32 v24, v22
	v_sub_f32_e32 v19, v5, v21
	v_sub_f32_e32 v19, v23, v19
	v_add_f32_e32 v25, v6, v19
	v_pk_add_f32 v[22:23], v[4:5], v[22:23] neg_lo:[0,1] neg_hi:[0,1]
	v_pk_add_f32 v[26:27], v[4:5], v[24:25]
	v_mov_b32_e32 v21, v4
	v_mov_b32_e32 v23, v27
	v_pk_add_f32 v[28:29], v[20:21], v[22:23] neg_lo:[0,1] neg_hi:[0,1]
	v_pk_add_f32 v[20:21], v[20:21], v[22:23]
	s_nop 0
	v_mov_b32_e32 v6, v21
	v_pk_add_f32 v[22:23], v[6:7], v[4:5] neg_lo:[0,1] neg_hi:[0,1]
	v_mov_b32_e32 v20, v27
	v_mov_b32_e32 v19, v22
	v_pk_add_f32 v[30:31], v[26:27], v[18:19] neg_lo:[0,1] neg_hi:[0,1]
	v_mov_b32_e32 v26, v5
	v_mov_b32_e32 v27, v22
	;; [unrolled: 1-line block ×3, first 2 shown]
	v_pk_add_f32 v[20:21], v[20:21], v[26:27] neg_lo:[0,1] neg_hi:[0,1]
	v_mov_b32_e32 v22, v25
	v_mov_b32_e32 v23, v4
	v_pk_add_f32 v[4:5], v[22:23], v[20:21] neg_lo:[0,1] neg_hi:[0,1]
	v_mov_b32_e32 v30, v28
	v_pk_add_f32 v[20:21], v[30:31], v[4:5]
	s_nop 0
	v_mov_b32_e32 v22, v21
	v_pk_add_f32 v[22:23], v[20:21], v[22:23]
	s_nop 0
	v_pk_add_f32 v[24:25], v[6:7], v[22:23]
	v_mov_b32_e32 v5, v22
	v_mov_b32_e32 v21, v24
	v_pk_add_f32 v[26:27], v[20:21], v[28:29] neg_lo:[0,1] neg_hi:[0,1]
	s_nop 0
	v_sub_f32_e32 v6, v20, v26
	v_pk_add_f32 v[4:5], v[4:5], v[26:27] neg_lo:[0,1] neg_hi:[0,1]
	v_sub_f32_e32 v6, v28, v6
	v_add_f32_e32 v4, v4, v6
	v_add_f32_e32 v4, v4, v5
	;; [unrolled: 1-line block ×3, first 2 shown]
	v_cndmask_b32_e32 v81, v4, v32, vcc
.LBB104_55:                             ;   in Loop: Header=BB104_11 Depth=1
	s_or_b64 exec, exec, s[38:39]
	v_cvt_f32_f16_sdwa v4, v7 dst_sel:DWORD dst_unused:UNUSED_PAD src0_sel:WORD_1
	v_add_f32_e32 v19, s33, v4
	v_cmp_ge_f32_e32 vcc, s40, v19
	s_and_b64 s[36:37], s[72:73], vcc
	s_and_saveexec_b64 s[38:39], s[36:37]
	s_cbranch_execz .LBB104_57
; %bb.56:                               ;   in Loop: Header=BB104_11 Depth=1
	v_mul_f32_e32 v4, 0x3fb8aa3b, v19
	v_rndne_f32_e32 v5, v4
	v_sub_f32_e32 v6, v4, v5
	v_fma_f32 v4, v19, s41, -v4
	v_fmac_f32_e32 v4, 0x32a5705f, v19
	v_add_f32_e32 v4, v6, v4
	v_cvt_i32_f32_e32 v5, v5
	v_exp_f32_e32 v4, v4
	v_cmp_ngt_f32_e32 vcc, s42, v19
	v_ldexp_f32 v4, v4, v5
	s_nop 0
	v_cndmask_b32_e32 v4, 0, v4, vcc
	v_cmp_nlt_f32_e32 vcc, s43, v19
	s_nop 1
	v_cndmask_b32_e32 v32, v72, v4, vcc
	v_add_f32_e32 v6, 1.0, v32
	v_add_f32_e32 v4, -1.0, v6
	v_sub_f32_e32 v5, v4, v6
	v_add_f32_e32 v5, 1.0, v5
	v_sub_f32_e32 v4, v32, v4
	v_add_f32_e32 v7, v4, v5
	v_frexp_mant_f32_e32 v19, v6
	v_cvt_f64_f32_e32 v[4:5], v6
	v_frexp_exp_i32_f64_e32 v4, v[4:5]
	v_cmp_gt_f32_e32 vcc, s45, v19
	v_cmp_gt_f32_e64 s[36:37], s47, v32
	s_nop 0
	v_subbrev_co_u32_e32 v24, vcc, 0, v4, vcc
	v_sub_u32_e32 v4, 0, v24
	v_ldexp_f32 v5, v6, v4
	v_add_f32_e32 v6, -1.0, v5
	v_add_f32_e32 v19, 1.0, v5
	v_ldexp_f32 v4, v7, v4
	v_add_f32_e32 v7, 1.0, v6
	v_add_f32_e32 v20, -1.0, v19
	v_sub_f32_e32 v7, v5, v7
	v_sub_f32_e32 v5, v5, v20
	v_add_f32_e32 v7, v4, v7
	v_add_f32_e32 v4, v4, v5
	;; [unrolled: 1-line block ×3, first 2 shown]
	v_rcp_f32_e32 v26, v25
	v_sub_f32_e32 v5, v19, v25
	v_add_f32_e32 v19, v4, v5
	v_add_f32_e32 v5, v6, v7
	v_mul_f32_e32 v28, v5, v26
	v_sub_f32_e32 v4, v6, v5
	v_mul_f32_e32 v6, v25, v28
	v_fma_f32 v20, v28, v25, -v6
	v_fmac_f32_e32 v20, v28, v19
	v_add_f32_e32 v27, v7, v4
	v_add_f32_e32 v4, v6, v20
	v_sub_f32_e32 v7, v5, v4
	v_pk_add_f32 v[22:23], v[4:5], v[6:7] neg_lo:[0,1] neg_hi:[0,1]
	v_mov_b32_e32 v21, v4
	v_pk_add_f32 v[4:5], v[22:23], v[20:21] neg_lo:[0,1] neg_hi:[0,1]
	v_cmp_eq_f32_e32 vcc, s44, v32
	v_add_f32_e32 v5, v27, v5
	v_add_f32_e32 v4, v4, v5
	;; [unrolled: 1-line block ×3, first 2 shown]
	v_mul_f32_e32 v27, v26, v5
	v_mul_f32_e32 v6, v25, v27
	v_fma_f32 v20, v27, v25, -v6
	v_fmac_f32_e32 v20, v27, v19
	v_sub_f32_e32 v7, v7, v5
	v_add_f32_e32 v19, v4, v7
	v_add_f32_e32 v4, v6, v20
	v_sub_f32_e32 v7, v5, v4
	v_pk_add_f32 v[22:23], v[4:5], v[6:7] neg_lo:[0,1] neg_hi:[0,1]
	v_mov_b32_e32 v21, v4
	v_pk_add_f32 v[4:5], v[22:23], v[20:21] neg_lo:[0,1] neg_hi:[0,1]
	s_or_b64 vcc, s[36:37], vcc
	v_add_f32_e32 v5, v19, v5
	v_add_f32_e32 v4, v4, v5
	;; [unrolled: 1-line block ×4, first 2 shown]
	v_sub_f32_e32 v6, v5, v28
	v_mul_f32_e32 v4, v26, v4
	v_sub_f32_e32 v6, v27, v6
	v_add_f32_e32 v6, v6, v4
	v_add_f32_e32 v20, v5, v6
	v_mul_f32_e32 v21, v20, v20
	v_fmamk_f32 v4, v21, 0x3e9b6dac, v71
	v_fmaak_f32 v19, v21, v4, 0x3f2aaada
	v_cvt_f32_i32_e32 v4, v24
	v_sub_f32_e32 v5, v20, v5
	v_sub_f32_e32 v5, v6, v5
	v_ldexp_f32 v22, v5, 1
	v_mul_f32_e32 v5, v20, v21
	v_ldexp_f32 v7, v20, 1
	v_pk_mul_f32 v[20:21], v[4:5], v[18:19]
	s_nop 0
	v_fma_f32 v6, v4, s46, -v20
	v_fmac_f32_e32 v6, 0xb102e308, v4
	v_pk_add_f32 v[4:5], v[20:21], v[6:7]
	s_nop 0
	v_sub_f32_e32 v7, v5, v7
	v_sub_f32_e32 v7, v21, v7
	v_add_f32_e32 v23, v22, v7
	v_mov_b32_e32 v22, v20
	v_pk_add_f32 v[20:21], v[4:5], v[20:21] neg_lo:[0,1] neg_hi:[0,1]
	v_pk_add_f32 v[24:25], v[4:5], v[22:23]
	v_mov_b32_e32 v7, v4
	v_mov_b32_e32 v21, v25
	v_pk_add_f32 v[26:27], v[6:7], v[20:21] neg_lo:[0,1] neg_hi:[0,1]
	v_pk_add_f32 v[6:7], v[6:7], v[20:21]
	v_mov_b32_e32 v22, v23
	v_mov_b32_e32 v20, v7
	v_pk_add_f32 v[28:29], v[20:21], v[4:5] neg_lo:[0,1] neg_hi:[0,1]
	v_mov_b32_e32 v6, v25
	v_mov_b32_e32 v19, v28
	v_pk_add_f32 v[30:31], v[24:25], v[18:19] neg_lo:[0,1] neg_hi:[0,1]
	v_mov_b32_e32 v24, v5
	v_mov_b32_e32 v25, v28
	;; [unrolled: 1-line block ×3, first 2 shown]
	v_pk_add_f32 v[6:7], v[6:7], v[24:25] neg_lo:[0,1] neg_hi:[0,1]
	v_mov_b32_e32 v23, v4
	v_pk_add_f32 v[4:5], v[22:23], v[6:7] neg_lo:[0,1] neg_hi:[0,1]
	v_mov_b32_e32 v30, v26
	v_pk_add_f32 v[6:7], v[30:31], v[4:5]
	s_nop 0
	v_mov_b32_e32 v22, v7
	v_pk_add_f32 v[22:23], v[6:7], v[22:23]
	s_nop 0
	v_pk_add_f32 v[20:21], v[20:21], v[22:23]
	v_mov_b32_e32 v5, v22
	v_mov_b32_e32 v7, v20
	v_pk_add_f32 v[24:25], v[6:7], v[26:27] neg_lo:[0,1] neg_hi:[0,1]
	s_nop 0
	v_sub_f32_e32 v6, v6, v24
	v_pk_add_f32 v[4:5], v[4:5], v[24:25] neg_lo:[0,1] neg_hi:[0,1]
	v_sub_f32_e32 v6, v26, v6
	v_add_f32_e32 v4, v4, v6
	v_add_f32_e32 v4, v4, v5
	;; [unrolled: 1-line block ×3, first 2 shown]
	v_cndmask_b32_e32 v19, v4, v32, vcc
.LBB104_57:                             ;   in Loop: Header=BB104_11 Depth=1
	s_or_b64 exec, exec, s[38:39]
	v_cvt_f32_f16_e32 v4, v3
	v_cvt_f32_f16_sdwa v5, v2 dst_sel:DWORD dst_unused:UNUSED_PAD src0_sel:WORD_1
	v_cvt_f32_f16_e32 v2, v2
	v_cvt_f32_f16_sdwa v7, v3 dst_sel:DWORD dst_unused:UNUSED_PAD src0_sel:WORD_1
	v_cvt_f32_f16_sdwa v3, v1 dst_sel:DWORD dst_unused:UNUSED_PAD src0_sel:WORD_1
	v_cvt_f32_f16_e32 v1, v1
	v_cvt_f32_f16_sdwa v6, v0 dst_sel:DWORD dst_unused:UNUSED_PAD src0_sel:WORD_1
	v_cvt_f32_f16_e32 v0, v0
	v_readlane_b32 s36, v95, 1
	v_readlane_b32 s37, v95, 2
	v_mul_f32_e32 v22, s92, v4
	v_mul_f32_e32 v21, s92, v5
	;; [unrolled: 1-line block ×8, first 2 shown]
	s_and_b64 vcc, exec, s[36:37]
	s_waitcnt lgkmcnt(0)
	; wave barrier
	s_cbranch_vccz .LBB104_118
; %bb.58:                               ;   in Loop: Header=BB104_11 Depth=1
	s_cmp_lg_u32 s95, 0
	v_readlane_b32 s36, v95, 5
	v_mul_f32_e32 v89, v75, v0
	s_cselect_b64 s[78:79], -1, 0
	s_cmp_eq_u32 s95, s36
	v_cmp_gt_u32_e32 vcc, s50, v11
	v_or_b32_e32 v0, 1, v11
	s_cselect_b64 s[80:81], -1, 0
	s_or_b64 s[36:37], s[76:77], vcc
	v_cmp_gt_u32_e32 vcc, s50, v0
	v_or_b32_e32 v0, 2, v11
	s_or_b64 s[38:39], s[76:77], vcc
	v_cmp_gt_u32_e32 vcc, s50, v0
	v_or_b32_e32 v0, 3, v11
	;; [unrolled: 3-line block ×5, first 2 shown]
	s_or_b64 s[46:47], s[76:77], vcc
	v_cmp_gt_u32_e32 vcc, s50, v0
	s_mov_b32 s70, 0
	s_or_b64 s[48:49], s[76:77], vcc
	v_cmp_gt_u32_e32 vcc, s50, v70
	v_mul_f32_e32 v82, v19, v7
	v_lshl_add_u64 v[28:29], s[54:55], 0, v[8:9]
	v_lshl_add_u64 v[30:31], s[58:59], 0, v[8:9]
	v_mul_f32_e32 v83, v81, v4
	v_mul_f32_e32 v84, v80, v5
	;; [unrolled: 1-line block ×6, first 2 shown]
	s_or_b64 s[50:51], s[76:77], vcc
	s_mov_b32 s82, s70
	s_mov_b32 s84, s70
	;; [unrolled: 1-line block ×3, first 2 shown]
	v_readlane_b32 s67, v95, 0
	v_readlane_b32 s99, v95, 6
	s_branch .LBB104_60
.LBB104_59:                             ;   in Loop: Header=BB104_60 Depth=2
	s_or_b64 exec, exec, s[88:89]
	v_mul_f32_e32 v32, v90, v67
	v_fma_f32 v33, v90, v68, v4
	v_cndmask_b32_e64 v4, v33, v4, s[16:17]
	v_cndmask_b32_e64 v32, v32, v90, s[16:17]
	s_waitcnt lgkmcnt(0)
	v_fmac_f32_e32 v4, v38, v32
	v_fmac_f32_e32 v5, v4, v91
	;; [unrolled: 1-line block ×7, first 2 shown]
	v_cvt_f32_f16_sdwa v33, v0 dst_sel:DWORD dst_unused:UNUSED_PAD src0_sel:WORD_1
	v_cvt_f32_f16_sdwa v39, v1 dst_sel:DWORD dst_unused:UNUSED_PAD src0_sel:WORD_1
	v_cvt_f32_f16_e32 v32, v0
	v_cvt_f32_f16_e32 v38, v1
	v_cvt_f32_f16_sdwa v1, v2 dst_sel:DWORD dst_unused:UNUSED_PAD src0_sel:WORD_1
	v_cvt_f32_f16_sdwa v65, v3 dst_sel:DWORD dst_unused:UNUSED_PAD src0_sel:WORD_1
	v_cvt_f32_f16_e32 v64, v3
	v_cvt_f32_f16_e32 v0, v2
	v_fmac_f32_e32 v37, v36, v66
	s_add_i32 s99, s99, 8
	s_add_i32 s67, s67, -1
	s_add_i32 s86, s86, s94
	s_add_i32 s84, s84, s60
	;; [unrolled: 1-line block ×4, first 2 shown]
	v_pk_fma_f32 v[26:27], v[34:35], v[38:39], v[26:27]
	v_pk_fma_f32 v[24:25], v[4:5], v[32:33], v[24:25]
	;; [unrolled: 1-line block ×3, first 2 shown]
	s_cmp_eq_u32 s67, 0
	v_pk_fma_f32 v[20:21], v[6:7], v[0:1], v[20:21]
	s_cbranch_scc1 .LBB104_117
.LBB104_60:                             ;   Parent Loop BB104_11 Depth=1
                                        ; =>  This Inner Loop Header: Depth=2
	s_lshl_b64 s[88:89], s[70:71], 2
	s_add_u32 s88, s52, s88
	s_addc_u32 s89, s96, s89
	global_load_dword v34, v9, s[88:89]
	s_mov_b32 s83, s71
	v_lshl_add_u64 v[0:1], s[82:83], 1, v[28:29]
	v_mov_b32_e32 v2, 0
	v_mov_b32_e32 v3, 0
	s_and_saveexec_b64 s[88:89], s[18:19]
	s_cbranch_execnz .LBB104_80
; %bb.61:                               ;   in Loop: Header=BB104_60 Depth=2
	s_or_b64 exec, exec, s[88:89]
	s_and_saveexec_b64 s[88:89], s[20:21]
	s_cbranch_execnz .LBB104_81
.LBB104_62:                             ;   in Loop: Header=BB104_60 Depth=2
	s_or_b64 exec, exec, s[88:89]
	v_mov_b32_e32 v4, 0
	s_and_saveexec_b64 s[88:89], s[22:23]
	s_cbranch_execnz .LBB104_82
.LBB104_63:                             ;   in Loop: Header=BB104_60 Depth=2
	s_or_b64 exec, exec, s[88:89]
	s_and_saveexec_b64 s[88:89], s[24:25]
	s_cbranch_execnz .LBB104_83
.LBB104_64:                             ;   in Loop: Header=BB104_60 Depth=2
	s_or_b64 exec, exec, s[88:89]
	v_mov_b32_e32 v5, 0
	s_and_saveexec_b64 s[88:89], s[26:27]
	s_cbranch_execnz .LBB104_84
.LBB104_65:                             ;   in Loop: Header=BB104_60 Depth=2
	s_or_b64 exec, exec, s[88:89]
	s_and_saveexec_b64 s[88:89], s[28:29]
	s_cbranch_execnz .LBB104_85
.LBB104_66:                             ;   in Loop: Header=BB104_60 Depth=2
	s_or_b64 exec, exec, s[88:89]
	v_mov_b32_e32 v6, 0
	s_and_saveexec_b64 s[88:89], s[30:31]
	s_cbranch_execnz .LBB104_86
.LBB104_67:                             ;   in Loop: Header=BB104_60 Depth=2
	s_or_b64 exec, exec, s[88:89]
	s_and_saveexec_b64 s[88:89], s[34:35]
	s_cbranch_execz .LBB104_69
.LBB104_68:                             ;   in Loop: Header=BB104_60 Depth=2
	global_load_ushort v0, v[0:1], off offset:896
	s_waitcnt vmcnt(0)
	v_lshl_or_b32 v6, v0, 16, v6
.LBB104_69:                             ;   in Loop: Header=BB104_60 Depth=2
	s_or_b64 exec, exec, s[88:89]
	s_waitcnt vmcnt(0)
	ds_write_b16 v47, v3
	ds_write_b16 v48, v2 offset:128
	ds_write_b16 v49, v4 offset:256
	ds_write_b16_d16_hi v50, v4 offset:384
	ds_write_b16 v51, v5 offset:512
	ds_write_b16_d16_hi v52, v5 offset:640
	;; [unrolled: 2-line block ×3, first 2 shown]
	; wave barrier
	ds_read_b128 v[4:7], v55
	s_mov_b32 s85, s71
	v_lshl_add_u64 v[0:1], s[84:85], 1, v[30:31]
	v_mov_b32_e32 v2, 0
	v_mov_b32_e32 v3, 0
	s_and_saveexec_b64 s[88:89], s[18:19]
	s_cbranch_execnz .LBB104_87
; %bb.70:                               ;   in Loop: Header=BB104_60 Depth=2
	s_or_b64 exec, exec, s[88:89]
	s_and_saveexec_b64 s[88:89], s[20:21]
	s_cbranch_execnz .LBB104_88
.LBB104_71:                             ;   in Loop: Header=BB104_60 Depth=2
	s_or_b64 exec, exec, s[88:89]
	v_mov_b32_e32 v32, 0
	s_and_saveexec_b64 s[88:89], s[22:23]
	s_cbranch_execnz .LBB104_89
.LBB104_72:                             ;   in Loop: Header=BB104_60 Depth=2
	s_or_b64 exec, exec, s[88:89]
	s_and_saveexec_b64 s[88:89], s[24:25]
	s_cbranch_execnz .LBB104_90
.LBB104_73:                             ;   in Loop: Header=BB104_60 Depth=2
	s_or_b64 exec, exec, s[88:89]
	v_mov_b32_e32 v33, 0
	s_and_saveexec_b64 s[88:89], s[26:27]
	s_cbranch_execnz .LBB104_91
.LBB104_74:                             ;   in Loop: Header=BB104_60 Depth=2
	s_or_b64 exec, exec, s[88:89]
	s_and_saveexec_b64 s[88:89], s[28:29]
	s_cbranch_execnz .LBB104_92
.LBB104_75:                             ;   in Loop: Header=BB104_60 Depth=2
	s_or_b64 exec, exec, s[88:89]
	v_mov_b32_e32 v35, 0
	s_and_saveexec_b64 s[88:89], s[30:31]
	s_cbranch_execnz .LBB104_93
.LBB104_76:                             ;   in Loop: Header=BB104_60 Depth=2
	s_or_b64 exec, exec, s[88:89]
	s_and_saveexec_b64 s[88:89], s[34:35]
	s_cbranch_execz .LBB104_78
.LBB104_77:                             ;   in Loop: Header=BB104_60 Depth=2
	global_load_ushort v0, v[0:1], off offset:896
	s_waitcnt vmcnt(0)
	v_lshl_or_b32 v35, v0, 16, v35
.LBB104_78:                             ;   in Loop: Header=BB104_60 Depth=2
	s_or_b64 exec, exec, s[88:89]
	s_waitcnt vmcnt(0)
	ds_write_b16 v47, v3 offset:1056
	ds_write_b16 v56, v2 offset:128
	;; [unrolled: 1-line block ×3, first 2 shown]
	ds_write_b16_d16_hi v58, v32 offset:384
	ds_write_b16 v59, v33 offset:512
	ds_write_b16_d16_hi v60, v33 offset:640
	ds_write_b16 v61, v35 offset:768
	ds_write_b16_d16_hi v62, v35 offset:896
	; wave barrier
	ds_read_b128 v[0:3], v55 offset:1056
	s_andn2_b64 vcc, exec, s[78:79]
	s_cbranch_vccnz .LBB104_94
; %bb.79:                               ;   in Loop: Header=BB104_60 Depth=2
	v_mov_b32_e32 v32, s99
	ds_read_b64 v[32:33], v32
	s_cbranch_execz .LBB104_95
	s_branch .LBB104_98
.LBB104_80:                             ;   in Loop: Header=BB104_60 Depth=2
	global_load_ushort v3, v[0:1], off
	s_or_b64 exec, exec, s[88:89]
	s_and_saveexec_b64 s[88:89], s[20:21]
	s_cbranch_execz .LBB104_62
.LBB104_81:                             ;   in Loop: Header=BB104_60 Depth=2
	global_load_ushort v2, v[0:1], off offset:128
	s_or_b64 exec, exec, s[88:89]
	v_mov_b32_e32 v4, 0
	s_and_saveexec_b64 s[88:89], s[22:23]
	s_cbranch_execz .LBB104_63
.LBB104_82:                             ;   in Loop: Header=BB104_60 Depth=2
	global_load_ushort v4, v[0:1], off offset:256
	s_or_b64 exec, exec, s[88:89]
	s_and_saveexec_b64 s[88:89], s[24:25]
	s_cbranch_execz .LBB104_64
.LBB104_83:                             ;   in Loop: Header=BB104_60 Depth=2
	global_load_ushort v5, v[0:1], off offset:384
	s_waitcnt vmcnt(0)
	v_lshl_or_b32 v4, v5, 16, v4
	s_or_b64 exec, exec, s[88:89]
	v_mov_b32_e32 v5, 0
	s_and_saveexec_b64 s[88:89], s[26:27]
	s_cbranch_execz .LBB104_65
.LBB104_84:                             ;   in Loop: Header=BB104_60 Depth=2
	global_load_ushort v5, v[0:1], off offset:512
	s_or_b64 exec, exec, s[88:89]
	s_and_saveexec_b64 s[88:89], s[28:29]
	s_cbranch_execz .LBB104_66
.LBB104_85:                             ;   in Loop: Header=BB104_60 Depth=2
	global_load_ushort v6, v[0:1], off offset:640
	s_waitcnt vmcnt(0)
	v_lshl_or_b32 v5, v6, 16, v5
	s_or_b64 exec, exec, s[88:89]
	v_mov_b32_e32 v6, 0
	s_and_saveexec_b64 s[88:89], s[30:31]
	s_cbranch_execz .LBB104_67
.LBB104_86:                             ;   in Loop: Header=BB104_60 Depth=2
	global_load_ushort v6, v[0:1], off offset:768
	s_or_b64 exec, exec, s[88:89]
	s_and_saveexec_b64 s[88:89], s[34:35]
	s_cbranch_execnz .LBB104_68
	s_branch .LBB104_69
.LBB104_87:                             ;   in Loop: Header=BB104_60 Depth=2
	global_load_ushort v3, v[0:1], off
	s_or_b64 exec, exec, s[88:89]
	s_and_saveexec_b64 s[88:89], s[20:21]
	s_cbranch_execz .LBB104_71
.LBB104_88:                             ;   in Loop: Header=BB104_60 Depth=2
	global_load_ushort v2, v[0:1], off offset:128
	s_or_b64 exec, exec, s[88:89]
	v_mov_b32_e32 v32, 0
	s_and_saveexec_b64 s[88:89], s[22:23]
	s_cbranch_execz .LBB104_72
.LBB104_89:                             ;   in Loop: Header=BB104_60 Depth=2
	global_load_ushort v32, v[0:1], off offset:256
	s_or_b64 exec, exec, s[88:89]
	s_and_saveexec_b64 s[88:89], s[24:25]
	s_cbranch_execz .LBB104_73
.LBB104_90:                             ;   in Loop: Header=BB104_60 Depth=2
	global_load_ushort v33, v[0:1], off offset:384
	s_waitcnt vmcnt(0)
	v_lshl_or_b32 v32, v33, 16, v32
	s_or_b64 exec, exec, s[88:89]
	v_mov_b32_e32 v33, 0
	s_and_saveexec_b64 s[88:89], s[26:27]
	s_cbranch_execz .LBB104_74
.LBB104_91:                             ;   in Loop: Header=BB104_60 Depth=2
	global_load_ushort v33, v[0:1], off offset:512
	s_or_b64 exec, exec, s[88:89]
	s_and_saveexec_b64 s[88:89], s[28:29]
	s_cbranch_execz .LBB104_75
.LBB104_92:                             ;   in Loop: Header=BB104_60 Depth=2
	global_load_ushort v35, v[0:1], off offset:640
	s_waitcnt vmcnt(0)
	v_lshl_or_b32 v33, v35, 16, v33
	s_or_b64 exec, exec, s[88:89]
	v_mov_b32_e32 v35, 0
	s_and_saveexec_b64 s[88:89], s[30:31]
	s_cbranch_execz .LBB104_76
.LBB104_93:                             ;   in Loop: Header=BB104_60 Depth=2
	global_load_ushort v35, v[0:1], off offset:768
	s_or_b64 exec, exec, s[88:89]
	s_and_saveexec_b64 s[88:89], s[34:35]
	s_cbranch_execnz .LBB104_77
	s_branch .LBB104_78
.LBB104_94:                             ;   in Loop: Header=BB104_60 Depth=2
                                        ; implicit-def: $vgpr33
.LBB104_95:                             ;   in Loop: Header=BB104_60 Depth=2
	s_andn2_b64 vcc, exec, s[68:69]
	s_waitcnt lgkmcnt(0)
	v_mov_b32_e32 v33, 0
	s_cbranch_vccnz .LBB104_97
; %bb.96:                               ;   in Loop: Header=BB104_60 Depth=2
	s_mov_b32 s87, s71
	s_lshl_b64 s[88:89], s[86:87], 2
	s_add_u32 s88, s57, s88
	s_addc_u32 s89, s61, s89
	global_load_dword v33, v9, s[88:89]
.LBB104_97:                             ;   in Loop: Header=BB104_60 Depth=2
	v_mov_b32_e32 v32, 1.0
.LBB104_98:                             ;   in Loop: Header=BB104_60 Depth=2
	v_mul_f32_e32 v65, 0x3fb8aa3b, v34
	s_waitcnt lgkmcnt(9)
	v_cvt_f32_f16_e32 v35, v4
	v_cvt_f32_f16_sdwa v36, v4 dst_sel:DWORD dst_unused:UNUSED_PAD src0_sel:WORD_1
	v_mul_f32_e32 v4, v65, v75
	v_cmp_gt_f32_e32 vcc, s98, v4
	v_cvt_f32_f16_e32 v39, v6
	v_cvt_f32_f16_sdwa v64, v6 dst_sel:DWORD dst_unused:UNUSED_PAD src0_sel:WORD_1
	v_cndmask_b32_e32 v4, 0, v73, vcc
	v_mul_f32_e32 v6, v65, v76
	v_cvt_f32_f16_e32 v37, v5
	v_cvt_f32_f16_sdwa v38, v5 dst_sel:DWORD dst_unused:UNUSED_PAD src0_sel:WORD_1
	v_fmac_f32_e32 v4, v65, v75
	v_cndmask_b32_e32 v5, 1.0, v74, vcc
	v_cmp_gt_f32_e32 vcc, s98, v6
	v_exp_f32_e32 v4, v4
	v_cvt_f32_f16_e32 v66, v7
	v_cndmask_b32_e32 v6, 0, v73, vcc
	v_fmac_f32_e32 v6, v65, v76
	v_exp_f32_e32 v6, v6
	v_cvt_f32_f16_sdwa v67, v7 dst_sel:DWORD dst_unused:UNUSED_PAD src0_sel:WORD_1
	v_mul_f32_e32 v5, v4, v5
	v_mul_f32_e32 v7, v65, v77
	v_cndmask_b32_e64 v90, 1.0, v5, s[36:37]
	v_cndmask_b32_e32 v5, 1.0, v74, vcc
	v_cmp_gt_f32_e32 vcc, s98, v7
	v_mul_f32_e32 v6, v6, v5
	v_mul_f32_e32 v34, v65, v78
	v_cndmask_b32_e32 v7, 0, v73, vcc
	v_fmac_f32_e32 v7, v65, v77
	v_cndmask_b32_e64 v91, 1.0, v6, s[38:39]
	v_cndmask_b32_e32 v6, 1.0, v74, vcc
	v_cmp_gt_f32_e32 vcc, s98, v34
	v_exp_f32_e32 v7, v7
	v_mul_f32_e32 v4, v89, v35
	v_cndmask_b32_e32 v34, 0, v73, vcc
	v_fmac_f32_e32 v34, v65, v78
	v_exp_f32_e32 v35, v34
	v_mul_f32_e32 v6, v7, v6
	v_cndmask_b32_e64 v92, 1.0, v6, s[40:41]
	v_cndmask_b32_e32 v6, 1.0, v74, vcc
	v_mul_f32_e32 v6, v35, v6
	v_mul_f32_e32 v35, v65, v79
	v_cmp_gt_f32_e32 vcc, s98, v35
	v_mul_f32_e32 v5, v88, v36
	v_mul_f32_e32 v7, v87, v37
	v_cndmask_b32_e32 v35, 0, v73, vcc
	v_fmac_f32_e32 v35, v65, v79
	v_exp_f32_e32 v36, v35
	v_cndmask_b32_e64 v34, 0, v7, s[40:41]
	v_mul_f32_e32 v7, v86, v38
	v_cndmask_b32_e64 v93, 1.0, v6, s[42:43]
	v_cndmask_b32_e32 v6, 1.0, v74, vcc
	v_cndmask_b32_e64 v35, 0, v7, s[42:43]
	v_mul_f32_e32 v7, v36, v6
	v_mul_f32_e32 v36, v65, v80
	v_cmp_gt_f32_e32 vcc, s98, v36
	v_mul_f32_e32 v37, v65, v81
	v_cndmask_b32_e64 v94, 1.0, v7, s[44:45]
	v_cndmask_b32_e32 v36, 0, v73, vcc
	v_fmac_f32_e32 v36, v65, v80
	v_exp_f32_e32 v36, v36
	v_cndmask_b32_e32 v7, 1.0, v74, vcc
	v_cmp_gt_f32_e32 vcc, s98, v37
	v_mul_f32_e32 v38, v65, v19
	v_mul_f32_e32 v36, v36, v7
	v_cndmask_b32_e32 v37, 0, v73, vcc
	v_mul_f32_e32 v7, v84, v64
	v_fmac_f32_e32 v37, v65, v81
	v_cndmask_b32_e64 v64, 1.0, v36, s[46:47]
	v_cndmask_b32_e32 v36, 1.0, v74, vcc
	v_cmp_gt_f32_e32 vcc, s98, v38
	v_exp_f32_e32 v37, v37
	v_cndmask_b32_e64 v4, 0, v4, s[36:37]
	v_cndmask_b32_e32 v38, 0, v73, vcc
	v_fmac_f32_e32 v38, v65, v19
	v_exp_f32_e32 v38, v38
	v_mul_f32_e32 v37, v37, v36
	v_cndmask_b32_e64 v65, 1.0, v37, s[48:49]
	v_cndmask_b32_e32 v37, 1.0, v74, vcc
	v_cndmask_b32_e64 v5, 0, v5, s[38:39]
	v_mul_f32_e32 v38, v38, v37
	v_mul_f32_e32 v6, v85, v39
	;; [unrolled: 1-line block ×3, first 2 shown]
	v_cndmask_b32_e64 v66, 1.0, v38, s[50:51]
	v_mul_f32_e32 v38, v91, v90
	v_fma_f32 v39, v91, v4, v5
	v_mul_f32_e32 v38, v38, v92
	v_fma_f32 v39, v39, v92, v34
	v_cndmask_b32_e64 v6, 0, v6, s[44:45]
	v_mul_f32_e32 v38, v38, v93
	v_fma_f32 v39, v39, v93, v35
	v_cndmask_b32_e64 v7, 0, v7, s[46:47]
	;; [unrolled: 3-line block ×3, first 2 shown]
	v_mul_f32_e32 v37, v82, v67
	v_mul_f32_e32 v38, v38, v64
	v_fma_f32 v39, v39, v64, v7
	v_cndmask_b32_e64 v37, 0, v37, s[50:51]
	v_mul_f32_e32 v38, v38, v65
	v_fma_f32 v39, v39, v65, v36
	v_mul_f32_e32 v38, v38, v66
	v_fma_f32 v69, v39, v66, v37
	s_nop 0
	v_mov_b32_dpp v68, v38 row_shr:1 row_mask:0xf bank_mask:0xf
	v_mov_b32_dpp v67, v69 row_shr:1 row_mask:0xf bank_mask:0xf
	s_and_saveexec_b64 s[88:89], s[0:1]
; %bb.99:                               ;   in Loop: Header=BB104_60 Depth=2
	v_mul_f32_e32 v68, v38, v68
	v_fmac_f32_e32 v69, v38, v67
	v_mov_b32_e32 v38, v68
; %bb.100:                              ;   in Loop: Header=BB104_60 Depth=2
	s_or_b64 exec, exec, s[88:89]
	s_nop 0
	v_mov_b32_dpp v67, v38 row_shr:2 row_mask:0xf bank_mask:0xf
	v_mov_b32_dpp v68, v69 row_shr:2 row_mask:0xf bank_mask:0xf
	s_and_saveexec_b64 s[88:89], s[2:3]
; %bb.101:                              ;   in Loop: Header=BB104_60 Depth=2
	v_fmac_f32_e32 v69, v38, v68
	v_mul_f32_e32 v38, v38, v67
; %bb.102:                              ;   in Loop: Header=BB104_60 Depth=2
	s_or_b64 exec, exec, s[88:89]
	s_nop 0
	v_mov_b32_dpp v67, v38 row_shr:4 row_mask:0xf bank_mask:0xf
	v_mov_b32_dpp v68, v69 row_shr:4 row_mask:0xf bank_mask:0xf
	s_and_saveexec_b64 s[88:89], s[4:5]
; %bb.103:                              ;   in Loop: Header=BB104_60 Depth=2
	v_fmac_f32_e32 v69, v38, v68
	v_mul_f32_e32 v38, v38, v67
	;; [unrolled: 9-line block ×3, first 2 shown]
; %bb.106:                              ;   in Loop: Header=BB104_60 Depth=2
	s_or_b64 exec, exec, s[88:89]
	s_nop 0
	v_mov_b32_dpp v67, v38 row_bcast:15 row_mask:0xf bank_mask:0xf
	v_mov_b32_dpp v68, v69 row_bcast:15 row_mask:0xf bank_mask:0xf
	s_and_saveexec_b64 s[88:89], s[8:9]
; %bb.107:                              ;   in Loop: Header=BB104_60 Depth=2
	v_fmac_f32_e32 v69, v38, v68
	v_mul_f32_e32 v38, v38, v67
; %bb.108:                              ;   in Loop: Header=BB104_60 Depth=2
	s_or_b64 exec, exec, s[88:89]
	s_nop 0
	v_mov_b32_dpp v67, v38 row_bcast:31 row_mask:0xf bank_mask:0xf
	v_mov_b32_dpp v68, v69 row_bcast:31 row_mask:0xf bank_mask:0xf
	v_mov_b32_e32 v39, v69
	v_mul_f32_e32 v67, v38, v67
	v_fmac_f32_e32 v39, v38, v68
	v_cndmask_b32_e64 v38, v38, v67, s[10:11]
	v_cndmask_b32_e64 v39, v69, v39, s[10:11]
	s_and_saveexec_b64 s[88:89], s[12:13]
	s_cbranch_execz .LBB104_110
; %bb.109:                              ;   in Loop: Header=BB104_60 Depth=2
	ds_write_b64 v9, v[38:39] offset:2112
.LBB104_110:                            ;   in Loop: Header=BB104_60 Depth=2
	s_or_b64 exec, exec, s[88:89]
	ds_bpermute_b32 v67, v63, v38
	ds_bpermute_b32 v68, v63, v39
	s_waitcnt vmcnt(0) lgkmcnt(2)
	v_mov_b32_e32 v39, v33
	s_waitcnt lgkmcnt(0)
	; wave barrier
	s_waitcnt lgkmcnt(0)
	s_and_saveexec_b64 s[88:89], s[14:15]
	s_cbranch_execz .LBB104_114
; %bb.111:                              ;   in Loop: Header=BB104_60 Depth=2
	ds_read_b64 v[38:39], v9 offset:2112
	s_and_saveexec_b64 s[90:91], s[16:17]
	s_cbranch_execz .LBB104_113
; %bb.112:                              ;   in Loop: Header=BB104_60 Depth=2
	ds_write_b64 v9, v[32:33] offset:2112
.LBB104_113:                            ;   in Loop: Header=BB104_60 Depth=2
	s_or_b64 exec, exec, s[90:91]
	s_waitcnt lgkmcnt(0)
	v_fmac_f32_e32 v39, v33, v38
	v_mul_f32_e32 v32, v32, v38
	v_mov_b32_e32 v33, v39
.LBB104_114:                            ;   in Loop: Header=BB104_60 Depth=2
	s_or_b64 exec, exec, s[88:89]
	s_waitcnt lgkmcnt(0)
	; wave barrier
	ds_read_b32 v38, v9 offset:2116
	s_and_saveexec_b64 s[88:89], s[16:17]
	s_cbranch_execz .LBB104_59
; %bb.115:                              ;   in Loop: Header=BB104_60 Depth=2
	v_mov_b32_e32 v69, s99
	s_andn2_b64 vcc, exec, s[80:81]
	ds_write_b64 v69, v[32:33]
	s_cbranch_vccnz .LBB104_59
; %bb.116:                              ;   in Loop: Header=BB104_60 Depth=2
	s_mov_b32 s87, s71
	s_lshl_b64 s[90:91], s[86:87], 2
	s_add_u32 s90, s57, s90
	s_addc_u32 s91, s61, s91
	global_store_dword v9, v39, s[90:91]
	s_branch .LBB104_59
.LBB104_117:                            ;   in Loop: Header=BB104_11 Depth=1
	s_mov_b32 s40, 0x41a00000
	s_mov_b32 s41, 0x3fb8aa3b
	;; [unrolled: 1-line block ×8, first 2 shown]
.LBB104_118:                            ;   in Loop: Header=BB104_11 Depth=1
	v_cvt_f16_f32_e32 v0, v24
	v_cvt_f16_f32_e32 v1, v26
	;; [unrolled: 1-line block ×8, first 2 shown]
	v_pack_b32_f16 v3, v3, v4
	v_pack_b32_f16 v2, v2, v5
	;; [unrolled: 1-line block ×4, first 2 shown]
	s_waitcnt lgkmcnt(0)
	; wave barrier
	ds_write_b128 v55, v[0:3]
	; wave barrier
	ds_read_u16 v19, v48 offset:128
	ds_read_u16 v7, v49 offset:256
	;; [unrolled: 1-line block ×7, first 2 shown]
	s_mov_b32 s67, s71
	v_lshl_add_u64 v[0:1], s[66:67], 1, v[12:13]
	s_and_saveexec_b64 s[36:37], s[18:19]
	s_cbranch_execnz .LBB104_153
; %bb.119:                              ;   in Loop: Header=BB104_11 Depth=1
	s_or_b64 exec, exec, s[36:37]
	s_and_saveexec_b64 s[36:37], s[20:21]
	s_cbranch_execnz .LBB104_154
.LBB104_120:                            ;   in Loop: Header=BB104_11 Depth=1
	s_or_b64 exec, exec, s[36:37]
	s_and_saveexec_b64 s[36:37], s[22:23]
	s_cbranch_execnz .LBB104_155
.LBB104_121:                            ;   in Loop: Header=BB104_11 Depth=1
	s_or_b64 exec, exec, s[36:37]
	s_and_saveexec_b64 s[36:37], s[24:25]
	s_cbranch_execnz .LBB104_156
.LBB104_122:                            ;   in Loop: Header=BB104_11 Depth=1
	s_or_b64 exec, exec, s[36:37]
	s_and_saveexec_b64 s[36:37], s[26:27]
	s_cbranch_execnz .LBB104_157
.LBB104_123:                            ;   in Loop: Header=BB104_11 Depth=1
	s_or_b64 exec, exec, s[36:37]
	s_and_saveexec_b64 s[36:37], s[28:29]
	s_cbranch_execnz .LBB104_158
.LBB104_124:                            ;   in Loop: Header=BB104_11 Depth=1
	s_or_b64 exec, exec, s[36:37]
	s_and_saveexec_b64 s[36:37], s[30:31]
	s_cbranch_execnz .LBB104_159
.LBB104_125:                            ;   in Loop: Header=BB104_11 Depth=1
	s_or_b64 exec, exec, s[36:37]
	s_and_saveexec_b64 s[36:37], s[34:35]
	s_cbranch_execz .LBB104_127
.LBB104_126:                            ;   in Loop: Header=BB104_11 Depth=1
	s_waitcnt lgkmcnt(0)
	global_store_short v[0:1], v2, off offset:896
.LBB104_127:                            ;   in Loop: Header=BB104_11 Depth=1
	s_or_b64 exec, exec, s[36:37]
	v_lshl_add_u64 v[0:1], s[66:67], 1, v[14:15]
	s_waitcnt lgkmcnt(0)
	v_mov_b32_e32 v2, 0
	v_mov_b32_e32 v3, 0
	s_waitcnt lgkmcnt(0)
	; wave barrier
	s_and_saveexec_b64 s[36:37], s[18:19]
	s_cbranch_execz .LBB104_129
; %bb.128:                              ;   in Loop: Header=BB104_11 Depth=1
	global_load_ushort v3, v[0:1], off
.LBB104_129:                            ;   in Loop: Header=BB104_11 Depth=1
	s_or_b64 exec, exec, s[36:37]
	s_and_saveexec_b64 s[36:37], s[20:21]
	s_cbranch_execz .LBB104_131
; %bb.130:                              ;   in Loop: Header=BB104_11 Depth=1
	global_load_ushort v2, v[0:1], off offset:128
.LBB104_131:                            ;   in Loop: Header=BB104_11 Depth=1
	s_or_b64 exec, exec, s[36:37]
	v_mov_b32_e32 v4, 0
	v_mov_b32_e32 v5, 0
	s_and_saveexec_b64 s[36:37], s[22:23]
	s_cbranch_execz .LBB104_133
; %bb.132:                              ;   in Loop: Header=BB104_11 Depth=1
	global_load_ushort v5, v[0:1], off offset:256
.LBB104_133:                            ;   in Loop: Header=BB104_11 Depth=1
	s_or_b64 exec, exec, s[36:37]
	s_and_saveexec_b64 s[36:37], s[24:25]
	s_cbranch_execz .LBB104_135
; %bb.134:                              ;   in Loop: Header=BB104_11 Depth=1
	global_load_ushort v4, v[0:1], off offset:384
.LBB104_135:                            ;   in Loop: Header=BB104_11 Depth=1
	s_or_b64 exec, exec, s[36:37]
	v_mov_b32_e32 v6, 0
	v_mov_b32_e32 v7, 0
	s_and_saveexec_b64 s[36:37], s[26:27]
	s_cbranch_execz .LBB104_137
; %bb.136:                              ;   in Loop: Header=BB104_11 Depth=1
	global_load_ushort v7, v[0:1], off offset:512
.LBB104_137:                            ;   in Loop: Header=BB104_11 Depth=1
	;; [unrolled: 14-line block ×3, first 2 shown]
	s_or_b64 exec, exec, s[36:37]
	s_and_saveexec_b64 s[36:37], s[34:35]
	s_cbranch_execz .LBB104_143
; %bb.142:                              ;   in Loop: Header=BB104_11 Depth=1
	global_load_ushort v19, v[0:1], off offset:896
.LBB104_143:                            ;   in Loop: Header=BB104_11 Depth=1
	s_or_b64 exec, exec, s[36:37]
	s_waitcnt vmcnt(0)
	ds_write_b16 v47, v3
	ds_write_b16 v48, v2 offset:128
	ds_write_b16 v49, v5 offset:256
	;; [unrolled: 1-line block ×7, first 2 shown]
	; wave barrier
	ds_read_b128 v[0:3], v55
	s_waitcnt lgkmcnt(0)
	; wave barrier
	s_waitcnt lgkmcnt(0)
	v_cvt_f32_f16_e32 v6, v0
	v_cvt_f32_f16_e32 v28, v1
	v_cvt_f32_f16_sdwa v19, v1 dst_sel:DWORD dst_unused:UNUSED_PAD src0_sel:WORD_1
	v_mul_f32_e32 v4, 0xbfb8aa3b, v6
	v_rndne_f32_e32 v5, v4
	v_sub_f32_e32 v7, v4, v5
	v_fma_mix_f32 v4, v0, s74, -v4 op_sel_hi:[1,0,0]
	v_cvt_i32_f32_e32 v5, v5
	v_fma_mix_f32 v4, v0, s75, v4 op_sel_hi:[1,0,0]
	v_cmp_nlt_f32_e32 vcc, s97, v6
	v_add_f32_e32 v4, v7, v4
	v_exp_f32_e32 v4, v4
	v_cvt_f32_f16_sdwa v7, v0 dst_sel:DWORD dst_unused:UNUSED_PAD src0_sel:WORD_1
	v_ldexp_f32 v4, v4, v5
	v_mul_f32_e32 v5, 0xbfb8aa3b, v7
	v_rndne_f32_e32 v29, v5
	v_sub_f32_e32 v30, v5, v29
	v_fma_mix_f32 v5, v0, s74, -v5 op_sel:[1,0,0] op_sel_hi:[1,0,0]
	v_cndmask_b32_e32 v4, 0, v4, vcc
	v_fma_mix_f32 v0, v0, s75, v5 op_sel:[1,0,0] op_sel_hi:[1,0,0]
	v_cvt_i32_f32_e32 v5, v29
	v_add_f32_e32 v0, v30, v0
	v_exp_f32_e32 v0, v0
	v_cmp_ngt_f32_e32 vcc, s93, v6
	v_ldexp_f32 v0, v0, v5
	v_mul_f32_e32 v5, 0xbfb8aa3b, v28
	v_rndne_f32_e32 v29, v5
	v_sub_f32_e32 v30, v5, v29
	v_fma_mix_f32 v5, v1, s74, -v5 op_sel_hi:[1,0,0]
	v_cvt_i32_f32_e32 v29, v29
	v_fma_mix_f32 v5, v1, s75, v5 op_sel_hi:[1,0,0]
	v_cndmask_b32_e32 v4, v72, v4, vcc
	v_add_f32_e32 v5, v30, v5
	v_exp_f32_e32 v30, v5
	v_cmp_nlt_f32_e32 vcc, s97, v7
	s_nop 1
	v_cndmask_b32_e32 v0, 0, v0, vcc
	v_cmp_ngt_f32_e32 vcc, s93, v7
	s_nop 1
	v_cndmask_b32_e32 v5, v72, v0, vcc
	v_ldexp_f32 v0, v30, v29
	v_mul_f32_e32 v29, 0xbfb8aa3b, v19
	v_rndne_f32_e32 v30, v29
	v_sub_f32_e32 v31, v29, v30
	v_fma_mix_f32 v29, v1, s74, -v29 op_sel:[1,0,0] op_sel_hi:[1,0,0]
	v_pk_add_f32 v[4:5], v[4:5], 1.0 op_sel_hi:[1,0]
	v_fma_mix_f32 v1, v1, s75, v29 op_sel:[1,0,0] op_sel_hi:[1,0,0]
	v_cvt_i32_f32_e32 v29, v30
	v_add_f32_e32 v1, v31, v1
	v_exp_f32_e32 v1, v1
	v_cmp_nlt_f32_e32 vcc, s97, v28
	v_ldexp_f32 v1, v1, v29
	v_div_scale_f32 v29, s[36:37], v5, v5, v7
	v_rcp_f32_e32 v30, v29
	v_cndmask_b32_e32 v0, 0, v0, vcc
	v_cmp_ngt_f32_e32 vcc, s93, v28
	v_fma_f32 v31, -v29, v30, 1.0
	s_nop 0
	v_cndmask_b32_e32 v0, v72, v0, vcc
	v_cmp_nlt_f32_e32 vcc, s97, v19
	v_fmac_f32_e32 v30, v31, v30
	s_nop 0
	v_cndmask_b32_e32 v1, 0, v1, vcc
	v_cmp_ngt_f32_e32 vcc, s93, v19
	s_nop 1
	v_cndmask_b32_e32 v1, v72, v1, vcc
	v_div_scale_f32 v31, vcc, v7, v5, v7
	v_mul_f32_e32 v32, v31, v30
	v_fma_f32 v33, -v29, v32, v31
	v_fmac_f32_e32 v32, v33, v30
	v_fma_f32 v29, -v29, v32, v31
	v_div_scale_f32 v31, s[36:37], v4, v4, v6
	v_rcp_f32_e32 v33, v31
	v_div_fmas_f32 v29, v29, v30, v32
	v_div_fixup_f32 v5, v29, v5, v7
	v_pk_add_f32 v[0:1], v[0:1], 1.0 op_sel_hi:[1,0]
	v_fma_f32 v7, -v31, v33, 1.0
	v_fmac_f32_e32 v33, v7, v33
	v_div_scale_f32 v7, vcc, v6, v4, v6
	v_mul_f32_e32 v29, v7, v33
	v_fma_f32 v30, -v31, v29, v7
	v_fmac_f32_e32 v29, v30, v33
	v_div_scale_f32 v30, s[36:37], v1, v1, v19
	v_fma_f32 v7, -v31, v29, v7
	v_rcp_f32_e32 v31, v30
	v_div_fmas_f32 v7, v7, v33, v29
	v_div_fixup_f32 v4, v7, v4, v6
	v_pk_mul_f32 v[4:5], v[24:25], v[4:5]
	v_fma_f32 v6, -v30, v31, 1.0
	v_fmac_f32_e32 v31, v6, v31
	v_div_scale_f32 v6, vcc, v19, v1, v19
	v_mul_f32_e32 v7, v6, v31
	v_fma_f32 v29, -v30, v7, v6
	v_fmac_f32_e32 v7, v29, v31
	v_div_scale_f32 v29, s[36:37], v0, v0, v28
	v_fma_f32 v6, -v30, v7, v6
	v_rcp_f32_e32 v30, v29
	v_div_fmas_f32 v6, v6, v31, v7
	v_div_fixup_f32 v1, v6, v1, v19
	v_cvt_f32_f16_sdwa v25, v3 dst_sel:DWORD dst_unused:UNUSED_PAD src0_sel:WORD_1
	v_fma_f32 v6, -v29, v30, 1.0
	v_fmac_f32_e32 v30, v6, v30
	v_div_scale_f32 v6, vcc, v28, v0, v28
	v_mul_f32_e32 v7, v6, v30
	v_fma_f32 v19, -v29, v7, v6
	v_fmac_f32_e32 v7, v19, v30
	v_fma_f32 v6, -v29, v7, v6
	v_div_fmas_f32 v6, v6, v30, v7
	v_div_fixup_f32 v0, v6, v0, v28
	v_cvt_f32_f16_e32 v6, v2
	v_pk_mul_f32 v[0:1], v[26:27], v[0:1]
	v_cvt_f32_f16_e32 v26, v3
	v_cvt_f16_f32_e32 v19, v0
	v_mul_f32_e32 v0, 0xbfb8aa3b, v6
	v_cvt_f16_f32_e32 v7, v1
	v_rndne_f32_e32 v1, v0
	v_sub_f32_e32 v24, v0, v1
	v_fma_mix_f32 v0, v2, s74, -v0 op_sel_hi:[1,0,0]
	v_cvt_i32_f32_e32 v1, v1
	v_fma_mix_f32 v0, v2, s75, v0 op_sel_hi:[1,0,0]
	v_cmp_nlt_f32_e32 vcc, s97, v6
	v_add_f32_e32 v0, v24, v0
	v_exp_f32_e32 v0, v0
	v_cvt_f32_f16_sdwa v24, v2 dst_sel:DWORD dst_unused:UNUSED_PAD src0_sel:WORD_1
	v_cvt_f16_f32_e32 v5, v5
	v_cvt_f16_f32_e32 v4, v4
	v_ldexp_f32 v0, v0, v1
	v_mul_f32_e32 v1, 0xbfb8aa3b, v24
	v_rndne_f32_e32 v27, v1
	v_sub_f32_e32 v28, v1, v27
	v_fma_mix_f32 v1, v2, s74, -v1 op_sel:[1,0,0] op_sel_hi:[1,0,0]
	v_cndmask_b32_e32 v0, 0, v0, vcc
	v_fma_mix_f32 v1, v2, s75, v1 op_sel:[1,0,0] op_sel_hi:[1,0,0]
	v_cvt_i32_f32_e32 v2, v27
	v_add_f32_e32 v1, v28, v1
	v_exp_f32_e32 v1, v1
	v_cmp_ngt_f32_e32 vcc, s93, v6
	v_ldexp_f32 v1, v1, v2
	v_mul_f32_e32 v2, 0xbfb8aa3b, v26
	v_rndne_f32_e32 v27, v2
	v_sub_f32_e32 v28, v2, v27
	v_fma_mix_f32 v2, v3, s74, -v2 op_sel_hi:[1,0,0]
	v_cvt_i32_f32_e32 v27, v27
	v_fma_mix_f32 v2, v3, s75, v2 op_sel_hi:[1,0,0]
	v_cndmask_b32_e32 v0, v72, v0, vcc
	v_add_f32_e32 v2, v28, v2
	v_exp_f32_e32 v2, v2
	v_cmp_nlt_f32_e32 vcc, s97, v24
	v_ldexp_f32 v2, v2, v27
	v_mul_f32_e32 v27, 0xbfb8aa3b, v25
	v_rndne_f32_e32 v28, v27
	v_sub_f32_e32 v29, v27, v28
	v_fma_mix_f32 v27, v3, s74, -v27 op_sel:[1,0,0] op_sel_hi:[1,0,0]
	v_cndmask_b32_e32 v1, 0, v1, vcc
	v_fma_mix_f32 v3, v3, s75, v27 op_sel:[1,0,0] op_sel_hi:[1,0,0]
	v_cvt_i32_f32_e32 v27, v28
	v_add_f32_e32 v3, v29, v3
	v_exp_f32_e32 v3, v3
	v_cmp_ngt_f32_e32 vcc, s93, v24
	v_ldexp_f32 v3, v3, v27
	s_nop 0
	v_cndmask_b32_e32 v1, v72, v1, vcc
	v_pk_add_f32 v[0:1], v[0:1], 1.0 op_sel_hi:[1,0]
	v_cmp_nlt_f32_e32 vcc, s97, v26
	v_div_scale_f32 v27, s[36:37], v1, v1, v24
	v_rcp_f32_e32 v28, v27
	v_cndmask_b32_e32 v2, 0, v2, vcc
	v_cmp_ngt_f32_e32 vcc, s93, v26
	v_fma_f32 v29, -v27, v28, 1.0
	s_nop 0
	v_cndmask_b32_e32 v2, v72, v2, vcc
	v_cmp_nlt_f32_e32 vcc, s97, v25
	v_fmac_f32_e32 v28, v29, v28
	s_nop 0
	v_cndmask_b32_e32 v3, 0, v3, vcc
	v_cmp_ngt_f32_e32 vcc, s93, v25
	s_nop 1
	v_cndmask_b32_e32 v3, v72, v3, vcc
	v_div_scale_f32 v29, vcc, v24, v1, v24
	v_mul_f32_e32 v30, v29, v28
	v_fma_f32 v31, -v27, v30, v29
	v_fmac_f32_e32 v30, v31, v28
	v_fma_f32 v27, -v27, v30, v29
	v_div_scale_f32 v29, s[36:37], v0, v0, v6
	v_rcp_f32_e32 v31, v29
	v_div_fmas_f32 v27, v27, v28, v30
	v_div_fixup_f32 v1, v27, v1, v24
	v_pk_add_f32 v[2:3], v[2:3], 1.0 op_sel_hi:[1,0]
	v_fma_f32 v24, -v29, v31, 1.0
	v_fmac_f32_e32 v31, v24, v31
	v_div_scale_f32 v24, vcc, v6, v0, v6
	v_mul_f32_e32 v27, v24, v31
	v_fma_f32 v28, -v29, v27, v24
	v_fmac_f32_e32 v27, v28, v31
	v_div_scale_f32 v28, s[36:37], v3, v3, v25
	v_fma_f32 v24, -v29, v27, v24
	v_rcp_f32_e32 v29, v28
	v_div_fmas_f32 v24, v24, v31, v27
	v_div_fixup_f32 v0, v24, v0, v6
	v_pk_mul_f32 v[0:1], v[20:21], v[0:1]
	v_fma_f32 v6, -v28, v29, 1.0
	v_fmac_f32_e32 v29, v6, v29
	v_div_scale_f32 v6, vcc, v25, v3, v25
	v_mul_f32_e32 v24, v6, v29
	v_fma_f32 v27, -v28, v24, v6
	v_fmac_f32_e32 v24, v27, v29
	v_div_scale_f32 v27, s[36:37], v2, v2, v26
	v_fma_f32 v6, -v28, v24, v6
	v_rcp_f32_e32 v28, v27
	v_div_fmas_f32 v6, v6, v29, v24
	v_div_fixup_f32 v3, v6, v3, v25
	v_cvt_f16_f32_e32 v1, v1
	v_fma_f32 v6, -v27, v28, 1.0
	v_fmac_f32_e32 v28, v6, v28
	v_div_scale_f32 v6, vcc, v26, v2, v26
	v_mul_f32_e32 v24, v6, v28
	v_fma_f32 v25, -v27, v24, v6
	v_fmac_f32_e32 v24, v25, v28
	v_fma_f32 v6, -v27, v24, v6
	v_div_fmas_f32 v6, v6, v28, v24
	v_div_fixup_f32 v2, v6, v2, v26
	v_pk_mul_f32 v[2:3], v[22:23], v[2:3]
	v_cvt_f16_f32_e32 v0, v0
	v_cvt_f16_f32_e32 v3, v3
	;; [unrolled: 1-line block ×3, first 2 shown]
	v_pack_b32_f16 v3, v2, v3
	v_pack_b32_f16 v2, v0, v1
	;; [unrolled: 1-line block ×4, first 2 shown]
	ds_write_b128 v55, v[0:3]
	; wave barrier
	ds_read_u16 v19, v48 offset:128
	ds_read_u16 v7, v49 offset:256
	;; [unrolled: 1-line block ×7, first 2 shown]
	v_lshl_add_u64 v[0:1], s[66:67], 1, v[16:17]
	s_and_saveexec_b64 s[36:37], s[18:19]
	s_cbranch_execnz .LBB104_160
; %bb.144:                              ;   in Loop: Header=BB104_11 Depth=1
	s_or_b64 exec, exec, s[36:37]
	s_and_saveexec_b64 s[18:19], s[20:21]
	s_cbranch_execnz .LBB104_161
.LBB104_145:                            ;   in Loop: Header=BB104_11 Depth=1
	s_or_b64 exec, exec, s[18:19]
	s_and_saveexec_b64 s[18:19], s[22:23]
	s_cbranch_execnz .LBB104_162
.LBB104_146:                            ;   in Loop: Header=BB104_11 Depth=1
	s_or_b64 exec, exec, s[18:19]
	s_and_saveexec_b64 s[18:19], s[24:25]
	s_cbranch_execnz .LBB104_163
.LBB104_147:                            ;   in Loop: Header=BB104_11 Depth=1
	s_or_b64 exec, exec, s[18:19]
	s_and_saveexec_b64 s[18:19], s[26:27]
	s_cbranch_execnz .LBB104_164
.LBB104_148:                            ;   in Loop: Header=BB104_11 Depth=1
	s_or_b64 exec, exec, s[18:19]
	s_and_saveexec_b64 s[18:19], s[28:29]
	s_cbranch_execnz .LBB104_165
.LBB104_149:                            ;   in Loop: Header=BB104_11 Depth=1
	s_or_b64 exec, exec, s[18:19]
	s_and_saveexec_b64 s[18:19], s[30:31]
	s_cbranch_execnz .LBB104_166
.LBB104_150:                            ;   in Loop: Header=BB104_11 Depth=1
	s_or_b64 exec, exec, s[18:19]
	s_and_saveexec_b64 s[18:19], s[34:35]
	s_cbranch_execz .LBB104_10
	s_branch .LBB104_167
.LBB104_151:                            ;   in Loop: Header=BB104_11 Depth=1
	global_load_ushort v23, v[4:5], off offset:640
	s_or_b64 exec, exec, s[36:37]
	s_and_saveexec_b64 s[36:37], s[30:31]
	s_cbranch_execz .LBB104_39
.LBB104_152:                            ;   in Loop: Header=BB104_11 Depth=1
	global_load_ushort v22, v[4:5], off offset:768
	s_or_b64 exec, exec, s[36:37]
	v_mov_b32_e32 v24, 0
	s_and_saveexec_b64 s[36:37], s[34:35]
	s_cbranch_execnz .LBB104_40
	s_branch .LBB104_41
.LBB104_153:                            ;   in Loop: Header=BB104_11 Depth=1
	ds_read_u16 v28, v47
	s_waitcnt lgkmcnt(0)
	global_store_short v[0:1], v28, off
	s_or_b64 exec, exec, s[36:37]
	s_and_saveexec_b64 s[36:37], s[20:21]
	s_cbranch_execz .LBB104_120
.LBB104_154:                            ;   in Loop: Header=BB104_11 Depth=1
	s_waitcnt lgkmcnt(6)
	global_store_short v[0:1], v19, off offset:128
	s_or_b64 exec, exec, s[36:37]
	s_and_saveexec_b64 s[36:37], s[22:23]
	s_cbranch_execz .LBB104_121
.LBB104_155:                            ;   in Loop: Header=BB104_11 Depth=1
	s_waitcnt lgkmcnt(5)
	global_store_short v[0:1], v7, off offset:256
	s_or_b64 exec, exec, s[36:37]
	s_and_saveexec_b64 s[36:37], s[24:25]
	s_cbranch_execz .LBB104_122
.LBB104_156:                            ;   in Loop: Header=BB104_11 Depth=1
	s_waitcnt lgkmcnt(4)
	global_store_short v[0:1], v6, off offset:384
	s_or_b64 exec, exec, s[36:37]
	s_and_saveexec_b64 s[36:37], s[26:27]
	s_cbranch_execz .LBB104_123
.LBB104_157:                            ;   in Loop: Header=BB104_11 Depth=1
	s_waitcnt lgkmcnt(3)
	global_store_short v[0:1], v5, off offset:512
	s_or_b64 exec, exec, s[36:37]
	s_and_saveexec_b64 s[36:37], s[28:29]
	s_cbranch_execz .LBB104_124
.LBB104_158:                            ;   in Loop: Header=BB104_11 Depth=1
	s_waitcnt lgkmcnt(2)
	global_store_short v[0:1], v4, off offset:640
	s_or_b64 exec, exec, s[36:37]
	s_and_saveexec_b64 s[36:37], s[30:31]
	s_cbranch_execz .LBB104_125
.LBB104_159:                            ;   in Loop: Header=BB104_11 Depth=1
	s_waitcnt lgkmcnt(1)
	global_store_short v[0:1], v3, off offset:768
	s_or_b64 exec, exec, s[36:37]
	s_and_saveexec_b64 s[36:37], s[34:35]
	s_cbranch_execnz .LBB104_126
	s_branch .LBB104_127
.LBB104_160:                            ;   in Loop: Header=BB104_11 Depth=1
	ds_read_u16 v20, v47
	s_waitcnt lgkmcnt(0)
	global_store_short v[0:1], v20, off
	s_or_b64 exec, exec, s[36:37]
	s_and_saveexec_b64 s[18:19], s[20:21]
	s_cbranch_execz .LBB104_145
.LBB104_161:                            ;   in Loop: Header=BB104_11 Depth=1
	s_waitcnt lgkmcnt(6)
	global_store_short v[0:1], v19, off offset:128
	s_or_b64 exec, exec, s[18:19]
	s_and_saveexec_b64 s[18:19], s[22:23]
	s_cbranch_execz .LBB104_146
.LBB104_162:                            ;   in Loop: Header=BB104_11 Depth=1
	s_waitcnt lgkmcnt(5)
	global_store_short v[0:1], v7, off offset:256
	s_or_b64 exec, exec, s[18:19]
	s_and_saveexec_b64 s[18:19], s[24:25]
	s_cbranch_execz .LBB104_147
.LBB104_163:                            ;   in Loop: Header=BB104_11 Depth=1
	s_waitcnt lgkmcnt(4)
	global_store_short v[0:1], v6, off offset:384
	s_or_b64 exec, exec, s[18:19]
	s_and_saveexec_b64 s[18:19], s[26:27]
	s_cbranch_execz .LBB104_148
.LBB104_164:                            ;   in Loop: Header=BB104_11 Depth=1
	s_waitcnt lgkmcnt(3)
	global_store_short v[0:1], v5, off offset:512
	s_or_b64 exec, exec, s[18:19]
	s_and_saveexec_b64 s[18:19], s[28:29]
	s_cbranch_execz .LBB104_149
.LBB104_165:                            ;   in Loop: Header=BB104_11 Depth=1
	s_waitcnt lgkmcnt(2)
	global_store_short v[0:1], v4, off offset:640
	s_or_b64 exec, exec, s[18:19]
	s_and_saveexec_b64 s[18:19], s[30:31]
	s_cbranch_execz .LBB104_150
.LBB104_166:                            ;   in Loop: Header=BB104_11 Depth=1
	s_waitcnt lgkmcnt(1)
	global_store_short v[0:1], v3, off offset:768
	s_or_b64 exec, exec, s[18:19]
	s_and_saveexec_b64 s[18:19], s[34:35]
	s_cbranch_execz .LBB104_10
.LBB104_167:                            ;   in Loop: Header=BB104_11 Depth=1
	s_waitcnt lgkmcnt(0)
	global_store_short v[0:1], v2, off offset:896
	s_branch .LBB104_10
.LBB104_168:
	s_endpgm
.LBB104_169:
	s_mov_b64 s[68:69], 0
	s_load_dwordx2 s[6:7], s[0:1], 0x20
	s_cmp_eq_u64 s[4:5], 0
	s_cbranch_scc0 .LBB104_2
	s_branch .LBB104_3
	.section	.rodata,"a",@progbits
	.p2align	6, 0x0
	.amdhsa_kernel _Z25selective_scan_fwd_kernelI32Selective_Scan_fwd_kernel_traitsILi64ELi8ELi1ELb1ELb1ELb1ELb1ELb1EN3c104HalfEffEEv13SSMParamsBase
		.amdhsa_group_segment_fixed_size 0
		.amdhsa_private_segment_fixed_size 0
		.amdhsa_kernarg_size 248
		.amdhsa_user_sgpr_count 2
		.amdhsa_user_sgpr_dispatch_ptr 0
		.amdhsa_user_sgpr_queue_ptr 0
		.amdhsa_user_sgpr_kernarg_segment_ptr 1
		.amdhsa_user_sgpr_dispatch_id 0
		.amdhsa_user_sgpr_kernarg_preload_length 0
		.amdhsa_user_sgpr_kernarg_preload_offset 0
		.amdhsa_user_sgpr_private_segment_size 0
		.amdhsa_uses_dynamic_stack 0
		.amdhsa_enable_private_segment 0
		.amdhsa_system_sgpr_workgroup_id_x 1
		.amdhsa_system_sgpr_workgroup_id_y 1
		.amdhsa_system_sgpr_workgroup_id_z 0
		.amdhsa_system_sgpr_workgroup_info 0
		.amdhsa_system_vgpr_workitem_id 0
		.amdhsa_next_free_vgpr 96
		.amdhsa_next_free_sgpr 100
		.amdhsa_accum_offset 96
		.amdhsa_reserve_vcc 1
		.amdhsa_float_round_mode_32 0
		.amdhsa_float_round_mode_16_64 0
		.amdhsa_float_denorm_mode_32 3
		.amdhsa_float_denorm_mode_16_64 3
		.amdhsa_dx10_clamp 1
		.amdhsa_ieee_mode 1
		.amdhsa_fp16_overflow 0
		.amdhsa_tg_split 0
		.amdhsa_exception_fp_ieee_invalid_op 0
		.amdhsa_exception_fp_denorm_src 0
		.amdhsa_exception_fp_ieee_div_zero 0
		.amdhsa_exception_fp_ieee_overflow 0
		.amdhsa_exception_fp_ieee_underflow 0
		.amdhsa_exception_fp_ieee_inexact 0
		.amdhsa_exception_int_div_zero 0
	.end_amdhsa_kernel
	.section	.text._Z25selective_scan_fwd_kernelI32Selective_Scan_fwd_kernel_traitsILi64ELi8ELi1ELb1ELb1ELb1ELb1ELb1EN3c104HalfEffEEv13SSMParamsBase,"axG",@progbits,_Z25selective_scan_fwd_kernelI32Selective_Scan_fwd_kernel_traitsILi64ELi8ELi1ELb1ELb1ELb1ELb1ELb1EN3c104HalfEffEEv13SSMParamsBase,comdat
.Lfunc_end104:
	.size	_Z25selective_scan_fwd_kernelI32Selective_Scan_fwd_kernel_traitsILi64ELi8ELi1ELb1ELb1ELb1ELb1ELb1EN3c104HalfEffEEv13SSMParamsBase, .Lfunc_end104-_Z25selective_scan_fwd_kernelI32Selective_Scan_fwd_kernel_traitsILi64ELi8ELi1ELb1ELb1ELb1ELb1ELb1EN3c104HalfEffEEv13SSMParamsBase
                                        ; -- End function
	.section	.AMDGPU.csdata,"",@progbits
; Kernel info:
; codeLenInByte = 12616
; NumSgprs: 106
; NumVgprs: 96
; NumAgprs: 0
; TotalNumVgprs: 96
; ScratchSize: 0
; MemoryBound: 0
; FloatMode: 240
; IeeeMode: 1
; LDSByteSize: 0 bytes/workgroup (compile time only)
; SGPRBlocks: 13
; VGPRBlocks: 11
; NumSGPRsForWavesPerEU: 106
; NumVGPRsForWavesPerEU: 96
; AccumOffset: 96
; Occupancy: 5
; WaveLimiterHint : 1
; COMPUTE_PGM_RSRC2:SCRATCH_EN: 0
; COMPUTE_PGM_RSRC2:USER_SGPR: 2
; COMPUTE_PGM_RSRC2:TRAP_HANDLER: 0
; COMPUTE_PGM_RSRC2:TGID_X_EN: 1
; COMPUTE_PGM_RSRC2:TGID_Y_EN: 1
; COMPUTE_PGM_RSRC2:TGID_Z_EN: 0
; COMPUTE_PGM_RSRC2:TIDIG_COMP_CNT: 0
; COMPUTE_PGM_RSRC3_GFX90A:ACCUM_OFFSET: 23
; COMPUTE_PGM_RSRC3_GFX90A:TG_SPLIT: 0
	.section	.text._Z25selective_scan_fwd_kernelI32Selective_Scan_fwd_kernel_traitsILi64ELi8ELi1ELb1ELb1ELb1ELb1ELb0EN3c104HalfEffEEv13SSMParamsBase,"axG",@progbits,_Z25selective_scan_fwd_kernelI32Selective_Scan_fwd_kernel_traitsILi64ELi8ELi1ELb1ELb1ELb1ELb1ELb0EN3c104HalfEffEEv13SSMParamsBase,comdat
	.protected	_Z25selective_scan_fwd_kernelI32Selective_Scan_fwd_kernel_traitsILi64ELi8ELi1ELb1ELb1ELb1ELb1ELb0EN3c104HalfEffEEv13SSMParamsBase ; -- Begin function _Z25selective_scan_fwd_kernelI32Selective_Scan_fwd_kernel_traitsILi64ELi8ELi1ELb1ELb1ELb1ELb1ELb0EN3c104HalfEffEEv13SSMParamsBase
	.globl	_Z25selective_scan_fwd_kernelI32Selective_Scan_fwd_kernel_traitsILi64ELi8ELi1ELb1ELb1ELb1ELb1ELb0EN3c104HalfEffEEv13SSMParamsBase
	.p2align	8
	.type	_Z25selective_scan_fwd_kernelI32Selective_Scan_fwd_kernel_traitsILi64ELi8ELi1ELb1ELb1ELb1ELb1ELb0EN3c104HalfEffEEv13SSMParamsBase,@function
_Z25selective_scan_fwd_kernelI32Selective_Scan_fwd_kernel_traitsILi64ELi8ELi1ELb1ELb1ELb1ELb1ELb0EN3c104HalfEffEEv13SSMParamsBase: ; @_Z25selective_scan_fwd_kernelI32Selective_Scan_fwd_kernel_traitsILi64ELi8ELi1ELb1ELb1ELb1ELb1ELb0EN3c104HalfEffEEv13SSMParamsBase
; %bb.0:
	s_load_dword s35, s[0:1], 0x18
	s_load_dwordx4 s[4:7], s[0:1], 0xe8
	s_mov_b32 s28, s3
	s_waitcnt lgkmcnt(0)
	s_abs_i32 s34, s35
	v_cvt_f32_u32_e32 v1, s34
	s_cmp_eq_u64 s[6:7], 0
	v_rcp_iflag_f32_e32 v1, v1
	s_nop 0
	v_mul_f32_e32 v1, 0x4f7ffffe, v1
	v_cvt_u32_f32_e32 v1, v1
	s_nop 0
	v_readfirstlane_b32 s20, v1
	s_cbranch_scc1 .LBB105_3
; %bb.1:
	s_ashr_i32 s3, s2, 31
	s_add_u32 s6, s6, s2
	s_addc_u32 s7, s7, s3
	v_mov_b32_e32 v1, 0
	global_load_ubyte v1, v1, s[6:7]
	s_waitcnt vmcnt(0)
	v_and_b32_e32 v1, 1, v1
	v_cmp_eq_u32_e64 s[38:39], 1, v1
	s_load_dwordx2 s[6:7], s[0:1], 0x20
	s_cmp_eq_u64 s[4:5], 0
	s_cbranch_scc1 .LBB105_4
.LBB105_2:
	s_ashr_i32 s3, s2, 31
	s_lshl_b64 s[8:9], s[2:3], 2
	s_add_u32 s4, s4, s8
	s_addc_u32 s5, s5, s9
	s_load_dword s30, s[4:5], 0x0
	s_waitcnt lgkmcnt(0)
	s_ashr_i32 s31, s30, 31
	s_cmp_eq_u64 s[6:7], s[30:31]
	s_cbranch_scc0 .LBB105_5
	s_branch .LBB105_60
.LBB105_3:
	s_mov_b64 s[38:39], 0
	s_load_dwordx2 s[6:7], s[0:1], 0x20
	s_cmp_eq_u64 s[4:5], 0
	s_cbranch_scc0 .LBB105_2
.LBB105_4:
	s_mov_b32 s30, s2
	s_ashr_i32 s31, s30, 31
	s_waitcnt lgkmcnt(0)
	s_cmp_eq_u64 s[6:7], s[30:31]
	s_cbranch_scc1 .LBB105_60
.LBB105_5:
	s_load_dwordx16 s[4:19], s[0:1], 0x88
	s_load_dwordx2 s[56:57], s[0:1], 0x8
	s_mov_b32 s33, 0
	s_mov_b32 s78, 0
	s_waitcnt lgkmcnt(0)
	s_cmp_eq_u64 s[10:11], 0
	s_cbranch_scc1 .LBB105_7
; %bb.6:
	s_ashr_i32 s29, s28, 31
	s_lshl_b64 s[22:23], s[28:29], 2
	s_add_u32 s10, s10, s22
	s_addc_u32 s11, s11, s23
	s_load_dword s78, s[10:11], 0x0
.LBB105_7:
	s_cmp_eq_u64 s[16:17], 0
	s_cbranch_scc1 .LBB105_9
; %bb.8:
	s_ashr_i32 s29, s28, 31
	s_lshl_b64 s[10:11], s[28:29], 2
	s_add_u32 s10, s16, s10
	s_addc_u32 s11, s17, s11
	s_load_dword s33, s[10:11], 0x0
.LBB105_9:
	s_cmp_lt_i32 s56, 1
	s_cbranch_scc1 .LBB105_60
; %bb.10:
	s_sub_i32 s3, 0, s34
	s_mul_i32 s3, s3, s20
	s_mul_hi_u32 s3, s20, s3
	s_abs_i32 s29, s28
	s_add_i32 s3, s20, s3
	s_load_dwordx8 s[40:47], s[0:1], 0x2c
	s_load_dwordx2 s[16:17], s[0:1], 0x7c
	s_load_dwordx4 s[24:27], s[0:1], 0x6c
	s_load_dwordx8 s[48:55], s[0:1], 0x4c
	s_load_dwordx2 s[10:11], s[0:1], 0xd8
	s_load_dwordx4 s[20:23], s[0:1], 0xc8
	s_load_dword s79, s[0:1], 0x84
	s_mul_hi_u32 s3, s29, s3
	s_load_dword s31, s[0:1], 0x28
	s_ashr_i32 s0, s28, 31
	s_ashr_i32 s1, s35, 31
	s_xor_b32 s0, s0, s1
	s_mul_i32 s1, s3, s34
	s_sub_i32 s1, s29, s1
	s_add_i32 s29, s3, 1
	s_sub_i32 s35, s1, s34
	s_cmp_ge_u32 s1, s34
	s_cselect_b32 s3, s29, s3
	s_cselect_b32 s1, s35, s1
	s_add_i32 s29, s3, 1
	s_cmp_ge_u32 s1, s34
	s_cselect_b32 s1, s29, s3
	s_xor_b32 s1, s1, s0
	s_waitcnt lgkmcnt(0)
	s_mul_i32 s58, s50, s2
	s_mov_b32 s59, 0
	s_sub_i32 s3, s1, s0
	s_lshl_b64 s[0:1], s[58:59], 1
	s_add_u32 s12, s12, s0
	s_mul_i32 s58, s51, s28
	s_addc_u32 s13, s13, s1
	s_lshl_b64 s[0:1], s[58:59], 1
	s_add_u32 s50, s12, s0
	s_mul_i32 s58, s52, s2
	s_addc_u32 s51, s13, s1
	;; [unrolled: 4-line block ×10, first 2 shown]
	s_lshl_b64 s[0:1], s[58:59], 2
	s_add_u32 s45, s3, s0
	s_addc_u32 s49, s4, s1
	s_add_i32 s0, s56, 0x7ff
	s_lshr_b32 s81, s0, 11
	s_bitcmp1_b32 s31, 0
	s_cselect_b64 s[60:61], -1, 0
	s_cmp_gt_i32 s57, 0
	s_cselect_b64 s[62:63], -1, 0
	s_and_b32 s3, s56, 0x1ff
	s_cmp_eq_u32 s3, 0
	s_mul_i32 s58, s24, s2
	s_cselect_b64 s[64:65], -1, 0
	s_add_i32 s82, s81, -1
	s_lshl_b64 s[4:5], s[58:59], 1
	s_add_u32 s3, s18, s4
	s_mul_i32 s58, s25, s28
	s_addc_u32 s8, s19, s5
	s_lshl_b64 s[6:7], s[58:59], 1
	s_add_u32 s6, s3, s6
	v_mov_b32_e32 v21, 0
	s_addc_u32 s7, s8, s7
	v_lshlrev_b32_e32 v20, 4, v0
	s_mul_i32 s58, s26, s2
	v_lshl_add_u64 v[22:23], s[6:7], 0, v[20:21]
	s_lshl_b64 s[6:7], s[58:59], 1
	s_add_u32 s3, s10, s6
	s_mul_i32 s58, s27, s28
	s_addc_u32 s8, s11, s7
	s_lshl_b64 s[6:7], s[58:59], 1
	s_add_u32 s6, s3, s6
	s_mul_i32 s58, s54, s2
	s_addc_u32 s7, s8, s7
	;; [unrolled: 4-line block ×3, first 2 shown]
	s_lshl_b64 s[2:3], s[58:59], 1
	s_add_u32 s2, s8, s2
	s_addc_u32 s3, s9, s3
	v_cmp_gt_u32_e64 s[0:1], 64, v0
	v_lshlrev_b32_e32 v50, 3, v0
	v_cmp_eq_u32_e64 s[36:37], 63, v0
	v_cmp_eq_u32_e64 s[4:5], 0, v0
	v_lshl_add_u64 v[24:25], s[2:3], 0, v[20:21]
	v_lshl_add_u64 v[26:27], s[6:7], 0, v[20:21]
	v_lshlrev_b32_e32 v20, 4, v0
	v_mbcnt_lo_u32_b32 v0, -1, 0
	v_or_b32_e32 v53, 3, v50
	v_or_b32_e32 v54, 4, v50
	;; [unrolled: 1-line block ×5, first 2 shown]
	s_mov_b32 s83, 0x41a00000
	s_mov_b32 s84, 0x3fb8aa3b
	;; [unrolled: 1-line block ×6, first 2 shown]
	v_mov_b32_e32 v58, 0x3ecc95a3
	s_mov_b32 s89, 0x3f317218
	s_mov_b32 s90, 0x33800000
	s_add_i32 s91, 0, 0x848
	s_mov_b32 s92, 0xc2fc0000
	s_mov_b32 s93, 0xbfb8aa3b
	;; [unrolled: 1-line block ×5, first 2 shown]
	v_mov_b32_e32 v59, 0x7f800000
	v_mov_b32_e32 v28, 0x3f317218
	v_mbcnt_hi_u32_b32 v60, -1, v0
	v_mov_b32_e32 v61, 0x42800000
	v_mov_b32_e32 v62, 0x1f800000
	s_mov_b32 s97, 0
                                        ; implicit-def: $vgpr1
                                        ; implicit-def: $vgpr68
                                        ; implicit-def: $vgpr7
                                        ; implicit-def: $vgpr67
                                        ; implicit-def: $vgpr65
                                        ; implicit-def: $vgpr64
                                        ; implicit-def: $vgpr0
                                        ; implicit-def: $vgpr63
                                        ; implicit-def: $vgpr66
                                        ; implicit-def: $vgpr69
                                        ; implicit-def: $vgpr70
                                        ; implicit-def: $vgpr8_vgpr9
	s_branch .LBB105_12
.LBB105_11:                             ;   in Loop: Header=BB105_12 Depth=1
	s_or_b64 exec, exec, s[6:7]
	s_waitcnt vmcnt(0)
	v_cvt_f32_f16_e32 v43, v8
	v_cvt_f32_f16_sdwa v40, v8 dst_sel:DWORD dst_unused:UNUSED_PAD src0_sel:WORD_1
	v_cvt_f32_f16_e32 v42, v9
	v_cvt_f32_f16_sdwa v39, v9 dst_sel:DWORD dst_unused:UNUSED_PAD src0_sel:WORD_1
	v_mul_f32_e32 v12, 0xbfb8aa3b, v43
	v_rndne_f32_e32 v13, v12
	v_sub_f32_e32 v14, v12, v13
	v_fma_mix_f32 v12, v8, s93, -v12 op_sel_hi:[1,0,0]
	v_cvt_i32_f32_e32 v15, v13
	v_fma_mix_f32 v12, v8, s94, v12 op_sel_hi:[1,0,0]
	v_cmp_nlt_f32_e32 vcc, s95, v43
	v_add_f32_e32 v12, v14, v12
	v_exp_f32_e32 v14, v12
	v_lshl_add_u64 v[12:13], s[2:3], 1, v[26:27]
	v_cvt_f32_f16_e32 v29, v10
	v_cvt_f32_f16_sdwa v38, v10 dst_sel:DWORD dst_unused:UNUSED_PAD src0_sel:WORD_1
	v_ldexp_f32 v14, v14, v15
	v_mul_f32_e32 v15, 0xbfb8aa3b, v40
	v_rndne_f32_e32 v16, v15
	v_sub_f32_e32 v17, v15, v16
	v_fma_mix_f32 v15, v8, s93, -v15 op_sel:[1,0,0] op_sel_hi:[1,0,0]
	v_cvt_i32_f32_e32 v16, v16
	v_fma_mix_f32 v15, v8, s94, v15 op_sel:[1,0,0] op_sel_hi:[1,0,0]
	v_cndmask_b32_e32 v14, 0, v14, vcc
	v_add_f32_e32 v15, v17, v15
	v_exp_f32_e32 v15, v15
	v_cmp_ngt_f32_e32 vcc, s96, v43
	v_cvt_f32_f16_e32 v18, v11
	v_cvt_f32_f16_sdwa v19, v11 dst_sel:DWORD dst_unused:UNUSED_PAD src0_sel:WORD_1
	v_ldexp_f32 v15, v15, v16
	v_mul_f32_e32 v16, 0xbfb8aa3b, v42
	v_rndne_f32_e32 v17, v16
	v_sub_f32_e32 v41, v16, v17
	v_fma_mix_f32 v16, v9, s93, -v16 op_sel_hi:[1,0,0]
	v_cvt_i32_f32_e32 v17, v17
	v_fma_mix_f32 v16, v9, s94, v16 op_sel_hi:[1,0,0]
	v_cndmask_b32_e32 v14, v59, v14, vcc
	v_add_f32_e32 v16, v41, v16
	v_exp_f32_e32 v16, v16
	v_cmp_nlt_f32_e32 vcc, s95, v40
	s_add_u32 s52, s52, 0x400
	s_addc_u32 s53, s53, 0
	v_ldexp_f32 v16, v16, v17
	v_mul_f32_e32 v17, 0xbfb8aa3b, v39
	v_rndne_f32_e32 v41, v17
	v_sub_f32_e32 v44, v17, v41
	v_fma_mix_f32 v17, v9, s93, -v17 op_sel:[1,0,0] op_sel_hi:[1,0,0]
	v_cvt_i32_f32_e32 v41, v41
	v_fma_mix_f32 v17, v9, s94, v17 op_sel:[1,0,0] op_sel_hi:[1,0,0]
	v_cndmask_b32_e32 v15, 0, v15, vcc
	v_add_f32_e32 v17, v44, v17
	v_exp_f32_e32 v17, v17
	v_cmp_ngt_f32_e32 vcc, s96, v40
	s_add_u32 s50, s50, 0x400
	s_addc_u32 s51, s51, 0
	v_cndmask_b32_e32 v15, v59, v15, vcc
	v_pk_add_f32 v[14:15], v[14:15], 1.0 op_sel_hi:[1,0]
	v_ldexp_f32 v17, v17, v41
	v_div_scale_f32 v41, s[2:3], v15, v15, v40
	v_rcp_f32_e32 v44, v41
	v_cmp_nlt_f32_e32 vcc, s95, v42
	s_add_u32 s42, s42, 0x400
	s_addc_u32 s43, s43, 0
	v_cndmask_b32_e32 v16, 0, v16, vcc
	v_cmp_ngt_f32_e32 vcc, s96, v42
	v_fma_f32 v45, -v41, v44, 1.0
	v_fmac_f32_e32 v44, v45, v44
	v_cndmask_b32_e32 v16, v59, v16, vcc
	v_cmp_nlt_f32_e32 vcc, s95, v39
	s_add_u32 s46, s46, 0x400
	s_addc_u32 s47, s47, 0
	v_cndmask_b32_e32 v17, 0, v17, vcc
	v_cmp_ngt_f32_e32 vcc, s96, v39
	s_add_i32 s97, s97, 1
	s_cmp_eq_u32 s97, s81
	v_cndmask_b32_e32 v17, v59, v17, vcc
	v_div_scale_f32 v45, vcc, v40, v15, v40
	v_mul_f32_e32 v46, v45, v44
	v_fma_f32 v47, -v41, v46, v45
	v_fmac_f32_e32 v46, v47, v44
	v_fma_f32 v41, -v41, v46, v45
	v_div_scale_f32 v45, s[2:3], v14, v14, v43
	v_rcp_f32_e32 v47, v45
	v_div_fmas_f32 v41, v41, v44, v46
	v_div_fixup_f32 v41, v41, v15, v40
	v_pk_add_f32 v[16:17], v[16:17], 1.0 op_sel_hi:[1,0]
	v_fma_f32 v15, -v45, v47, 1.0
	v_fmac_f32_e32 v47, v15, v47
	v_div_scale_f32 v15, vcc, v43, v14, v43
	v_mul_f32_e32 v40, v15, v47
	v_fma_f32 v44, -v45, v40, v15
	v_fmac_f32_e32 v40, v44, v47
	v_div_scale_f32 v44, s[2:3], v17, v17, v39
	v_fma_f32 v15, -v45, v40, v15
	v_rcp_f32_e32 v45, v44
	v_div_fmas_f32 v15, v15, v47, v40
	v_div_fixup_f32 v40, v15, v14, v43
	v_fma_f32 v14, -v44, v45, 1.0
	v_fmac_f32_e32 v45, v14, v45
	v_div_scale_f32 v14, vcc, v39, v17, v39
	v_mul_f32_e32 v15, v14, v45
	v_fma_f32 v43, -v44, v15, v14
	v_fmac_f32_e32 v15, v43, v45
	v_div_scale_f32 v43, s[2:3], v16, v16, v42
	v_fma_f32 v14, -v44, v15, v14
	v_rcp_f32_e32 v44, v43
	v_div_fmas_f32 v14, v14, v45, v15
	v_div_fixup_f32 v15, v14, v17, v39
	; wave barrier
	v_fma_f32 v14, -v43, v44, 1.0
	v_fmac_f32_e32 v44, v14, v44
	v_div_scale_f32 v14, vcc, v42, v16, v42
	v_mul_f32_e32 v17, v14, v44
	v_fma_f32 v39, -v43, v17, v14
	v_fmac_f32_e32 v17, v39, v44
	v_fma_f32 v14, -v43, v17, v14
	v_div_fmas_f32 v14, v14, v44, v17
	v_div_fixup_f32 v14, v14, v16, v42
	v_mul_f32_e32 v16, 0xbfb8aa3b, v29
	v_rndne_f32_e32 v17, v16
	v_pk_mul_f32 v[14:15], v[36:37], v[14:15]
	v_sub_f32_e32 v36, v16, v17
	v_fma_mix_f32 v16, v10, s93, -v16 op_sel_hi:[1,0,0]
	v_cvt_i32_f32_e32 v37, v17
	v_fma_mix_f32 v16, v10, s94, v16 op_sel_hi:[1,0,0]
	v_cmp_nlt_f32_e32 vcc, s95, v29
	v_add_f32_e32 v16, v36, v16
	v_exp_f32_e32 v36, v16
	v_pk_mul_f32 v[16:17], v[34:35], v[40:41]
	v_mul_f32_e32 v34, 0xbfb8aa3b, v38
	v_rndne_f32_e32 v35, v34
	v_cvt_f16_f32_e32 v39, v17
	v_ldexp_f32 v17, v36, v37
	v_sub_f32_e32 v36, v34, v35
	v_fma_mix_f32 v34, v10, s93, -v34 op_sel:[1,0,0] op_sel_hi:[1,0,0]
	v_cvt_i32_f32_e32 v35, v35
	v_fma_mix_f32 v34, v10, s94, v34 op_sel:[1,0,0] op_sel_hi:[1,0,0]
	v_cndmask_b32_e32 v17, 0, v17, vcc
	v_add_f32_e32 v34, v36, v34
	v_exp_f32_e32 v36, v34
	v_cmp_ngt_f32_e32 vcc, s96, v29
	v_cvt_f16_f32_e32 v15, v15
	v_cvt_f16_f32_e32 v14, v14
	v_cndmask_b32_e32 v34, v59, v17, vcc
	v_ldexp_f32 v17, v36, v35
	v_mul_f32_e32 v35, 0xbfb8aa3b, v18
	v_rndne_f32_e32 v36, v35
	v_sub_f32_e32 v37, v35, v36
	v_fma_mix_f32 v35, v11, s93, -v35 op_sel_hi:[1,0,0]
	v_cvt_i32_f32_e32 v36, v36
	v_fma_mix_f32 v35, v11, s94, v35 op_sel_hi:[1,0,0]
	v_cmp_nlt_f32_e32 vcc, s95, v38
	v_add_f32_e32 v35, v37, v35
	v_exp_f32_e32 v37, v35
	v_cndmask_b32_e32 v17, 0, v17, vcc
	v_cmp_ngt_f32_e32 vcc, s96, v38
	v_pack_b32_f16 v15, v14, v15
	s_nop 0
	v_cndmask_b32_e32 v35, v59, v17, vcc
	v_ldexp_f32 v17, v37, v36
	v_mul_f32_e32 v36, 0xbfb8aa3b, v19
	v_rndne_f32_e32 v37, v36
	v_sub_f32_e32 v40, v36, v37
	v_fma_mix_f32 v36, v11, s93, -v36 op_sel:[1,0,0] op_sel_hi:[1,0,0]
	v_cvt_i32_f32_e32 v37, v37
	v_fma_mix_f32 v36, v11, s94, v36 op_sel:[1,0,0] op_sel_hi:[1,0,0]
	v_cmp_nlt_f32_e32 vcc, s95, v18
	v_add_f32_e32 v36, v40, v36
	v_exp_f32_e32 v40, v36
	v_cndmask_b32_e32 v17, 0, v17, vcc
	v_cmp_ngt_f32_e32 vcc, s96, v18
	v_pk_add_f32 v[34:35], v[34:35], 1.0 op_sel_hi:[1,0]
	s_nop 0
	v_cndmask_b32_e32 v36, v59, v17, vcc
	v_ldexp_f32 v17, v40, v37
	v_div_scale_f32 v40, s[2:3], v35, v35, v38
	v_rcp_f32_e32 v41, v40
	v_cmp_nlt_f32_e32 vcc, s95, v19
	s_nop 1
	v_cndmask_b32_e32 v17, 0, v17, vcc
	v_cmp_ngt_f32_e32 vcc, s96, v19
	s_nop 1
	v_cndmask_b32_e32 v37, v59, v17, vcc
	v_fma_f32 v17, -v40, v41, 1.0
	v_fmac_f32_e32 v41, v17, v41
	v_div_scale_f32 v17, vcc, v38, v35, v38
	v_mul_f32_e32 v42, v17, v41
	v_fma_f32 v43, -v40, v42, v17
	v_fmac_f32_e32 v42, v43, v41
	v_fma_f32 v17, -v40, v42, v17
	v_div_scale_f32 v40, s[2:3], v34, v34, v29
	v_rcp_f32_e32 v43, v40
	v_div_fmas_f32 v17, v17, v41, v42
	v_div_fixup_f32 v35, v17, v35, v38
	v_pk_add_f32 v[36:37], v[36:37], 1.0 op_sel_hi:[1,0]
	v_fma_f32 v17, -v40, v43, 1.0
	v_fmac_f32_e32 v43, v17, v43
	v_div_scale_f32 v17, vcc, v29, v34, v29
	v_mul_f32_e32 v38, v17, v43
	v_fma_f32 v41, -v40, v38, v17
	v_fmac_f32_e32 v38, v41, v43
	v_fma_f32 v17, -v40, v38, v17
	v_div_scale_f32 v40, s[2:3], v37, v37, v19
	v_rcp_f32_e32 v41, v40
	v_div_fmas_f32 v17, v17, v43, v38
	v_div_fixup_f32 v34, v17, v34, v29
	v_pk_mul_f32 v[30:31], v[30:31], v[34:35]
	v_fma_f32 v17, -v40, v41, 1.0
	v_fmac_f32_e32 v41, v17, v41
	v_div_scale_f32 v17, vcc, v19, v37, v19
	v_mul_f32_e32 v29, v17, v41
	v_fma_f32 v38, -v40, v29, v17
	v_fmac_f32_e32 v29, v38, v41
	v_div_scale_f32 v38, s[2:3], v36, v36, v18
	v_fma_f32 v17, -v40, v29, v17
	v_rcp_f32_e32 v40, v38
	v_div_fmas_f32 v17, v17, v41, v29
	v_div_fixup_f32 v19, v17, v37, v19
	v_fma_f32 v17, -v38, v40, 1.0
	v_fmac_f32_e32 v40, v17, v40
	v_div_scale_f32 v17, vcc, v18, v36, v18
	v_mul_f32_e32 v29, v17, v40
	v_fma_f32 v37, -v38, v29, v17
	v_fmac_f32_e32 v29, v37, v40
	v_fma_f32 v17, -v38, v29, v17
	v_div_fmas_f32 v17, v17, v40, v29
	v_div_fixup_f32 v18, v17, v36, v18
	v_pk_mul_f32 v[18:19], v[32:33], v[18:19]
	v_cvt_f16_f32_e32 v29, v31
	v_cvt_f16_f32_e32 v17, v19
	;; [unrolled: 1-line block ×5, first 2 shown]
	v_pack_b32_f16 v17, v18, v17
	v_pack_b32_f16 v16, v19, v29
	v_pack_b32_f16 v14, v30, v39
	global_store_dwordx4 v[12:13], v[14:17], off
	s_cbranch_scc1 .LBB105_60
.LBB105_12:                             ; =>This Loop Header: Depth=1
                                        ;     Child Loop BB105_33 Depth 2
	s_waitcnt lgkmcnt(0)
	; wave barrier
	s_and_saveexec_b64 s[2:3], s[0:1]
	s_cbranch_execz .LBB105_14
; %bb.13:                               ;   in Loop: Header=BB105_12 Depth=1
	global_load_dwordx4 v[0:3], v20, s[50:51]
	global_load_dwordx4 v[4:7], v20, s[52:53]
	s_waitcnt vmcnt(1)
	v_lshrrev_b32_e32 v63, 16, v0
	v_lshrrev_b32_e32 v66, 16, v1
	;; [unrolled: 1-line block ×4, first 2 shown]
	s_waitcnt vmcnt(0)
	v_lshrrev_b32_e32 v64, 16, v4
	v_lshrrev_b32_e32 v65, 16, v5
	v_lshrrev_b32_e32 v67, 16, v6
	v_lshrrev_b32_e32 v68, 16, v7
.LBB105_14:                             ;   in Loop: Header=BB105_12 Depth=1
	s_or_b64 exec, exec, s[2:3]
	v_cvt_f32_f16_e32 v12, v4
	v_add_f32_e32 v71, s33, v12
	v_cmp_ge_f32_e32 vcc, s83, v71
	s_and_b64 s[2:3], s[60:61], vcc
	s_and_saveexec_b64 s[6:7], s[2:3]
	s_cbranch_execz .LBB105_16
; %bb.15:                               ;   in Loop: Header=BB105_12 Depth=1
	v_mul_f32_e32 v12, 0x3fb8aa3b, v71
	v_rndne_f32_e32 v13, v12
	v_sub_f32_e32 v14, v12, v13
	v_fma_f32 v12, v71, s84, -v12
	v_fmac_f32_e32 v12, 0x32a5705f, v71
	v_add_f32_e32 v12, v14, v12
	v_cvt_i32_f32_e32 v13, v13
	v_exp_f32_e32 v12, v12
	v_cmp_ngt_f32_e32 vcc, s85, v71
	v_ldexp_f32 v12, v12, v13
	s_nop 0
	v_cndmask_b32_e32 v12, 0, v12, vcc
	v_cmp_nlt_f32_e32 vcc, s86, v71
	s_nop 1
	v_cndmask_b32_e32 v38, v59, v12, vcc
	v_add_f32_e32 v14, 1.0, v38
	v_add_f32_e32 v12, -1.0, v14
	v_sub_f32_e32 v13, v12, v14
	v_add_f32_e32 v13, 1.0, v13
	v_sub_f32_e32 v12, v38, v12
	v_add_f32_e32 v15, v12, v13
	v_frexp_mant_f32_e32 v16, v14
	v_cvt_f64_f32_e32 v[12:13], v14
	v_frexp_exp_i32_f64_e32 v12, v[12:13]
	v_cmp_gt_f32_e32 vcc, s88, v16
	v_cmp_gt_f32_e64 s[2:3], s90, v38
	s_nop 0
	v_subbrev_co_u32_e32 v30, vcc, 0, v12, vcc
	v_sub_u32_e32 v12, 0, v30
	v_ldexp_f32 v13, v14, v12
	v_add_f32_e32 v14, -1.0, v13
	v_add_f32_e32 v16, 1.0, v13
	v_ldexp_f32 v12, v15, v12
	v_add_f32_e32 v15, 1.0, v14
	v_add_f32_e32 v17, -1.0, v16
	v_sub_f32_e32 v15, v13, v15
	v_sub_f32_e32 v13, v13, v17
	v_add_f32_e32 v15, v12, v15
	v_add_f32_e32 v12, v12, v13
	;; [unrolled: 1-line block ×3, first 2 shown]
	v_rcp_f32_e32 v32, v29
	v_sub_f32_e32 v13, v16, v29
	v_add_f32_e32 v31, v12, v13
	v_add_f32_e32 v13, v14, v15
	v_mul_f32_e32 v34, v13, v32
	v_sub_f32_e32 v12, v14, v13
	v_mul_f32_e32 v14, v29, v34
	v_fma_f32 v16, v34, v29, -v14
	v_fmac_f32_e32 v16, v34, v31
	v_add_f32_e32 v33, v15, v12
	v_add_f32_e32 v12, v14, v16
	v_sub_f32_e32 v15, v13, v12
	v_pk_add_f32 v[18:19], v[12:13], v[14:15] neg_lo:[0,1] neg_hi:[0,1]
	v_mov_b32_e32 v17, v12
	v_pk_add_f32 v[12:13], v[18:19], v[16:17] neg_lo:[0,1] neg_hi:[0,1]
	v_cmp_eq_f32_e32 vcc, s87, v38
	v_add_f32_e32 v13, v33, v13
	v_add_f32_e32 v12, v12, v13
	;; [unrolled: 1-line block ×3, first 2 shown]
	v_mul_f32_e32 v33, v32, v13
	v_mul_f32_e32 v14, v29, v33
	v_fma_f32 v16, v33, v29, -v14
	v_fmac_f32_e32 v16, v33, v31
	v_sub_f32_e32 v15, v15, v13
	v_add_f32_e32 v29, v12, v15
	v_add_f32_e32 v12, v14, v16
	v_sub_f32_e32 v15, v13, v12
	v_pk_add_f32 v[18:19], v[12:13], v[14:15] neg_lo:[0,1] neg_hi:[0,1]
	v_mov_b32_e32 v17, v12
	v_pk_add_f32 v[12:13], v[18:19], v[16:17] neg_lo:[0,1] neg_hi:[0,1]
	s_or_b64 vcc, s[2:3], vcc
	v_add_f32_e32 v13, v29, v13
	v_add_f32_e32 v12, v12, v13
	;; [unrolled: 1-line block ×4, first 2 shown]
	v_sub_f32_e32 v14, v13, v34
	v_mul_f32_e32 v12, v32, v12
	v_sub_f32_e32 v14, v33, v14
	v_add_f32_e32 v14, v14, v12
	v_add_f32_e32 v16, v13, v14
	v_mul_f32_e32 v17, v16, v16
	v_fmamk_f32 v12, v17, 0x3e9b6dac, v58
	v_fmaak_f32 v29, v17, v12, 0x3f2aaada
	v_cvt_f32_i32_e32 v12, v30
	v_sub_f32_e32 v13, v16, v13
	v_sub_f32_e32 v13, v14, v13
	v_ldexp_f32 v18, v13, 1
	v_mul_f32_e32 v13, v16, v17
	v_ldexp_f32 v15, v16, 1
	v_pk_mul_f32 v[16:17], v[12:13], v[28:29]
	s_nop 0
	v_fma_f32 v14, v12, s89, -v16
	v_fmac_f32_e32 v14, 0xb102e308, v12
	v_pk_add_f32 v[12:13], v[16:17], v[14:15]
	s_nop 0
	v_sub_f32_e32 v15, v13, v15
	v_sub_f32_e32 v15, v17, v15
	v_add_f32_e32 v19, v18, v15
	v_mov_b32_e32 v18, v16
	v_pk_add_f32 v[16:17], v[12:13], v[16:17] neg_lo:[0,1] neg_hi:[0,1]
	v_pk_add_f32 v[30:31], v[12:13], v[18:19]
	v_mov_b32_e32 v15, v12
	v_mov_b32_e32 v17, v31
	v_pk_add_f32 v[32:33], v[14:15], v[16:17] neg_lo:[0,1] neg_hi:[0,1]
	v_pk_add_f32 v[14:15], v[14:15], v[16:17]
	v_mov_b32_e32 v18, v19
	v_mov_b32_e32 v16, v15
	v_pk_add_f32 v[34:35], v[16:17], v[12:13] neg_lo:[0,1] neg_hi:[0,1]
	v_mov_b32_e32 v14, v31
	v_mov_b32_e32 v17, v34
	v_pk_add_f32 v[36:37], v[30:31], v[16:17] neg_lo:[0,1] neg_hi:[0,1]
	v_mov_b32_e32 v30, v13
	v_mov_b32_e32 v31, v34
	;; [unrolled: 1-line block ×3, first 2 shown]
	v_pk_add_f32 v[14:15], v[14:15], v[30:31] neg_lo:[0,1] neg_hi:[0,1]
	v_mov_b32_e32 v19, v12
	v_pk_add_f32 v[12:13], v[18:19], v[14:15] neg_lo:[0,1] neg_hi:[0,1]
	v_mov_b32_e32 v36, v32
	v_pk_add_f32 v[14:15], v[36:37], v[12:13]
	s_nop 0
	v_mov_b32_e32 v18, v15
	v_pk_add_f32 v[18:19], v[14:15], v[18:19]
	s_nop 0
	v_pk_add_f32 v[16:17], v[16:17], v[18:19]
	v_mov_b32_e32 v13, v18
	v_mov_b32_e32 v15, v16
	v_pk_add_f32 v[30:31], v[14:15], v[32:33] neg_lo:[0,1] neg_hi:[0,1]
	s_nop 0
	v_sub_f32_e32 v14, v14, v30
	v_pk_add_f32 v[12:13], v[12:13], v[30:31] neg_lo:[0,1] neg_hi:[0,1]
	v_sub_f32_e32 v14, v32, v14
	v_add_f32_e32 v12, v12, v14
	v_add_f32_e32 v12, v12, v13
	v_add_f32_e32 v12, v16, v12
	v_cndmask_b32_e32 v71, v12, v38, vcc
.LBB105_16:                             ;   in Loop: Header=BB105_12 Depth=1
	s_or_b64 exec, exec, s[6:7]
	v_cvt_f32_f16_e32 v12, v64
	v_add_f32_e32 v72, s33, v12
	v_cmp_ge_f32_e32 vcc, s83, v72
	s_and_b64 s[2:3], s[60:61], vcc
	s_and_saveexec_b64 s[6:7], s[2:3]
	s_cbranch_execz .LBB105_18
; %bb.17:                               ;   in Loop: Header=BB105_12 Depth=1
	v_mul_f32_e32 v12, 0x3fb8aa3b, v72
	v_rndne_f32_e32 v13, v12
	v_sub_f32_e32 v14, v12, v13
	v_fma_f32 v12, v72, s84, -v12
	v_fmac_f32_e32 v12, 0x32a5705f, v72
	v_add_f32_e32 v12, v14, v12
	v_cvt_i32_f32_e32 v13, v13
	v_exp_f32_e32 v12, v12
	v_cmp_ngt_f32_e32 vcc, s85, v72
	v_ldexp_f32 v12, v12, v13
	s_nop 0
	v_cndmask_b32_e32 v12, 0, v12, vcc
	v_cmp_nlt_f32_e32 vcc, s86, v72
	s_nop 1
	v_cndmask_b32_e32 v38, v59, v12, vcc
	v_add_f32_e32 v14, 1.0, v38
	v_add_f32_e32 v12, -1.0, v14
	v_sub_f32_e32 v13, v12, v14
	v_add_f32_e32 v13, 1.0, v13
	v_sub_f32_e32 v12, v38, v12
	v_add_f32_e32 v15, v12, v13
	v_frexp_mant_f32_e32 v16, v14
	v_cvt_f64_f32_e32 v[12:13], v14
	v_frexp_exp_i32_f64_e32 v12, v[12:13]
	v_cmp_gt_f32_e32 vcc, s88, v16
	v_cmp_gt_f32_e64 s[2:3], s90, v38
	s_nop 0
	v_subbrev_co_u32_e32 v30, vcc, 0, v12, vcc
	v_sub_u32_e32 v12, 0, v30
	v_ldexp_f32 v13, v14, v12
	v_add_f32_e32 v14, -1.0, v13
	v_add_f32_e32 v16, 1.0, v13
	v_ldexp_f32 v12, v15, v12
	v_add_f32_e32 v15, 1.0, v14
	v_add_f32_e32 v17, -1.0, v16
	v_sub_f32_e32 v15, v13, v15
	v_sub_f32_e32 v13, v13, v17
	v_add_f32_e32 v15, v12, v15
	v_add_f32_e32 v12, v12, v13
	;; [unrolled: 1-line block ×3, first 2 shown]
	v_rcp_f32_e32 v32, v29
	v_sub_f32_e32 v13, v16, v29
	v_add_f32_e32 v31, v12, v13
	v_add_f32_e32 v13, v14, v15
	v_mul_f32_e32 v34, v13, v32
	v_sub_f32_e32 v12, v14, v13
	v_mul_f32_e32 v14, v29, v34
	v_fma_f32 v16, v34, v29, -v14
	v_fmac_f32_e32 v16, v34, v31
	v_add_f32_e32 v33, v15, v12
	v_add_f32_e32 v12, v14, v16
	v_sub_f32_e32 v15, v13, v12
	v_pk_add_f32 v[18:19], v[12:13], v[14:15] neg_lo:[0,1] neg_hi:[0,1]
	v_mov_b32_e32 v17, v12
	v_pk_add_f32 v[12:13], v[18:19], v[16:17] neg_lo:[0,1] neg_hi:[0,1]
	v_cmp_eq_f32_e32 vcc, s87, v38
	v_add_f32_e32 v13, v33, v13
	v_add_f32_e32 v12, v12, v13
	;; [unrolled: 1-line block ×3, first 2 shown]
	v_mul_f32_e32 v33, v32, v13
	v_mul_f32_e32 v14, v29, v33
	v_fma_f32 v16, v33, v29, -v14
	v_fmac_f32_e32 v16, v33, v31
	v_sub_f32_e32 v15, v15, v13
	v_add_f32_e32 v29, v12, v15
	v_add_f32_e32 v12, v14, v16
	v_sub_f32_e32 v15, v13, v12
	v_pk_add_f32 v[18:19], v[12:13], v[14:15] neg_lo:[0,1] neg_hi:[0,1]
	v_mov_b32_e32 v17, v12
	v_pk_add_f32 v[12:13], v[18:19], v[16:17] neg_lo:[0,1] neg_hi:[0,1]
	s_or_b64 vcc, s[2:3], vcc
	v_add_f32_e32 v13, v29, v13
	v_add_f32_e32 v12, v12, v13
	v_add_f32_e32 v13, v34, v33
	v_add_f32_e32 v12, v15, v12
	v_sub_f32_e32 v14, v13, v34
	v_mul_f32_e32 v12, v32, v12
	v_sub_f32_e32 v14, v33, v14
	v_add_f32_e32 v14, v14, v12
	v_add_f32_e32 v16, v13, v14
	v_mul_f32_e32 v17, v16, v16
	v_fmamk_f32 v12, v17, 0x3e9b6dac, v58
	v_fmaak_f32 v29, v17, v12, 0x3f2aaada
	v_cvt_f32_i32_e32 v12, v30
	v_sub_f32_e32 v13, v16, v13
	v_sub_f32_e32 v13, v14, v13
	v_ldexp_f32 v18, v13, 1
	v_mul_f32_e32 v13, v16, v17
	v_ldexp_f32 v15, v16, 1
	v_pk_mul_f32 v[16:17], v[12:13], v[28:29]
	s_nop 0
	v_fma_f32 v14, v12, s89, -v16
	v_fmac_f32_e32 v14, 0xb102e308, v12
	v_pk_add_f32 v[12:13], v[16:17], v[14:15]
	s_nop 0
	v_sub_f32_e32 v15, v13, v15
	v_sub_f32_e32 v15, v17, v15
	v_add_f32_e32 v19, v18, v15
	v_mov_b32_e32 v18, v16
	v_pk_add_f32 v[16:17], v[12:13], v[16:17] neg_lo:[0,1] neg_hi:[0,1]
	v_pk_add_f32 v[30:31], v[12:13], v[18:19]
	v_mov_b32_e32 v15, v12
	v_mov_b32_e32 v17, v31
	v_pk_add_f32 v[32:33], v[14:15], v[16:17] neg_lo:[0,1] neg_hi:[0,1]
	v_pk_add_f32 v[14:15], v[14:15], v[16:17]
	v_mov_b32_e32 v18, v19
	v_mov_b32_e32 v16, v15
	v_pk_add_f32 v[34:35], v[16:17], v[12:13] neg_lo:[0,1] neg_hi:[0,1]
	v_mov_b32_e32 v14, v31
	v_mov_b32_e32 v17, v34
	v_pk_add_f32 v[36:37], v[30:31], v[16:17] neg_lo:[0,1] neg_hi:[0,1]
	v_mov_b32_e32 v30, v13
	v_mov_b32_e32 v31, v34
	;; [unrolled: 1-line block ×3, first 2 shown]
	v_pk_add_f32 v[14:15], v[14:15], v[30:31] neg_lo:[0,1] neg_hi:[0,1]
	v_mov_b32_e32 v19, v12
	v_pk_add_f32 v[12:13], v[18:19], v[14:15] neg_lo:[0,1] neg_hi:[0,1]
	v_mov_b32_e32 v36, v32
	v_pk_add_f32 v[14:15], v[36:37], v[12:13]
	s_nop 0
	v_mov_b32_e32 v18, v15
	v_pk_add_f32 v[18:19], v[14:15], v[18:19]
	s_nop 0
	v_pk_add_f32 v[16:17], v[16:17], v[18:19]
	v_mov_b32_e32 v13, v18
	v_mov_b32_e32 v15, v16
	v_pk_add_f32 v[30:31], v[14:15], v[32:33] neg_lo:[0,1] neg_hi:[0,1]
	s_nop 0
	v_sub_f32_e32 v14, v14, v30
	v_pk_add_f32 v[12:13], v[12:13], v[30:31] neg_lo:[0,1] neg_hi:[0,1]
	v_sub_f32_e32 v14, v32, v14
	v_add_f32_e32 v12, v12, v14
	v_add_f32_e32 v12, v12, v13
	;; [unrolled: 1-line block ×3, first 2 shown]
	v_cndmask_b32_e32 v72, v12, v38, vcc
.LBB105_18:                             ;   in Loop: Header=BB105_12 Depth=1
	s_or_b64 exec, exec, s[6:7]
	v_cvt_f32_f16_e32 v12, v5
	v_add_f32_e32 v73, s33, v12
	v_cmp_ge_f32_e32 vcc, s83, v73
	s_and_b64 s[2:3], s[60:61], vcc
	s_and_saveexec_b64 s[6:7], s[2:3]
	s_cbranch_execz .LBB105_20
; %bb.19:                               ;   in Loop: Header=BB105_12 Depth=1
	v_mul_f32_e32 v12, 0x3fb8aa3b, v73
	v_rndne_f32_e32 v13, v12
	v_sub_f32_e32 v14, v12, v13
	v_fma_f32 v12, v73, s84, -v12
	v_fmac_f32_e32 v12, 0x32a5705f, v73
	v_add_f32_e32 v12, v14, v12
	v_cvt_i32_f32_e32 v13, v13
	v_exp_f32_e32 v12, v12
	v_cmp_ngt_f32_e32 vcc, s85, v73
	v_ldexp_f32 v12, v12, v13
	s_nop 0
	v_cndmask_b32_e32 v12, 0, v12, vcc
	v_cmp_nlt_f32_e32 vcc, s86, v73
	s_nop 1
	v_cndmask_b32_e32 v38, v59, v12, vcc
	v_add_f32_e32 v14, 1.0, v38
	v_add_f32_e32 v12, -1.0, v14
	v_sub_f32_e32 v13, v12, v14
	v_add_f32_e32 v13, 1.0, v13
	v_sub_f32_e32 v12, v38, v12
	v_add_f32_e32 v15, v12, v13
	v_frexp_mant_f32_e32 v16, v14
	v_cvt_f64_f32_e32 v[12:13], v14
	v_frexp_exp_i32_f64_e32 v12, v[12:13]
	v_cmp_gt_f32_e32 vcc, s88, v16
	v_cmp_gt_f32_e64 s[2:3], s90, v38
	s_nop 0
	v_subbrev_co_u32_e32 v30, vcc, 0, v12, vcc
	v_sub_u32_e32 v12, 0, v30
	v_ldexp_f32 v13, v14, v12
	v_add_f32_e32 v14, -1.0, v13
	v_add_f32_e32 v16, 1.0, v13
	v_ldexp_f32 v12, v15, v12
	v_add_f32_e32 v15, 1.0, v14
	v_add_f32_e32 v17, -1.0, v16
	v_sub_f32_e32 v15, v13, v15
	v_sub_f32_e32 v13, v13, v17
	v_add_f32_e32 v15, v12, v15
	v_add_f32_e32 v12, v12, v13
	;; [unrolled: 1-line block ×3, first 2 shown]
	v_rcp_f32_e32 v32, v29
	v_sub_f32_e32 v13, v16, v29
	v_add_f32_e32 v31, v12, v13
	v_add_f32_e32 v13, v14, v15
	v_mul_f32_e32 v34, v13, v32
	v_sub_f32_e32 v12, v14, v13
	v_mul_f32_e32 v14, v29, v34
	v_fma_f32 v16, v34, v29, -v14
	v_fmac_f32_e32 v16, v34, v31
	v_add_f32_e32 v33, v15, v12
	v_add_f32_e32 v12, v14, v16
	v_sub_f32_e32 v15, v13, v12
	v_pk_add_f32 v[18:19], v[12:13], v[14:15] neg_lo:[0,1] neg_hi:[0,1]
	v_mov_b32_e32 v17, v12
	v_pk_add_f32 v[12:13], v[18:19], v[16:17] neg_lo:[0,1] neg_hi:[0,1]
	v_cmp_eq_f32_e32 vcc, s87, v38
	v_add_f32_e32 v13, v33, v13
	v_add_f32_e32 v12, v12, v13
	;; [unrolled: 1-line block ×3, first 2 shown]
	v_mul_f32_e32 v33, v32, v13
	v_mul_f32_e32 v14, v29, v33
	v_fma_f32 v16, v33, v29, -v14
	v_fmac_f32_e32 v16, v33, v31
	v_sub_f32_e32 v15, v15, v13
	v_add_f32_e32 v29, v12, v15
	v_add_f32_e32 v12, v14, v16
	v_sub_f32_e32 v15, v13, v12
	v_pk_add_f32 v[18:19], v[12:13], v[14:15] neg_lo:[0,1] neg_hi:[0,1]
	v_mov_b32_e32 v17, v12
	v_pk_add_f32 v[12:13], v[18:19], v[16:17] neg_lo:[0,1] neg_hi:[0,1]
	s_or_b64 vcc, s[2:3], vcc
	v_add_f32_e32 v13, v29, v13
	v_add_f32_e32 v12, v12, v13
	;; [unrolled: 1-line block ×4, first 2 shown]
	v_sub_f32_e32 v14, v13, v34
	v_mul_f32_e32 v12, v32, v12
	v_sub_f32_e32 v14, v33, v14
	v_add_f32_e32 v14, v14, v12
	v_add_f32_e32 v16, v13, v14
	v_mul_f32_e32 v17, v16, v16
	v_fmamk_f32 v12, v17, 0x3e9b6dac, v58
	v_fmaak_f32 v29, v17, v12, 0x3f2aaada
	v_cvt_f32_i32_e32 v12, v30
	v_sub_f32_e32 v13, v16, v13
	v_sub_f32_e32 v13, v14, v13
	v_ldexp_f32 v18, v13, 1
	v_mul_f32_e32 v13, v16, v17
	v_ldexp_f32 v15, v16, 1
	v_pk_mul_f32 v[16:17], v[12:13], v[28:29]
	s_nop 0
	v_fma_f32 v14, v12, s89, -v16
	v_fmac_f32_e32 v14, 0xb102e308, v12
	v_pk_add_f32 v[12:13], v[16:17], v[14:15]
	s_nop 0
	v_sub_f32_e32 v15, v13, v15
	v_sub_f32_e32 v15, v17, v15
	v_add_f32_e32 v19, v18, v15
	v_mov_b32_e32 v18, v16
	v_pk_add_f32 v[16:17], v[12:13], v[16:17] neg_lo:[0,1] neg_hi:[0,1]
	v_pk_add_f32 v[30:31], v[12:13], v[18:19]
	v_mov_b32_e32 v15, v12
	v_mov_b32_e32 v17, v31
	v_pk_add_f32 v[32:33], v[14:15], v[16:17] neg_lo:[0,1] neg_hi:[0,1]
	v_pk_add_f32 v[14:15], v[14:15], v[16:17]
	v_mov_b32_e32 v18, v19
	v_mov_b32_e32 v16, v15
	v_pk_add_f32 v[34:35], v[16:17], v[12:13] neg_lo:[0,1] neg_hi:[0,1]
	v_mov_b32_e32 v14, v31
	v_mov_b32_e32 v17, v34
	v_pk_add_f32 v[36:37], v[30:31], v[16:17] neg_lo:[0,1] neg_hi:[0,1]
	v_mov_b32_e32 v30, v13
	v_mov_b32_e32 v31, v34
	;; [unrolled: 1-line block ×3, first 2 shown]
	v_pk_add_f32 v[14:15], v[14:15], v[30:31] neg_lo:[0,1] neg_hi:[0,1]
	v_mov_b32_e32 v19, v12
	v_pk_add_f32 v[12:13], v[18:19], v[14:15] neg_lo:[0,1] neg_hi:[0,1]
	v_mov_b32_e32 v36, v32
	v_pk_add_f32 v[14:15], v[36:37], v[12:13]
	s_nop 0
	v_mov_b32_e32 v18, v15
	v_pk_add_f32 v[18:19], v[14:15], v[18:19]
	s_nop 0
	v_pk_add_f32 v[16:17], v[16:17], v[18:19]
	v_mov_b32_e32 v13, v18
	v_mov_b32_e32 v15, v16
	v_pk_add_f32 v[30:31], v[14:15], v[32:33] neg_lo:[0,1] neg_hi:[0,1]
	s_nop 0
	v_sub_f32_e32 v14, v14, v30
	v_pk_add_f32 v[12:13], v[12:13], v[30:31] neg_lo:[0,1] neg_hi:[0,1]
	v_sub_f32_e32 v14, v32, v14
	v_add_f32_e32 v12, v12, v14
	v_add_f32_e32 v12, v12, v13
	;; [unrolled: 1-line block ×3, first 2 shown]
	v_cndmask_b32_e32 v73, v12, v38, vcc
.LBB105_20:                             ;   in Loop: Header=BB105_12 Depth=1
	s_or_b64 exec, exec, s[6:7]
	v_cvt_f32_f16_e32 v12, v65
	v_add_f32_e32 v74, s33, v12
	v_cmp_ge_f32_e32 vcc, s83, v74
	s_and_b64 s[2:3], s[60:61], vcc
	s_and_saveexec_b64 s[6:7], s[2:3]
	s_cbranch_execz .LBB105_22
; %bb.21:                               ;   in Loop: Header=BB105_12 Depth=1
	v_mul_f32_e32 v12, 0x3fb8aa3b, v74
	v_rndne_f32_e32 v13, v12
	v_sub_f32_e32 v14, v12, v13
	v_fma_f32 v12, v74, s84, -v12
	v_fmac_f32_e32 v12, 0x32a5705f, v74
	v_add_f32_e32 v12, v14, v12
	v_cvt_i32_f32_e32 v13, v13
	v_exp_f32_e32 v12, v12
	v_cmp_ngt_f32_e32 vcc, s85, v74
	v_ldexp_f32 v12, v12, v13
	s_nop 0
	v_cndmask_b32_e32 v12, 0, v12, vcc
	v_cmp_nlt_f32_e32 vcc, s86, v74
	s_nop 1
	v_cndmask_b32_e32 v38, v59, v12, vcc
	v_add_f32_e32 v14, 1.0, v38
	v_add_f32_e32 v12, -1.0, v14
	v_sub_f32_e32 v13, v12, v14
	v_add_f32_e32 v13, 1.0, v13
	v_sub_f32_e32 v12, v38, v12
	v_add_f32_e32 v15, v12, v13
	v_frexp_mant_f32_e32 v16, v14
	v_cvt_f64_f32_e32 v[12:13], v14
	v_frexp_exp_i32_f64_e32 v12, v[12:13]
	v_cmp_gt_f32_e32 vcc, s88, v16
	v_cmp_gt_f32_e64 s[2:3], s90, v38
	s_nop 0
	v_subbrev_co_u32_e32 v30, vcc, 0, v12, vcc
	v_sub_u32_e32 v12, 0, v30
	v_ldexp_f32 v13, v14, v12
	v_add_f32_e32 v14, -1.0, v13
	v_add_f32_e32 v16, 1.0, v13
	v_ldexp_f32 v12, v15, v12
	v_add_f32_e32 v15, 1.0, v14
	v_add_f32_e32 v17, -1.0, v16
	v_sub_f32_e32 v15, v13, v15
	v_sub_f32_e32 v13, v13, v17
	v_add_f32_e32 v15, v12, v15
	v_add_f32_e32 v12, v12, v13
	;; [unrolled: 1-line block ×3, first 2 shown]
	v_rcp_f32_e32 v32, v29
	v_sub_f32_e32 v13, v16, v29
	v_add_f32_e32 v31, v12, v13
	v_add_f32_e32 v13, v14, v15
	v_mul_f32_e32 v34, v13, v32
	v_sub_f32_e32 v12, v14, v13
	v_mul_f32_e32 v14, v29, v34
	v_fma_f32 v16, v34, v29, -v14
	v_fmac_f32_e32 v16, v34, v31
	v_add_f32_e32 v33, v15, v12
	v_add_f32_e32 v12, v14, v16
	v_sub_f32_e32 v15, v13, v12
	v_pk_add_f32 v[18:19], v[12:13], v[14:15] neg_lo:[0,1] neg_hi:[0,1]
	v_mov_b32_e32 v17, v12
	v_pk_add_f32 v[12:13], v[18:19], v[16:17] neg_lo:[0,1] neg_hi:[0,1]
	v_cmp_eq_f32_e32 vcc, s87, v38
	v_add_f32_e32 v13, v33, v13
	v_add_f32_e32 v12, v12, v13
	;; [unrolled: 1-line block ×3, first 2 shown]
	v_mul_f32_e32 v33, v32, v13
	v_mul_f32_e32 v14, v29, v33
	v_fma_f32 v16, v33, v29, -v14
	v_fmac_f32_e32 v16, v33, v31
	v_sub_f32_e32 v15, v15, v13
	v_add_f32_e32 v29, v12, v15
	v_add_f32_e32 v12, v14, v16
	v_sub_f32_e32 v15, v13, v12
	v_pk_add_f32 v[18:19], v[12:13], v[14:15] neg_lo:[0,1] neg_hi:[0,1]
	v_mov_b32_e32 v17, v12
	v_pk_add_f32 v[12:13], v[18:19], v[16:17] neg_lo:[0,1] neg_hi:[0,1]
	s_or_b64 vcc, s[2:3], vcc
	v_add_f32_e32 v13, v29, v13
	v_add_f32_e32 v12, v12, v13
	;; [unrolled: 1-line block ×4, first 2 shown]
	v_sub_f32_e32 v14, v13, v34
	v_mul_f32_e32 v12, v32, v12
	v_sub_f32_e32 v14, v33, v14
	v_add_f32_e32 v14, v14, v12
	v_add_f32_e32 v16, v13, v14
	v_mul_f32_e32 v17, v16, v16
	v_fmamk_f32 v12, v17, 0x3e9b6dac, v58
	v_fmaak_f32 v29, v17, v12, 0x3f2aaada
	v_cvt_f32_i32_e32 v12, v30
	v_sub_f32_e32 v13, v16, v13
	v_sub_f32_e32 v13, v14, v13
	v_ldexp_f32 v18, v13, 1
	v_mul_f32_e32 v13, v16, v17
	v_ldexp_f32 v15, v16, 1
	v_pk_mul_f32 v[16:17], v[12:13], v[28:29]
	s_nop 0
	v_fma_f32 v14, v12, s89, -v16
	v_fmac_f32_e32 v14, 0xb102e308, v12
	v_pk_add_f32 v[12:13], v[16:17], v[14:15]
	s_nop 0
	v_sub_f32_e32 v15, v13, v15
	v_sub_f32_e32 v15, v17, v15
	v_add_f32_e32 v19, v18, v15
	v_mov_b32_e32 v18, v16
	v_pk_add_f32 v[16:17], v[12:13], v[16:17] neg_lo:[0,1] neg_hi:[0,1]
	v_pk_add_f32 v[30:31], v[12:13], v[18:19]
	v_mov_b32_e32 v15, v12
	v_mov_b32_e32 v17, v31
	v_pk_add_f32 v[32:33], v[14:15], v[16:17] neg_lo:[0,1] neg_hi:[0,1]
	v_pk_add_f32 v[14:15], v[14:15], v[16:17]
	v_mov_b32_e32 v18, v19
	v_mov_b32_e32 v16, v15
	v_pk_add_f32 v[34:35], v[16:17], v[12:13] neg_lo:[0,1] neg_hi:[0,1]
	v_mov_b32_e32 v14, v31
	v_mov_b32_e32 v17, v34
	v_pk_add_f32 v[36:37], v[30:31], v[16:17] neg_lo:[0,1] neg_hi:[0,1]
	v_mov_b32_e32 v30, v13
	v_mov_b32_e32 v31, v34
	;; [unrolled: 1-line block ×3, first 2 shown]
	v_pk_add_f32 v[14:15], v[14:15], v[30:31] neg_lo:[0,1] neg_hi:[0,1]
	v_mov_b32_e32 v19, v12
	v_pk_add_f32 v[12:13], v[18:19], v[14:15] neg_lo:[0,1] neg_hi:[0,1]
	v_mov_b32_e32 v36, v32
	v_pk_add_f32 v[14:15], v[36:37], v[12:13]
	s_nop 0
	v_mov_b32_e32 v18, v15
	v_pk_add_f32 v[18:19], v[14:15], v[18:19]
	s_nop 0
	v_pk_add_f32 v[16:17], v[16:17], v[18:19]
	v_mov_b32_e32 v13, v18
	v_mov_b32_e32 v15, v16
	v_pk_add_f32 v[30:31], v[14:15], v[32:33] neg_lo:[0,1] neg_hi:[0,1]
	s_nop 0
	v_sub_f32_e32 v14, v14, v30
	v_pk_add_f32 v[12:13], v[12:13], v[30:31] neg_lo:[0,1] neg_hi:[0,1]
	v_sub_f32_e32 v14, v32, v14
	v_add_f32_e32 v12, v12, v14
	v_add_f32_e32 v12, v12, v13
	;; [unrolled: 1-line block ×3, first 2 shown]
	v_cndmask_b32_e32 v74, v12, v38, vcc
.LBB105_22:                             ;   in Loop: Header=BB105_12 Depth=1
	s_or_b64 exec, exec, s[6:7]
	v_cvt_f32_f16_e32 v12, v6
	v_add_f32_e32 v75, s33, v12
	v_cmp_ge_f32_e32 vcc, s83, v75
	s_and_b64 s[2:3], s[60:61], vcc
	s_and_saveexec_b64 s[6:7], s[2:3]
	s_cbranch_execz .LBB105_24
; %bb.23:                               ;   in Loop: Header=BB105_12 Depth=1
	v_mul_f32_e32 v12, 0x3fb8aa3b, v75
	v_rndne_f32_e32 v13, v12
	v_sub_f32_e32 v14, v12, v13
	v_fma_f32 v12, v75, s84, -v12
	v_fmac_f32_e32 v12, 0x32a5705f, v75
	v_add_f32_e32 v12, v14, v12
	v_cvt_i32_f32_e32 v13, v13
	v_exp_f32_e32 v12, v12
	v_cmp_ngt_f32_e32 vcc, s85, v75
	v_ldexp_f32 v12, v12, v13
	s_nop 0
	v_cndmask_b32_e32 v12, 0, v12, vcc
	v_cmp_nlt_f32_e32 vcc, s86, v75
	s_nop 1
	v_cndmask_b32_e32 v38, v59, v12, vcc
	v_add_f32_e32 v14, 1.0, v38
	v_add_f32_e32 v12, -1.0, v14
	v_sub_f32_e32 v13, v12, v14
	v_add_f32_e32 v13, 1.0, v13
	v_sub_f32_e32 v12, v38, v12
	v_add_f32_e32 v15, v12, v13
	v_frexp_mant_f32_e32 v16, v14
	v_cvt_f64_f32_e32 v[12:13], v14
	v_frexp_exp_i32_f64_e32 v12, v[12:13]
	v_cmp_gt_f32_e32 vcc, s88, v16
	v_cmp_gt_f32_e64 s[2:3], s90, v38
	s_nop 0
	v_subbrev_co_u32_e32 v30, vcc, 0, v12, vcc
	v_sub_u32_e32 v12, 0, v30
	v_ldexp_f32 v13, v14, v12
	v_add_f32_e32 v14, -1.0, v13
	v_add_f32_e32 v16, 1.0, v13
	v_ldexp_f32 v12, v15, v12
	v_add_f32_e32 v15, 1.0, v14
	v_add_f32_e32 v17, -1.0, v16
	v_sub_f32_e32 v15, v13, v15
	v_sub_f32_e32 v13, v13, v17
	v_add_f32_e32 v15, v12, v15
	v_add_f32_e32 v12, v12, v13
	;; [unrolled: 1-line block ×3, first 2 shown]
	v_rcp_f32_e32 v32, v29
	v_sub_f32_e32 v13, v16, v29
	v_add_f32_e32 v31, v12, v13
	v_add_f32_e32 v13, v14, v15
	v_mul_f32_e32 v34, v13, v32
	v_sub_f32_e32 v12, v14, v13
	v_mul_f32_e32 v14, v29, v34
	v_fma_f32 v16, v34, v29, -v14
	v_fmac_f32_e32 v16, v34, v31
	v_add_f32_e32 v33, v15, v12
	v_add_f32_e32 v12, v14, v16
	v_sub_f32_e32 v15, v13, v12
	v_pk_add_f32 v[18:19], v[12:13], v[14:15] neg_lo:[0,1] neg_hi:[0,1]
	v_mov_b32_e32 v17, v12
	v_pk_add_f32 v[12:13], v[18:19], v[16:17] neg_lo:[0,1] neg_hi:[0,1]
	v_cmp_eq_f32_e32 vcc, s87, v38
	v_add_f32_e32 v13, v33, v13
	v_add_f32_e32 v12, v12, v13
	;; [unrolled: 1-line block ×3, first 2 shown]
	v_mul_f32_e32 v33, v32, v13
	v_mul_f32_e32 v14, v29, v33
	v_fma_f32 v16, v33, v29, -v14
	v_fmac_f32_e32 v16, v33, v31
	v_sub_f32_e32 v15, v15, v13
	v_add_f32_e32 v29, v12, v15
	v_add_f32_e32 v12, v14, v16
	v_sub_f32_e32 v15, v13, v12
	v_pk_add_f32 v[18:19], v[12:13], v[14:15] neg_lo:[0,1] neg_hi:[0,1]
	v_mov_b32_e32 v17, v12
	v_pk_add_f32 v[12:13], v[18:19], v[16:17] neg_lo:[0,1] neg_hi:[0,1]
	s_or_b64 vcc, s[2:3], vcc
	v_add_f32_e32 v13, v29, v13
	v_add_f32_e32 v12, v12, v13
	;; [unrolled: 1-line block ×4, first 2 shown]
	v_sub_f32_e32 v14, v13, v34
	v_mul_f32_e32 v12, v32, v12
	v_sub_f32_e32 v14, v33, v14
	v_add_f32_e32 v14, v14, v12
	v_add_f32_e32 v16, v13, v14
	v_mul_f32_e32 v17, v16, v16
	v_fmamk_f32 v12, v17, 0x3e9b6dac, v58
	v_fmaak_f32 v29, v17, v12, 0x3f2aaada
	v_cvt_f32_i32_e32 v12, v30
	v_sub_f32_e32 v13, v16, v13
	v_sub_f32_e32 v13, v14, v13
	v_ldexp_f32 v18, v13, 1
	v_mul_f32_e32 v13, v16, v17
	v_ldexp_f32 v15, v16, 1
	v_pk_mul_f32 v[16:17], v[12:13], v[28:29]
	s_nop 0
	v_fma_f32 v14, v12, s89, -v16
	v_fmac_f32_e32 v14, 0xb102e308, v12
	v_pk_add_f32 v[12:13], v[16:17], v[14:15]
	s_nop 0
	v_sub_f32_e32 v15, v13, v15
	v_sub_f32_e32 v15, v17, v15
	v_add_f32_e32 v19, v18, v15
	v_mov_b32_e32 v18, v16
	v_pk_add_f32 v[16:17], v[12:13], v[16:17] neg_lo:[0,1] neg_hi:[0,1]
	v_pk_add_f32 v[30:31], v[12:13], v[18:19]
	v_mov_b32_e32 v15, v12
	v_mov_b32_e32 v17, v31
	v_pk_add_f32 v[32:33], v[14:15], v[16:17] neg_lo:[0,1] neg_hi:[0,1]
	v_pk_add_f32 v[14:15], v[14:15], v[16:17]
	v_mov_b32_e32 v18, v19
	v_mov_b32_e32 v16, v15
	v_pk_add_f32 v[34:35], v[16:17], v[12:13] neg_lo:[0,1] neg_hi:[0,1]
	v_mov_b32_e32 v14, v31
	v_mov_b32_e32 v17, v34
	v_pk_add_f32 v[36:37], v[30:31], v[16:17] neg_lo:[0,1] neg_hi:[0,1]
	v_mov_b32_e32 v30, v13
	v_mov_b32_e32 v31, v34
	;; [unrolled: 1-line block ×3, first 2 shown]
	v_pk_add_f32 v[14:15], v[14:15], v[30:31] neg_lo:[0,1] neg_hi:[0,1]
	v_mov_b32_e32 v19, v12
	v_pk_add_f32 v[12:13], v[18:19], v[14:15] neg_lo:[0,1] neg_hi:[0,1]
	v_mov_b32_e32 v36, v32
	v_pk_add_f32 v[14:15], v[36:37], v[12:13]
	s_nop 0
	v_mov_b32_e32 v18, v15
	v_pk_add_f32 v[18:19], v[14:15], v[18:19]
	s_nop 0
	v_pk_add_f32 v[16:17], v[16:17], v[18:19]
	v_mov_b32_e32 v13, v18
	v_mov_b32_e32 v15, v16
	v_pk_add_f32 v[30:31], v[14:15], v[32:33] neg_lo:[0,1] neg_hi:[0,1]
	s_nop 0
	v_sub_f32_e32 v14, v14, v30
	v_pk_add_f32 v[12:13], v[12:13], v[30:31] neg_lo:[0,1] neg_hi:[0,1]
	v_sub_f32_e32 v14, v32, v14
	v_add_f32_e32 v12, v12, v14
	v_add_f32_e32 v12, v12, v13
	;; [unrolled: 1-line block ×3, first 2 shown]
	v_cndmask_b32_e32 v75, v12, v38, vcc
.LBB105_24:                             ;   in Loop: Header=BB105_12 Depth=1
	s_or_b64 exec, exec, s[6:7]
	v_cvt_f32_f16_e32 v12, v67
	v_add_f32_e32 v76, s33, v12
	v_cmp_ge_f32_e32 vcc, s83, v76
	s_and_b64 s[2:3], s[60:61], vcc
	s_and_saveexec_b64 s[6:7], s[2:3]
	s_cbranch_execz .LBB105_26
; %bb.25:                               ;   in Loop: Header=BB105_12 Depth=1
	v_mul_f32_e32 v12, 0x3fb8aa3b, v76
	v_rndne_f32_e32 v13, v12
	v_sub_f32_e32 v14, v12, v13
	v_fma_f32 v12, v76, s84, -v12
	v_fmac_f32_e32 v12, 0x32a5705f, v76
	v_add_f32_e32 v12, v14, v12
	v_cvt_i32_f32_e32 v13, v13
	v_exp_f32_e32 v12, v12
	v_cmp_ngt_f32_e32 vcc, s85, v76
	v_ldexp_f32 v12, v12, v13
	s_nop 0
	v_cndmask_b32_e32 v12, 0, v12, vcc
	v_cmp_nlt_f32_e32 vcc, s86, v76
	s_nop 1
	v_cndmask_b32_e32 v38, v59, v12, vcc
	v_add_f32_e32 v14, 1.0, v38
	v_add_f32_e32 v12, -1.0, v14
	v_sub_f32_e32 v13, v12, v14
	v_add_f32_e32 v13, 1.0, v13
	v_sub_f32_e32 v12, v38, v12
	v_add_f32_e32 v15, v12, v13
	v_frexp_mant_f32_e32 v16, v14
	v_cvt_f64_f32_e32 v[12:13], v14
	v_frexp_exp_i32_f64_e32 v12, v[12:13]
	v_cmp_gt_f32_e32 vcc, s88, v16
	v_cmp_gt_f32_e64 s[2:3], s90, v38
	s_nop 0
	v_subbrev_co_u32_e32 v30, vcc, 0, v12, vcc
	v_sub_u32_e32 v12, 0, v30
	v_ldexp_f32 v13, v14, v12
	v_add_f32_e32 v14, -1.0, v13
	v_add_f32_e32 v16, 1.0, v13
	v_ldexp_f32 v12, v15, v12
	v_add_f32_e32 v15, 1.0, v14
	v_add_f32_e32 v17, -1.0, v16
	v_sub_f32_e32 v15, v13, v15
	v_sub_f32_e32 v13, v13, v17
	v_add_f32_e32 v15, v12, v15
	v_add_f32_e32 v12, v12, v13
	;; [unrolled: 1-line block ×3, first 2 shown]
	v_rcp_f32_e32 v32, v29
	v_sub_f32_e32 v13, v16, v29
	v_add_f32_e32 v31, v12, v13
	v_add_f32_e32 v13, v14, v15
	v_mul_f32_e32 v34, v13, v32
	v_sub_f32_e32 v12, v14, v13
	v_mul_f32_e32 v14, v29, v34
	v_fma_f32 v16, v34, v29, -v14
	v_fmac_f32_e32 v16, v34, v31
	v_add_f32_e32 v33, v15, v12
	v_add_f32_e32 v12, v14, v16
	v_sub_f32_e32 v15, v13, v12
	v_pk_add_f32 v[18:19], v[12:13], v[14:15] neg_lo:[0,1] neg_hi:[0,1]
	v_mov_b32_e32 v17, v12
	v_pk_add_f32 v[12:13], v[18:19], v[16:17] neg_lo:[0,1] neg_hi:[0,1]
	v_cmp_eq_f32_e32 vcc, s87, v38
	v_add_f32_e32 v13, v33, v13
	v_add_f32_e32 v12, v12, v13
	v_add_f32_e32 v13, v15, v12
	v_mul_f32_e32 v33, v32, v13
	v_mul_f32_e32 v14, v29, v33
	v_fma_f32 v16, v33, v29, -v14
	v_fmac_f32_e32 v16, v33, v31
	v_sub_f32_e32 v15, v15, v13
	v_add_f32_e32 v29, v12, v15
	v_add_f32_e32 v12, v14, v16
	v_sub_f32_e32 v15, v13, v12
	v_pk_add_f32 v[18:19], v[12:13], v[14:15] neg_lo:[0,1] neg_hi:[0,1]
	v_mov_b32_e32 v17, v12
	v_pk_add_f32 v[12:13], v[18:19], v[16:17] neg_lo:[0,1] neg_hi:[0,1]
	s_or_b64 vcc, s[2:3], vcc
	v_add_f32_e32 v13, v29, v13
	v_add_f32_e32 v12, v12, v13
	;; [unrolled: 1-line block ×4, first 2 shown]
	v_sub_f32_e32 v14, v13, v34
	v_mul_f32_e32 v12, v32, v12
	v_sub_f32_e32 v14, v33, v14
	v_add_f32_e32 v14, v14, v12
	v_add_f32_e32 v16, v13, v14
	v_mul_f32_e32 v17, v16, v16
	v_fmamk_f32 v12, v17, 0x3e9b6dac, v58
	v_fmaak_f32 v29, v17, v12, 0x3f2aaada
	v_cvt_f32_i32_e32 v12, v30
	v_sub_f32_e32 v13, v16, v13
	v_sub_f32_e32 v13, v14, v13
	v_ldexp_f32 v18, v13, 1
	v_mul_f32_e32 v13, v16, v17
	v_ldexp_f32 v15, v16, 1
	v_pk_mul_f32 v[16:17], v[12:13], v[28:29]
	s_nop 0
	v_fma_f32 v14, v12, s89, -v16
	v_fmac_f32_e32 v14, 0xb102e308, v12
	v_pk_add_f32 v[12:13], v[16:17], v[14:15]
	s_nop 0
	v_sub_f32_e32 v15, v13, v15
	v_sub_f32_e32 v15, v17, v15
	v_add_f32_e32 v19, v18, v15
	v_mov_b32_e32 v18, v16
	v_pk_add_f32 v[16:17], v[12:13], v[16:17] neg_lo:[0,1] neg_hi:[0,1]
	v_pk_add_f32 v[30:31], v[12:13], v[18:19]
	v_mov_b32_e32 v15, v12
	v_mov_b32_e32 v17, v31
	v_pk_add_f32 v[32:33], v[14:15], v[16:17] neg_lo:[0,1] neg_hi:[0,1]
	v_pk_add_f32 v[14:15], v[14:15], v[16:17]
	v_mov_b32_e32 v18, v19
	v_mov_b32_e32 v16, v15
	v_pk_add_f32 v[34:35], v[16:17], v[12:13] neg_lo:[0,1] neg_hi:[0,1]
	v_mov_b32_e32 v14, v31
	v_mov_b32_e32 v17, v34
	v_pk_add_f32 v[36:37], v[30:31], v[16:17] neg_lo:[0,1] neg_hi:[0,1]
	v_mov_b32_e32 v30, v13
	v_mov_b32_e32 v31, v34
	;; [unrolled: 1-line block ×3, first 2 shown]
	v_pk_add_f32 v[14:15], v[14:15], v[30:31] neg_lo:[0,1] neg_hi:[0,1]
	v_mov_b32_e32 v19, v12
	v_pk_add_f32 v[12:13], v[18:19], v[14:15] neg_lo:[0,1] neg_hi:[0,1]
	v_mov_b32_e32 v36, v32
	v_pk_add_f32 v[14:15], v[36:37], v[12:13]
	s_nop 0
	v_mov_b32_e32 v18, v15
	v_pk_add_f32 v[18:19], v[14:15], v[18:19]
	s_nop 0
	v_pk_add_f32 v[16:17], v[16:17], v[18:19]
	v_mov_b32_e32 v13, v18
	v_mov_b32_e32 v15, v16
	v_pk_add_f32 v[30:31], v[14:15], v[32:33] neg_lo:[0,1] neg_hi:[0,1]
	s_nop 0
	v_sub_f32_e32 v14, v14, v30
	v_pk_add_f32 v[12:13], v[12:13], v[30:31] neg_lo:[0,1] neg_hi:[0,1]
	v_sub_f32_e32 v14, v32, v14
	v_add_f32_e32 v12, v12, v14
	v_add_f32_e32 v12, v12, v13
	;; [unrolled: 1-line block ×3, first 2 shown]
	v_cndmask_b32_e32 v76, v12, v38, vcc
.LBB105_26:                             ;   in Loop: Header=BB105_12 Depth=1
	s_or_b64 exec, exec, s[6:7]
	v_cvt_f32_f16_e32 v12, v7
	v_add_f32_e32 v77, s33, v12
	v_cmp_ge_f32_e32 vcc, s83, v77
	s_and_b64 s[2:3], s[60:61], vcc
	s_and_saveexec_b64 s[6:7], s[2:3]
	s_cbranch_execz .LBB105_28
; %bb.27:                               ;   in Loop: Header=BB105_12 Depth=1
	v_mul_f32_e32 v12, 0x3fb8aa3b, v77
	v_rndne_f32_e32 v13, v12
	v_sub_f32_e32 v14, v12, v13
	v_fma_f32 v12, v77, s84, -v12
	v_fmac_f32_e32 v12, 0x32a5705f, v77
	v_add_f32_e32 v12, v14, v12
	v_cvt_i32_f32_e32 v13, v13
	v_exp_f32_e32 v12, v12
	v_cmp_ngt_f32_e32 vcc, s85, v77
	v_ldexp_f32 v12, v12, v13
	s_nop 0
	v_cndmask_b32_e32 v12, 0, v12, vcc
	v_cmp_nlt_f32_e32 vcc, s86, v77
	s_nop 1
	v_cndmask_b32_e32 v38, v59, v12, vcc
	v_add_f32_e32 v14, 1.0, v38
	v_add_f32_e32 v12, -1.0, v14
	v_sub_f32_e32 v13, v12, v14
	v_add_f32_e32 v13, 1.0, v13
	v_sub_f32_e32 v12, v38, v12
	v_add_f32_e32 v15, v12, v13
	v_frexp_mant_f32_e32 v16, v14
	v_cvt_f64_f32_e32 v[12:13], v14
	v_frexp_exp_i32_f64_e32 v12, v[12:13]
	v_cmp_gt_f32_e32 vcc, s88, v16
	v_cmp_gt_f32_e64 s[2:3], s90, v38
	s_nop 0
	v_subbrev_co_u32_e32 v30, vcc, 0, v12, vcc
	v_sub_u32_e32 v12, 0, v30
	v_ldexp_f32 v13, v14, v12
	v_add_f32_e32 v14, -1.0, v13
	v_add_f32_e32 v16, 1.0, v13
	v_ldexp_f32 v12, v15, v12
	v_add_f32_e32 v15, 1.0, v14
	v_add_f32_e32 v17, -1.0, v16
	v_sub_f32_e32 v15, v13, v15
	v_sub_f32_e32 v13, v13, v17
	v_add_f32_e32 v15, v12, v15
	v_add_f32_e32 v12, v12, v13
	;; [unrolled: 1-line block ×3, first 2 shown]
	v_rcp_f32_e32 v32, v29
	v_sub_f32_e32 v13, v16, v29
	v_add_f32_e32 v31, v12, v13
	v_add_f32_e32 v13, v14, v15
	v_mul_f32_e32 v34, v13, v32
	v_sub_f32_e32 v12, v14, v13
	v_mul_f32_e32 v14, v29, v34
	v_fma_f32 v16, v34, v29, -v14
	v_fmac_f32_e32 v16, v34, v31
	v_add_f32_e32 v33, v15, v12
	v_add_f32_e32 v12, v14, v16
	v_sub_f32_e32 v15, v13, v12
	v_pk_add_f32 v[18:19], v[12:13], v[14:15] neg_lo:[0,1] neg_hi:[0,1]
	v_mov_b32_e32 v17, v12
	v_pk_add_f32 v[12:13], v[18:19], v[16:17] neg_lo:[0,1] neg_hi:[0,1]
	v_cmp_eq_f32_e32 vcc, s87, v38
	v_add_f32_e32 v13, v33, v13
	v_add_f32_e32 v12, v12, v13
	v_add_f32_e32 v13, v15, v12
	v_mul_f32_e32 v33, v32, v13
	v_mul_f32_e32 v14, v29, v33
	v_fma_f32 v16, v33, v29, -v14
	v_fmac_f32_e32 v16, v33, v31
	v_sub_f32_e32 v15, v15, v13
	v_add_f32_e32 v29, v12, v15
	v_add_f32_e32 v12, v14, v16
	v_sub_f32_e32 v15, v13, v12
	v_pk_add_f32 v[18:19], v[12:13], v[14:15] neg_lo:[0,1] neg_hi:[0,1]
	v_mov_b32_e32 v17, v12
	v_pk_add_f32 v[12:13], v[18:19], v[16:17] neg_lo:[0,1] neg_hi:[0,1]
	s_or_b64 vcc, s[2:3], vcc
	v_add_f32_e32 v13, v29, v13
	v_add_f32_e32 v12, v12, v13
	;; [unrolled: 1-line block ×4, first 2 shown]
	v_sub_f32_e32 v14, v13, v34
	v_mul_f32_e32 v12, v32, v12
	v_sub_f32_e32 v14, v33, v14
	v_add_f32_e32 v14, v14, v12
	v_add_f32_e32 v16, v13, v14
	v_mul_f32_e32 v17, v16, v16
	v_fmamk_f32 v12, v17, 0x3e9b6dac, v58
	v_fmaak_f32 v29, v17, v12, 0x3f2aaada
	v_cvt_f32_i32_e32 v12, v30
	v_sub_f32_e32 v13, v16, v13
	v_sub_f32_e32 v13, v14, v13
	v_ldexp_f32 v18, v13, 1
	v_mul_f32_e32 v13, v16, v17
	v_ldexp_f32 v15, v16, 1
	v_pk_mul_f32 v[16:17], v[12:13], v[28:29]
	s_nop 0
	v_fma_f32 v14, v12, s89, -v16
	v_fmac_f32_e32 v14, 0xb102e308, v12
	v_pk_add_f32 v[12:13], v[16:17], v[14:15]
	s_nop 0
	v_sub_f32_e32 v15, v13, v15
	v_sub_f32_e32 v15, v17, v15
	v_add_f32_e32 v19, v18, v15
	v_mov_b32_e32 v18, v16
	v_pk_add_f32 v[16:17], v[12:13], v[16:17] neg_lo:[0,1] neg_hi:[0,1]
	v_pk_add_f32 v[30:31], v[12:13], v[18:19]
	v_mov_b32_e32 v15, v12
	v_mov_b32_e32 v17, v31
	v_pk_add_f32 v[32:33], v[14:15], v[16:17] neg_lo:[0,1] neg_hi:[0,1]
	v_pk_add_f32 v[14:15], v[14:15], v[16:17]
	v_mov_b32_e32 v18, v19
	v_mov_b32_e32 v16, v15
	v_pk_add_f32 v[34:35], v[16:17], v[12:13] neg_lo:[0,1] neg_hi:[0,1]
	v_mov_b32_e32 v14, v31
	v_mov_b32_e32 v17, v34
	v_pk_add_f32 v[36:37], v[30:31], v[16:17] neg_lo:[0,1] neg_hi:[0,1]
	v_mov_b32_e32 v30, v13
	v_mov_b32_e32 v31, v34
	;; [unrolled: 1-line block ×3, first 2 shown]
	v_pk_add_f32 v[14:15], v[14:15], v[30:31] neg_lo:[0,1] neg_hi:[0,1]
	v_mov_b32_e32 v19, v12
	v_pk_add_f32 v[12:13], v[18:19], v[14:15] neg_lo:[0,1] neg_hi:[0,1]
	v_mov_b32_e32 v36, v32
	v_pk_add_f32 v[14:15], v[36:37], v[12:13]
	s_nop 0
	v_mov_b32_e32 v18, v15
	v_pk_add_f32 v[18:19], v[14:15], v[18:19]
	s_nop 0
	v_pk_add_f32 v[16:17], v[16:17], v[18:19]
	v_mov_b32_e32 v13, v18
	v_mov_b32_e32 v15, v16
	v_pk_add_f32 v[30:31], v[14:15], v[32:33] neg_lo:[0,1] neg_hi:[0,1]
	s_nop 0
	v_sub_f32_e32 v14, v14, v30
	v_pk_add_f32 v[12:13], v[12:13], v[30:31] neg_lo:[0,1] neg_hi:[0,1]
	v_sub_f32_e32 v14, v32, v14
	v_add_f32_e32 v12, v12, v14
	v_add_f32_e32 v12, v12, v13
	;; [unrolled: 1-line block ×3, first 2 shown]
	v_cndmask_b32_e32 v77, v12, v38, vcc
.LBB105_28:                             ;   in Loop: Header=BB105_12 Depth=1
	s_or_b64 exec, exec, s[6:7]
	v_cvt_f32_f16_e32 v12, v68
	v_add_f32_e32 v29, s33, v12
	v_cmp_ge_f32_e32 vcc, s83, v29
	s_and_b64 s[2:3], s[60:61], vcc
	s_and_saveexec_b64 s[6:7], s[2:3]
	s_cbranch_execz .LBB105_30
; %bb.29:                               ;   in Loop: Header=BB105_12 Depth=1
	v_mul_f32_e32 v12, 0x3fb8aa3b, v29
	v_rndne_f32_e32 v13, v12
	v_sub_f32_e32 v14, v12, v13
	v_fma_f32 v12, v29, s84, -v12
	v_fmac_f32_e32 v12, 0x32a5705f, v29
	v_add_f32_e32 v12, v14, v12
	v_cvt_i32_f32_e32 v13, v13
	v_exp_f32_e32 v12, v12
	v_cmp_ngt_f32_e32 vcc, s85, v29
	v_ldexp_f32 v12, v12, v13
	s_nop 0
	v_cndmask_b32_e32 v12, 0, v12, vcc
	v_cmp_nlt_f32_e32 vcc, s86, v29
	s_nop 1
	v_cndmask_b32_e32 v38, v59, v12, vcc
	v_add_f32_e32 v14, 1.0, v38
	v_add_f32_e32 v12, -1.0, v14
	v_sub_f32_e32 v13, v12, v14
	v_add_f32_e32 v13, 1.0, v13
	v_sub_f32_e32 v12, v38, v12
	v_add_f32_e32 v15, v12, v13
	v_frexp_mant_f32_e32 v16, v14
	v_cvt_f64_f32_e32 v[12:13], v14
	v_frexp_exp_i32_f64_e32 v12, v[12:13]
	v_cmp_gt_f32_e32 vcc, s88, v16
	v_cmp_gt_f32_e64 s[2:3], s90, v38
	s_nop 0
	v_subbrev_co_u32_e32 v30, vcc, 0, v12, vcc
	v_sub_u32_e32 v12, 0, v30
	v_ldexp_f32 v13, v14, v12
	v_add_f32_e32 v14, -1.0, v13
	v_add_f32_e32 v16, 1.0, v13
	v_ldexp_f32 v12, v15, v12
	v_add_f32_e32 v15, 1.0, v14
	v_add_f32_e32 v17, -1.0, v16
	v_sub_f32_e32 v15, v13, v15
	v_sub_f32_e32 v13, v13, v17
	v_add_f32_e32 v15, v12, v15
	v_add_f32_e32 v12, v12, v13
	;; [unrolled: 1-line block ×3, first 2 shown]
	v_rcp_f32_e32 v32, v29
	v_sub_f32_e32 v13, v16, v29
	v_add_f32_e32 v31, v12, v13
	v_add_f32_e32 v13, v14, v15
	v_mul_f32_e32 v34, v13, v32
	v_sub_f32_e32 v12, v14, v13
	v_mul_f32_e32 v14, v29, v34
	v_fma_f32 v16, v34, v29, -v14
	v_fmac_f32_e32 v16, v34, v31
	v_add_f32_e32 v33, v15, v12
	v_add_f32_e32 v12, v14, v16
	v_sub_f32_e32 v15, v13, v12
	v_pk_add_f32 v[18:19], v[12:13], v[14:15] neg_lo:[0,1] neg_hi:[0,1]
	v_mov_b32_e32 v17, v12
	v_pk_add_f32 v[12:13], v[18:19], v[16:17] neg_lo:[0,1] neg_hi:[0,1]
	v_cmp_eq_f32_e32 vcc, s87, v38
	v_add_f32_e32 v13, v33, v13
	v_add_f32_e32 v12, v12, v13
	v_add_f32_e32 v13, v15, v12
	v_mul_f32_e32 v33, v32, v13
	v_mul_f32_e32 v14, v29, v33
	v_fma_f32 v16, v33, v29, -v14
	v_fmac_f32_e32 v16, v33, v31
	v_sub_f32_e32 v15, v15, v13
	v_add_f32_e32 v29, v12, v15
	v_add_f32_e32 v12, v14, v16
	v_sub_f32_e32 v15, v13, v12
	v_pk_add_f32 v[18:19], v[12:13], v[14:15] neg_lo:[0,1] neg_hi:[0,1]
	v_mov_b32_e32 v17, v12
	v_pk_add_f32 v[12:13], v[18:19], v[16:17] neg_lo:[0,1] neg_hi:[0,1]
	s_or_b64 vcc, s[2:3], vcc
	v_add_f32_e32 v13, v29, v13
	v_add_f32_e32 v12, v12, v13
	;; [unrolled: 1-line block ×4, first 2 shown]
	v_sub_f32_e32 v14, v13, v34
	v_mul_f32_e32 v12, v32, v12
	v_sub_f32_e32 v14, v33, v14
	v_add_f32_e32 v14, v14, v12
	v_add_f32_e32 v16, v13, v14
	v_mul_f32_e32 v17, v16, v16
	v_fmamk_f32 v12, v17, 0x3e9b6dac, v58
	v_fmaak_f32 v29, v17, v12, 0x3f2aaada
	v_cvt_f32_i32_e32 v12, v30
	v_sub_f32_e32 v13, v16, v13
	v_sub_f32_e32 v13, v14, v13
	v_ldexp_f32 v18, v13, 1
	v_mul_f32_e32 v13, v16, v17
	v_ldexp_f32 v15, v16, 1
	v_pk_mul_f32 v[16:17], v[12:13], v[28:29]
	s_nop 0
	v_fma_f32 v14, v12, s89, -v16
	v_fmac_f32_e32 v14, 0xb102e308, v12
	v_pk_add_f32 v[12:13], v[16:17], v[14:15]
	s_nop 0
	v_sub_f32_e32 v15, v13, v15
	v_sub_f32_e32 v15, v17, v15
	v_add_f32_e32 v19, v18, v15
	v_mov_b32_e32 v18, v16
	v_pk_add_f32 v[16:17], v[12:13], v[16:17] neg_lo:[0,1] neg_hi:[0,1]
	v_pk_add_f32 v[30:31], v[12:13], v[18:19]
	v_mov_b32_e32 v15, v12
	v_mov_b32_e32 v17, v31
	v_pk_add_f32 v[32:33], v[14:15], v[16:17] neg_lo:[0,1] neg_hi:[0,1]
	v_pk_add_f32 v[14:15], v[14:15], v[16:17]
	v_mov_b32_e32 v18, v19
	v_mov_b32_e32 v16, v15
	v_pk_add_f32 v[34:35], v[16:17], v[12:13] neg_lo:[0,1] neg_hi:[0,1]
	v_mov_b32_e32 v14, v31
	v_mov_b32_e32 v17, v34
	v_pk_add_f32 v[36:37], v[30:31], v[16:17] neg_lo:[0,1] neg_hi:[0,1]
	v_mov_b32_e32 v30, v13
	v_mov_b32_e32 v31, v34
	;; [unrolled: 1-line block ×3, first 2 shown]
	v_pk_add_f32 v[14:15], v[14:15], v[30:31] neg_lo:[0,1] neg_hi:[0,1]
	v_mov_b32_e32 v19, v12
	v_pk_add_f32 v[12:13], v[18:19], v[14:15] neg_lo:[0,1] neg_hi:[0,1]
	v_mov_b32_e32 v36, v32
	v_pk_add_f32 v[14:15], v[36:37], v[12:13]
	s_nop 0
	v_mov_b32_e32 v18, v15
	v_pk_add_f32 v[18:19], v[14:15], v[18:19]
	s_nop 0
	v_pk_add_f32 v[16:17], v[16:17], v[18:19]
	v_mov_b32_e32 v13, v18
	v_mov_b32_e32 v15, v16
	v_pk_add_f32 v[30:31], v[14:15], v[32:33] neg_lo:[0,1] neg_hi:[0,1]
	s_nop 0
	v_sub_f32_e32 v14, v14, v30
	v_pk_add_f32 v[12:13], v[12:13], v[30:31] neg_lo:[0,1] neg_hi:[0,1]
	v_sub_f32_e32 v14, v32, v14
	v_add_f32_e32 v12, v12, v14
	v_add_f32_e32 v12, v12, v13
	;; [unrolled: 1-line block ×3, first 2 shown]
	v_cndmask_b32_e32 v29, v12, v38, vcc
.LBB105_30:                             ;   in Loop: Header=BB105_12 Depth=1
	s_or_b64 exec, exec, s[6:7]
	v_cvt_f32_f16_e32 v12, v3
	v_cvt_f32_f16_e32 v13, v69
	;; [unrolled: 1-line block ×8, first 2 shown]
	v_mul_f32_e32 v32, s78, v12
	v_mul_f32_e32 v31, s78, v13
	;; [unrolled: 1-line block ×7, first 2 shown]
	s_lshl_b32 s2, s97, 9
	v_mul_f32_e32 v33, s78, v15
	s_and_b64 vcc, exec, s[62:63]
	s_waitcnt lgkmcnt(0)
	; wave barrier
	s_cbranch_vccz .LBB105_58
; %bb.31:                               ;   in Loop: Header=BB105_12 Depth=1
	v_mul_f32_e32 v79, v77, v12
	v_and_b32_e32 v12, 15, v60
	v_cmp_ne_u32_e64 s[6:7], 0, v12
	v_cmp_lt_u32_e64 s[8:9], 1, v12
	v_cmp_lt_u32_e64 s[10:11], 3, v12
	;; [unrolled: 1-line block ×3, first 2 shown]
	v_and_b32_e32 v12, 16, v60
	v_mul_f32_e32 v80, v76, v13
	v_cmp_ne_u32_e64 s[14:15], 0, v12
	v_add_u32_e32 v12, -1, v60
	v_and_b32_e32 v13, 64, v60
	s_sub_i32 s3, s56, s2
	v_cmp_lt_i32_e32 vcc, v12, v13
	s_cmp_lg_u32 s97, 0
	s_cselect_b64 s[54:55], -1, 0
	v_cndmask_b32_e32 v12, v12, v60, vcc
	v_lshlrev_b32_e32 v86, 2, v12
	s_cmp_eq_u32 s97, s82
	v_cmp_gt_u32_e32 vcc, s3, v50
	v_or_b32_e32 v12, 1, v50
	s_cselect_b64 s[66:67], -1, 0
	s_or_b64 s[18:19], s[64:65], vcc
	v_cmp_gt_u32_e32 vcc, s3, v12
	v_or_b32_e32 v12, 2, v50
	s_or_b64 s[20:21], s[64:65], vcc
	v_cmp_gt_u32_e32 vcc, s3, v12
	s_or_b64 s[22:23], s[64:65], vcc
	v_cmp_gt_u32_e32 vcc, s3, v53
	;; [unrolled: 2-line block ×5, first 2 shown]
	s_mov_b32 s58, 0
	s_or_b64 s[30:31], s[64:65], vcc
	v_cmp_gt_u32_e32 vcc, s3, v57
	v_mul_f32_e32 v78, v29, v15
	v_mul_f32_e32 v81, v75, v14
	;; [unrolled: 1-line block ×6, first 2 shown]
	v_lshl_add_u64 v[38:39], s[42:43], 0, v[20:21]
	v_lshl_add_u64 v[40:41], s[46:47], 0, v[20:21]
	v_cmp_lt_u32_e64 s[16:17], 31, v60
	s_or_b64 s[34:35], s[64:65], vcc
	s_mov_b32 s68, s58
	s_mov_b32 s70, s58
	s_mov_b32 s72, s58
	s_mov_b32 s3, s57
	s_mov_b32 s98, s91
	s_branch .LBB105_33
.LBB105_32:                             ;   in Loop: Header=BB105_33 Depth=2
	s_or_b64 exec, exec, s[74:75]
	v_mul_f32_e32 v42, v87, v95
	v_fma_f32 v43, v87, v51, v16
	v_cndmask_b32_e64 v16, v43, v16, s[4:5]
	v_cndmask_b32_e64 v42, v42, v87, s[4:5]
	s_waitcnt lgkmcnt(0)
	v_fmac_f32_e32 v16, v48, v42
	v_fmac_f32_e32 v17, v16, v88
	;; [unrolled: 1-line block ×5, first 2 shown]
	v_cvt_f32_f16_sdwa v43, v12 dst_sel:DWORD dst_unused:UNUSED_PAD src0_sel:WORD_1
	v_cvt_f32_f16_sdwa v49, v13 dst_sel:DWORD dst_unused:UNUSED_PAD src0_sel:WORD_1
	v_cvt_f32_f16_e32 v42, v12
	v_cvt_f32_f16_e32 v48, v13
	v_cvt_f32_f16_sdwa v13, v14 dst_sel:DWORD dst_unused:UNUSED_PAD src0_sel:WORD_1
	v_cvt_f32_f16_sdwa v89, v15 dst_sel:DWORD dst_unused:UNUSED_PAD src0_sel:WORD_1
	v_cvt_f32_f16_e32 v88, v15
	v_cvt_f32_f16_e32 v12, v14
	v_fmac_f32_e32 v19, v18, v92
	v_fmac_f32_e32 v46, v19, v93
	;; [unrolled: 1-line block ×3, first 2 shown]
	s_add_i32 s98, s98, 8
	s_add_i32 s3, s3, -1
	s_add_i32 s72, s72, s79
	s_add_i32 s70, s70, s48
	;; [unrolled: 1-line block ×4, first 2 shown]
	v_pk_fma_f32 v[36:37], v[44:45], v[48:49], v[36:37]
	v_pk_fma_f32 v[34:35], v[16:17], v[42:43], v[34:35]
	;; [unrolled: 1-line block ×3, first 2 shown]
	s_cmp_eq_u32 s3, 0
	v_pk_fma_f32 v[30:31], v[18:19], v[12:13], v[30:31]
	s_cbranch_scc1 .LBB105_58
.LBB105_33:                             ;   Parent Loop BB105_12 Depth=1
                                        ; =>  This Inner Loop Header: Depth=2
	s_lshl_b64 s[74:75], s[58:59], 2
	s_mov_b32 s69, s59
	s_add_u32 s74, s40, s74
	v_lshl_add_u64 v[12:13], s[68:69], 1, v[38:39]
	s_mov_b32 s71, s59
	s_addc_u32 s75, s80, s75
	global_load_dwordx4 v[16:19], v[12:13], off
	v_lshl_add_u64 v[12:13], s[70:71], 1, v[40:41]
	global_load_dword v44, v21, s[74:75]
	s_andn2_b64 vcc, exec, s[54:55]
	global_load_dwordx4 v[12:15], v[12:13], off
	s_cbranch_vccnz .LBB105_35
; %bb.34:                               ;   in Loop: Header=BB105_33 Depth=2
	v_mov_b32_e32 v42, s98
	ds_read_b64 v[42:43], v42
	s_cbranch_execz .LBB105_36
	s_branch .LBB105_39
.LBB105_35:                             ;   in Loop: Header=BB105_33 Depth=2
                                        ; implicit-def: $vgpr43
.LBB105_36:                             ;   in Loop: Header=BB105_33 Depth=2
	s_andn2_b64 vcc, exec, s[38:39]
	s_waitcnt lgkmcnt(0)
	v_mov_b32_e32 v43, 0
	s_cbranch_vccnz .LBB105_38
; %bb.37:                               ;   in Loop: Header=BB105_33 Depth=2
	s_mov_b32 s73, s59
	s_lshl_b64 s[74:75], s[72:73], 2
	s_add_u32 s74, s45, s74
	s_addc_u32 s75, s49, s75
	global_load_dword v43, v21, s[74:75]
.LBB105_38:                             ;   in Loop: Header=BB105_33 Depth=2
	v_mov_b32_e32 v42, 1.0
.LBB105_39:                             ;   in Loop: Header=BB105_33 Depth=2
	s_waitcnt vmcnt(1)
	v_mul_f32_e32 v46, 0x3fb8aa3b, v44
	v_cvt_f32_f16_e32 v44, v16
	v_cvt_f32_f16_sdwa v45, v16 dst_sel:DWORD dst_unused:UNUSED_PAD src0_sel:WORD_1
	v_mul_f32_e32 v16, v46, v71
	v_cmp_gt_f32_e32 vcc, s92, v16
	v_cvt_f32_f16_e32 v49, v18
	v_cvt_f32_f16_sdwa v51, v18 dst_sel:DWORD dst_unused:UNUSED_PAD src0_sel:WORD_1
	v_cndmask_b32_e32 v16, 0, v61, vcc
	v_mul_f32_e32 v18, v46, v72
	v_cvt_f32_f16_e32 v47, v17
	v_cvt_f32_f16_sdwa v48, v17 dst_sel:DWORD dst_unused:UNUSED_PAD src0_sel:WORD_1
	v_fmac_f32_e32 v16, v46, v71
	v_cndmask_b32_e32 v17, 1.0, v62, vcc
	v_cmp_gt_f32_e32 vcc, s92, v18
	v_exp_f32_e32 v16, v16
	v_cvt_f32_f16_e32 v93, v19
	v_cndmask_b32_e32 v18, 0, v61, vcc
	v_fmac_f32_e32 v18, v46, v72
	v_exp_f32_e32 v18, v18
	v_cvt_f32_f16_sdwa v94, v19 dst_sel:DWORD dst_unused:UNUSED_PAD src0_sel:WORD_1
	v_mul_f32_e32 v17, v16, v17
	v_mul_f32_e32 v19, v46, v73
	v_cndmask_b32_e64 v87, 1.0, v17, s[18:19]
	v_cndmask_b32_e32 v17, 1.0, v62, vcc
	v_cmp_gt_f32_e32 vcc, s92, v19
	v_mul_f32_e32 v16, v85, v44
	v_mul_f32_e32 v18, v18, v17
	v_cndmask_b32_e32 v19, 0, v61, vcc
	v_mul_f32_e32 v44, v46, v74
	v_fmac_f32_e32 v19, v46, v73
	v_cndmask_b32_e64 v88, 1.0, v18, s[20:21]
	v_cndmask_b32_e32 v18, 1.0, v62, vcc
	v_cmp_gt_f32_e32 vcc, s92, v44
	v_exp_f32_e32 v19, v19
	v_mul_f32_e32 v17, v84, v45
	v_cndmask_b32_e32 v44, 0, v61, vcc
	v_fmac_f32_e32 v44, v46, v74
	v_exp_f32_e32 v45, v44
	v_mul_f32_e32 v18, v19, v18
	v_cndmask_b32_e64 v89, 1.0, v18, s[22:23]
	v_cndmask_b32_e32 v18, 1.0, v62, vcc
	v_mul_f32_e32 v18, v45, v18
	v_mul_f32_e32 v45, v46, v75
	v_cmp_gt_f32_e32 vcc, s92, v45
	v_mul_f32_e32 v19, v83, v47
	v_cndmask_b32_e64 v44, 0, v19, s[22:23]
	v_cndmask_b32_e32 v45, 0, v61, vcc
	v_fmac_f32_e32 v45, v46, v75
	v_exp_f32_e32 v47, v45
	v_mul_f32_e32 v19, v82, v48
	v_cndmask_b32_e64 v90, 1.0, v18, s[24:25]
	v_cndmask_b32_e32 v18, 1.0, v62, vcc
	v_cndmask_b32_e64 v45, 0, v19, s[24:25]
	v_mul_f32_e32 v19, v47, v18
	v_mul_f32_e32 v47, v46, v76
	v_cmp_gt_f32_e32 vcc, s92, v47
	v_mul_f32_e32 v48, v46, v77
	v_cndmask_b32_e64 v91, 1.0, v19, s[26:27]
	v_cndmask_b32_e32 v47, 0, v61, vcc
	v_fmac_f32_e32 v47, v46, v76
	v_exp_f32_e32 v47, v47
	v_cndmask_b32_e32 v19, 1.0, v62, vcc
	v_cmp_gt_f32_e32 vcc, s92, v48
	v_mul_f32_e32 v18, v81, v49
	v_mul_f32_e32 v47, v47, v19
	v_cndmask_b32_e32 v48, 0, v61, vcc
	v_mul_f32_e32 v49, v46, v29
	v_fmac_f32_e32 v48, v46, v77
	v_cndmask_b32_e64 v92, 1.0, v47, s[28:29]
	v_cndmask_b32_e32 v47, 1.0, v62, vcc
	v_cmp_gt_f32_e32 vcc, s92, v49
	v_exp_f32_e32 v48, v48
	v_cndmask_b32_e64 v16, 0, v16, s[18:19]
	v_cndmask_b32_e32 v49, 0, v61, vcc
	v_fmac_f32_e32 v49, v46, v29
	v_exp_f32_e32 v49, v49
	v_mul_f32_e32 v47, v48, v47
	v_mul_f32_e32 v48, v79, v93
	v_cndmask_b32_e64 v93, 1.0, v47, s[30:31]
	v_cndmask_b32_e32 v47, 1.0, v62, vcc
	v_cndmask_b32_e64 v17, 0, v17, s[20:21]
	v_cndmask_b32_e64 v46, 0, v48, s[30:31]
	v_mul_f32_e32 v48, v49, v47
	v_mul_f32_e32 v47, v78, v94
	v_cndmask_b32_e64 v94, 1.0, v48, s[34:35]
	v_mul_f32_e32 v48, v88, v87
	v_fma_f32 v49, v88, v16, v17
	v_mul_f32_e32 v48, v48, v89
	v_fma_f32 v49, v49, v89, v44
	v_cndmask_b32_e64 v18, 0, v18, s[26:27]
	v_mul_f32_e32 v19, v80, v51
	v_mul_f32_e32 v48, v48, v90
	v_fma_f32 v49, v49, v90, v45
	v_cndmask_b32_e64 v19, 0, v19, s[28:29]
	v_mul_f32_e32 v48, v48, v91
	v_fma_f32 v49, v49, v91, v18
	v_mul_f32_e32 v48, v48, v92
	v_fma_f32 v49, v49, v92, v19
	v_cndmask_b32_e64 v47, 0, v47, s[34:35]
	v_mul_f32_e32 v48, v48, v93
	v_fma_f32 v49, v49, v93, v46
	v_mul_f32_e32 v48, v48, v94
	v_fma_f32 v52, v49, v94, v47
	s_nop 0
	v_mov_b32_dpp v95, v48 row_shr:1 row_mask:0xf bank_mask:0xf
	v_mov_b32_dpp v51, v52 row_shr:1 row_mask:0xf bank_mask:0xf
	s_and_saveexec_b64 s[74:75], s[6:7]
; %bb.40:                               ;   in Loop: Header=BB105_33 Depth=2
	v_mul_f32_e32 v95, v48, v95
	v_fmac_f32_e32 v52, v48, v51
	v_mov_b32_e32 v48, v95
; %bb.41:                               ;   in Loop: Header=BB105_33 Depth=2
	s_or_b64 exec, exec, s[74:75]
	s_nop 0
	v_mov_b32_dpp v51, v48 row_shr:2 row_mask:0xf bank_mask:0xf
	v_mov_b32_dpp v95, v52 row_shr:2 row_mask:0xf bank_mask:0xf
	s_and_saveexec_b64 s[74:75], s[8:9]
; %bb.42:                               ;   in Loop: Header=BB105_33 Depth=2
	v_fmac_f32_e32 v52, v48, v95
	v_mul_f32_e32 v48, v48, v51
; %bb.43:                               ;   in Loop: Header=BB105_33 Depth=2
	s_or_b64 exec, exec, s[74:75]
	s_nop 0
	v_mov_b32_dpp v51, v48 row_shr:4 row_mask:0xf bank_mask:0xf
	v_mov_b32_dpp v95, v52 row_shr:4 row_mask:0xf bank_mask:0xf
	s_and_saveexec_b64 s[74:75], s[10:11]
; %bb.44:                               ;   in Loop: Header=BB105_33 Depth=2
	v_fmac_f32_e32 v52, v48, v95
	v_mul_f32_e32 v48, v48, v51
	;; [unrolled: 9-line block ×3, first 2 shown]
; %bb.47:                               ;   in Loop: Header=BB105_33 Depth=2
	s_or_b64 exec, exec, s[74:75]
	s_nop 0
	v_mov_b32_dpp v51, v48 row_bcast:15 row_mask:0xf bank_mask:0xf
	v_mov_b32_dpp v95, v52 row_bcast:15 row_mask:0xf bank_mask:0xf
	s_and_saveexec_b64 s[74:75], s[14:15]
; %bb.48:                               ;   in Loop: Header=BB105_33 Depth=2
	v_fmac_f32_e32 v52, v48, v95
	v_mul_f32_e32 v48, v48, v51
; %bb.49:                               ;   in Loop: Header=BB105_33 Depth=2
	s_or_b64 exec, exec, s[74:75]
	s_nop 0
	v_mov_b32_dpp v51, v48 row_bcast:31 row_mask:0xf bank_mask:0xf
	v_mov_b32_dpp v95, v52 row_bcast:31 row_mask:0xf bank_mask:0xf
	v_mov_b32_e32 v49, v52
	v_mul_f32_e32 v51, v48, v51
	v_fmac_f32_e32 v49, v48, v95
	v_cndmask_b32_e64 v48, v48, v51, s[16:17]
	v_cndmask_b32_e64 v49, v52, v49, s[16:17]
	s_and_saveexec_b64 s[74:75], s[36:37]
	s_cbranch_execz .LBB105_51
; %bb.50:                               ;   in Loop: Header=BB105_33 Depth=2
	ds_write_b64 v21, v[48:49] offset:2112
.LBB105_51:                             ;   in Loop: Header=BB105_33 Depth=2
	s_or_b64 exec, exec, s[74:75]
	ds_bpermute_b32 v95, v86, v48
	ds_bpermute_b32 v51, v86, v49
	s_waitcnt vmcnt(0) lgkmcnt(2)
	v_mov_b32_e32 v49, v43
	s_waitcnt lgkmcnt(0)
	; wave barrier
	s_waitcnt lgkmcnt(0)
	s_and_saveexec_b64 s[74:75], s[0:1]
	s_cbranch_execz .LBB105_55
; %bb.52:                               ;   in Loop: Header=BB105_33 Depth=2
	ds_read_b64 v[48:49], v21 offset:2112
	s_and_saveexec_b64 s[76:77], s[4:5]
	s_cbranch_execz .LBB105_54
; %bb.53:                               ;   in Loop: Header=BB105_33 Depth=2
	ds_write_b64 v21, v[42:43] offset:2112
.LBB105_54:                             ;   in Loop: Header=BB105_33 Depth=2
	s_or_b64 exec, exec, s[76:77]
	s_waitcnt lgkmcnt(0)
	v_fmac_f32_e32 v49, v43, v48
	v_mul_f32_e32 v42, v42, v48
	v_mov_b32_e32 v43, v49
.LBB105_55:                             ;   in Loop: Header=BB105_33 Depth=2
	s_or_b64 exec, exec, s[74:75]
	s_waitcnt lgkmcnt(0)
	; wave barrier
	ds_read_b32 v48, v21 offset:2116
	s_and_saveexec_b64 s[74:75], s[4:5]
	s_cbranch_execz .LBB105_32
; %bb.56:                               ;   in Loop: Header=BB105_33 Depth=2
	v_mov_b32_e32 v52, s98
	s_andn2_b64 vcc, exec, s[66:67]
	ds_write_b64 v52, v[42:43]
	s_cbranch_vccnz .LBB105_32
; %bb.57:                               ;   in Loop: Header=BB105_33 Depth=2
	s_mov_b32 s73, s59
	s_lshl_b64 s[76:77], s[72:73], 2
	s_add_u32 s76, s45, s76
	s_addc_u32 s77, s49, s77
	global_store_dword v21, v49, s[76:77]
	s_branch .LBB105_32
.LBB105_58:                             ;   in Loop: Header=BB105_12 Depth=1
	v_cvt_f16_f32_e32 v12, v34
	v_cvt_f16_f32_e32 v18, v35
	;; [unrolled: 1-line block ×8, first 2 shown]
	s_mov_b32 s3, s59
	v_lshl_add_u64 v[16:17], s[2:3], 1, v[22:23]
	v_pack_b32_f16 v15, v15, v19
	v_pack_b32_f16 v14, v14, v29
	;; [unrolled: 1-line block ×4, first 2 shown]
	s_waitcnt lgkmcnt(0)
	; wave barrier
	global_store_dwordx4 v[16:17], v[12:15], off
	s_waitcnt lgkmcnt(0)
	; wave barrier
	s_and_saveexec_b64 s[6:7], s[0:1]
	s_cbranch_execz .LBB105_11
; %bb.59:                               ;   in Loop: Header=BB105_12 Depth=1
	v_lshl_add_u64 v[8:9], s[2:3], 1, v[24:25]
	global_load_dwordx4 v[8:11], v[8:9], off
	s_branch .LBB105_11
.LBB105_60:
	s_endpgm
	.section	.rodata,"a",@progbits
	.p2align	6, 0x0
	.amdhsa_kernel _Z25selective_scan_fwd_kernelI32Selective_Scan_fwd_kernel_traitsILi64ELi8ELi1ELb1ELb1ELb1ELb1ELb0EN3c104HalfEffEEv13SSMParamsBase
		.amdhsa_group_segment_fixed_size 0
		.amdhsa_private_segment_fixed_size 0
		.amdhsa_kernarg_size 248
		.amdhsa_user_sgpr_count 2
		.amdhsa_user_sgpr_dispatch_ptr 0
		.amdhsa_user_sgpr_queue_ptr 0
		.amdhsa_user_sgpr_kernarg_segment_ptr 1
		.amdhsa_user_sgpr_dispatch_id 0
		.amdhsa_user_sgpr_kernarg_preload_length 0
		.amdhsa_user_sgpr_kernarg_preload_offset 0
		.amdhsa_user_sgpr_private_segment_size 0
		.amdhsa_uses_dynamic_stack 0
		.amdhsa_enable_private_segment 0
		.amdhsa_system_sgpr_workgroup_id_x 1
		.amdhsa_system_sgpr_workgroup_id_y 1
		.amdhsa_system_sgpr_workgroup_id_z 0
		.amdhsa_system_sgpr_workgroup_info 0
		.amdhsa_system_vgpr_workitem_id 0
		.amdhsa_next_free_vgpr 96
		.amdhsa_next_free_sgpr 99
		.amdhsa_accum_offset 96
		.amdhsa_reserve_vcc 1
		.amdhsa_float_round_mode_32 0
		.amdhsa_float_round_mode_16_64 0
		.amdhsa_float_denorm_mode_32 3
		.amdhsa_float_denorm_mode_16_64 3
		.amdhsa_dx10_clamp 1
		.amdhsa_ieee_mode 1
		.amdhsa_fp16_overflow 0
		.amdhsa_tg_split 0
		.amdhsa_exception_fp_ieee_invalid_op 0
		.amdhsa_exception_fp_denorm_src 0
		.amdhsa_exception_fp_ieee_div_zero 0
		.amdhsa_exception_fp_ieee_overflow 0
		.amdhsa_exception_fp_ieee_underflow 0
		.amdhsa_exception_fp_ieee_inexact 0
		.amdhsa_exception_int_div_zero 0
	.end_amdhsa_kernel
	.section	.text._Z25selective_scan_fwd_kernelI32Selective_Scan_fwd_kernel_traitsILi64ELi8ELi1ELb1ELb1ELb1ELb1ELb0EN3c104HalfEffEEv13SSMParamsBase,"axG",@progbits,_Z25selective_scan_fwd_kernelI32Selective_Scan_fwd_kernel_traitsILi64ELi8ELi1ELb1ELb1ELb1ELb1ELb0EN3c104HalfEffEEv13SSMParamsBase,comdat
.Lfunc_end105:
	.size	_Z25selective_scan_fwd_kernelI32Selective_Scan_fwd_kernel_traitsILi64ELi8ELi1ELb1ELb1ELb1ELb1ELb0EN3c104HalfEffEEv13SSMParamsBase, .Lfunc_end105-_Z25selective_scan_fwd_kernelI32Selective_Scan_fwd_kernel_traitsILi64ELi8ELi1ELb1ELb1ELb1ELb1ELb0EN3c104HalfEffEEv13SSMParamsBase
                                        ; -- End function
	.section	.AMDGPU.csdata,"",@progbits
; Kernel info:
; codeLenInByte = 9840
; NumSgprs: 105
; NumVgprs: 96
; NumAgprs: 0
; TotalNumVgprs: 96
; ScratchSize: 0
; MemoryBound: 1
; FloatMode: 240
; IeeeMode: 1
; LDSByteSize: 0 bytes/workgroup (compile time only)
; SGPRBlocks: 13
; VGPRBlocks: 11
; NumSGPRsForWavesPerEU: 105
; NumVGPRsForWavesPerEU: 96
; AccumOffset: 96
; Occupancy: 5
; WaveLimiterHint : 0
; COMPUTE_PGM_RSRC2:SCRATCH_EN: 0
; COMPUTE_PGM_RSRC2:USER_SGPR: 2
; COMPUTE_PGM_RSRC2:TRAP_HANDLER: 0
; COMPUTE_PGM_RSRC2:TGID_X_EN: 1
; COMPUTE_PGM_RSRC2:TGID_Y_EN: 1
; COMPUTE_PGM_RSRC2:TGID_Z_EN: 0
; COMPUTE_PGM_RSRC2:TIDIG_COMP_CNT: 0
; COMPUTE_PGM_RSRC3_GFX90A:ACCUM_OFFSET: 23
; COMPUTE_PGM_RSRC3_GFX90A:TG_SPLIT: 0
	.section	.text._Z25selective_scan_fwd_kernelI32Selective_Scan_fwd_kernel_traitsILi64ELi8ELi1ELb1ELb1ELb1ELb0ELb1EN3c104HalfEffEEv13SSMParamsBase,"axG",@progbits,_Z25selective_scan_fwd_kernelI32Selective_Scan_fwd_kernel_traitsILi64ELi8ELi1ELb1ELb1ELb1ELb0ELb1EN3c104HalfEffEEv13SSMParamsBase,comdat
	.protected	_Z25selective_scan_fwd_kernelI32Selective_Scan_fwd_kernel_traitsILi64ELi8ELi1ELb1ELb1ELb1ELb0ELb1EN3c104HalfEffEEv13SSMParamsBase ; -- Begin function _Z25selective_scan_fwd_kernelI32Selective_Scan_fwd_kernel_traitsILi64ELi8ELi1ELb1ELb1ELb1ELb0ELb1EN3c104HalfEffEEv13SSMParamsBase
	.globl	_Z25selective_scan_fwd_kernelI32Selective_Scan_fwd_kernel_traitsILi64ELi8ELi1ELb1ELb1ELb1ELb0ELb1EN3c104HalfEffEEv13SSMParamsBase
	.p2align	8
	.type	_Z25selective_scan_fwd_kernelI32Selective_Scan_fwd_kernel_traitsILi64ELi8ELi1ELb1ELb1ELb1ELb0ELb1EN3c104HalfEffEEv13SSMParamsBase,@function
_Z25selective_scan_fwd_kernelI32Selective_Scan_fwd_kernel_traitsILi64ELi8ELi1ELb1ELb1ELb1ELb0ELb1EN3c104HalfEffEEv13SSMParamsBase: ; @_Z25selective_scan_fwd_kernelI32Selective_Scan_fwd_kernel_traitsILi64ELi8ELi1ELb1ELb1ELb1ELb0ELb1EN3c104HalfEffEEv13SSMParamsBase
; %bb.0:
	s_load_dword s27, s[0:1], 0x18
	s_load_dwordx4 s[4:7], s[0:1], 0xe0
	s_load_dwordx2 s[10:11], s[0:1], 0xf0
	s_mov_b32 s20, s3
	s_ashr_i32 s3, s2, 31
	s_waitcnt lgkmcnt(0)
	s_abs_i32 s26, s27
	v_cvt_f32_u32_e32 v1, s26
	s_lshl_b64 s[8:9], s[2:3], 2
	s_add_u32 s24, s4, s8
	s_addc_u32 s25, s5, s9
	v_rcp_iflag_f32_e32 v1, v1
	s_cmp_eq_u64 s[10:11], 0
	v_mul_f32_e32 v1, 0x4f7ffffe, v1
	v_cvt_u32_f32_e32 v1, v1
	s_nop 0
	v_readfirstlane_b32 s28, v1
	s_cbranch_scc1 .LBB106_137
; %bb.1:
	s_add_u32 s4, s10, s2
	s_addc_u32 s5, s11, s3
	v_mov_b32_e32 v1, 0
	global_load_ubyte v1, v1, s[4:5]
	s_waitcnt vmcnt(0)
	v_and_b32_e32 v1, 1, v1
	v_cmp_eq_u32_e64 s[68:69], 1, v1
	s_load_dwordx2 s[4:5], s[0:1], 0x20
	s_cmp_eq_u64 s[6:7], 0
	s_cbranch_scc1 .LBB106_3
.LBB106_2:
	s_add_u32 s2, s6, s8
	s_addc_u32 s3, s7, s9
	s_load_dword s2, s[2:3], 0x0
	s_waitcnt lgkmcnt(0)
	s_ashr_i32 s3, s2, 31
.LBB106_3:
	s_waitcnt lgkmcnt(0)
	s_cmp_eq_u64 s[4:5], s[2:3]
	s_cbranch_scc1 .LBB106_136
; %bb.4:
	s_load_dwordx16 s[4:19], s[0:1], 0x88
	s_load_dwordx2 s[22:23], s[24:25], 0x0
	s_mov_b32 s33, 0
	s_mov_b32 s94, 0
	s_waitcnt lgkmcnt(0)
	s_cmp_eq_u64 s[10:11], 0
	s_cbranch_scc1 .LBB106_6
; %bb.5:
	s_ashr_i32 s21, s20, 31
	s_lshl_b64 s[24:25], s[20:21], 2
	s_add_u32 s10, s10, s24
	s_addc_u32 s11, s11, s25
	s_load_dword s94, s[10:11], 0x0
.LBB106_6:
	s_cmp_eq_u64 s[16:17], 0
	s_cbranch_scc1 .LBB106_8
; %bb.7:
	s_ashr_i32 s21, s20, 31
	s_lshl_b64 s[10:11], s[20:21], 2
	s_add_u32 s10, s16, s10
	s_addc_u32 s11, s17, s11
	s_load_dword s33, s[10:11], 0x0
.LBB106_8:
	s_sub_i32 s29, s23, s22
	s_cmp_lt_i32 s29, 1
	s_cbranch_scc1 .LBB106_136
; %bb.9:
	s_sub_i32 s3, 0, s26
	s_mul_i32 s3, s3, s28
	s_mul_hi_u32 s3, s28, s3
	s_abs_i32 s21, s20
	s_add_i32 s28, s28, s3
	s_load_dwordx8 s[52:59], s[0:1], 0x2c
	s_load_dwordx2 s[10:11], s[0:1], 0x5c
	s_load_dwordx4 s[60:63], s[0:1], 0x4c
	s_load_dwordx4 s[64:67], s[0:1], 0x7c
	s_load_dwordx2 s[24:25], s[0:1], 0x6c
	s_load_dwordx2 s[16:17], s[0:1], 0xc8
	s_mul_hi_u32 s3, s21, s28
	s_load_dword s28, s[0:1], 0xc
	s_load_dword s23, s[0:1], 0x28
	s_ashr_i32 s0, s20, 31
	s_ashr_i32 s1, s27, 31
	s_xor_b32 s0, s0, s1
	s_mul_i32 s1, s3, s26
	s_sub_i32 s1, s21, s1
	s_add_i32 s21, s3, 1
	s_sub_i32 s27, s1, s26
	s_cmp_ge_u32 s1, s26
	s_cselect_b32 s3, s21, s3
	s_cselect_b32 s1, s27, s1
	s_add_i32 s21, s3, 1
	s_cmp_ge_u32 s1, s26
	s_cselect_b32 s1, s21, s3
	s_xor_b32 s1, s1, s0
	s_waitcnt lgkmcnt(0)
	s_mul_i32 s70, s22, s62
	s_mov_b32 s71, 0
	s_sub_i32 s3, s1, s0
	s_lshl_b64 s[0:1], s[70:71], 1
	s_add_u32 s12, s12, s0
	s_mul_i32 s70, s63, s20
	s_addc_u32 s13, s13, s1
	s_lshl_b64 s[0:1], s[70:71], 1
	s_add_u32 s62, s12, s0
	s_mul_i32 s70, s22, s10
	s_addc_u32 s63, s13, s1
	;; [unrolled: 4-line block ×10, first 2 shown]
	s_lshl_b64 s[0:1], s[70:71], 2
	s_add_u32 s57, s2, s0
	v_mbcnt_lo_u32_b32 v1, -1, 0
	s_addc_u32 s61, s3, s1
	s_add_i32 s0, s29, 0x7ff
	v_mbcnt_hi_u32_b32 v10, -1, v1
	s_lshr_b32 s12, s0, 11
	v_lshrrev_b32_e32 v1, 5, v10
	v_and_b32_e32 v1, 2, v1
	s_bitcmp1_b32 s23, 0
	v_add_u32_e32 v36, 64, v10
	v_or_b32_e32 v37, 0x80, v10
	v_add_u32_e32 v38, 0xc0, v10
	v_or_b32_e32 v39, 0x100, v10
	;; [unrolled: 2-line block ×3, first 2 shown]
	v_add_u32_e32 v42, 0x1c0, v10
	v_add_u32_e32 v1, v1, v10
	s_cselect_b64 s[64:65], -1, 0
                                        ; implicit-def: $vgpr95 : SGPR spill to VGPR lane
	s_cmp_gt_i32 s28, 0
	v_lshl_add_u32 v43, v1, 1, 0
	v_lshrrev_b32_e32 v1, 5, v36
	v_lshrrev_b32_e32 v2, 5, v37
	v_lshrrev_b32_e32 v3, 5, v38
	v_lshrrev_b32_e32 v4, 5, v39
	v_lshrrev_b32_e32 v5, 5, v40
	v_lshrrev_b32_e32 v6, 5, v41
	v_lshrrev_b32_e32 v7, 5, v42
	v_writelane_b32 v95, s28, 0
	s_cselect_b64 s[0:1], -1, 0
	v_and_b32_e32 v1, 6, v1
	v_and_b32_e32 v2, 6, v2
	;; [unrolled: 1-line block ×7, first 2 shown]
	v_writelane_b32 v95, s0, 1
	v_add_lshl_u32 v1, v1, v10, 1
	v_add_lshl_u32 v2, v2, v10, 1
	;; [unrolled: 1-line block ×7, first 2 shown]
	v_writelane_b32 v95, s1, 2
	s_add_i32 s0, 0, 0x420
	v_add_u32_e32 v52, s0, v1
	v_add_u32_e32 v53, s0, v2
	;; [unrolled: 1-line block ×7, first 2 shown]
	s_and_b32 s0, s29, 0x1ff
	v_writelane_b32 v95, s29, 3
	s_cmp_eq_u32 s0, 0
	s_cselect_b64 s[76:77], -1, 0
	v_writelane_b32 v95, s12, 4
	s_add_i32 s12, s12, -1
	s_mul_i32 s70, s22, s24
	v_writelane_b32 v95, s12, 5
	s_lshl_b64 s[12:13], s[70:71], 1
	v_add_u32_e32 v44, 0, v1
	v_lshrrev_b32_e32 v8, 2, v10
	v_and_b32_e32 v1, 15, v10
	s_add_u32 s21, s18, s12
	s_mul_i32 s70, s25, s20
	v_and_b32_e32 v8, 30, v8
	v_cmp_ne_u32_e64 s[0:1], 0, v1
	v_cmp_lt_u32_e64 s[2:3], 1, v1
	v_cmp_lt_u32_e64 s[4:5], 3, v1
	;; [unrolled: 1-line block ×3, first 2 shown]
	v_and_b32_e32 v1, 16, v10
	s_addc_u32 s22, s19, s13
	s_lshl_b64 s[18:19], s[70:71], 1
	v_add_u32_e32 v45, 0, v2
	v_lshl_add_u32 v8, v10, 3, v8
	v_cmp_ne_u32_e64 s[8:9], 0, v1
	v_add_u32_e32 v1, -1, v10
	v_and_b32_e32 v2, 64, v10
	s_add_u32 s18, s21, s18
	v_mov_b32_e32 v9, 0
	v_lshl_add_u32 v51, v8, 1, 0
	v_cmp_lt_i32_e32 vcc, v1, v2
	s_addc_u32 s19, s22, s19
	v_lshlrev_b32_e32 v8, 1, v10
	v_lshlrev_b32_e32 v11, 3, v0
	v_cndmask_b32_e32 v1, v1, v10, vcc
	v_lshl_add_u64 v[12:13], s[18:19], 0, v[8:9]
	s_add_i32 s18, 0, 0x848
	v_add_u32_e32 v46, 0, v3
	v_add_u32_e32 v47, 0, v4
	;; [unrolled: 1-line block ×5, first 2 shown]
	v_cmp_lt_u32_e64 s[10:11], 31, v10
	v_cmp_eq_u32_e64 s[12:13], 63, v0
	v_lshlrev_b32_e32 v59, 2, v1
	v_cmp_gt_u32_e64 s[14:15], 64, v0
	v_cmp_eq_u32_e64 s[16:17], 0, v0
	v_or_b32_e32 v62, 3, v11
	v_or_b32_e32 v63, 4, v11
	;; [unrolled: 1-line block ×5, first 2 shown]
	v_lshlrev_b32_e32 v8, 1, v10
	s_mov_b32 s99, 0x41a00000
	s_mov_b32 s40, 0x3fb8aa3b
	;; [unrolled: 1-line block ×6, first 2 shown]
	v_mov_b32_e32 v67, 0x3ecc95a3
	s_mov_b32 s95, 0x3f317218
	s_mov_b32 s67, 0x33800000
	v_writelane_b32 v95, s18, 6
	s_mov_b32 s98, 0xc2fc0000
	v_mov_b32_e32 v68, 0x7f800000
	v_mov_b32_e32 v14, 0x3f317218
	;; [unrolled: 1-line block ×4, first 2 shown]
	s_mov_b32 s74, 0
                                        ; implicit-def: $vgpr0
	s_branch .LBB106_11
.LBB106_10:                             ;   in Loop: Header=BB106_11 Depth=1
	s_or_b64 exec, exec, s[18:19]
	s_add_u32 s72, s72, 0x400
	s_addc_u32 s73, s73, 0
	s_add_u32 s62, s62, 0x400
	s_addc_u32 s63, s63, 0
	;; [unrolled: 2-line block ×4, first 2 shown]
	s_add_i32 s74, s74, 1
	v_readlane_b32 s18, v95, 4
	s_cmp_eq_u32 s74, s18
	s_cbranch_scc1 .LBB106_136
.LBB106_11:                             ; =>This Loop Header: Depth=1
                                        ;     Child Loop BB106_60 Depth 2
	s_lshl_b32 s78, s74, 9
	v_readlane_b32 s18, v95, 3
	s_sub_i32 s50, s18, s78
	v_lshl_add_u64 v[0:1], s[62:63], 0, v[8:9]
	v_cmp_gt_u32_e64 s[18:19], s50, v10
	s_waitcnt lgkmcnt(0)
	v_mov_b32_e32 v2, 0
	s_waitcnt lgkmcnt(0)
	; wave barrier
	s_and_saveexec_b64 s[20:21], s[18:19]
	s_cbranch_execz .LBB106_13
; %bb.12:                               ;   in Loop: Header=BB106_11 Depth=1
	global_load_ushort v2, v[0:1], off
.LBB106_13:                             ;   in Loop: Header=BB106_11 Depth=1
	s_or_b64 exec, exec, s[20:21]
	v_cmp_gt_u32_e64 s[20:21], s50, v36
	v_mov_b32_e32 v3, 0
	v_mov_b32_e32 v4, 0
	s_and_saveexec_b64 s[22:23], s[20:21]
	s_cbranch_execz .LBB106_15
; %bb.14:                               ;   in Loop: Header=BB106_11 Depth=1
	global_load_ushort v4, v[0:1], off offset:128
.LBB106_15:                             ;   in Loop: Header=BB106_11 Depth=1
	s_or_b64 exec, exec, s[22:23]
	v_cmp_gt_u32_e64 s[22:23], s50, v37
	s_and_saveexec_b64 s[24:25], s[22:23]
	s_cbranch_execz .LBB106_17
; %bb.16:                               ;   in Loop: Header=BB106_11 Depth=1
	global_load_ushort v3, v[0:1], off offset:256
.LBB106_17:                             ;   in Loop: Header=BB106_11 Depth=1
	s_or_b64 exec, exec, s[24:25]
	v_cmp_gt_u32_e64 s[24:25], s50, v38
	v_mov_b32_e32 v5, 0
	v_mov_b32_e32 v7, 0
	s_and_saveexec_b64 s[26:27], s[24:25]
	s_cbranch_execz .LBB106_19
; %bb.18:                               ;   in Loop: Header=BB106_11 Depth=1
	global_load_ushort v7, v[0:1], off offset:384
.LBB106_19:                             ;   in Loop: Header=BB106_11 Depth=1
	s_or_b64 exec, exec, s[26:27]
	v_cmp_gt_u32_e64 s[26:27], s50, v39
	s_and_saveexec_b64 s[28:29], s[26:27]
	s_cbranch_execz .LBB106_21
; %bb.20:                               ;   in Loop: Header=BB106_11 Depth=1
	global_load_ushort v5, v[0:1], off offset:512
.LBB106_21:                             ;   in Loop: Header=BB106_11 Depth=1
	s_or_b64 exec, exec, s[28:29]
	v_cmp_gt_u32_e64 s[28:29], s50, v40
	v_mov_b32_e32 v15, 0
	v_mov_b32_e32 v16, 0
	s_and_saveexec_b64 s[30:31], s[28:29]
	s_cbranch_execz .LBB106_23
; %bb.22:                               ;   in Loop: Header=BB106_11 Depth=1
	global_load_ushort v16, v[0:1], off offset:640
.LBB106_23:                             ;   in Loop: Header=BB106_11 Depth=1
	s_or_b64 exec, exec, s[30:31]
	v_cmp_gt_u32_e64 s[30:31], s50, v41
	s_and_saveexec_b64 s[34:35], s[30:31]
	s_cbranch_execz .LBB106_25
; %bb.24:                               ;   in Loop: Header=BB106_11 Depth=1
	global_load_ushort v15, v[0:1], off offset:768
.LBB106_25:                             ;   in Loop: Header=BB106_11 Depth=1
	s_or_b64 exec, exec, s[34:35]
	v_cmp_gt_u32_e64 s[34:35], s50, v42
	v_mov_b32_e32 v6, 0
	v_mov_b32_e32 v17, 0
	s_and_saveexec_b64 s[36:37], s[34:35]
	s_cbranch_execz .LBB106_27
; %bb.26:                               ;   in Loop: Header=BB106_11 Depth=1
	global_load_ushort v17, v[0:1], off offset:896
.LBB106_27:                             ;   in Loop: Header=BB106_11 Depth=1
	s_or_b64 exec, exec, s[36:37]
	s_waitcnt vmcnt(0)
	ds_write_b16 v43, v2
	ds_write_b16 v44, v4 offset:128
	ds_write_b16 v45, v3 offset:256
	;; [unrolled: 1-line block ×7, first 2 shown]
	; wave barrier
	ds_read_b128 v[0:3], v51
	v_lshl_add_u64 v[4:5], s[72:73], 0, v[8:9]
	s_waitcnt lgkmcnt(0)
	; wave barrier
	s_waitcnt lgkmcnt(0)
	s_and_saveexec_b64 s[36:37], s[18:19]
	s_cbranch_execz .LBB106_29
; %bb.28:                               ;   in Loop: Header=BB106_11 Depth=1
	global_load_ushort v6, v[4:5], off
.LBB106_29:                             ;   in Loop: Header=BB106_11 Depth=1
	s_or_b64 exec, exec, s[36:37]
	v_mov_b32_e32 v7, 0
	v_mov_b32_e32 v15, 0
	s_and_saveexec_b64 s[36:37], s[20:21]
	s_cbranch_execz .LBB106_31
; %bb.30:                               ;   in Loop: Header=BB106_11 Depth=1
	global_load_ushort v15, v[4:5], off offset:128
.LBB106_31:                             ;   in Loop: Header=BB106_11 Depth=1
	s_or_b64 exec, exec, s[36:37]
	s_and_saveexec_b64 s[36:37], s[22:23]
	s_cbranch_execz .LBB106_33
; %bb.32:                               ;   in Loop: Header=BB106_11 Depth=1
	global_load_ushort v7, v[4:5], off offset:256
.LBB106_33:                             ;   in Loop: Header=BB106_11 Depth=1
	s_or_b64 exec, exec, s[36:37]
	v_mov_b32_e32 v16, 0
	v_mov_b32_e32 v17, 0
	s_and_saveexec_b64 s[36:37], s[24:25]
	s_cbranch_execz .LBB106_35
; %bb.34:                               ;   in Loop: Header=BB106_11 Depth=1
	global_load_ushort v17, v[4:5], off offset:384
.LBB106_35:                             ;   in Loop: Header=BB106_11 Depth=1
	s_or_b64 exec, exec, s[36:37]
	s_and_saveexec_b64 s[36:37], s[26:27]
	s_cbranch_execz .LBB106_37
; %bb.36:                               ;   in Loop: Header=BB106_11 Depth=1
	global_load_ushort v16, v[4:5], off offset:512
.LBB106_37:                             ;   in Loop: Header=BB106_11 Depth=1
	s_or_b64 exec, exec, s[36:37]
	v_mov_b32_e32 v18, 0
	v_mov_b32_e32 v19, 0
	s_and_saveexec_b64 s[36:37], s[28:29]
	s_cbranch_execnz .LBB106_126
; %bb.38:                               ;   in Loop: Header=BB106_11 Depth=1
	s_or_b64 exec, exec, s[36:37]
	s_and_saveexec_b64 s[36:37], s[30:31]
	s_cbranch_execnz .LBB106_127
.LBB106_39:                             ;   in Loop: Header=BB106_11 Depth=1
	s_or_b64 exec, exec, s[36:37]
	v_mov_b32_e32 v20, 0
	s_and_saveexec_b64 s[36:37], s[34:35]
	s_cbranch_execz .LBB106_41
.LBB106_40:                             ;   in Loop: Header=BB106_11 Depth=1
	global_load_ushort v20, v[4:5], off offset:896
.LBB106_41:                             ;   in Loop: Header=BB106_11 Depth=1
	s_or_b64 exec, exec, s[36:37]
	s_waitcnt vmcnt(0)
	ds_write_b16 v43, v6
	ds_write_b16 v44, v15 offset:128
	ds_write_b16 v45, v7 offset:256
	;; [unrolled: 1-line block ×7, first 2 shown]
	; wave barrier
	ds_read_b128 v[4:7], v51
	s_waitcnt lgkmcnt(0)
	v_cvt_f32_f16_e32 v15, v4
	v_add_f32_e32 v71, s33, v15
	v_cmp_ge_f32_e32 vcc, s99, v71
	s_and_b64 s[36:37], s[64:65], vcc
	s_and_saveexec_b64 s[38:39], s[36:37]
	s_cbranch_execz .LBB106_43
; %bb.42:                               ;   in Loop: Header=BB106_11 Depth=1
	v_mul_f32_e32 v15, 0x3fb8aa3b, v71
	v_rndne_f32_e32 v16, v15
	v_sub_f32_e32 v17, v15, v16
	v_fma_f32 v15, v71, s40, -v15
	v_fmac_f32_e32 v15, 0x32a5705f, v71
	v_add_f32_e32 v15, v17, v15
	v_cvt_i32_f32_e32 v16, v16
	v_exp_f32_e32 v15, v15
	v_cmp_ngt_f32_e32 vcc, s41, v71
	v_ldexp_f32 v15, v15, v16
	s_nop 0
	v_cndmask_b32_e32 v15, 0, v15, vcc
	v_cmp_nlt_f32_e32 vcc, s42, v71
	s_nop 1
	v_cndmask_b32_e32 v32, v68, v15, vcc
	v_add_f32_e32 v15, 1.0, v32
	v_add_f32_e32 v16, -1.0, v15
	v_sub_f32_e32 v17, v16, v15
	v_add_f32_e32 v17, 1.0, v17
	v_sub_f32_e32 v16, v32, v16
	v_add_f32_e32 v18, v16, v17
	v_frexp_mant_f32_e32 v19, v15
	v_cvt_f64_f32_e32 v[16:17], v15
	v_frexp_exp_i32_f64_e32 v16, v[16:17]
	v_cmp_gt_f32_e32 vcc, s97, v19
	v_cmp_gt_f32_e64 s[36:37], s67, v32
	s_nop 0
	v_subbrev_co_u32_e32 v24, vcc, 0, v16, vcc
	v_sub_u32_e32 v16, 0, v24
	v_ldexp_f32 v15, v15, v16
	v_ldexp_f32 v16, v18, v16
	v_add_f32_e32 v18, -1.0, v15
	v_add_f32_e32 v17, 1.0, v18
	v_sub_f32_e32 v17, v15, v17
	v_add_f32_e32 v19, v16, v17
	v_add_f32_e32 v17, 1.0, v15
	v_add_f32_e32 v20, -1.0, v17
	v_sub_f32_e32 v15, v15, v20
	v_add_f32_e32 v15, v16, v15
	v_add_f32_e32 v25, v17, v15
	v_rcp_f32_e32 v26, v25
	v_sub_f32_e32 v16, v17, v25
	v_add_f32_e32 v17, v18, v19
	v_add_f32_e32 v15, v15, v16
	v_mul_f32_e32 v28, v17, v26
	v_sub_f32_e32 v16, v18, v17
	v_mul_f32_e32 v18, v25, v28
	v_fma_f32 v20, v28, v25, -v18
	v_fmac_f32_e32 v20, v28, v15
	v_add_f32_e32 v27, v19, v16
	v_add_f32_e32 v16, v18, v20
	v_sub_f32_e32 v19, v17, v16
	v_pk_add_f32 v[22:23], v[16:17], v[18:19] neg_lo:[0,1] neg_hi:[0,1]
	v_mov_b32_e32 v21, v16
	v_pk_add_f32 v[16:17], v[22:23], v[20:21] neg_lo:[0,1] neg_hi:[0,1]
	v_cmp_eq_f32_e32 vcc, s43, v32
	v_add_f32_e32 v17, v27, v17
	v_add_f32_e32 v16, v16, v17
	;; [unrolled: 1-line block ×3, first 2 shown]
	v_mul_f32_e32 v27, v26, v17
	v_mul_f32_e32 v18, v25, v27
	v_fma_f32 v20, v27, v25, -v18
	v_fmac_f32_e32 v20, v27, v15
	v_sub_f32_e32 v15, v19, v17
	v_add_f32_e32 v15, v16, v15
	v_add_f32_e32 v16, v18, v20
	v_sub_f32_e32 v19, v17, v16
	v_pk_add_f32 v[22:23], v[16:17], v[18:19] neg_lo:[0,1] neg_hi:[0,1]
	v_mov_b32_e32 v21, v16
	v_pk_add_f32 v[16:17], v[22:23], v[20:21] neg_lo:[0,1] neg_hi:[0,1]
	s_or_b64 vcc, s[36:37], vcc
	v_add_f32_e32 v15, v15, v17
	v_add_f32_e32 v15, v16, v15
	;; [unrolled: 1-line block ×4, first 2 shown]
	v_sub_f32_e32 v16, v17, v28
	v_mul_f32_e32 v15, v26, v15
	v_sub_f32_e32 v16, v27, v16
	v_add_f32_e32 v18, v16, v15
	v_add_f32_e32 v20, v17, v18
	v_cvt_f32_i32_e32 v16, v24
	v_mul_f32_e32 v21, v20, v20
	v_sub_f32_e32 v17, v20, v17
	v_fmamk_f32 v15, v21, 0x3e9b6dac, v67
	v_sub_f32_e32 v17, v18, v17
	v_fmaak_f32 v15, v21, v15, 0x3f2aaada
	v_ldexp_f32 v22, v17, 1
	v_mul_f32_e32 v17, v20, v21
	v_ldexp_f32 v19, v20, 1
	v_pk_mul_f32 v[20:21], v[16:17], v[14:15]
	s_nop 0
	v_fma_f32 v18, v16, s95, -v20
	v_fmac_f32_e32 v18, 0xb102e308, v16
	v_pk_add_f32 v[16:17], v[20:21], v[18:19]
	s_nop 0
	v_sub_f32_e32 v15, v17, v19
	v_sub_f32_e32 v15, v21, v15
	v_add_f32_e32 v23, v22, v15
	v_mov_b32_e32 v22, v20
	v_pk_add_f32 v[20:21], v[16:17], v[20:21] neg_lo:[0,1] neg_hi:[0,1]
	v_pk_add_f32 v[24:25], v[16:17], v[22:23]
	v_mov_b32_e32 v19, v16
	v_mov_b32_e32 v21, v25
	v_pk_add_f32 v[26:27], v[18:19], v[20:21] neg_lo:[0,1] neg_hi:[0,1]
	v_pk_add_f32 v[18:19], v[18:19], v[20:21]
	v_mov_b32_e32 v22, v23
	v_mov_b32_e32 v20, v19
	v_pk_add_f32 v[28:29], v[20:21], v[16:17] neg_lo:[0,1] neg_hi:[0,1]
	v_mov_b32_e32 v18, v25
	v_mov_b32_e32 v15, v28
	v_pk_add_f32 v[30:31], v[24:25], v[14:15] neg_lo:[0,1] neg_hi:[0,1]
	v_mov_b32_e32 v24, v17
	v_mov_b32_e32 v25, v28
	;; [unrolled: 1-line block ×3, first 2 shown]
	v_pk_add_f32 v[18:19], v[18:19], v[24:25] neg_lo:[0,1] neg_hi:[0,1]
	v_mov_b32_e32 v23, v16
	v_pk_add_f32 v[16:17], v[22:23], v[18:19] neg_lo:[0,1] neg_hi:[0,1]
	v_mov_b32_e32 v30, v26
	v_pk_add_f32 v[18:19], v[30:31], v[16:17]
	s_nop 0
	v_mov_b32_e32 v22, v19
	v_pk_add_f32 v[22:23], v[18:19], v[22:23]
	s_nop 0
	v_pk_add_f32 v[20:21], v[20:21], v[22:23]
	v_mov_b32_e32 v17, v22
	v_mov_b32_e32 v19, v20
	v_pk_add_f32 v[24:25], v[18:19], v[26:27] neg_lo:[0,1] neg_hi:[0,1]
	s_nop 0
	v_sub_f32_e32 v15, v18, v24
	v_pk_add_f32 v[16:17], v[16:17], v[24:25] neg_lo:[0,1] neg_hi:[0,1]
	v_sub_f32_e32 v15, v26, v15
	v_add_f32_e32 v15, v16, v15
	v_add_f32_e32 v15, v15, v17
	;; [unrolled: 1-line block ×3, first 2 shown]
	v_cndmask_b32_e32 v71, v15, v32, vcc
.LBB106_43:                             ;   in Loop: Header=BB106_11 Depth=1
	s_or_b64 exec, exec, s[38:39]
	v_cvt_f32_f16_sdwa v4, v4 dst_sel:DWORD dst_unused:UNUSED_PAD src0_sel:WORD_1
	v_add_f32_e32 v72, s33, v4
	v_cmp_ge_f32_e32 vcc, s99, v72
	s_and_b64 s[36:37], s[64:65], vcc
	s_and_saveexec_b64 s[38:39], s[36:37]
	s_cbranch_execz .LBB106_45
; %bb.44:                               ;   in Loop: Header=BB106_11 Depth=1
	v_mul_f32_e32 v4, 0x3fb8aa3b, v72
	v_rndne_f32_e32 v15, v4
	v_sub_f32_e32 v16, v4, v15
	v_fma_f32 v4, v72, s40, -v4
	v_fmac_f32_e32 v4, 0x32a5705f, v72
	v_add_f32_e32 v4, v16, v4
	v_cvt_i32_f32_e32 v15, v15
	v_exp_f32_e32 v4, v4
	v_cmp_ngt_f32_e32 vcc, s41, v72
	v_ldexp_f32 v4, v4, v15
	s_nop 0
	v_cndmask_b32_e32 v4, 0, v4, vcc
	v_cmp_nlt_f32_e32 vcc, s42, v72
	s_nop 1
	v_cndmask_b32_e32 v30, v68, v4, vcc
	v_add_f32_e32 v4, 1.0, v30
	v_add_f32_e32 v15, -1.0, v4
	v_sub_f32_e32 v16, v15, v4
	v_add_f32_e32 v16, 1.0, v16
	v_sub_f32_e32 v15, v30, v15
	v_add_f32_e32 v15, v15, v16
	v_frexp_mant_f32_e32 v18, v4
	v_cvt_f64_f32_e32 v[16:17], v4
	v_frexp_exp_i32_f64_e32 v16, v[16:17]
	v_cmp_gt_f32_e32 vcc, s97, v18
	v_cmp_gt_f32_e64 s[36:37], s67, v30
	s_nop 0
	v_subbrev_co_u32_e32 v24, vcc, 0, v16, vcc
	v_sub_u32_e32 v16, 0, v24
	v_ldexp_f32 v4, v4, v16
	v_ldexp_f32 v15, v15, v16
	v_add_f32_e32 v16, -1.0, v4
	v_add_f32_e32 v17, 1.0, v16
	v_sub_f32_e32 v17, v4, v17
	v_add_f32_e32 v18, v15, v17
	v_add_f32_e32 v17, 1.0, v4
	v_add_f32_e32 v19, -1.0, v17
	v_sub_f32_e32 v4, v4, v19
	v_add_f32_e32 v4, v15, v4
	v_add_f32_e32 v15, v17, v4
	v_rcp_f32_e32 v25, v15
	v_sub_f32_e32 v17, v17, v15
	v_add_f32_e32 v4, v4, v17
	v_add_f32_e32 v17, v16, v18
	v_sub_f32_e32 v16, v16, v17
	v_mul_f32_e32 v27, v17, v25
	v_add_f32_e32 v26, v18, v16
	v_mul_f32_e32 v18, v15, v27
	v_fma_f32 v20, v27, v15, -v18
	v_fmac_f32_e32 v20, v27, v4
	v_add_f32_e32 v16, v18, v20
	v_sub_f32_e32 v19, v17, v16
	v_pk_add_f32 v[22:23], v[16:17], v[18:19] neg_lo:[0,1] neg_hi:[0,1]
	v_mov_b32_e32 v21, v16
	v_pk_add_f32 v[16:17], v[22:23], v[20:21] neg_lo:[0,1] neg_hi:[0,1]
	v_cmp_eq_f32_e32 vcc, s43, v30
	v_add_f32_e32 v17, v26, v17
	v_add_f32_e32 v16, v16, v17
	;; [unrolled: 1-line block ×3, first 2 shown]
	v_mul_f32_e32 v26, v25, v17
	v_mul_f32_e32 v18, v15, v26
	v_fma_f32 v20, v26, v15, -v18
	v_fmac_f32_e32 v20, v26, v4
	v_sub_f32_e32 v4, v19, v17
	v_add_f32_e32 v4, v16, v4
	v_add_f32_e32 v16, v18, v20
	v_sub_f32_e32 v19, v17, v16
	v_pk_add_f32 v[22:23], v[16:17], v[18:19] neg_lo:[0,1] neg_hi:[0,1]
	v_mov_b32_e32 v21, v16
	v_pk_add_f32 v[16:17], v[22:23], v[20:21] neg_lo:[0,1] neg_hi:[0,1]
	s_or_b64 vcc, s[36:37], vcc
	v_add_f32_e32 v4, v4, v17
	v_add_f32_e32 v4, v16, v4
	;; [unrolled: 1-line block ×4, first 2 shown]
	v_sub_f32_e32 v15, v17, v27
	v_mul_f32_e32 v4, v25, v4
	v_sub_f32_e32 v15, v26, v15
	v_add_f32_e32 v4, v15, v4
	v_add_f32_e32 v18, v17, v4
	v_cvt_f32_i32_e32 v16, v24
	v_mul_f32_e32 v20, v18, v18
	v_fmamk_f32 v15, v20, 0x3e9b6dac, v67
	v_sub_f32_e32 v17, v18, v17
	v_fmaak_f32 v15, v20, v15, 0x3f2aaada
	v_sub_f32_e32 v4, v4, v17
	v_mul_f32_e32 v17, v18, v20
	v_pk_mul_f32 v[20:21], v[16:17], v[14:15]
	v_ldexp_f32 v19, v18, 1
	v_fma_f32 v18, v16, s95, -v20
	v_fmac_f32_e32 v18, 0xb102e308, v16
	v_pk_add_f32 v[16:17], v[20:21], v[18:19]
	v_ldexp_f32 v4, v4, 1
	v_sub_f32_e32 v15, v17, v19
	v_sub_f32_e32 v15, v21, v15
	v_add_f32_e32 v23, v4, v15
	v_mov_b32_e32 v22, v20
	v_pk_add_f32 v[20:21], v[16:17], v[20:21] neg_lo:[0,1] neg_hi:[0,1]
	v_pk_add_f32 v[24:25], v[16:17], v[22:23]
	v_mov_b32_e32 v19, v16
	v_mov_b32_e32 v21, v25
	v_pk_add_f32 v[26:27], v[18:19], v[20:21] neg_lo:[0,1] neg_hi:[0,1]
	v_pk_add_f32 v[18:19], v[18:19], v[20:21]
	s_nop 0
	v_mov_b32_e32 v4, v19
	v_pk_add_f32 v[20:21], v[4:5], v[16:17] neg_lo:[0,1] neg_hi:[0,1]
	v_mov_b32_e32 v18, v25
	v_mov_b32_e32 v15, v20
	v_pk_add_f32 v[28:29], v[24:25], v[14:15] neg_lo:[0,1] neg_hi:[0,1]
	v_mov_b32_e32 v24, v17
	v_mov_b32_e32 v25, v20
	v_mov_b32_e32 v27, v19
	v_pk_add_f32 v[18:19], v[18:19], v[24:25] neg_lo:[0,1] neg_hi:[0,1]
	v_mov_b32_e32 v20, v23
	v_mov_b32_e32 v21, v16
	v_pk_add_f32 v[16:17], v[20:21], v[18:19] neg_lo:[0,1] neg_hi:[0,1]
	v_mov_b32_e32 v28, v26
	v_pk_add_f32 v[18:19], v[28:29], v[16:17]
	s_nop 0
	v_mov_b32_e32 v20, v19
	v_pk_add_f32 v[20:21], v[18:19], v[20:21]
	s_nop 0
	v_pk_add_f32 v[22:23], v[4:5], v[20:21]
	v_mov_b32_e32 v17, v20
	v_mov_b32_e32 v19, v22
	v_pk_add_f32 v[24:25], v[18:19], v[26:27] neg_lo:[0,1] neg_hi:[0,1]
	s_nop 0
	v_sub_f32_e32 v4, v18, v24
	v_pk_add_f32 v[16:17], v[16:17], v[24:25] neg_lo:[0,1] neg_hi:[0,1]
	v_sub_f32_e32 v4, v26, v4
	v_add_f32_e32 v4, v16, v4
	v_add_f32_e32 v4, v4, v17
	;; [unrolled: 1-line block ×3, first 2 shown]
	v_cndmask_b32_e32 v72, v4, v30, vcc
.LBB106_45:                             ;   in Loop: Header=BB106_11 Depth=1
	s_or_b64 exec, exec, s[38:39]
	v_cvt_f32_f16_e32 v4, v5
	v_add_f32_e32 v73, s33, v4
	v_cmp_ge_f32_e32 vcc, s99, v73
	s_and_b64 s[36:37], s[64:65], vcc
	s_and_saveexec_b64 s[38:39], s[36:37]
	s_cbranch_execz .LBB106_47
; %bb.46:                               ;   in Loop: Header=BB106_11 Depth=1
	v_mul_f32_e32 v4, 0x3fb8aa3b, v73
	v_rndne_f32_e32 v15, v4
	v_sub_f32_e32 v16, v4, v15
	v_fma_f32 v4, v73, s40, -v4
	v_fmac_f32_e32 v4, 0x32a5705f, v73
	v_add_f32_e32 v4, v16, v4
	v_cvt_i32_f32_e32 v15, v15
	v_exp_f32_e32 v4, v4
	v_cmp_ngt_f32_e32 vcc, s41, v73
	v_ldexp_f32 v4, v4, v15
	s_nop 0
	v_cndmask_b32_e32 v4, 0, v4, vcc
	v_cmp_nlt_f32_e32 vcc, s42, v73
	s_nop 1
	v_cndmask_b32_e32 v30, v68, v4, vcc
	v_add_f32_e32 v4, 1.0, v30
	v_add_f32_e32 v15, -1.0, v4
	v_sub_f32_e32 v16, v15, v4
	v_add_f32_e32 v16, 1.0, v16
	v_sub_f32_e32 v15, v30, v15
	v_add_f32_e32 v15, v15, v16
	v_frexp_mant_f32_e32 v18, v4
	v_cvt_f64_f32_e32 v[16:17], v4
	v_frexp_exp_i32_f64_e32 v16, v[16:17]
	v_cmp_gt_f32_e32 vcc, s97, v18
	v_cmp_gt_f32_e64 s[36:37], s67, v30
	s_nop 0
	v_subbrev_co_u32_e32 v24, vcc, 0, v16, vcc
	v_sub_u32_e32 v16, 0, v24
	v_ldexp_f32 v4, v4, v16
	v_ldexp_f32 v15, v15, v16
	v_add_f32_e32 v16, -1.0, v4
	v_add_f32_e32 v17, 1.0, v16
	v_sub_f32_e32 v17, v4, v17
	v_add_f32_e32 v18, v15, v17
	v_add_f32_e32 v17, 1.0, v4
	v_add_f32_e32 v19, -1.0, v17
	v_sub_f32_e32 v4, v4, v19
	v_add_f32_e32 v4, v15, v4
	v_add_f32_e32 v15, v17, v4
	v_rcp_f32_e32 v25, v15
	v_sub_f32_e32 v17, v17, v15
	v_add_f32_e32 v4, v4, v17
	v_add_f32_e32 v17, v16, v18
	v_sub_f32_e32 v16, v16, v17
	v_mul_f32_e32 v27, v17, v25
	v_add_f32_e32 v26, v18, v16
	v_mul_f32_e32 v18, v15, v27
	v_fma_f32 v20, v27, v15, -v18
	v_fmac_f32_e32 v20, v27, v4
	v_add_f32_e32 v16, v18, v20
	v_sub_f32_e32 v19, v17, v16
	v_pk_add_f32 v[22:23], v[16:17], v[18:19] neg_lo:[0,1] neg_hi:[0,1]
	v_mov_b32_e32 v21, v16
	v_pk_add_f32 v[16:17], v[22:23], v[20:21] neg_lo:[0,1] neg_hi:[0,1]
	v_cmp_eq_f32_e32 vcc, s43, v30
	v_add_f32_e32 v17, v26, v17
	v_add_f32_e32 v16, v16, v17
	;; [unrolled: 1-line block ×3, first 2 shown]
	v_mul_f32_e32 v26, v25, v17
	v_mul_f32_e32 v18, v15, v26
	v_fma_f32 v20, v26, v15, -v18
	v_fmac_f32_e32 v20, v26, v4
	v_sub_f32_e32 v4, v19, v17
	v_add_f32_e32 v4, v16, v4
	v_add_f32_e32 v16, v18, v20
	v_sub_f32_e32 v19, v17, v16
	v_pk_add_f32 v[22:23], v[16:17], v[18:19] neg_lo:[0,1] neg_hi:[0,1]
	v_mov_b32_e32 v21, v16
	v_pk_add_f32 v[16:17], v[22:23], v[20:21] neg_lo:[0,1] neg_hi:[0,1]
	s_or_b64 vcc, s[36:37], vcc
	v_add_f32_e32 v4, v4, v17
	v_add_f32_e32 v4, v16, v4
	;; [unrolled: 1-line block ×4, first 2 shown]
	v_sub_f32_e32 v15, v17, v27
	v_mul_f32_e32 v4, v25, v4
	v_sub_f32_e32 v15, v26, v15
	v_add_f32_e32 v4, v15, v4
	v_add_f32_e32 v18, v17, v4
	v_cvt_f32_i32_e32 v16, v24
	v_mul_f32_e32 v20, v18, v18
	v_fmamk_f32 v15, v20, 0x3e9b6dac, v67
	v_sub_f32_e32 v17, v18, v17
	v_fmaak_f32 v15, v20, v15, 0x3f2aaada
	v_sub_f32_e32 v4, v4, v17
	v_mul_f32_e32 v17, v18, v20
	v_pk_mul_f32 v[20:21], v[16:17], v[14:15]
	v_ldexp_f32 v19, v18, 1
	v_fma_f32 v18, v16, s95, -v20
	v_fmac_f32_e32 v18, 0xb102e308, v16
	v_pk_add_f32 v[16:17], v[20:21], v[18:19]
	v_ldexp_f32 v4, v4, 1
	v_sub_f32_e32 v15, v17, v19
	v_sub_f32_e32 v15, v21, v15
	v_add_f32_e32 v23, v4, v15
	v_mov_b32_e32 v22, v20
	v_pk_add_f32 v[20:21], v[16:17], v[20:21] neg_lo:[0,1] neg_hi:[0,1]
	v_pk_add_f32 v[24:25], v[16:17], v[22:23]
	v_mov_b32_e32 v19, v16
	v_mov_b32_e32 v21, v25
	v_pk_add_f32 v[26:27], v[18:19], v[20:21] neg_lo:[0,1] neg_hi:[0,1]
	v_pk_add_f32 v[18:19], v[18:19], v[20:21]
	s_nop 0
	v_mov_b32_e32 v4, v19
	v_pk_add_f32 v[20:21], v[4:5], v[16:17] neg_lo:[0,1] neg_hi:[0,1]
	v_mov_b32_e32 v18, v25
	v_mov_b32_e32 v15, v20
	v_pk_add_f32 v[28:29], v[24:25], v[14:15] neg_lo:[0,1] neg_hi:[0,1]
	v_mov_b32_e32 v24, v17
	v_mov_b32_e32 v25, v20
	;; [unrolled: 1-line block ×3, first 2 shown]
	v_pk_add_f32 v[18:19], v[18:19], v[24:25] neg_lo:[0,1] neg_hi:[0,1]
	v_mov_b32_e32 v20, v23
	v_mov_b32_e32 v21, v16
	v_pk_add_f32 v[16:17], v[20:21], v[18:19] neg_lo:[0,1] neg_hi:[0,1]
	v_mov_b32_e32 v28, v26
	v_pk_add_f32 v[18:19], v[28:29], v[16:17]
	s_nop 0
	v_mov_b32_e32 v20, v19
	v_pk_add_f32 v[20:21], v[18:19], v[20:21]
	s_nop 0
	v_pk_add_f32 v[22:23], v[4:5], v[20:21]
	v_mov_b32_e32 v17, v20
	v_mov_b32_e32 v19, v22
	v_pk_add_f32 v[24:25], v[18:19], v[26:27] neg_lo:[0,1] neg_hi:[0,1]
	s_nop 0
	v_sub_f32_e32 v4, v18, v24
	v_pk_add_f32 v[16:17], v[16:17], v[24:25] neg_lo:[0,1] neg_hi:[0,1]
	v_sub_f32_e32 v4, v26, v4
	v_add_f32_e32 v4, v16, v4
	v_add_f32_e32 v4, v4, v17
	;; [unrolled: 1-line block ×3, first 2 shown]
	v_cndmask_b32_e32 v73, v4, v30, vcc
.LBB106_47:                             ;   in Loop: Header=BB106_11 Depth=1
	s_or_b64 exec, exec, s[38:39]
	v_cvt_f32_f16_sdwa v4, v5 dst_sel:DWORD dst_unused:UNUSED_PAD src0_sel:WORD_1
	v_add_f32_e32 v74, s33, v4
	v_cmp_ge_f32_e32 vcc, s99, v74
	s_and_b64 s[36:37], s[64:65], vcc
	s_and_saveexec_b64 s[38:39], s[36:37]
	s_cbranch_execz .LBB106_49
; %bb.48:                               ;   in Loop: Header=BB106_11 Depth=1
	v_mul_f32_e32 v4, 0x3fb8aa3b, v74
	v_rndne_f32_e32 v5, v4
	v_sub_f32_e32 v15, v4, v5
	v_fma_f32 v4, v74, s40, -v4
	v_fmac_f32_e32 v4, 0x32a5705f, v74
	v_add_f32_e32 v4, v15, v4
	v_cvt_i32_f32_e32 v5, v5
	v_exp_f32_e32 v4, v4
	v_cmp_ngt_f32_e32 vcc, s41, v74
	v_ldexp_f32 v4, v4, v5
	s_nop 0
	v_cndmask_b32_e32 v4, 0, v4, vcc
	v_cmp_nlt_f32_e32 vcc, s42, v74
	s_nop 1
	v_cndmask_b32_e32 v30, v68, v4, vcc
	v_add_f32_e32 v15, 1.0, v30
	v_add_f32_e32 v4, -1.0, v15
	v_sub_f32_e32 v5, v4, v15
	v_add_f32_e32 v5, 1.0, v5
	v_sub_f32_e32 v4, v30, v4
	v_add_f32_e32 v16, v4, v5
	v_frexp_mant_f32_e32 v17, v15
	v_cvt_f64_f32_e32 v[4:5], v15
	v_frexp_exp_i32_f64_e32 v4, v[4:5]
	v_cmp_gt_f32_e32 vcc, s97, v17
	v_cmp_gt_f32_e64 s[36:37], s67, v30
	s_nop 0
	v_subbrev_co_u32_e32 v22, vcc, 0, v4, vcc
	v_sub_u32_e32 v4, 0, v22
	v_ldexp_f32 v5, v15, v4
	v_add_f32_e32 v15, -1.0, v5
	v_add_f32_e32 v17, 1.0, v5
	v_ldexp_f32 v4, v16, v4
	v_add_f32_e32 v16, 1.0, v15
	v_add_f32_e32 v18, -1.0, v17
	v_sub_f32_e32 v16, v5, v16
	v_sub_f32_e32 v5, v5, v18
	v_add_f32_e32 v16, v4, v16
	v_add_f32_e32 v4, v4, v5
	;; [unrolled: 1-line block ×3, first 2 shown]
	v_rcp_f32_e32 v25, v23
	v_sub_f32_e32 v5, v17, v23
	v_add_f32_e32 v24, v4, v5
	v_add_f32_e32 v5, v15, v16
	v_sub_f32_e32 v4, v15, v5
	v_mul_f32_e32 v26, v5, v25
	v_add_f32_e32 v15, v16, v4
	v_mul_f32_e32 v16, v23, v26
	v_fma_f32 v18, v26, v23, -v16
	v_fmac_f32_e32 v18, v26, v24
	v_add_f32_e32 v4, v16, v18
	v_sub_f32_e32 v17, v5, v4
	v_pk_add_f32 v[20:21], v[4:5], v[16:17] neg_lo:[0,1] neg_hi:[0,1]
	v_mov_b32_e32 v19, v4
	v_pk_add_f32 v[4:5], v[20:21], v[18:19] neg_lo:[0,1] neg_hi:[0,1]
	v_cmp_eq_f32_e32 vcc, s43, v30
	v_add_f32_e32 v5, v15, v5
	v_add_f32_e32 v4, v4, v5
	;; [unrolled: 1-line block ×3, first 2 shown]
	v_mul_f32_e32 v15, v25, v5
	v_mul_f32_e32 v16, v23, v15
	v_fma_f32 v18, v15, v23, -v16
	v_fmac_f32_e32 v18, v15, v24
	v_sub_f32_e32 v17, v17, v5
	v_add_f32_e32 v23, v4, v17
	v_add_f32_e32 v4, v16, v18
	v_sub_f32_e32 v17, v5, v4
	v_pk_add_f32 v[20:21], v[4:5], v[16:17] neg_lo:[0,1] neg_hi:[0,1]
	v_mov_b32_e32 v19, v4
	v_pk_add_f32 v[4:5], v[20:21], v[18:19] neg_lo:[0,1] neg_hi:[0,1]
	s_or_b64 vcc, s[36:37], vcc
	v_add_f32_e32 v5, v23, v5
	v_add_f32_e32 v4, v4, v5
	v_add_f32_e32 v5, v26, v15
	v_add_f32_e32 v4, v17, v4
	v_sub_f32_e32 v16, v5, v26
	v_mul_f32_e32 v4, v25, v4
	v_sub_f32_e32 v15, v15, v16
	v_add_f32_e32 v16, v15, v4
	v_add_f32_e32 v18, v5, v16
	v_mul_f32_e32 v19, v18, v18
	v_fmamk_f32 v4, v19, 0x3e9b6dac, v67
	v_fmaak_f32 v15, v19, v4, 0x3f2aaada
	v_cvt_f32_i32_e32 v4, v22
	v_sub_f32_e32 v5, v18, v5
	v_sub_f32_e32 v5, v16, v5
	v_ldexp_f32 v20, v5, 1
	v_mul_f32_e32 v5, v18, v19
	v_ldexp_f32 v17, v18, 1
	v_pk_mul_f32 v[18:19], v[4:5], v[14:15]
	s_nop 0
	v_fma_f32 v16, v4, s95, -v18
	v_fmac_f32_e32 v16, 0xb102e308, v4
	v_pk_add_f32 v[4:5], v[18:19], v[16:17]
	s_nop 0
	v_sub_f32_e32 v15, v5, v17
	v_sub_f32_e32 v15, v19, v15
	v_add_f32_e32 v21, v20, v15
	v_mov_b32_e32 v20, v18
	v_pk_add_f32 v[18:19], v[4:5], v[18:19] neg_lo:[0,1] neg_hi:[0,1]
	v_pk_add_f32 v[22:23], v[4:5], v[20:21]
	v_mov_b32_e32 v17, v4
	v_mov_b32_e32 v19, v23
	v_pk_add_f32 v[24:25], v[16:17], v[18:19] neg_lo:[0,1] neg_hi:[0,1]
	v_pk_add_f32 v[16:17], v[16:17], v[18:19]
	v_mov_b32_e32 v20, v21
	v_mov_b32_e32 v18, v17
	v_pk_add_f32 v[26:27], v[18:19], v[4:5] neg_lo:[0,1] neg_hi:[0,1]
	v_mov_b32_e32 v16, v23
	v_mov_b32_e32 v15, v26
	v_pk_add_f32 v[28:29], v[22:23], v[14:15] neg_lo:[0,1] neg_hi:[0,1]
	v_mov_b32_e32 v22, v5
	v_mov_b32_e32 v23, v26
	;; [unrolled: 1-line block ×3, first 2 shown]
	v_pk_add_f32 v[16:17], v[16:17], v[22:23] neg_lo:[0,1] neg_hi:[0,1]
	v_mov_b32_e32 v21, v4
	v_pk_add_f32 v[4:5], v[20:21], v[16:17] neg_lo:[0,1] neg_hi:[0,1]
	v_mov_b32_e32 v28, v24
	v_pk_add_f32 v[16:17], v[28:29], v[4:5]
	s_nop 0
	v_mov_b32_e32 v20, v17
	v_pk_add_f32 v[20:21], v[16:17], v[20:21]
	s_nop 0
	v_pk_add_f32 v[18:19], v[18:19], v[20:21]
	v_mov_b32_e32 v5, v20
	v_mov_b32_e32 v17, v18
	v_pk_add_f32 v[22:23], v[16:17], v[24:25] neg_lo:[0,1] neg_hi:[0,1]
	s_nop 0
	v_sub_f32_e32 v15, v16, v22
	v_pk_add_f32 v[4:5], v[4:5], v[22:23] neg_lo:[0,1] neg_hi:[0,1]
	v_sub_f32_e32 v15, v24, v15
	v_add_f32_e32 v4, v4, v15
	v_add_f32_e32 v4, v4, v5
	;; [unrolled: 1-line block ×3, first 2 shown]
	v_cndmask_b32_e32 v74, v4, v30, vcc
.LBB106_49:                             ;   in Loop: Header=BB106_11 Depth=1
	s_or_b64 exec, exec, s[38:39]
	v_cvt_f32_f16_e32 v4, v6
	v_add_f32_e32 v75, s33, v4
	v_cmp_ge_f32_e32 vcc, s99, v75
	s_and_b64 s[36:37], s[64:65], vcc
	s_and_saveexec_b64 s[38:39], s[36:37]
	s_cbranch_execz .LBB106_51
; %bb.50:                               ;   in Loop: Header=BB106_11 Depth=1
	v_mul_f32_e32 v4, 0x3fb8aa3b, v75
	v_rndne_f32_e32 v5, v4
	v_sub_f32_e32 v15, v4, v5
	v_fma_f32 v4, v75, s40, -v4
	v_fmac_f32_e32 v4, 0x32a5705f, v75
	v_add_f32_e32 v4, v15, v4
	v_cvt_i32_f32_e32 v5, v5
	v_exp_f32_e32 v4, v4
	v_cmp_ngt_f32_e32 vcc, s41, v75
	v_ldexp_f32 v4, v4, v5
	s_nop 0
	v_cndmask_b32_e32 v4, 0, v4, vcc
	v_cmp_nlt_f32_e32 vcc, s42, v75
	s_nop 1
	v_cndmask_b32_e32 v30, v68, v4, vcc
	v_add_f32_e32 v15, 1.0, v30
	v_add_f32_e32 v4, -1.0, v15
	v_sub_f32_e32 v5, v4, v15
	v_add_f32_e32 v5, 1.0, v5
	v_sub_f32_e32 v4, v30, v4
	v_add_f32_e32 v16, v4, v5
	v_frexp_mant_f32_e32 v17, v15
	v_cvt_f64_f32_e32 v[4:5], v15
	v_frexp_exp_i32_f64_e32 v4, v[4:5]
	v_cmp_gt_f32_e32 vcc, s97, v17
	v_cmp_gt_f32_e64 s[36:37], s67, v30
	s_nop 0
	v_subbrev_co_u32_e32 v22, vcc, 0, v4, vcc
	v_sub_u32_e32 v4, 0, v22
	v_ldexp_f32 v5, v15, v4
	v_add_f32_e32 v15, -1.0, v5
	v_add_f32_e32 v17, 1.0, v5
	v_ldexp_f32 v4, v16, v4
	v_add_f32_e32 v16, 1.0, v15
	v_add_f32_e32 v18, -1.0, v17
	v_sub_f32_e32 v16, v5, v16
	v_sub_f32_e32 v5, v5, v18
	v_add_f32_e32 v16, v4, v16
	v_add_f32_e32 v4, v4, v5
	v_add_f32_e32 v23, v17, v4
	v_rcp_f32_e32 v25, v23
	v_sub_f32_e32 v5, v17, v23
	v_add_f32_e32 v24, v4, v5
	v_add_f32_e32 v5, v15, v16
	v_sub_f32_e32 v4, v15, v5
	v_mul_f32_e32 v26, v5, v25
	v_add_f32_e32 v15, v16, v4
	v_mul_f32_e32 v16, v23, v26
	v_fma_f32 v18, v26, v23, -v16
	v_fmac_f32_e32 v18, v26, v24
	v_add_f32_e32 v4, v16, v18
	v_sub_f32_e32 v17, v5, v4
	v_pk_add_f32 v[20:21], v[4:5], v[16:17] neg_lo:[0,1] neg_hi:[0,1]
	v_mov_b32_e32 v19, v4
	v_pk_add_f32 v[4:5], v[20:21], v[18:19] neg_lo:[0,1] neg_hi:[0,1]
	v_cmp_eq_f32_e32 vcc, s43, v30
	v_add_f32_e32 v5, v15, v5
	v_add_f32_e32 v4, v4, v5
	;; [unrolled: 1-line block ×3, first 2 shown]
	v_mul_f32_e32 v15, v25, v5
	v_mul_f32_e32 v16, v23, v15
	v_fma_f32 v18, v15, v23, -v16
	v_fmac_f32_e32 v18, v15, v24
	v_sub_f32_e32 v17, v17, v5
	v_add_f32_e32 v23, v4, v17
	v_add_f32_e32 v4, v16, v18
	v_sub_f32_e32 v17, v5, v4
	v_pk_add_f32 v[20:21], v[4:5], v[16:17] neg_lo:[0,1] neg_hi:[0,1]
	v_mov_b32_e32 v19, v4
	v_pk_add_f32 v[4:5], v[20:21], v[18:19] neg_lo:[0,1] neg_hi:[0,1]
	s_or_b64 vcc, s[36:37], vcc
	v_add_f32_e32 v5, v23, v5
	v_add_f32_e32 v4, v4, v5
	;; [unrolled: 1-line block ×4, first 2 shown]
	v_sub_f32_e32 v16, v5, v26
	v_mul_f32_e32 v4, v25, v4
	v_sub_f32_e32 v15, v15, v16
	v_add_f32_e32 v16, v15, v4
	v_add_f32_e32 v18, v5, v16
	v_mul_f32_e32 v19, v18, v18
	v_fmamk_f32 v4, v19, 0x3e9b6dac, v67
	v_fmaak_f32 v15, v19, v4, 0x3f2aaada
	v_cvt_f32_i32_e32 v4, v22
	v_sub_f32_e32 v5, v18, v5
	v_sub_f32_e32 v5, v16, v5
	v_ldexp_f32 v20, v5, 1
	v_mul_f32_e32 v5, v18, v19
	v_ldexp_f32 v17, v18, 1
	v_pk_mul_f32 v[18:19], v[4:5], v[14:15]
	s_nop 0
	v_fma_f32 v16, v4, s95, -v18
	v_fmac_f32_e32 v16, 0xb102e308, v4
	v_pk_add_f32 v[4:5], v[18:19], v[16:17]
	s_nop 0
	v_sub_f32_e32 v15, v5, v17
	v_sub_f32_e32 v15, v19, v15
	v_add_f32_e32 v21, v20, v15
	v_mov_b32_e32 v20, v18
	v_pk_add_f32 v[18:19], v[4:5], v[18:19] neg_lo:[0,1] neg_hi:[0,1]
	v_pk_add_f32 v[22:23], v[4:5], v[20:21]
	v_mov_b32_e32 v17, v4
	v_mov_b32_e32 v19, v23
	v_pk_add_f32 v[24:25], v[16:17], v[18:19] neg_lo:[0,1] neg_hi:[0,1]
	v_pk_add_f32 v[16:17], v[16:17], v[18:19]
	v_mov_b32_e32 v20, v21
	v_mov_b32_e32 v18, v17
	v_pk_add_f32 v[26:27], v[18:19], v[4:5] neg_lo:[0,1] neg_hi:[0,1]
	v_mov_b32_e32 v16, v23
	v_mov_b32_e32 v15, v26
	v_pk_add_f32 v[28:29], v[22:23], v[14:15] neg_lo:[0,1] neg_hi:[0,1]
	v_mov_b32_e32 v22, v5
	v_mov_b32_e32 v23, v26
	;; [unrolled: 1-line block ×3, first 2 shown]
	v_pk_add_f32 v[16:17], v[16:17], v[22:23] neg_lo:[0,1] neg_hi:[0,1]
	v_mov_b32_e32 v21, v4
	v_pk_add_f32 v[4:5], v[20:21], v[16:17] neg_lo:[0,1] neg_hi:[0,1]
	v_mov_b32_e32 v28, v24
	v_pk_add_f32 v[16:17], v[28:29], v[4:5]
	s_nop 0
	v_mov_b32_e32 v20, v17
	v_pk_add_f32 v[20:21], v[16:17], v[20:21]
	s_nop 0
	v_pk_add_f32 v[18:19], v[18:19], v[20:21]
	v_mov_b32_e32 v5, v20
	v_mov_b32_e32 v17, v18
	v_pk_add_f32 v[22:23], v[16:17], v[24:25] neg_lo:[0,1] neg_hi:[0,1]
	s_nop 0
	v_sub_f32_e32 v15, v16, v22
	v_pk_add_f32 v[4:5], v[4:5], v[22:23] neg_lo:[0,1] neg_hi:[0,1]
	v_sub_f32_e32 v15, v24, v15
	v_add_f32_e32 v4, v4, v15
	v_add_f32_e32 v4, v4, v5
	;; [unrolled: 1-line block ×3, first 2 shown]
	v_cndmask_b32_e32 v75, v4, v30, vcc
.LBB106_51:                             ;   in Loop: Header=BB106_11 Depth=1
	s_or_b64 exec, exec, s[38:39]
	v_cvt_f32_f16_sdwa v4, v6 dst_sel:DWORD dst_unused:UNUSED_PAD src0_sel:WORD_1
	v_add_f32_e32 v76, s33, v4
	v_cmp_ge_f32_e32 vcc, s99, v76
	s_and_b64 s[36:37], s[64:65], vcc
	s_and_saveexec_b64 s[38:39], s[36:37]
	s_cbranch_execz .LBB106_53
; %bb.52:                               ;   in Loop: Header=BB106_11 Depth=1
	v_mul_f32_e32 v4, 0x3fb8aa3b, v76
	v_rndne_f32_e32 v5, v4
	v_sub_f32_e32 v6, v4, v5
	v_fma_f32 v4, v76, s40, -v4
	v_fmac_f32_e32 v4, 0x32a5705f, v76
	v_add_f32_e32 v4, v6, v4
	v_cvt_i32_f32_e32 v5, v5
	v_exp_f32_e32 v4, v4
	v_cmp_ngt_f32_e32 vcc, s41, v76
	v_ldexp_f32 v4, v4, v5
	s_nop 0
	v_cndmask_b32_e32 v4, 0, v4, vcc
	v_cmp_nlt_f32_e32 vcc, s42, v76
	s_nop 1
	v_cndmask_b32_e32 v28, v68, v4, vcc
	v_add_f32_e32 v6, 1.0, v28
	v_add_f32_e32 v4, -1.0, v6
	v_sub_f32_e32 v5, v4, v6
	v_add_f32_e32 v5, 1.0, v5
	v_sub_f32_e32 v4, v28, v4
	v_add_f32_e32 v15, v4, v5
	v_frexp_mant_f32_e32 v16, v6
	v_cvt_f64_f32_e32 v[4:5], v6
	v_frexp_exp_i32_f64_e32 v4, v[4:5]
	v_cmp_gt_f32_e32 vcc, s97, v16
	v_cmp_gt_f32_e64 s[36:37], s67, v28
	s_nop 0
	v_subbrev_co_u32_e32 v22, vcc, 0, v4, vcc
	v_sub_u32_e32 v4, 0, v22
	v_ldexp_f32 v5, v6, v4
	v_add_f32_e32 v6, -1.0, v5
	v_add_f32_e32 v16, 1.0, v5
	v_ldexp_f32 v4, v15, v4
	v_add_f32_e32 v15, 1.0, v6
	v_add_f32_e32 v17, -1.0, v16
	v_sub_f32_e32 v15, v5, v15
	v_sub_f32_e32 v5, v5, v17
	v_add_f32_e32 v15, v4, v15
	v_add_f32_e32 v4, v4, v5
	;; [unrolled: 1-line block ×3, first 2 shown]
	v_rcp_f32_e32 v25, v23
	v_sub_f32_e32 v5, v16, v23
	v_add_f32_e32 v24, v4, v5
	v_add_f32_e32 v5, v6, v15
	v_sub_f32_e32 v4, v6, v5
	v_add_f32_e32 v6, v15, v4
	v_mul_f32_e32 v15, v5, v25
	v_mul_f32_e32 v16, v23, v15
	v_fma_f32 v18, v15, v23, -v16
	v_fmac_f32_e32 v18, v15, v24
	v_add_f32_e32 v4, v16, v18
	v_sub_f32_e32 v17, v5, v4
	v_pk_add_f32 v[20:21], v[4:5], v[16:17] neg_lo:[0,1] neg_hi:[0,1]
	v_mov_b32_e32 v19, v4
	v_pk_add_f32 v[4:5], v[20:21], v[18:19] neg_lo:[0,1] neg_hi:[0,1]
	v_cmp_eq_f32_e32 vcc, s43, v28
	v_add_f32_e32 v5, v6, v5
	v_add_f32_e32 v4, v4, v5
	;; [unrolled: 1-line block ×3, first 2 shown]
	v_mul_f32_e32 v6, v25, v5
	v_mul_f32_e32 v16, v23, v6
	v_fma_f32 v18, v6, v23, -v16
	v_fmac_f32_e32 v18, v6, v24
	v_sub_f32_e32 v17, v17, v5
	v_add_f32_e32 v23, v4, v17
	v_add_f32_e32 v4, v16, v18
	v_sub_f32_e32 v17, v5, v4
	v_pk_add_f32 v[20:21], v[4:5], v[16:17] neg_lo:[0,1] neg_hi:[0,1]
	v_mov_b32_e32 v19, v4
	v_pk_add_f32 v[4:5], v[20:21], v[18:19] neg_lo:[0,1] neg_hi:[0,1]
	s_or_b64 vcc, s[36:37], vcc
	v_add_f32_e32 v5, v23, v5
	v_add_f32_e32 v4, v4, v5
	;; [unrolled: 1-line block ×4, first 2 shown]
	v_sub_f32_e32 v15, v5, v15
	v_mul_f32_e32 v4, v25, v4
	v_sub_f32_e32 v6, v6, v15
	v_add_f32_e32 v6, v6, v4
	v_add_f32_e32 v16, v5, v6
	v_mul_f32_e32 v18, v16, v16
	v_fmamk_f32 v4, v18, 0x3e9b6dac, v67
	v_fmaak_f32 v15, v18, v4, 0x3f2aaada
	v_cvt_f32_i32_e32 v4, v22
	v_sub_f32_e32 v5, v16, v5
	v_sub_f32_e32 v5, v6, v5
	v_ldexp_f32 v6, v5, 1
	v_mul_f32_e32 v5, v16, v18
	v_pk_mul_f32 v[18:19], v[4:5], v[14:15]
	v_ldexp_f32 v17, v16, 1
	v_fma_f32 v16, v4, s95, -v18
	v_fmac_f32_e32 v16, 0xb102e308, v4
	v_pk_add_f32 v[4:5], v[18:19], v[16:17]
	v_mov_b32_e32 v20, v18
	v_sub_f32_e32 v15, v5, v17
	v_sub_f32_e32 v15, v19, v15
	v_add_f32_e32 v21, v6, v15
	v_pk_add_f32 v[18:19], v[4:5], v[18:19] neg_lo:[0,1] neg_hi:[0,1]
	v_pk_add_f32 v[22:23], v[4:5], v[20:21]
	v_mov_b32_e32 v17, v4
	v_mov_b32_e32 v19, v23
	v_pk_add_f32 v[24:25], v[16:17], v[18:19] neg_lo:[0,1] neg_hi:[0,1]
	v_pk_add_f32 v[16:17], v[16:17], v[18:19]
	s_nop 0
	v_mov_b32_e32 v6, v17
	v_pk_add_f32 v[18:19], v[6:7], v[4:5] neg_lo:[0,1] neg_hi:[0,1]
	v_mov_b32_e32 v16, v23
	v_mov_b32_e32 v15, v18
	v_pk_add_f32 v[26:27], v[22:23], v[14:15] neg_lo:[0,1] neg_hi:[0,1]
	v_mov_b32_e32 v22, v5
	v_mov_b32_e32 v23, v18
	;; [unrolled: 1-line block ×3, first 2 shown]
	v_pk_add_f32 v[16:17], v[16:17], v[22:23] neg_lo:[0,1] neg_hi:[0,1]
	v_mov_b32_e32 v18, v21
	v_mov_b32_e32 v19, v4
	v_pk_add_f32 v[4:5], v[18:19], v[16:17] neg_lo:[0,1] neg_hi:[0,1]
	v_mov_b32_e32 v26, v24
	v_pk_add_f32 v[16:17], v[26:27], v[4:5]
	s_nop 0
	v_mov_b32_e32 v18, v17
	v_pk_add_f32 v[18:19], v[16:17], v[18:19]
	s_nop 0
	v_pk_add_f32 v[20:21], v[6:7], v[18:19]
	v_mov_b32_e32 v5, v18
	v_mov_b32_e32 v17, v20
	v_pk_add_f32 v[22:23], v[16:17], v[24:25] neg_lo:[0,1] neg_hi:[0,1]
	s_nop 0
	v_sub_f32_e32 v6, v16, v22
	v_pk_add_f32 v[4:5], v[4:5], v[22:23] neg_lo:[0,1] neg_hi:[0,1]
	v_sub_f32_e32 v6, v24, v6
	v_add_f32_e32 v4, v4, v6
	v_add_f32_e32 v4, v4, v5
	;; [unrolled: 1-line block ×3, first 2 shown]
	v_cndmask_b32_e32 v76, v4, v28, vcc
.LBB106_53:                             ;   in Loop: Header=BB106_11 Depth=1
	s_or_b64 exec, exec, s[38:39]
	v_cvt_f32_f16_e32 v4, v7
	v_add_f32_e32 v77, s33, v4
	v_cmp_ge_f32_e32 vcc, s99, v77
	s_and_b64 s[36:37], s[64:65], vcc
	s_and_saveexec_b64 s[38:39], s[36:37]
	s_cbranch_execz .LBB106_55
; %bb.54:                               ;   in Loop: Header=BB106_11 Depth=1
	v_mul_f32_e32 v4, 0x3fb8aa3b, v77
	v_rndne_f32_e32 v5, v4
	v_sub_f32_e32 v6, v4, v5
	v_fma_f32 v4, v77, s40, -v4
	v_fmac_f32_e32 v4, 0x32a5705f, v77
	v_add_f32_e32 v4, v6, v4
	v_cvt_i32_f32_e32 v5, v5
	v_exp_f32_e32 v4, v4
	v_cmp_ngt_f32_e32 vcc, s41, v77
	v_ldexp_f32 v4, v4, v5
	s_nop 0
	v_cndmask_b32_e32 v4, 0, v4, vcc
	v_cmp_nlt_f32_e32 vcc, s42, v77
	s_nop 1
	v_cndmask_b32_e32 v28, v68, v4, vcc
	v_add_f32_e32 v6, 1.0, v28
	v_add_f32_e32 v4, -1.0, v6
	v_sub_f32_e32 v5, v4, v6
	v_add_f32_e32 v5, 1.0, v5
	v_sub_f32_e32 v4, v28, v4
	v_add_f32_e32 v15, v4, v5
	v_frexp_mant_f32_e32 v16, v6
	v_cvt_f64_f32_e32 v[4:5], v6
	v_frexp_exp_i32_f64_e32 v4, v[4:5]
	v_cmp_gt_f32_e32 vcc, s97, v16
	v_cmp_gt_f32_e64 s[36:37], s67, v28
	s_nop 0
	v_subbrev_co_u32_e32 v22, vcc, 0, v4, vcc
	v_sub_u32_e32 v4, 0, v22
	v_ldexp_f32 v5, v6, v4
	v_add_f32_e32 v6, -1.0, v5
	v_add_f32_e32 v16, 1.0, v5
	v_ldexp_f32 v4, v15, v4
	v_add_f32_e32 v15, 1.0, v6
	v_add_f32_e32 v17, -1.0, v16
	v_sub_f32_e32 v15, v5, v15
	v_sub_f32_e32 v5, v5, v17
	v_add_f32_e32 v15, v4, v15
	v_add_f32_e32 v4, v4, v5
	;; [unrolled: 1-line block ×3, first 2 shown]
	v_rcp_f32_e32 v25, v23
	v_sub_f32_e32 v5, v16, v23
	v_add_f32_e32 v24, v4, v5
	v_add_f32_e32 v5, v6, v15
	v_sub_f32_e32 v4, v6, v5
	v_add_f32_e32 v6, v15, v4
	v_mul_f32_e32 v15, v5, v25
	v_mul_f32_e32 v16, v23, v15
	v_fma_f32 v18, v15, v23, -v16
	v_fmac_f32_e32 v18, v15, v24
	v_add_f32_e32 v4, v16, v18
	v_sub_f32_e32 v17, v5, v4
	v_pk_add_f32 v[20:21], v[4:5], v[16:17] neg_lo:[0,1] neg_hi:[0,1]
	v_mov_b32_e32 v19, v4
	v_pk_add_f32 v[4:5], v[20:21], v[18:19] neg_lo:[0,1] neg_hi:[0,1]
	v_cmp_eq_f32_e32 vcc, s43, v28
	v_add_f32_e32 v5, v6, v5
	v_add_f32_e32 v4, v4, v5
	;; [unrolled: 1-line block ×3, first 2 shown]
	v_mul_f32_e32 v6, v25, v5
	v_mul_f32_e32 v16, v23, v6
	v_fma_f32 v18, v6, v23, -v16
	v_fmac_f32_e32 v18, v6, v24
	v_sub_f32_e32 v17, v17, v5
	v_add_f32_e32 v23, v4, v17
	v_add_f32_e32 v4, v16, v18
	v_sub_f32_e32 v17, v5, v4
	v_pk_add_f32 v[20:21], v[4:5], v[16:17] neg_lo:[0,1] neg_hi:[0,1]
	v_mov_b32_e32 v19, v4
	v_pk_add_f32 v[4:5], v[20:21], v[18:19] neg_lo:[0,1] neg_hi:[0,1]
	s_or_b64 vcc, s[36:37], vcc
	v_add_f32_e32 v5, v23, v5
	v_add_f32_e32 v4, v4, v5
	;; [unrolled: 1-line block ×4, first 2 shown]
	v_sub_f32_e32 v15, v5, v15
	v_mul_f32_e32 v4, v25, v4
	v_sub_f32_e32 v6, v6, v15
	v_add_f32_e32 v6, v6, v4
	v_add_f32_e32 v16, v5, v6
	v_mul_f32_e32 v18, v16, v16
	v_fmamk_f32 v4, v18, 0x3e9b6dac, v67
	v_fmaak_f32 v15, v18, v4, 0x3f2aaada
	v_cvt_f32_i32_e32 v4, v22
	v_sub_f32_e32 v5, v16, v5
	v_sub_f32_e32 v5, v6, v5
	v_ldexp_f32 v6, v5, 1
	v_mul_f32_e32 v5, v16, v18
	v_pk_mul_f32 v[18:19], v[4:5], v[14:15]
	v_ldexp_f32 v17, v16, 1
	v_fma_f32 v16, v4, s95, -v18
	v_fmac_f32_e32 v16, 0xb102e308, v4
	v_pk_add_f32 v[4:5], v[18:19], v[16:17]
	v_mov_b32_e32 v20, v18
	v_sub_f32_e32 v15, v5, v17
	v_sub_f32_e32 v15, v19, v15
	v_add_f32_e32 v21, v6, v15
	v_pk_add_f32 v[18:19], v[4:5], v[18:19] neg_lo:[0,1] neg_hi:[0,1]
	v_pk_add_f32 v[22:23], v[4:5], v[20:21]
	v_mov_b32_e32 v17, v4
	v_mov_b32_e32 v19, v23
	v_pk_add_f32 v[24:25], v[16:17], v[18:19] neg_lo:[0,1] neg_hi:[0,1]
	v_pk_add_f32 v[16:17], v[16:17], v[18:19]
	s_nop 0
	v_mov_b32_e32 v6, v17
	v_pk_add_f32 v[18:19], v[6:7], v[4:5] neg_lo:[0,1] neg_hi:[0,1]
	v_mov_b32_e32 v16, v23
	v_mov_b32_e32 v15, v18
	v_pk_add_f32 v[26:27], v[22:23], v[14:15] neg_lo:[0,1] neg_hi:[0,1]
	v_mov_b32_e32 v22, v5
	v_mov_b32_e32 v23, v18
	;; [unrolled: 1-line block ×3, first 2 shown]
	v_pk_add_f32 v[16:17], v[16:17], v[22:23] neg_lo:[0,1] neg_hi:[0,1]
	v_mov_b32_e32 v18, v21
	v_mov_b32_e32 v19, v4
	v_pk_add_f32 v[4:5], v[18:19], v[16:17] neg_lo:[0,1] neg_hi:[0,1]
	v_mov_b32_e32 v26, v24
	v_pk_add_f32 v[16:17], v[26:27], v[4:5]
	s_nop 0
	v_mov_b32_e32 v18, v17
	v_pk_add_f32 v[18:19], v[16:17], v[18:19]
	s_nop 0
	v_pk_add_f32 v[20:21], v[6:7], v[18:19]
	v_mov_b32_e32 v5, v18
	v_mov_b32_e32 v17, v20
	v_pk_add_f32 v[22:23], v[16:17], v[24:25] neg_lo:[0,1] neg_hi:[0,1]
	s_nop 0
	v_sub_f32_e32 v6, v16, v22
	v_pk_add_f32 v[4:5], v[4:5], v[22:23] neg_lo:[0,1] neg_hi:[0,1]
	v_sub_f32_e32 v6, v24, v6
	v_add_f32_e32 v4, v4, v6
	v_add_f32_e32 v4, v4, v5
	;; [unrolled: 1-line block ×3, first 2 shown]
	v_cndmask_b32_e32 v77, v4, v28, vcc
.LBB106_55:                             ;   in Loop: Header=BB106_11 Depth=1
	s_or_b64 exec, exec, s[38:39]
	v_cvt_f32_f16_sdwa v4, v7 dst_sel:DWORD dst_unused:UNUSED_PAD src0_sel:WORD_1
	v_add_f32_e32 v15, s33, v4
	v_cmp_ge_f32_e32 vcc, s99, v15
	s_and_b64 s[36:37], s[64:65], vcc
	s_and_saveexec_b64 s[38:39], s[36:37]
	s_cbranch_execz .LBB106_57
; %bb.56:                               ;   in Loop: Header=BB106_11 Depth=1
	v_mul_f32_e32 v4, 0x3fb8aa3b, v15
	v_rndne_f32_e32 v5, v4
	v_sub_f32_e32 v6, v4, v5
	v_fma_f32 v4, v15, s40, -v4
	v_fmac_f32_e32 v4, 0x32a5705f, v15
	v_add_f32_e32 v4, v6, v4
	v_cvt_i32_f32_e32 v5, v5
	v_exp_f32_e32 v4, v4
	v_cmp_ngt_f32_e32 vcc, s41, v15
	v_ldexp_f32 v4, v4, v5
	s_nop 0
	v_cndmask_b32_e32 v4, 0, v4, vcc
	v_cmp_nlt_f32_e32 vcc, s42, v15
	s_nop 1
	v_cndmask_b32_e32 v28, v68, v4, vcc
	v_add_f32_e32 v6, 1.0, v28
	v_add_f32_e32 v4, -1.0, v6
	v_sub_f32_e32 v5, v4, v6
	v_add_f32_e32 v5, 1.0, v5
	v_sub_f32_e32 v4, v28, v4
	v_add_f32_e32 v7, v4, v5
	v_frexp_mant_f32_e32 v15, v6
	v_cvt_f64_f32_e32 v[4:5], v6
	v_frexp_exp_i32_f64_e32 v4, v[4:5]
	v_cmp_gt_f32_e32 vcc, s97, v15
	v_cmp_gt_f32_e64 s[36:37], s67, v28
	s_nop 0
	v_subbrev_co_u32_e32 v20, vcc, 0, v4, vcc
	v_sub_u32_e32 v4, 0, v20
	v_ldexp_f32 v5, v6, v4
	v_add_f32_e32 v6, -1.0, v5
	v_add_f32_e32 v15, 1.0, v5
	v_ldexp_f32 v4, v7, v4
	v_add_f32_e32 v7, 1.0, v6
	v_add_f32_e32 v16, -1.0, v15
	v_sub_f32_e32 v7, v5, v7
	v_sub_f32_e32 v5, v5, v16
	v_add_f32_e32 v7, v4, v7
	v_add_f32_e32 v4, v4, v5
	;; [unrolled: 1-line block ×3, first 2 shown]
	v_rcp_f32_e32 v22, v21
	v_sub_f32_e32 v5, v15, v21
	v_add_f32_e32 v15, v4, v5
	v_add_f32_e32 v5, v6, v7
	v_mul_f32_e32 v24, v5, v22
	v_sub_f32_e32 v4, v6, v5
	v_mul_f32_e32 v6, v21, v24
	v_fma_f32 v16, v24, v21, -v6
	v_fmac_f32_e32 v16, v24, v15
	v_add_f32_e32 v23, v7, v4
	v_add_f32_e32 v4, v6, v16
	v_sub_f32_e32 v7, v5, v4
	v_pk_add_f32 v[18:19], v[4:5], v[6:7] neg_lo:[0,1] neg_hi:[0,1]
	v_mov_b32_e32 v17, v4
	v_pk_add_f32 v[4:5], v[18:19], v[16:17] neg_lo:[0,1] neg_hi:[0,1]
	v_cmp_eq_f32_e32 vcc, s43, v28
	v_add_f32_e32 v5, v23, v5
	v_add_f32_e32 v4, v4, v5
	;; [unrolled: 1-line block ×3, first 2 shown]
	v_mul_f32_e32 v23, v22, v5
	v_mul_f32_e32 v6, v21, v23
	v_fma_f32 v16, v23, v21, -v6
	v_fmac_f32_e32 v16, v23, v15
	v_sub_f32_e32 v7, v7, v5
	v_add_f32_e32 v15, v4, v7
	v_add_f32_e32 v4, v6, v16
	v_sub_f32_e32 v7, v5, v4
	v_pk_add_f32 v[18:19], v[4:5], v[6:7] neg_lo:[0,1] neg_hi:[0,1]
	v_mov_b32_e32 v17, v4
	v_pk_add_f32 v[4:5], v[18:19], v[16:17] neg_lo:[0,1] neg_hi:[0,1]
	s_or_b64 vcc, s[36:37], vcc
	v_add_f32_e32 v5, v15, v5
	v_add_f32_e32 v4, v4, v5
	;; [unrolled: 1-line block ×4, first 2 shown]
	v_sub_f32_e32 v6, v5, v24
	v_mul_f32_e32 v4, v22, v4
	v_sub_f32_e32 v6, v23, v6
	v_add_f32_e32 v6, v6, v4
	v_add_f32_e32 v16, v5, v6
	v_mul_f32_e32 v17, v16, v16
	v_fmamk_f32 v4, v17, 0x3e9b6dac, v67
	v_fmaak_f32 v15, v17, v4, 0x3f2aaada
	v_cvt_f32_i32_e32 v4, v20
	v_sub_f32_e32 v5, v16, v5
	v_sub_f32_e32 v5, v6, v5
	v_ldexp_f32 v18, v5, 1
	v_mul_f32_e32 v5, v16, v17
	v_ldexp_f32 v7, v16, 1
	v_pk_mul_f32 v[16:17], v[4:5], v[14:15]
	s_nop 0
	v_fma_f32 v6, v4, s95, -v16
	v_fmac_f32_e32 v6, 0xb102e308, v4
	v_pk_add_f32 v[4:5], v[16:17], v[6:7]
	s_nop 0
	v_sub_f32_e32 v7, v5, v7
	v_sub_f32_e32 v7, v17, v7
	v_add_f32_e32 v19, v18, v7
	v_mov_b32_e32 v18, v16
	v_pk_add_f32 v[16:17], v[4:5], v[16:17] neg_lo:[0,1] neg_hi:[0,1]
	v_pk_add_f32 v[20:21], v[4:5], v[18:19]
	v_mov_b32_e32 v7, v4
	v_mov_b32_e32 v17, v21
	v_pk_add_f32 v[22:23], v[6:7], v[16:17] neg_lo:[0,1] neg_hi:[0,1]
	v_pk_add_f32 v[6:7], v[6:7], v[16:17]
	v_mov_b32_e32 v18, v19
	v_mov_b32_e32 v16, v7
	v_pk_add_f32 v[24:25], v[16:17], v[4:5] neg_lo:[0,1] neg_hi:[0,1]
	v_mov_b32_e32 v6, v21
	v_mov_b32_e32 v15, v24
	v_pk_add_f32 v[26:27], v[20:21], v[14:15] neg_lo:[0,1] neg_hi:[0,1]
	v_mov_b32_e32 v20, v5
	v_mov_b32_e32 v21, v24
	;; [unrolled: 1-line block ×3, first 2 shown]
	v_pk_add_f32 v[6:7], v[6:7], v[20:21] neg_lo:[0,1] neg_hi:[0,1]
	v_mov_b32_e32 v19, v4
	v_pk_add_f32 v[4:5], v[18:19], v[6:7] neg_lo:[0,1] neg_hi:[0,1]
	v_mov_b32_e32 v26, v22
	v_pk_add_f32 v[6:7], v[26:27], v[4:5]
	s_nop 0
	v_mov_b32_e32 v18, v7
	v_pk_add_f32 v[18:19], v[6:7], v[18:19]
	s_nop 0
	v_pk_add_f32 v[16:17], v[16:17], v[18:19]
	v_mov_b32_e32 v5, v18
	v_mov_b32_e32 v7, v16
	v_pk_add_f32 v[20:21], v[6:7], v[22:23] neg_lo:[0,1] neg_hi:[0,1]
	s_nop 0
	v_sub_f32_e32 v6, v6, v20
	v_pk_add_f32 v[4:5], v[4:5], v[20:21] neg_lo:[0,1] neg_hi:[0,1]
	v_sub_f32_e32 v6, v22, v6
	v_add_f32_e32 v4, v4, v6
	v_add_f32_e32 v4, v4, v5
	;; [unrolled: 1-line block ×3, first 2 shown]
	v_cndmask_b32_e32 v15, v4, v28, vcc
.LBB106_57:                             ;   in Loop: Header=BB106_11 Depth=1
	s_or_b64 exec, exec, s[38:39]
	v_cvt_f32_f16_e32 v4, v3
	v_cvt_f32_f16_sdwa v5, v2 dst_sel:DWORD dst_unused:UNUSED_PAD src0_sel:WORD_1
	v_cvt_f32_f16_e32 v2, v2
	v_cvt_f32_f16_sdwa v7, v3 dst_sel:DWORD dst_unused:UNUSED_PAD src0_sel:WORD_1
	v_cvt_f32_f16_sdwa v3, v1 dst_sel:DWORD dst_unused:UNUSED_PAD src0_sel:WORD_1
	v_cvt_f32_f16_e32 v1, v1
	v_cvt_f32_f16_sdwa v6, v0 dst_sel:DWORD dst_unused:UNUSED_PAD src0_sel:WORD_1
	v_cvt_f32_f16_e32 v0, v0
	v_readlane_b32 s36, v95, 1
	v_readlane_b32 s37, v95, 2
	v_mul_f32_e32 v18, s94, v4
	v_mul_f32_e32 v17, s94, v5
	;; [unrolled: 1-line block ×8, first 2 shown]
	s_and_b64 vcc, exec, s[36:37]
	s_waitcnt lgkmcnt(0)
	; wave barrier
	s_cbranch_vccz .LBB106_118
; %bb.58:                               ;   in Loop: Header=BB106_11 Depth=1
	s_cmp_lg_u32 s74, 0
	v_readlane_b32 s36, v95, 5
	v_mul_f32_e32 v85, v71, v0
	s_cselect_b64 s[80:81], -1, 0
	s_cmp_eq_u32 s74, s36
	v_cmp_gt_u32_e32 vcc, s50, v11
	v_or_b32_e32 v0, 1, v11
	s_cselect_b64 s[82:83], -1, 0
	s_or_b64 s[36:37], s[76:77], vcc
	v_cmp_gt_u32_e32 vcc, s50, v0
	v_or_b32_e32 v0, 2, v11
	s_or_b64 s[38:39], s[76:77], vcc
	v_cmp_gt_u32_e32 vcc, s50, v0
	s_or_b64 s[40:41], s[76:77], vcc
	v_cmp_gt_u32_e32 vcc, s50, v62
	;; [unrolled: 2-line block ×5, first 2 shown]
	s_mov_b32 s70, 0
	s_or_b64 s[48:49], s[76:77], vcc
	v_cmp_gt_u32_e32 vcc, s50, v66
	v_mul_f32_e32 v78, v15, v7
	v_lshl_add_u64 v[24:25], s[54:55], 0, v[8:9]
	v_lshl_add_u64 v[26:27], s[58:59], 0, v[8:9]
	v_mul_f32_e32 v79, v77, v4
	v_mul_f32_e32 v80, v76, v5
	;; [unrolled: 1-line block ×6, first 2 shown]
	s_or_b64 s[50:51], s[76:77], vcc
	s_mov_b32 s84, s70
	s_mov_b32 s86, s70
	;; [unrolled: 1-line block ×3, first 2 shown]
	v_readlane_b32 s79, v95, 0
	v_readlane_b32 s75, v95, 6
	s_branch .LBB106_60
.LBB106_59:                             ;   in Loop: Header=BB106_60 Depth=2
	s_or_b64 exec, exec, s[90:91]
	v_mul_f32_e32 v28, v86, v94
	v_fma_f32 v29, v86, v60, v4
	v_cndmask_b32_e64 v4, v29, v4, s[16:17]
	v_cndmask_b32_e64 v28, v28, v86, s[16:17]
	s_waitcnt lgkmcnt(0)
	v_fmac_f32_e32 v4, v34, v28
	v_fmac_f32_e32 v5, v4, v87
	;; [unrolled: 1-line block ×5, first 2 shown]
	v_cvt_f32_f16_sdwa v29, v0 dst_sel:DWORD dst_unused:UNUSED_PAD src0_sel:WORD_1
	v_cvt_f32_f16_sdwa v35, v1 dst_sel:DWORD dst_unused:UNUSED_PAD src0_sel:WORD_1
	v_cvt_f32_f16_e32 v28, v0
	v_cvt_f32_f16_e32 v34, v1
	v_cvt_f32_f16_sdwa v1, v2 dst_sel:DWORD dst_unused:UNUSED_PAD src0_sel:WORD_1
	v_cvt_f32_f16_sdwa v87, v3 dst_sel:DWORD dst_unused:UNUSED_PAD src0_sel:WORD_1
	v_cvt_f32_f16_e32 v86, v3
	v_cvt_f32_f16_e32 v0, v2
	v_fmac_f32_e32 v7, v6, v91
	v_fmac_f32_e32 v32, v7, v92
	;; [unrolled: 1-line block ×3, first 2 shown]
	s_add_i32 s75, s75, 8
	s_add_i32 s79, s79, -1
	s_add_i32 s88, s88, s66
	s_add_i32 s86, s86, s60
	;; [unrolled: 1-line block ×4, first 2 shown]
	v_pk_fma_f32 v[20:21], v[30:31], v[34:35], v[20:21]
	v_pk_fma_f32 v[22:23], v[4:5], v[28:29], v[22:23]
	;; [unrolled: 1-line block ×3, first 2 shown]
	s_cmp_eq_u32 s79, 0
	v_pk_fma_f32 v[16:17], v[6:7], v[0:1], v[16:17]
	s_cbranch_scc1 .LBB106_117
.LBB106_60:                             ;   Parent Loop BB106_11 Depth=1
                                        ; =>  This Inner Loop Header: Depth=2
	s_lshl_b64 s[90:91], s[70:71], 2
	s_add_u32 s90, s52, s90
	s_addc_u32 s91, s96, s91
	global_load_dword v30, v9, s[90:91]
	s_mov_b32 s85, s71
	v_lshl_add_u64 v[0:1], s[84:85], 1, v[24:25]
	v_mov_b32_e32 v2, 0
	v_mov_b32_e32 v3, 0
	s_and_saveexec_b64 s[90:91], s[18:19]
	s_cbranch_execnz .LBB106_80
; %bb.61:                               ;   in Loop: Header=BB106_60 Depth=2
	s_or_b64 exec, exec, s[90:91]
	s_and_saveexec_b64 s[90:91], s[20:21]
	s_cbranch_execnz .LBB106_81
.LBB106_62:                             ;   in Loop: Header=BB106_60 Depth=2
	s_or_b64 exec, exec, s[90:91]
	v_mov_b32_e32 v4, 0
	s_and_saveexec_b64 s[90:91], s[22:23]
	s_cbranch_execnz .LBB106_82
.LBB106_63:                             ;   in Loop: Header=BB106_60 Depth=2
	s_or_b64 exec, exec, s[90:91]
	s_and_saveexec_b64 s[90:91], s[24:25]
	s_cbranch_execnz .LBB106_83
.LBB106_64:                             ;   in Loop: Header=BB106_60 Depth=2
	s_or_b64 exec, exec, s[90:91]
	v_mov_b32_e32 v5, 0
	s_and_saveexec_b64 s[90:91], s[26:27]
	s_cbranch_execnz .LBB106_84
.LBB106_65:                             ;   in Loop: Header=BB106_60 Depth=2
	s_or_b64 exec, exec, s[90:91]
	s_and_saveexec_b64 s[90:91], s[28:29]
	s_cbranch_execnz .LBB106_85
.LBB106_66:                             ;   in Loop: Header=BB106_60 Depth=2
	s_or_b64 exec, exec, s[90:91]
	v_mov_b32_e32 v6, 0
	s_and_saveexec_b64 s[90:91], s[30:31]
	s_cbranch_execnz .LBB106_86
.LBB106_67:                             ;   in Loop: Header=BB106_60 Depth=2
	s_or_b64 exec, exec, s[90:91]
	s_and_saveexec_b64 s[90:91], s[34:35]
	s_cbranch_execz .LBB106_69
.LBB106_68:                             ;   in Loop: Header=BB106_60 Depth=2
	global_load_ushort v0, v[0:1], off offset:896
	s_waitcnt vmcnt(0)
	v_lshl_or_b32 v6, v0, 16, v6
.LBB106_69:                             ;   in Loop: Header=BB106_60 Depth=2
	s_or_b64 exec, exec, s[90:91]
	s_waitcnt vmcnt(0)
	ds_write_b16 v43, v3
	ds_write_b16 v44, v2 offset:128
	ds_write_b16 v45, v4 offset:256
	ds_write_b16_d16_hi v46, v4 offset:384
	ds_write_b16 v47, v5 offset:512
	ds_write_b16_d16_hi v48, v5 offset:640
	;; [unrolled: 2-line block ×3, first 2 shown]
	; wave barrier
	ds_read_b128 v[4:7], v51
	s_mov_b32 s87, s71
	v_lshl_add_u64 v[0:1], s[86:87], 1, v[26:27]
	v_mov_b32_e32 v2, 0
	v_mov_b32_e32 v3, 0
	s_and_saveexec_b64 s[90:91], s[18:19]
	s_cbranch_execnz .LBB106_87
; %bb.70:                               ;   in Loop: Header=BB106_60 Depth=2
	s_or_b64 exec, exec, s[90:91]
	s_and_saveexec_b64 s[90:91], s[20:21]
	s_cbranch_execnz .LBB106_88
.LBB106_71:                             ;   in Loop: Header=BB106_60 Depth=2
	s_or_b64 exec, exec, s[90:91]
	v_mov_b32_e32 v28, 0
	s_and_saveexec_b64 s[90:91], s[22:23]
	s_cbranch_execnz .LBB106_89
.LBB106_72:                             ;   in Loop: Header=BB106_60 Depth=2
	s_or_b64 exec, exec, s[90:91]
	s_and_saveexec_b64 s[90:91], s[24:25]
	s_cbranch_execnz .LBB106_90
.LBB106_73:                             ;   in Loop: Header=BB106_60 Depth=2
	s_or_b64 exec, exec, s[90:91]
	v_mov_b32_e32 v29, 0
	s_and_saveexec_b64 s[90:91], s[26:27]
	s_cbranch_execnz .LBB106_91
.LBB106_74:                             ;   in Loop: Header=BB106_60 Depth=2
	s_or_b64 exec, exec, s[90:91]
	s_and_saveexec_b64 s[90:91], s[28:29]
	s_cbranch_execnz .LBB106_92
.LBB106_75:                             ;   in Loop: Header=BB106_60 Depth=2
	s_or_b64 exec, exec, s[90:91]
	v_mov_b32_e32 v31, 0
	s_and_saveexec_b64 s[90:91], s[30:31]
	s_cbranch_execnz .LBB106_93
.LBB106_76:                             ;   in Loop: Header=BB106_60 Depth=2
	s_or_b64 exec, exec, s[90:91]
	s_and_saveexec_b64 s[90:91], s[34:35]
	s_cbranch_execz .LBB106_78
.LBB106_77:                             ;   in Loop: Header=BB106_60 Depth=2
	global_load_ushort v0, v[0:1], off offset:896
	s_waitcnt vmcnt(0)
	v_lshl_or_b32 v31, v0, 16, v31
.LBB106_78:                             ;   in Loop: Header=BB106_60 Depth=2
	s_or_b64 exec, exec, s[90:91]
	s_waitcnt vmcnt(0)
	ds_write_b16 v43, v3 offset:1056
	ds_write_b16 v52, v2 offset:128
	;; [unrolled: 1-line block ×3, first 2 shown]
	ds_write_b16_d16_hi v54, v28 offset:384
	ds_write_b16 v55, v29 offset:512
	ds_write_b16_d16_hi v56, v29 offset:640
	ds_write_b16 v57, v31 offset:768
	ds_write_b16_d16_hi v58, v31 offset:896
	; wave barrier
	ds_read_b128 v[0:3], v51 offset:1056
	s_andn2_b64 vcc, exec, s[80:81]
	s_cbranch_vccnz .LBB106_94
; %bb.79:                               ;   in Loop: Header=BB106_60 Depth=2
	v_mov_b32_e32 v28, s75
	ds_read_b64 v[28:29], v28
	s_cbranch_execz .LBB106_95
	s_branch .LBB106_98
.LBB106_80:                             ;   in Loop: Header=BB106_60 Depth=2
	global_load_ushort v3, v[0:1], off
	s_or_b64 exec, exec, s[90:91]
	s_and_saveexec_b64 s[90:91], s[20:21]
	s_cbranch_execz .LBB106_62
.LBB106_81:                             ;   in Loop: Header=BB106_60 Depth=2
	global_load_ushort v2, v[0:1], off offset:128
	s_or_b64 exec, exec, s[90:91]
	v_mov_b32_e32 v4, 0
	s_and_saveexec_b64 s[90:91], s[22:23]
	s_cbranch_execz .LBB106_63
.LBB106_82:                             ;   in Loop: Header=BB106_60 Depth=2
	global_load_ushort v4, v[0:1], off offset:256
	s_or_b64 exec, exec, s[90:91]
	s_and_saveexec_b64 s[90:91], s[24:25]
	s_cbranch_execz .LBB106_64
.LBB106_83:                             ;   in Loop: Header=BB106_60 Depth=2
	global_load_ushort v5, v[0:1], off offset:384
	s_waitcnt vmcnt(0)
	v_lshl_or_b32 v4, v5, 16, v4
	s_or_b64 exec, exec, s[90:91]
	v_mov_b32_e32 v5, 0
	s_and_saveexec_b64 s[90:91], s[26:27]
	s_cbranch_execz .LBB106_65
.LBB106_84:                             ;   in Loop: Header=BB106_60 Depth=2
	global_load_ushort v5, v[0:1], off offset:512
	s_or_b64 exec, exec, s[90:91]
	s_and_saveexec_b64 s[90:91], s[28:29]
	s_cbranch_execz .LBB106_66
.LBB106_85:                             ;   in Loop: Header=BB106_60 Depth=2
	global_load_ushort v6, v[0:1], off offset:640
	s_waitcnt vmcnt(0)
	v_lshl_or_b32 v5, v6, 16, v5
	s_or_b64 exec, exec, s[90:91]
	v_mov_b32_e32 v6, 0
	s_and_saveexec_b64 s[90:91], s[30:31]
	s_cbranch_execz .LBB106_67
.LBB106_86:                             ;   in Loop: Header=BB106_60 Depth=2
	global_load_ushort v6, v[0:1], off offset:768
	s_or_b64 exec, exec, s[90:91]
	s_and_saveexec_b64 s[90:91], s[34:35]
	s_cbranch_execnz .LBB106_68
	s_branch .LBB106_69
.LBB106_87:                             ;   in Loop: Header=BB106_60 Depth=2
	global_load_ushort v3, v[0:1], off
	s_or_b64 exec, exec, s[90:91]
	s_and_saveexec_b64 s[90:91], s[20:21]
	s_cbranch_execz .LBB106_71
.LBB106_88:                             ;   in Loop: Header=BB106_60 Depth=2
	global_load_ushort v2, v[0:1], off offset:128
	s_or_b64 exec, exec, s[90:91]
	v_mov_b32_e32 v28, 0
	s_and_saveexec_b64 s[90:91], s[22:23]
	s_cbranch_execz .LBB106_72
.LBB106_89:                             ;   in Loop: Header=BB106_60 Depth=2
	global_load_ushort v28, v[0:1], off offset:256
	s_or_b64 exec, exec, s[90:91]
	s_and_saveexec_b64 s[90:91], s[24:25]
	s_cbranch_execz .LBB106_73
.LBB106_90:                             ;   in Loop: Header=BB106_60 Depth=2
	global_load_ushort v29, v[0:1], off offset:384
	s_waitcnt vmcnt(0)
	v_lshl_or_b32 v28, v29, 16, v28
	s_or_b64 exec, exec, s[90:91]
	v_mov_b32_e32 v29, 0
	s_and_saveexec_b64 s[90:91], s[26:27]
	s_cbranch_execz .LBB106_74
.LBB106_91:                             ;   in Loop: Header=BB106_60 Depth=2
	global_load_ushort v29, v[0:1], off offset:512
	s_or_b64 exec, exec, s[90:91]
	s_and_saveexec_b64 s[90:91], s[28:29]
	s_cbranch_execz .LBB106_75
.LBB106_92:                             ;   in Loop: Header=BB106_60 Depth=2
	global_load_ushort v31, v[0:1], off offset:640
	s_waitcnt vmcnt(0)
	v_lshl_or_b32 v29, v31, 16, v29
	s_or_b64 exec, exec, s[90:91]
	v_mov_b32_e32 v31, 0
	s_and_saveexec_b64 s[90:91], s[30:31]
	s_cbranch_execz .LBB106_76
.LBB106_93:                             ;   in Loop: Header=BB106_60 Depth=2
	global_load_ushort v31, v[0:1], off offset:768
	s_or_b64 exec, exec, s[90:91]
	s_and_saveexec_b64 s[90:91], s[34:35]
	s_cbranch_execnz .LBB106_77
	s_branch .LBB106_78
.LBB106_94:                             ;   in Loop: Header=BB106_60 Depth=2
                                        ; implicit-def: $vgpr29
.LBB106_95:                             ;   in Loop: Header=BB106_60 Depth=2
	s_andn2_b64 vcc, exec, s[68:69]
	s_waitcnt lgkmcnt(0)
	v_mov_b32_e32 v29, 0
	s_cbranch_vccnz .LBB106_97
; %bb.96:                               ;   in Loop: Header=BB106_60 Depth=2
	s_mov_b32 s89, s71
	s_lshl_b64 s[90:91], s[88:89], 2
	s_add_u32 s90, s57, s90
	s_addc_u32 s91, s61, s91
	global_load_dword v29, v9, s[90:91]
.LBB106_97:                             ;   in Loop: Header=BB106_60 Depth=2
	v_mov_b32_e32 v28, 1.0
.LBB106_98:                             ;   in Loop: Header=BB106_60 Depth=2
	v_mul_f32_e32 v92, 0x3fb8aa3b, v30
	s_waitcnt lgkmcnt(9)
	v_cvt_f32_f16_e32 v31, v4
	v_cvt_f32_f16_sdwa v32, v4 dst_sel:DWORD dst_unused:UNUSED_PAD src0_sel:WORD_1
	v_mul_f32_e32 v4, v92, v71
	v_cmp_gt_f32_e32 vcc, s98, v4
	v_cvt_f32_f16_e32 v35, v6
	v_cvt_f32_f16_sdwa v60, v6 dst_sel:DWORD dst_unused:UNUSED_PAD src0_sel:WORD_1
	v_cndmask_b32_e32 v4, 0, v69, vcc
	v_mul_f32_e32 v6, v92, v72
	v_cvt_f32_f16_e32 v33, v5
	v_cvt_f32_f16_sdwa v34, v5 dst_sel:DWORD dst_unused:UNUSED_PAD src0_sel:WORD_1
	v_fmac_f32_e32 v4, v92, v71
	v_cndmask_b32_e32 v5, 1.0, v70, vcc
	v_cmp_gt_f32_e32 vcc, s98, v6
	v_exp_f32_e32 v4, v4
	v_cvt_f32_f16_e32 v93, v7
	v_cndmask_b32_e32 v6, 0, v69, vcc
	v_fmac_f32_e32 v6, v92, v72
	v_exp_f32_e32 v6, v6
	v_cvt_f32_f16_sdwa v94, v7 dst_sel:DWORD dst_unused:UNUSED_PAD src0_sel:WORD_1
	v_mul_f32_e32 v5, v4, v5
	v_mul_f32_e32 v7, v92, v73
	v_cndmask_b32_e64 v86, 1.0, v5, s[36:37]
	v_cndmask_b32_e32 v5, 1.0, v70, vcc
	v_cmp_gt_f32_e32 vcc, s98, v7
	v_mul_f32_e32 v6, v6, v5
	v_mul_f32_e32 v30, v92, v74
	v_cndmask_b32_e32 v7, 0, v69, vcc
	v_fmac_f32_e32 v7, v92, v73
	v_cndmask_b32_e64 v87, 1.0, v6, s[38:39]
	v_cndmask_b32_e32 v6, 1.0, v70, vcc
	v_cmp_gt_f32_e32 vcc, s98, v30
	v_exp_f32_e32 v7, v7
	v_mul_f32_e32 v4, v85, v31
	v_cndmask_b32_e32 v30, 0, v69, vcc
	v_fmac_f32_e32 v30, v92, v74
	v_exp_f32_e32 v31, v30
	v_mul_f32_e32 v6, v7, v6
	v_cndmask_b32_e64 v88, 1.0, v6, s[40:41]
	v_cndmask_b32_e32 v6, 1.0, v70, vcc
	v_mul_f32_e32 v6, v31, v6
	v_mul_f32_e32 v31, v92, v75
	v_cmp_gt_f32_e32 vcc, s98, v31
	v_mul_f32_e32 v5, v84, v32
	v_mul_f32_e32 v7, v83, v33
	v_cndmask_b32_e32 v31, 0, v69, vcc
	v_fmac_f32_e32 v31, v92, v75
	v_exp_f32_e32 v32, v31
	v_cndmask_b32_e64 v30, 0, v7, s[40:41]
	v_mul_f32_e32 v7, v82, v34
	v_cndmask_b32_e64 v89, 1.0, v6, s[42:43]
	v_cndmask_b32_e32 v6, 1.0, v70, vcc
	v_cndmask_b32_e64 v31, 0, v7, s[42:43]
	v_mul_f32_e32 v7, v32, v6
	v_mul_f32_e32 v32, v92, v76
	v_cmp_gt_f32_e32 vcc, s98, v32
	v_mul_f32_e32 v33, v92, v77
	v_cndmask_b32_e64 v90, 1.0, v7, s[44:45]
	v_cndmask_b32_e32 v32, 0, v69, vcc
	v_fmac_f32_e32 v32, v92, v76
	v_exp_f32_e32 v32, v32
	v_cndmask_b32_e32 v7, 1.0, v70, vcc
	v_cmp_gt_f32_e32 vcc, s98, v33
	v_mul_f32_e32 v34, v92, v15
	v_mul_f32_e32 v32, v32, v7
	v_cndmask_b32_e32 v33, 0, v69, vcc
	v_fmac_f32_e32 v33, v92, v77
	v_cndmask_b32_e64 v91, 1.0, v32, s[46:47]
	v_cndmask_b32_e32 v32, 1.0, v70, vcc
	v_cmp_gt_f32_e32 vcc, s98, v34
	v_exp_f32_e32 v33, v33
	v_cndmask_b32_e64 v4, 0, v4, s[36:37]
	v_cndmask_b32_e32 v34, 0, v69, vcc
	v_fmac_f32_e32 v34, v92, v15
	v_exp_f32_e32 v34, v34
	v_mul_f32_e32 v33, v33, v32
	v_cndmask_b32_e64 v92, 1.0, v33, s[48:49]
	v_cndmask_b32_e32 v33, 1.0, v70, vcc
	v_cndmask_b32_e64 v5, 0, v5, s[38:39]
	v_mul_f32_e32 v34, v34, v33
	v_mul_f32_e32 v6, v81, v35
	;; [unrolled: 1-line block ×3, first 2 shown]
	v_cndmask_b32_e64 v93, 1.0, v34, s[50:51]
	v_mul_f32_e32 v34, v87, v86
	v_fma_f32 v35, v87, v4, v5
	v_mul_f32_e32 v34, v34, v88
	v_fma_f32 v35, v35, v88, v30
	v_cndmask_b32_e64 v6, 0, v6, s[44:45]
	v_mul_f32_e32 v7, v80, v60
	v_mul_f32_e32 v34, v34, v89
	v_fma_f32 v35, v35, v89, v31
	v_cndmask_b32_e64 v7, 0, v7, s[46:47]
	v_mul_f32_e32 v34, v34, v90
	v_fma_f32 v35, v35, v90, v6
	v_cndmask_b32_e64 v32, 0, v32, s[48:49]
	v_mul_f32_e32 v33, v78, v94
	v_mul_f32_e32 v34, v34, v91
	v_fma_f32 v35, v35, v91, v7
	v_cndmask_b32_e64 v33, 0, v33, s[50:51]
	v_mul_f32_e32 v34, v34, v92
	v_fma_f32 v35, v35, v92, v32
	v_mul_f32_e32 v34, v34, v93
	v_fma_f32 v61, v35, v93, v33
	s_nop 0
	v_mov_b32_dpp v94, v34 row_shr:1 row_mask:0xf bank_mask:0xf
	v_mov_b32_dpp v60, v61 row_shr:1 row_mask:0xf bank_mask:0xf
	s_and_saveexec_b64 s[90:91], s[0:1]
; %bb.99:                               ;   in Loop: Header=BB106_60 Depth=2
	v_mul_f32_e32 v94, v34, v94
	v_fmac_f32_e32 v61, v34, v60
	v_mov_b32_e32 v34, v94
; %bb.100:                              ;   in Loop: Header=BB106_60 Depth=2
	s_or_b64 exec, exec, s[90:91]
	s_nop 0
	v_mov_b32_dpp v60, v34 row_shr:2 row_mask:0xf bank_mask:0xf
	v_mov_b32_dpp v94, v61 row_shr:2 row_mask:0xf bank_mask:0xf
	s_and_saveexec_b64 s[90:91], s[2:3]
; %bb.101:                              ;   in Loop: Header=BB106_60 Depth=2
	v_fmac_f32_e32 v61, v34, v94
	v_mul_f32_e32 v34, v34, v60
; %bb.102:                              ;   in Loop: Header=BB106_60 Depth=2
	s_or_b64 exec, exec, s[90:91]
	s_nop 0
	v_mov_b32_dpp v60, v34 row_shr:4 row_mask:0xf bank_mask:0xf
	v_mov_b32_dpp v94, v61 row_shr:4 row_mask:0xf bank_mask:0xf
	s_and_saveexec_b64 s[90:91], s[4:5]
; %bb.103:                              ;   in Loop: Header=BB106_60 Depth=2
	v_fmac_f32_e32 v61, v34, v94
	v_mul_f32_e32 v34, v34, v60
	;; [unrolled: 9-line block ×3, first 2 shown]
; %bb.106:                              ;   in Loop: Header=BB106_60 Depth=2
	s_or_b64 exec, exec, s[90:91]
	s_nop 0
	v_mov_b32_dpp v60, v34 row_bcast:15 row_mask:0xf bank_mask:0xf
	v_mov_b32_dpp v94, v61 row_bcast:15 row_mask:0xf bank_mask:0xf
	s_and_saveexec_b64 s[90:91], s[8:9]
; %bb.107:                              ;   in Loop: Header=BB106_60 Depth=2
	v_fmac_f32_e32 v61, v34, v94
	v_mul_f32_e32 v34, v34, v60
; %bb.108:                              ;   in Loop: Header=BB106_60 Depth=2
	s_or_b64 exec, exec, s[90:91]
	s_nop 0
	v_mov_b32_dpp v60, v34 row_bcast:31 row_mask:0xf bank_mask:0xf
	v_mov_b32_dpp v94, v61 row_bcast:31 row_mask:0xf bank_mask:0xf
	v_mov_b32_e32 v35, v61
	v_mul_f32_e32 v60, v34, v60
	v_fmac_f32_e32 v35, v34, v94
	v_cndmask_b32_e64 v34, v34, v60, s[10:11]
	v_cndmask_b32_e64 v35, v61, v35, s[10:11]
	s_and_saveexec_b64 s[90:91], s[12:13]
	s_cbranch_execz .LBB106_110
; %bb.109:                              ;   in Loop: Header=BB106_60 Depth=2
	ds_write_b64 v9, v[34:35] offset:2112
.LBB106_110:                            ;   in Loop: Header=BB106_60 Depth=2
	s_or_b64 exec, exec, s[90:91]
	ds_bpermute_b32 v94, v59, v34
	ds_bpermute_b32 v60, v59, v35
	s_waitcnt vmcnt(0) lgkmcnt(2)
	v_mov_b32_e32 v35, v29
	s_waitcnt lgkmcnt(0)
	; wave barrier
	s_waitcnt lgkmcnt(0)
	s_and_saveexec_b64 s[90:91], s[14:15]
	s_cbranch_execz .LBB106_114
; %bb.111:                              ;   in Loop: Header=BB106_60 Depth=2
	ds_read_b64 v[34:35], v9 offset:2112
	s_and_saveexec_b64 s[92:93], s[16:17]
	s_cbranch_execz .LBB106_113
; %bb.112:                              ;   in Loop: Header=BB106_60 Depth=2
	ds_write_b64 v9, v[28:29] offset:2112
.LBB106_113:                            ;   in Loop: Header=BB106_60 Depth=2
	s_or_b64 exec, exec, s[92:93]
	s_waitcnt lgkmcnt(0)
	v_fmac_f32_e32 v35, v29, v34
	v_mul_f32_e32 v28, v28, v34
	v_mov_b32_e32 v29, v35
.LBB106_114:                            ;   in Loop: Header=BB106_60 Depth=2
	s_or_b64 exec, exec, s[90:91]
	s_waitcnt lgkmcnt(0)
	; wave barrier
	ds_read_b32 v34, v9 offset:2116
	s_and_saveexec_b64 s[90:91], s[16:17]
	s_cbranch_execz .LBB106_59
; %bb.115:                              ;   in Loop: Header=BB106_60 Depth=2
	v_mov_b32_e32 v61, s75
	s_andn2_b64 vcc, exec, s[82:83]
	ds_write_b64 v61, v[28:29]
	s_cbranch_vccnz .LBB106_59
; %bb.116:                              ;   in Loop: Header=BB106_60 Depth=2
	s_mov_b32 s89, s71
	s_lshl_b64 s[92:93], s[88:89], 2
	s_add_u32 s92, s57, s92
	s_addc_u32 s93, s61, s93
	global_store_dword v9, v35, s[92:93]
	s_branch .LBB106_59
.LBB106_117:                            ;   in Loop: Header=BB106_11 Depth=1
	s_mov_b32 s40, 0x3fb8aa3b
	s_mov_b32 s41, 0xc2ce8ed0
	;; [unrolled: 1-line block ×4, first 2 shown]
.LBB106_118:                            ;   in Loop: Header=BB106_11 Depth=1
	v_cvt_f16_f32_e32 v0, v23
	v_cvt_f16_f32_e32 v1, v21
	;; [unrolled: 1-line block ×8, first 2 shown]
	v_pack_b32_f16 v3, v4, v3
	v_pack_b32_f16 v2, v5, v2
	;; [unrolled: 1-line block ×4, first 2 shown]
	s_waitcnt lgkmcnt(0)
	; wave barrier
	ds_write_b128 v51, v[0:3]
	; wave barrier
	ds_read_u16 v15, v44 offset:128
	ds_read_u16 v7, v45 offset:256
	;; [unrolled: 1-line block ×7, first 2 shown]
	s_mov_b32 s79, s71
	v_lshl_add_u64 v[0:1], s[78:79], 1, v[12:13]
	s_and_saveexec_b64 s[36:37], s[18:19]
	s_cbranch_execnz .LBB106_128
; %bb.119:                              ;   in Loop: Header=BB106_11 Depth=1
	s_or_b64 exec, exec, s[36:37]
	s_and_saveexec_b64 s[18:19], s[20:21]
	s_cbranch_execnz .LBB106_129
.LBB106_120:                            ;   in Loop: Header=BB106_11 Depth=1
	s_or_b64 exec, exec, s[18:19]
	s_and_saveexec_b64 s[18:19], s[22:23]
	s_cbranch_execnz .LBB106_130
.LBB106_121:                            ;   in Loop: Header=BB106_11 Depth=1
	s_or_b64 exec, exec, s[18:19]
	s_and_saveexec_b64 s[18:19], s[24:25]
	s_cbranch_execnz .LBB106_131
.LBB106_122:                            ;   in Loop: Header=BB106_11 Depth=1
	s_or_b64 exec, exec, s[18:19]
	s_and_saveexec_b64 s[18:19], s[26:27]
	s_cbranch_execnz .LBB106_132
.LBB106_123:                            ;   in Loop: Header=BB106_11 Depth=1
	s_or_b64 exec, exec, s[18:19]
	s_and_saveexec_b64 s[18:19], s[28:29]
	s_cbranch_execnz .LBB106_133
.LBB106_124:                            ;   in Loop: Header=BB106_11 Depth=1
	s_or_b64 exec, exec, s[18:19]
	s_and_saveexec_b64 s[18:19], s[30:31]
	s_cbranch_execnz .LBB106_134
.LBB106_125:                            ;   in Loop: Header=BB106_11 Depth=1
	s_or_b64 exec, exec, s[18:19]
	s_and_saveexec_b64 s[18:19], s[34:35]
	s_cbranch_execz .LBB106_10
	s_branch .LBB106_135
.LBB106_126:                            ;   in Loop: Header=BB106_11 Depth=1
	global_load_ushort v19, v[4:5], off offset:640
	s_or_b64 exec, exec, s[36:37]
	s_and_saveexec_b64 s[36:37], s[30:31]
	s_cbranch_execz .LBB106_39
.LBB106_127:                            ;   in Loop: Header=BB106_11 Depth=1
	global_load_ushort v18, v[4:5], off offset:768
	s_or_b64 exec, exec, s[36:37]
	v_mov_b32_e32 v20, 0
	s_and_saveexec_b64 s[36:37], s[34:35]
	s_cbranch_execnz .LBB106_40
	s_branch .LBB106_41
.LBB106_128:                            ;   in Loop: Header=BB106_11 Depth=1
	ds_read_u16 v16, v43
	s_waitcnt lgkmcnt(0)
	global_store_short v[0:1], v16, off
	s_or_b64 exec, exec, s[36:37]
	s_and_saveexec_b64 s[18:19], s[20:21]
	s_cbranch_execz .LBB106_120
.LBB106_129:                            ;   in Loop: Header=BB106_11 Depth=1
	s_waitcnt lgkmcnt(6)
	global_store_short v[0:1], v15, off offset:128
	s_or_b64 exec, exec, s[18:19]
	s_and_saveexec_b64 s[18:19], s[22:23]
	s_cbranch_execz .LBB106_121
.LBB106_130:                            ;   in Loop: Header=BB106_11 Depth=1
	s_waitcnt lgkmcnt(5)
	global_store_short v[0:1], v7, off offset:256
	s_or_b64 exec, exec, s[18:19]
	s_and_saveexec_b64 s[18:19], s[24:25]
	s_cbranch_execz .LBB106_122
.LBB106_131:                            ;   in Loop: Header=BB106_11 Depth=1
	s_waitcnt lgkmcnt(4)
	global_store_short v[0:1], v6, off offset:384
	s_or_b64 exec, exec, s[18:19]
	s_and_saveexec_b64 s[18:19], s[26:27]
	s_cbranch_execz .LBB106_123
.LBB106_132:                            ;   in Loop: Header=BB106_11 Depth=1
	s_waitcnt lgkmcnt(3)
	global_store_short v[0:1], v5, off offset:512
	s_or_b64 exec, exec, s[18:19]
	s_and_saveexec_b64 s[18:19], s[28:29]
	s_cbranch_execz .LBB106_124
.LBB106_133:                            ;   in Loop: Header=BB106_11 Depth=1
	s_waitcnt lgkmcnt(2)
	global_store_short v[0:1], v4, off offset:640
	s_or_b64 exec, exec, s[18:19]
	s_and_saveexec_b64 s[18:19], s[30:31]
	s_cbranch_execz .LBB106_125
.LBB106_134:                            ;   in Loop: Header=BB106_11 Depth=1
	s_waitcnt lgkmcnt(1)
	global_store_short v[0:1], v3, off offset:768
	s_or_b64 exec, exec, s[18:19]
	s_and_saveexec_b64 s[18:19], s[34:35]
	s_cbranch_execz .LBB106_10
.LBB106_135:                            ;   in Loop: Header=BB106_11 Depth=1
	s_waitcnt lgkmcnt(0)
	global_store_short v[0:1], v2, off offset:896
	s_branch .LBB106_10
.LBB106_136:
	s_endpgm
.LBB106_137:
	s_mov_b64 s[68:69], 0
	s_load_dwordx2 s[4:5], s[0:1], 0x20
	s_cmp_eq_u64 s[6:7], 0
	s_cbranch_scc0 .LBB106_2
	s_branch .LBB106_3
	.section	.rodata,"a",@progbits
	.p2align	6, 0x0
	.amdhsa_kernel _Z25selective_scan_fwd_kernelI32Selective_Scan_fwd_kernel_traitsILi64ELi8ELi1ELb1ELb1ELb1ELb0ELb1EN3c104HalfEffEEv13SSMParamsBase
		.amdhsa_group_segment_fixed_size 0
		.amdhsa_private_segment_fixed_size 0
		.amdhsa_kernarg_size 248
		.amdhsa_user_sgpr_count 2
		.amdhsa_user_sgpr_dispatch_ptr 0
		.amdhsa_user_sgpr_queue_ptr 0
		.amdhsa_user_sgpr_kernarg_segment_ptr 1
		.amdhsa_user_sgpr_dispatch_id 0
		.amdhsa_user_sgpr_kernarg_preload_length 0
		.amdhsa_user_sgpr_kernarg_preload_offset 0
		.amdhsa_user_sgpr_private_segment_size 0
		.amdhsa_uses_dynamic_stack 0
		.amdhsa_enable_private_segment 0
		.amdhsa_system_sgpr_workgroup_id_x 1
		.amdhsa_system_sgpr_workgroup_id_y 1
		.amdhsa_system_sgpr_workgroup_id_z 0
		.amdhsa_system_sgpr_workgroup_info 0
		.amdhsa_system_vgpr_workitem_id 0
		.amdhsa_next_free_vgpr 96
		.amdhsa_next_free_sgpr 100
		.amdhsa_accum_offset 96
		.amdhsa_reserve_vcc 1
		.amdhsa_float_round_mode_32 0
		.amdhsa_float_round_mode_16_64 0
		.amdhsa_float_denorm_mode_32 3
		.amdhsa_float_denorm_mode_16_64 3
		.amdhsa_dx10_clamp 1
		.amdhsa_ieee_mode 1
		.amdhsa_fp16_overflow 0
		.amdhsa_tg_split 0
		.amdhsa_exception_fp_ieee_invalid_op 0
		.amdhsa_exception_fp_denorm_src 0
		.amdhsa_exception_fp_ieee_div_zero 0
		.amdhsa_exception_fp_ieee_overflow 0
		.amdhsa_exception_fp_ieee_underflow 0
		.amdhsa_exception_fp_ieee_inexact 0
		.amdhsa_exception_int_div_zero 0
	.end_amdhsa_kernel
	.section	.text._Z25selective_scan_fwd_kernelI32Selective_Scan_fwd_kernel_traitsILi64ELi8ELi1ELb1ELb1ELb1ELb0ELb1EN3c104HalfEffEEv13SSMParamsBase,"axG",@progbits,_Z25selective_scan_fwd_kernelI32Selective_Scan_fwd_kernel_traitsILi64ELi8ELi1ELb1ELb1ELb1ELb0ELb1EN3c104HalfEffEEv13SSMParamsBase,comdat
.Lfunc_end106:
	.size	_Z25selective_scan_fwd_kernelI32Selective_Scan_fwd_kernel_traitsILi64ELi8ELi1ELb1ELb1ELb1ELb0ELb1EN3c104HalfEffEEv13SSMParamsBase, .Lfunc_end106-_Z25selective_scan_fwd_kernelI32Selective_Scan_fwd_kernel_traitsILi64ELi8ELi1ELb1ELb1ELb1ELb0ELb1EN3c104HalfEffEEv13SSMParamsBase
                                        ; -- End function
	.section	.AMDGPU.csdata,"",@progbits
; Kernel info:
; codeLenInByte = 10492
; NumSgprs: 106
; NumVgprs: 96
; NumAgprs: 0
; TotalNumVgprs: 96
; ScratchSize: 0
; MemoryBound: 0
; FloatMode: 240
; IeeeMode: 1
; LDSByteSize: 0 bytes/workgroup (compile time only)
; SGPRBlocks: 13
; VGPRBlocks: 11
; NumSGPRsForWavesPerEU: 106
; NumVGPRsForWavesPerEU: 96
; AccumOffset: 96
; Occupancy: 5
; WaveLimiterHint : 1
; COMPUTE_PGM_RSRC2:SCRATCH_EN: 0
; COMPUTE_PGM_RSRC2:USER_SGPR: 2
; COMPUTE_PGM_RSRC2:TRAP_HANDLER: 0
; COMPUTE_PGM_RSRC2:TGID_X_EN: 1
; COMPUTE_PGM_RSRC2:TGID_Y_EN: 1
; COMPUTE_PGM_RSRC2:TGID_Z_EN: 0
; COMPUTE_PGM_RSRC2:TIDIG_COMP_CNT: 0
; COMPUTE_PGM_RSRC3_GFX90A:ACCUM_OFFSET: 23
; COMPUTE_PGM_RSRC3_GFX90A:TG_SPLIT: 0
	.section	.text._Z25selective_scan_fwd_kernelI32Selective_Scan_fwd_kernel_traitsILi64ELi8ELi1ELb1ELb1ELb1ELb0ELb0EN3c104HalfEffEEv13SSMParamsBase,"axG",@progbits,_Z25selective_scan_fwd_kernelI32Selective_Scan_fwd_kernel_traitsILi64ELi8ELi1ELb1ELb1ELb1ELb0ELb0EN3c104HalfEffEEv13SSMParamsBase,comdat
	.protected	_Z25selective_scan_fwd_kernelI32Selective_Scan_fwd_kernel_traitsILi64ELi8ELi1ELb1ELb1ELb1ELb0ELb0EN3c104HalfEffEEv13SSMParamsBase ; -- Begin function _Z25selective_scan_fwd_kernelI32Selective_Scan_fwd_kernel_traitsILi64ELi8ELi1ELb1ELb1ELb1ELb0ELb0EN3c104HalfEffEEv13SSMParamsBase
	.globl	_Z25selective_scan_fwd_kernelI32Selective_Scan_fwd_kernel_traitsILi64ELi8ELi1ELb1ELb1ELb1ELb0ELb0EN3c104HalfEffEEv13SSMParamsBase
	.p2align	8
	.type	_Z25selective_scan_fwd_kernelI32Selective_Scan_fwd_kernel_traitsILi64ELi8ELi1ELb1ELb1ELb1ELb0ELb0EN3c104HalfEffEEv13SSMParamsBase,@function
_Z25selective_scan_fwd_kernelI32Selective_Scan_fwd_kernel_traitsILi64ELi8ELi1ELb1ELb1ELb1ELb0ELb0EN3c104HalfEffEEv13SSMParamsBase: ; @_Z25selective_scan_fwd_kernelI32Selective_Scan_fwd_kernel_traitsILi64ELi8ELi1ELb1ELb1ELb1ELb0ELb0EN3c104HalfEffEEv13SSMParamsBase
; %bb.0:
	s_load_dword s25, s[0:1], 0x18
	s_load_dwordx4 s[4:7], s[0:1], 0xe8
	s_mov_b32 s20, s3
	s_waitcnt lgkmcnt(0)
	s_abs_i32 s24, s25
	v_cvt_f32_u32_e32 v1, s24
	s_cmp_eq_u64 s[6:7], 0
	v_rcp_iflag_f32_e32 v1, v1
	s_nop 0
	v_mul_f32_e32 v1, 0x4f7ffffe, v1
	v_cvt_u32_f32_e32 v1, v1
	s_nop 0
	v_readfirstlane_b32 s26, v1
	s_cbranch_scc1 .LBB107_3
; %bb.1:
	s_ashr_i32 s3, s2, 31
	s_add_u32 s6, s6, s2
	s_addc_u32 s7, s7, s3
	v_mov_b32_e32 v1, 0
	global_load_ubyte v1, v1, s[6:7]
	s_waitcnt vmcnt(0)
	v_and_b32_e32 v1, 1, v1
	v_cmp_eq_u32_e64 s[52:53], 1, v1
	s_load_dwordx2 s[6:7], s[0:1], 0x20
	s_cmp_eq_u64 s[4:5], 0
	s_cbranch_scc1 .LBB107_4
.LBB107_2:
	s_ashr_i32 s3, s2, 31
	s_lshl_b64 s[8:9], s[2:3], 2
	s_add_u32 s4, s4, s8
	s_addc_u32 s5, s5, s9
	s_load_dword s22, s[4:5], 0x0
	s_waitcnt lgkmcnt(0)
	s_ashr_i32 s23, s22, 31
	s_cmp_eq_u64 s[6:7], s[22:23]
	s_cbranch_scc0 .LBB107_5
	s_branch .LBB107_58
.LBB107_3:
	s_mov_b64 s[52:53], 0
	s_load_dwordx2 s[6:7], s[0:1], 0x20
	s_cmp_eq_u64 s[4:5], 0
	s_cbranch_scc0 .LBB107_2
.LBB107_4:
	s_mov_b32 s22, s2
	s_ashr_i32 s23, s22, 31
	s_waitcnt lgkmcnt(0)
	s_cmp_eq_u64 s[6:7], s[22:23]
	s_cbranch_scc1 .LBB107_58
.LBB107_5:
	s_load_dwordx16 s[4:19], s[0:1], 0x88
	s_load_dwordx2 s[54:55], s[0:1], 0x8
	s_mov_b32 s33, 0
	s_mov_b32 s80, 0
	s_waitcnt lgkmcnt(0)
	s_cmp_eq_u64 s[10:11], 0
	s_cbranch_scc1 .LBB107_7
; %bb.6:
	s_ashr_i32 s21, s20, 31
	s_lshl_b64 s[28:29], s[20:21], 2
	s_add_u32 s10, s10, s28
	s_addc_u32 s11, s11, s29
	s_load_dword s80, s[10:11], 0x0
.LBB107_7:
	s_cmp_eq_u64 s[16:17], 0
	s_cbranch_scc1 .LBB107_9
; %bb.8:
	s_ashr_i32 s21, s20, 31
	s_lshl_b64 s[10:11], s[20:21], 2
	s_add_u32 s10, s16, s10
	s_addc_u32 s11, s17, s11
	s_load_dword s33, s[10:11], 0x0
.LBB107_9:
	s_cmp_lt_i32 s54, 1
	s_cbranch_scc1 .LBB107_58
; %bb.10:
	s_sub_i32 s3, 0, s24
	s_mul_i32 s3, s3, s26
	s_mul_hi_u32 s3, s26, s3
	s_abs_i32 s21, s20
	s_add_i32 s3, s26, s3
	s_load_dwordx8 s[40:47], s[0:1], 0x2c
	s_load_dwordx2 s[16:17], s[0:1], 0x5c
	s_load_dwordx4 s[48:51], s[0:1], 0x4c
	s_load_dwordx4 s[36:39], s[0:1], 0x7c
	s_load_dwordx2 s[10:11], s[0:1], 0x6c
	s_load_dwordx2 s[26:27], s[0:1], 0xc8
	s_mul_hi_u32 s3, s21, s3
	s_load_dword s23, s[0:1], 0x28
	s_ashr_i32 s0, s20, 31
	s_ashr_i32 s1, s25, 31
	s_xor_b32 s0, s0, s1
	s_mul_i32 s1, s3, s24
	s_sub_i32 s1, s21, s1
	s_add_i32 s21, s3, 1
	s_sub_i32 s25, s1, s24
	s_cmp_ge_u32 s1, s24
	s_cselect_b32 s3, s21, s3
	s_cselect_b32 s1, s25, s1
	s_add_i32 s21, s3, 1
	s_cmp_ge_u32 s1, s24
	s_cselect_b32 s1, s21, s3
	s_xor_b32 s1, s1, s0
	s_waitcnt lgkmcnt(0)
	s_mul_i32 s56, s50, s2
	s_mov_b32 s57, 0
	s_sub_i32 s3, s1, s0
	s_lshl_b64 s[0:1], s[56:57], 1
	s_add_u32 s12, s12, s0
	s_mul_i32 s56, s51, s20
	s_addc_u32 s13, s13, s1
	s_lshl_b64 s[0:1], s[56:57], 1
	s_add_u32 s50, s12, s0
	s_mul_i32 s56, s16, s2
	s_addc_u32 s51, s13, s1
	s_lshl_b64 s[0:1], s[56:57], 1
	s_add_u32 s12, s14, s0
	s_mul_i32 s56, s17, s20
	s_addc_u32 s13, s15, s1
	s_lshl_b64 s[0:1], s[56:57], 1
	s_add_u32 s58, s12, s0
	s_mul_i32 s56, s40, s20
	s_addc_u32 s59, s13, s1
	s_lshl_b64 s[0:1], s[56:57], 2
	s_add_u32 s39, s4, s0
	s_mul_i32 s56, s42, s2
	s_addc_u32 s40, s5, s1
	s_lshl_b64 s[0:1], s[56:57], 1
	s_add_u32 s4, s6, s0
	s_mul_i32 s56, s3, s45
	s_addc_u32 s5, s7, s1
	s_lshl_b64 s[0:1], s[56:57], 1
	s_add_u32 s42, s4, s0
	s_mul_i32 s56, s46, s2
	s_addc_u32 s43, s5, s1
	s_lshl_b64 s[0:1], s[56:57], 1
	s_add_u32 s4, s8, s0
	s_mul_i32 s56, s3, s49
	s_addc_u32 s5, s9, s1
	s_lshl_b64 s[0:1], s[56:57], 1
	s_add_u32 s46, s4, s0
	s_mul_i32 s56, s22, s36
	s_addc_u32 s47, s5, s1
	s_lshl_b64 s[0:1], s[56:57], 2
	s_add_u32 s3, s26, s0
	s_mul_i32 s56, s37, s20
	s_addc_u32 s4, s27, s1
	s_lshl_b64 s[0:1], s[56:57], 2
	s_add_u32 s45, s3, s0
	s_addc_u32 s49, s4, s1
	s_add_i32 s0, s54, 0x7ff
	s_lshr_b32 s81, s0, 11
	s_bitcmp1_b32 s23, 0
	s_cselect_b64 s[60:61], -1, 0
	s_cmp_gt_i32 s55, 0
	s_cselect_b64 s[62:63], -1, 0
	s_and_b32 s3, s54, 0x1ff
	s_cmp_eq_u32 s3, 0
	s_mul_i32 s56, s10, s2
	s_cselect_b64 s[64:65], -1, 0
	s_add_i32 s82, s81, -1
	s_lshl_b64 s[2:3], s[56:57], 1
	s_add_u32 s6, s18, s2
	s_mul_i32 s56, s11, s20
	s_addc_u32 s7, s19, s3
	s_lshl_b64 s[2:3], s[56:57], 1
	s_add_u32 s2, s6, s2
	v_mov_b32_e32 v17, 0
	s_addc_u32 s3, s7, s3
	v_lshlrev_b32_e32 v16, 4, v0
	v_cmp_gt_u32_e64 s[0:1], 64, v0
	v_lshlrev_b32_e32 v42, 3, v0
	v_cmp_eq_u32_e64 s[36:37], 63, v0
	v_cmp_eq_u32_e64 s[4:5], 0, v0
	v_lshl_add_u64 v[18:19], s[2:3], 0, v[16:17]
	v_lshlrev_b32_e32 v16, 4, v0
	v_mbcnt_lo_u32_b32 v0, -1, 0
	v_or_b32_e32 v43, 1, v42
	v_or_b32_e32 v44, 2, v42
	;; [unrolled: 1-line block ×7, first 2 shown]
	s_mov_b32 s83, 0x41a00000
	s_mov_b32 s84, 0x3fb8aa3b
	;; [unrolled: 1-line block ×6, first 2 shown]
	v_mov_b32_e32 v50, 0x3ecc95a3
	s_mov_b32 s89, 0x3f317218
	s_mov_b32 s90, 0x33800000
	s_add_i32 s91, 0, 0x848
	s_mov_b32 s92, 0xc2fc0000
	v_mov_b32_e32 v51, 0x7f800000
	v_mov_b32_e32 v20, 0x3f317218
	v_mbcnt_hi_u32_b32 v52, -1, v0
	v_mov_b32_e32 v53, 0x42800000
	v_mov_b32_e32 v54, 0x1f800000
	s_mov_b32 s93, 0
                                        ; implicit-def: $vgpr1
                                        ; implicit-def: $vgpr60
                                        ; implicit-def: $vgpr7
                                        ; implicit-def: $vgpr59
                                        ; implicit-def: $vgpr57
                                        ; implicit-def: $vgpr56
                                        ; implicit-def: $vgpr0
                                        ; implicit-def: $vgpr55
                                        ; implicit-def: $vgpr58
                                        ; implicit-def: $vgpr61
                                        ; implicit-def: $vgpr62
	s_branch .LBB107_12
.LBB107_11:                             ;   in Loop: Header=BB107_12 Depth=1
	s_add_u32 s58, s58, 0x400
	s_addc_u32 s59, s59, 0
	s_add_u32 s50, s50, 0x400
	s_addc_u32 s51, s51, 0
	v_cvt_f16_f32_e32 v8, v29
	v_cvt_f16_f32_e32 v14, v28
	;; [unrolled: 1-line block ×8, first 2 shown]
	s_add_u32 s42, s42, 0x400
	s_addc_u32 s43, s43, 0
	s_add_u32 s46, s46, 0x400
	s_mov_b32 s3, s57
	s_addc_u32 s47, s47, 0
	s_add_i32 s93, s93, 1
	v_lshl_add_u64 v[12:13], s[2:3], 1, v[18:19]
	v_pack_b32_f16 v11, v15, v11
	v_pack_b32_f16 v10, v21, v10
	;; [unrolled: 1-line block ×4, first 2 shown]
	s_cmp_eq_u32 s93, s81
	s_waitcnt lgkmcnt(0)
	; wave barrier
	global_store_dwordx4 v[12:13], v[8:11], off
	s_cbranch_scc1 .LBB107_58
.LBB107_12:                             ; =>This Loop Header: Depth=1
                                        ;     Child Loop BB107_33 Depth 2
	s_waitcnt lgkmcnt(0)
	; wave barrier
	s_and_saveexec_b64 s[2:3], s[0:1]
	s_cbranch_execz .LBB107_14
; %bb.13:                               ;   in Loop: Header=BB107_12 Depth=1
	global_load_dwordx4 v[0:3], v16, s[50:51]
	global_load_dwordx4 v[4:7], v16, s[58:59]
	s_waitcnt vmcnt(1)
	v_lshrrev_b32_e32 v55, 16, v0
	v_lshrrev_b32_e32 v58, 16, v1
	;; [unrolled: 1-line block ×4, first 2 shown]
	s_waitcnt vmcnt(0)
	v_lshrrev_b32_e32 v56, 16, v4
	v_lshrrev_b32_e32 v57, 16, v5
	;; [unrolled: 1-line block ×4, first 2 shown]
.LBB107_14:                             ;   in Loop: Header=BB107_12 Depth=1
	s_or_b64 exec, exec, s[2:3]
	v_cvt_f32_f16_e32 v8, v4
	v_add_f32_e32 v63, s33, v8
	v_cmp_ge_f32_e32 vcc, s83, v63
	s_and_b64 s[2:3], s[60:61], vcc
	s_and_saveexec_b64 s[6:7], s[2:3]
	s_cbranch_execz .LBB107_16
; %bb.15:                               ;   in Loop: Header=BB107_12 Depth=1
	v_mul_f32_e32 v8, 0x3fb8aa3b, v63
	v_rndne_f32_e32 v9, v8
	v_sub_f32_e32 v10, v8, v9
	v_fma_f32 v8, v63, s84, -v8
	v_fmac_f32_e32 v8, 0x32a5705f, v63
	v_add_f32_e32 v8, v10, v8
	v_cvt_i32_f32_e32 v9, v9
	v_exp_f32_e32 v8, v8
	v_cmp_ngt_f32_e32 vcc, s85, v63
	v_ldexp_f32 v8, v8, v9
	s_nop 0
	v_cndmask_b32_e32 v8, 0, v8, vcc
	v_cmp_nlt_f32_e32 vcc, s86, v63
	s_nop 1
	v_cndmask_b32_e32 v30, v51, v8, vcc
	v_add_f32_e32 v10, 1.0, v30
	v_add_f32_e32 v8, -1.0, v10
	v_sub_f32_e32 v9, v8, v10
	v_add_f32_e32 v9, 1.0, v9
	v_sub_f32_e32 v8, v30, v8
	v_add_f32_e32 v11, v8, v9
	v_frexp_mant_f32_e32 v12, v10
	v_cvt_f64_f32_e32 v[8:9], v10
	v_frexp_exp_i32_f64_e32 v8, v[8:9]
	v_cmp_gt_f32_e32 vcc, s88, v12
	v_cmp_gt_f32_e64 s[2:3], s90, v30
	s_nop 0
	v_subbrev_co_u32_e32 v22, vcc, 0, v8, vcc
	v_sub_u32_e32 v8, 0, v22
	v_ldexp_f32 v9, v10, v8
	v_add_f32_e32 v10, -1.0, v9
	v_add_f32_e32 v12, 1.0, v9
	v_ldexp_f32 v8, v11, v8
	v_add_f32_e32 v11, 1.0, v10
	v_add_f32_e32 v13, -1.0, v12
	v_sub_f32_e32 v11, v9, v11
	v_sub_f32_e32 v9, v9, v13
	v_add_f32_e32 v11, v8, v11
	v_add_f32_e32 v8, v8, v9
	;; [unrolled: 1-line block ×3, first 2 shown]
	v_rcp_f32_e32 v24, v21
	v_sub_f32_e32 v9, v12, v21
	v_add_f32_e32 v23, v8, v9
	v_add_f32_e32 v9, v10, v11
	v_mul_f32_e32 v26, v9, v24
	v_sub_f32_e32 v8, v10, v9
	v_mul_f32_e32 v10, v21, v26
	v_fma_f32 v12, v26, v21, -v10
	v_fmac_f32_e32 v12, v26, v23
	v_add_f32_e32 v25, v11, v8
	v_add_f32_e32 v8, v10, v12
	v_sub_f32_e32 v11, v9, v8
	v_pk_add_f32 v[14:15], v[8:9], v[10:11] neg_lo:[0,1] neg_hi:[0,1]
	v_mov_b32_e32 v13, v8
	v_pk_add_f32 v[8:9], v[14:15], v[12:13] neg_lo:[0,1] neg_hi:[0,1]
	v_cmp_eq_f32_e32 vcc, s87, v30
	v_add_f32_e32 v9, v25, v9
	v_add_f32_e32 v8, v8, v9
	;; [unrolled: 1-line block ×3, first 2 shown]
	v_mul_f32_e32 v25, v24, v9
	v_mul_f32_e32 v10, v21, v25
	v_fma_f32 v12, v25, v21, -v10
	v_fmac_f32_e32 v12, v25, v23
	v_sub_f32_e32 v11, v11, v9
	v_add_f32_e32 v21, v8, v11
	v_add_f32_e32 v8, v10, v12
	v_sub_f32_e32 v11, v9, v8
	v_pk_add_f32 v[14:15], v[8:9], v[10:11] neg_lo:[0,1] neg_hi:[0,1]
	v_mov_b32_e32 v13, v8
	v_pk_add_f32 v[8:9], v[14:15], v[12:13] neg_lo:[0,1] neg_hi:[0,1]
	s_or_b64 vcc, s[2:3], vcc
	v_add_f32_e32 v9, v21, v9
	v_add_f32_e32 v8, v8, v9
	;; [unrolled: 1-line block ×4, first 2 shown]
	v_sub_f32_e32 v10, v9, v26
	v_mul_f32_e32 v8, v24, v8
	v_sub_f32_e32 v10, v25, v10
	v_add_f32_e32 v10, v10, v8
	v_add_f32_e32 v12, v9, v10
	v_mul_f32_e32 v13, v12, v12
	v_fmamk_f32 v8, v13, 0x3e9b6dac, v50
	v_fmaak_f32 v21, v13, v8, 0x3f2aaada
	v_cvt_f32_i32_e32 v8, v22
	v_sub_f32_e32 v9, v12, v9
	v_sub_f32_e32 v9, v10, v9
	v_ldexp_f32 v14, v9, 1
	v_mul_f32_e32 v9, v12, v13
	v_ldexp_f32 v11, v12, 1
	v_pk_mul_f32 v[12:13], v[8:9], v[20:21]
	s_nop 0
	v_fma_f32 v10, v8, s89, -v12
	v_fmac_f32_e32 v10, 0xb102e308, v8
	v_pk_add_f32 v[8:9], v[12:13], v[10:11]
	s_nop 0
	v_sub_f32_e32 v11, v9, v11
	v_sub_f32_e32 v11, v13, v11
	v_add_f32_e32 v15, v14, v11
	v_mov_b32_e32 v14, v12
	v_pk_add_f32 v[12:13], v[8:9], v[12:13] neg_lo:[0,1] neg_hi:[0,1]
	v_pk_add_f32 v[22:23], v[8:9], v[14:15]
	v_mov_b32_e32 v11, v8
	v_mov_b32_e32 v13, v23
	v_pk_add_f32 v[24:25], v[10:11], v[12:13] neg_lo:[0,1] neg_hi:[0,1]
	v_pk_add_f32 v[10:11], v[10:11], v[12:13]
	v_mov_b32_e32 v14, v15
	v_mov_b32_e32 v12, v11
	v_pk_add_f32 v[26:27], v[12:13], v[8:9] neg_lo:[0,1] neg_hi:[0,1]
	v_mov_b32_e32 v10, v23
	v_mov_b32_e32 v13, v26
	v_pk_add_f32 v[28:29], v[22:23], v[12:13] neg_lo:[0,1] neg_hi:[0,1]
	v_mov_b32_e32 v22, v9
	v_mov_b32_e32 v23, v26
	;; [unrolled: 1-line block ×3, first 2 shown]
	v_pk_add_f32 v[10:11], v[10:11], v[22:23] neg_lo:[0,1] neg_hi:[0,1]
	v_mov_b32_e32 v15, v8
	v_pk_add_f32 v[8:9], v[14:15], v[10:11] neg_lo:[0,1] neg_hi:[0,1]
	v_mov_b32_e32 v28, v24
	v_pk_add_f32 v[10:11], v[28:29], v[8:9]
	s_nop 0
	v_mov_b32_e32 v14, v11
	v_pk_add_f32 v[14:15], v[10:11], v[14:15]
	s_nop 0
	v_pk_add_f32 v[12:13], v[12:13], v[14:15]
	v_mov_b32_e32 v9, v14
	v_mov_b32_e32 v11, v12
	v_pk_add_f32 v[22:23], v[10:11], v[24:25] neg_lo:[0,1] neg_hi:[0,1]
	s_nop 0
	v_sub_f32_e32 v10, v10, v22
	v_pk_add_f32 v[8:9], v[8:9], v[22:23] neg_lo:[0,1] neg_hi:[0,1]
	v_sub_f32_e32 v10, v24, v10
	v_add_f32_e32 v8, v8, v10
	v_add_f32_e32 v8, v8, v9
	;; [unrolled: 1-line block ×3, first 2 shown]
	v_cndmask_b32_e32 v63, v8, v30, vcc
.LBB107_16:                             ;   in Loop: Header=BB107_12 Depth=1
	s_or_b64 exec, exec, s[6:7]
	v_cvt_f32_f16_e32 v8, v56
	v_add_f32_e32 v64, s33, v8
	v_cmp_ge_f32_e32 vcc, s83, v64
	s_and_b64 s[2:3], s[60:61], vcc
	s_and_saveexec_b64 s[6:7], s[2:3]
	s_cbranch_execz .LBB107_18
; %bb.17:                               ;   in Loop: Header=BB107_12 Depth=1
	v_mul_f32_e32 v8, 0x3fb8aa3b, v64
	v_rndne_f32_e32 v9, v8
	v_sub_f32_e32 v10, v8, v9
	v_fma_f32 v8, v64, s84, -v8
	v_fmac_f32_e32 v8, 0x32a5705f, v64
	v_add_f32_e32 v8, v10, v8
	v_cvt_i32_f32_e32 v9, v9
	v_exp_f32_e32 v8, v8
	v_cmp_ngt_f32_e32 vcc, s85, v64
	v_ldexp_f32 v8, v8, v9
	s_nop 0
	v_cndmask_b32_e32 v8, 0, v8, vcc
	v_cmp_nlt_f32_e32 vcc, s86, v64
	s_nop 1
	v_cndmask_b32_e32 v30, v51, v8, vcc
	v_add_f32_e32 v10, 1.0, v30
	v_add_f32_e32 v8, -1.0, v10
	v_sub_f32_e32 v9, v8, v10
	v_add_f32_e32 v9, 1.0, v9
	v_sub_f32_e32 v8, v30, v8
	v_add_f32_e32 v11, v8, v9
	v_frexp_mant_f32_e32 v12, v10
	v_cvt_f64_f32_e32 v[8:9], v10
	v_frexp_exp_i32_f64_e32 v8, v[8:9]
	v_cmp_gt_f32_e32 vcc, s88, v12
	v_cmp_gt_f32_e64 s[2:3], s90, v30
	s_nop 0
	v_subbrev_co_u32_e32 v22, vcc, 0, v8, vcc
	v_sub_u32_e32 v8, 0, v22
	v_ldexp_f32 v9, v10, v8
	v_add_f32_e32 v10, -1.0, v9
	v_add_f32_e32 v12, 1.0, v9
	v_ldexp_f32 v8, v11, v8
	v_add_f32_e32 v11, 1.0, v10
	v_add_f32_e32 v13, -1.0, v12
	v_sub_f32_e32 v11, v9, v11
	v_sub_f32_e32 v9, v9, v13
	v_add_f32_e32 v11, v8, v11
	v_add_f32_e32 v8, v8, v9
	;; [unrolled: 1-line block ×3, first 2 shown]
	v_rcp_f32_e32 v24, v21
	v_sub_f32_e32 v9, v12, v21
	v_add_f32_e32 v23, v8, v9
	v_add_f32_e32 v9, v10, v11
	v_mul_f32_e32 v26, v9, v24
	v_sub_f32_e32 v8, v10, v9
	v_mul_f32_e32 v10, v21, v26
	v_fma_f32 v12, v26, v21, -v10
	v_fmac_f32_e32 v12, v26, v23
	v_add_f32_e32 v25, v11, v8
	v_add_f32_e32 v8, v10, v12
	v_sub_f32_e32 v11, v9, v8
	v_pk_add_f32 v[14:15], v[8:9], v[10:11] neg_lo:[0,1] neg_hi:[0,1]
	v_mov_b32_e32 v13, v8
	v_pk_add_f32 v[8:9], v[14:15], v[12:13] neg_lo:[0,1] neg_hi:[0,1]
	v_cmp_eq_f32_e32 vcc, s87, v30
	v_add_f32_e32 v9, v25, v9
	v_add_f32_e32 v8, v8, v9
	;; [unrolled: 1-line block ×3, first 2 shown]
	v_mul_f32_e32 v25, v24, v9
	v_mul_f32_e32 v10, v21, v25
	v_fma_f32 v12, v25, v21, -v10
	v_fmac_f32_e32 v12, v25, v23
	v_sub_f32_e32 v11, v11, v9
	v_add_f32_e32 v21, v8, v11
	v_add_f32_e32 v8, v10, v12
	v_sub_f32_e32 v11, v9, v8
	v_pk_add_f32 v[14:15], v[8:9], v[10:11] neg_lo:[0,1] neg_hi:[0,1]
	v_mov_b32_e32 v13, v8
	v_pk_add_f32 v[8:9], v[14:15], v[12:13] neg_lo:[0,1] neg_hi:[0,1]
	s_or_b64 vcc, s[2:3], vcc
	v_add_f32_e32 v9, v21, v9
	v_add_f32_e32 v8, v8, v9
	;; [unrolled: 1-line block ×4, first 2 shown]
	v_sub_f32_e32 v10, v9, v26
	v_mul_f32_e32 v8, v24, v8
	v_sub_f32_e32 v10, v25, v10
	v_add_f32_e32 v10, v10, v8
	v_add_f32_e32 v12, v9, v10
	v_mul_f32_e32 v13, v12, v12
	v_fmamk_f32 v8, v13, 0x3e9b6dac, v50
	v_fmaak_f32 v21, v13, v8, 0x3f2aaada
	v_cvt_f32_i32_e32 v8, v22
	v_sub_f32_e32 v9, v12, v9
	v_sub_f32_e32 v9, v10, v9
	v_ldexp_f32 v14, v9, 1
	v_mul_f32_e32 v9, v12, v13
	v_ldexp_f32 v11, v12, 1
	v_pk_mul_f32 v[12:13], v[8:9], v[20:21]
	s_nop 0
	v_fma_f32 v10, v8, s89, -v12
	v_fmac_f32_e32 v10, 0xb102e308, v8
	v_pk_add_f32 v[8:9], v[12:13], v[10:11]
	s_nop 0
	v_sub_f32_e32 v11, v9, v11
	v_sub_f32_e32 v11, v13, v11
	v_add_f32_e32 v15, v14, v11
	v_mov_b32_e32 v14, v12
	v_pk_add_f32 v[12:13], v[8:9], v[12:13] neg_lo:[0,1] neg_hi:[0,1]
	v_pk_add_f32 v[22:23], v[8:9], v[14:15]
	v_mov_b32_e32 v11, v8
	v_mov_b32_e32 v13, v23
	v_pk_add_f32 v[24:25], v[10:11], v[12:13] neg_lo:[0,1] neg_hi:[0,1]
	v_pk_add_f32 v[10:11], v[10:11], v[12:13]
	v_mov_b32_e32 v14, v15
	v_mov_b32_e32 v12, v11
	v_pk_add_f32 v[26:27], v[12:13], v[8:9] neg_lo:[0,1] neg_hi:[0,1]
	v_mov_b32_e32 v10, v23
	v_mov_b32_e32 v13, v26
	v_pk_add_f32 v[28:29], v[22:23], v[12:13] neg_lo:[0,1] neg_hi:[0,1]
	v_mov_b32_e32 v22, v9
	v_mov_b32_e32 v23, v26
	;; [unrolled: 1-line block ×3, first 2 shown]
	v_pk_add_f32 v[10:11], v[10:11], v[22:23] neg_lo:[0,1] neg_hi:[0,1]
	v_mov_b32_e32 v15, v8
	v_pk_add_f32 v[8:9], v[14:15], v[10:11] neg_lo:[0,1] neg_hi:[0,1]
	v_mov_b32_e32 v28, v24
	v_pk_add_f32 v[10:11], v[28:29], v[8:9]
	s_nop 0
	v_mov_b32_e32 v14, v11
	v_pk_add_f32 v[14:15], v[10:11], v[14:15]
	s_nop 0
	v_pk_add_f32 v[12:13], v[12:13], v[14:15]
	v_mov_b32_e32 v9, v14
	v_mov_b32_e32 v11, v12
	v_pk_add_f32 v[22:23], v[10:11], v[24:25] neg_lo:[0,1] neg_hi:[0,1]
	s_nop 0
	v_sub_f32_e32 v10, v10, v22
	v_pk_add_f32 v[8:9], v[8:9], v[22:23] neg_lo:[0,1] neg_hi:[0,1]
	v_sub_f32_e32 v10, v24, v10
	v_add_f32_e32 v8, v8, v10
	v_add_f32_e32 v8, v8, v9
	;; [unrolled: 1-line block ×3, first 2 shown]
	v_cndmask_b32_e32 v64, v8, v30, vcc
.LBB107_18:                             ;   in Loop: Header=BB107_12 Depth=1
	s_or_b64 exec, exec, s[6:7]
	v_cvt_f32_f16_e32 v8, v5
	v_add_f32_e32 v65, s33, v8
	v_cmp_ge_f32_e32 vcc, s83, v65
	s_and_b64 s[2:3], s[60:61], vcc
	s_and_saveexec_b64 s[6:7], s[2:3]
	s_cbranch_execz .LBB107_20
; %bb.19:                               ;   in Loop: Header=BB107_12 Depth=1
	v_mul_f32_e32 v8, 0x3fb8aa3b, v65
	v_rndne_f32_e32 v9, v8
	v_sub_f32_e32 v10, v8, v9
	v_fma_f32 v8, v65, s84, -v8
	v_fmac_f32_e32 v8, 0x32a5705f, v65
	v_add_f32_e32 v8, v10, v8
	v_cvt_i32_f32_e32 v9, v9
	v_exp_f32_e32 v8, v8
	v_cmp_ngt_f32_e32 vcc, s85, v65
	v_ldexp_f32 v8, v8, v9
	s_nop 0
	v_cndmask_b32_e32 v8, 0, v8, vcc
	v_cmp_nlt_f32_e32 vcc, s86, v65
	s_nop 1
	v_cndmask_b32_e32 v30, v51, v8, vcc
	v_add_f32_e32 v10, 1.0, v30
	v_add_f32_e32 v8, -1.0, v10
	v_sub_f32_e32 v9, v8, v10
	v_add_f32_e32 v9, 1.0, v9
	v_sub_f32_e32 v8, v30, v8
	v_add_f32_e32 v11, v8, v9
	v_frexp_mant_f32_e32 v12, v10
	v_cvt_f64_f32_e32 v[8:9], v10
	v_frexp_exp_i32_f64_e32 v8, v[8:9]
	v_cmp_gt_f32_e32 vcc, s88, v12
	v_cmp_gt_f32_e64 s[2:3], s90, v30
	s_nop 0
	v_subbrev_co_u32_e32 v22, vcc, 0, v8, vcc
	v_sub_u32_e32 v8, 0, v22
	v_ldexp_f32 v9, v10, v8
	v_add_f32_e32 v10, -1.0, v9
	v_add_f32_e32 v12, 1.0, v9
	v_ldexp_f32 v8, v11, v8
	v_add_f32_e32 v11, 1.0, v10
	v_add_f32_e32 v13, -1.0, v12
	v_sub_f32_e32 v11, v9, v11
	v_sub_f32_e32 v9, v9, v13
	v_add_f32_e32 v11, v8, v11
	v_add_f32_e32 v8, v8, v9
	;; [unrolled: 1-line block ×3, first 2 shown]
	v_rcp_f32_e32 v24, v21
	v_sub_f32_e32 v9, v12, v21
	v_add_f32_e32 v23, v8, v9
	v_add_f32_e32 v9, v10, v11
	v_mul_f32_e32 v26, v9, v24
	v_sub_f32_e32 v8, v10, v9
	v_mul_f32_e32 v10, v21, v26
	v_fma_f32 v12, v26, v21, -v10
	v_fmac_f32_e32 v12, v26, v23
	v_add_f32_e32 v25, v11, v8
	v_add_f32_e32 v8, v10, v12
	v_sub_f32_e32 v11, v9, v8
	v_pk_add_f32 v[14:15], v[8:9], v[10:11] neg_lo:[0,1] neg_hi:[0,1]
	v_mov_b32_e32 v13, v8
	v_pk_add_f32 v[8:9], v[14:15], v[12:13] neg_lo:[0,1] neg_hi:[0,1]
	v_cmp_eq_f32_e32 vcc, s87, v30
	v_add_f32_e32 v9, v25, v9
	v_add_f32_e32 v8, v8, v9
	;; [unrolled: 1-line block ×3, first 2 shown]
	v_mul_f32_e32 v25, v24, v9
	v_mul_f32_e32 v10, v21, v25
	v_fma_f32 v12, v25, v21, -v10
	v_fmac_f32_e32 v12, v25, v23
	v_sub_f32_e32 v11, v11, v9
	v_add_f32_e32 v21, v8, v11
	v_add_f32_e32 v8, v10, v12
	v_sub_f32_e32 v11, v9, v8
	v_pk_add_f32 v[14:15], v[8:9], v[10:11] neg_lo:[0,1] neg_hi:[0,1]
	v_mov_b32_e32 v13, v8
	v_pk_add_f32 v[8:9], v[14:15], v[12:13] neg_lo:[0,1] neg_hi:[0,1]
	s_or_b64 vcc, s[2:3], vcc
	v_add_f32_e32 v9, v21, v9
	v_add_f32_e32 v8, v8, v9
	;; [unrolled: 1-line block ×4, first 2 shown]
	v_sub_f32_e32 v10, v9, v26
	v_mul_f32_e32 v8, v24, v8
	v_sub_f32_e32 v10, v25, v10
	v_add_f32_e32 v10, v10, v8
	v_add_f32_e32 v12, v9, v10
	v_mul_f32_e32 v13, v12, v12
	v_fmamk_f32 v8, v13, 0x3e9b6dac, v50
	v_fmaak_f32 v21, v13, v8, 0x3f2aaada
	v_cvt_f32_i32_e32 v8, v22
	v_sub_f32_e32 v9, v12, v9
	v_sub_f32_e32 v9, v10, v9
	v_ldexp_f32 v14, v9, 1
	v_mul_f32_e32 v9, v12, v13
	v_ldexp_f32 v11, v12, 1
	v_pk_mul_f32 v[12:13], v[8:9], v[20:21]
	s_nop 0
	v_fma_f32 v10, v8, s89, -v12
	v_fmac_f32_e32 v10, 0xb102e308, v8
	v_pk_add_f32 v[8:9], v[12:13], v[10:11]
	s_nop 0
	v_sub_f32_e32 v11, v9, v11
	v_sub_f32_e32 v11, v13, v11
	v_add_f32_e32 v15, v14, v11
	v_mov_b32_e32 v14, v12
	v_pk_add_f32 v[12:13], v[8:9], v[12:13] neg_lo:[0,1] neg_hi:[0,1]
	v_pk_add_f32 v[22:23], v[8:9], v[14:15]
	v_mov_b32_e32 v11, v8
	v_mov_b32_e32 v13, v23
	v_pk_add_f32 v[24:25], v[10:11], v[12:13] neg_lo:[0,1] neg_hi:[0,1]
	v_pk_add_f32 v[10:11], v[10:11], v[12:13]
	v_mov_b32_e32 v14, v15
	v_mov_b32_e32 v12, v11
	v_pk_add_f32 v[26:27], v[12:13], v[8:9] neg_lo:[0,1] neg_hi:[0,1]
	v_mov_b32_e32 v10, v23
	v_mov_b32_e32 v13, v26
	v_pk_add_f32 v[28:29], v[22:23], v[12:13] neg_lo:[0,1] neg_hi:[0,1]
	v_mov_b32_e32 v22, v9
	v_mov_b32_e32 v23, v26
	;; [unrolled: 1-line block ×3, first 2 shown]
	v_pk_add_f32 v[10:11], v[10:11], v[22:23] neg_lo:[0,1] neg_hi:[0,1]
	v_mov_b32_e32 v15, v8
	v_pk_add_f32 v[8:9], v[14:15], v[10:11] neg_lo:[0,1] neg_hi:[0,1]
	v_mov_b32_e32 v28, v24
	v_pk_add_f32 v[10:11], v[28:29], v[8:9]
	s_nop 0
	v_mov_b32_e32 v14, v11
	v_pk_add_f32 v[14:15], v[10:11], v[14:15]
	s_nop 0
	v_pk_add_f32 v[12:13], v[12:13], v[14:15]
	v_mov_b32_e32 v9, v14
	v_mov_b32_e32 v11, v12
	v_pk_add_f32 v[22:23], v[10:11], v[24:25] neg_lo:[0,1] neg_hi:[0,1]
	s_nop 0
	v_sub_f32_e32 v10, v10, v22
	v_pk_add_f32 v[8:9], v[8:9], v[22:23] neg_lo:[0,1] neg_hi:[0,1]
	v_sub_f32_e32 v10, v24, v10
	v_add_f32_e32 v8, v8, v10
	v_add_f32_e32 v8, v8, v9
	;; [unrolled: 1-line block ×3, first 2 shown]
	v_cndmask_b32_e32 v65, v8, v30, vcc
.LBB107_20:                             ;   in Loop: Header=BB107_12 Depth=1
	s_or_b64 exec, exec, s[6:7]
	v_cvt_f32_f16_e32 v8, v57
	v_add_f32_e32 v66, s33, v8
	v_cmp_ge_f32_e32 vcc, s83, v66
	s_and_b64 s[2:3], s[60:61], vcc
	s_and_saveexec_b64 s[6:7], s[2:3]
	s_cbranch_execz .LBB107_22
; %bb.21:                               ;   in Loop: Header=BB107_12 Depth=1
	v_mul_f32_e32 v8, 0x3fb8aa3b, v66
	v_rndne_f32_e32 v9, v8
	v_sub_f32_e32 v10, v8, v9
	v_fma_f32 v8, v66, s84, -v8
	v_fmac_f32_e32 v8, 0x32a5705f, v66
	v_add_f32_e32 v8, v10, v8
	v_cvt_i32_f32_e32 v9, v9
	v_exp_f32_e32 v8, v8
	v_cmp_ngt_f32_e32 vcc, s85, v66
	v_ldexp_f32 v8, v8, v9
	s_nop 0
	v_cndmask_b32_e32 v8, 0, v8, vcc
	v_cmp_nlt_f32_e32 vcc, s86, v66
	s_nop 1
	v_cndmask_b32_e32 v30, v51, v8, vcc
	v_add_f32_e32 v10, 1.0, v30
	v_add_f32_e32 v8, -1.0, v10
	v_sub_f32_e32 v9, v8, v10
	v_add_f32_e32 v9, 1.0, v9
	v_sub_f32_e32 v8, v30, v8
	v_add_f32_e32 v11, v8, v9
	v_frexp_mant_f32_e32 v12, v10
	v_cvt_f64_f32_e32 v[8:9], v10
	v_frexp_exp_i32_f64_e32 v8, v[8:9]
	v_cmp_gt_f32_e32 vcc, s88, v12
	v_cmp_gt_f32_e64 s[2:3], s90, v30
	s_nop 0
	v_subbrev_co_u32_e32 v22, vcc, 0, v8, vcc
	v_sub_u32_e32 v8, 0, v22
	v_ldexp_f32 v9, v10, v8
	v_add_f32_e32 v10, -1.0, v9
	v_add_f32_e32 v12, 1.0, v9
	v_ldexp_f32 v8, v11, v8
	v_add_f32_e32 v11, 1.0, v10
	v_add_f32_e32 v13, -1.0, v12
	v_sub_f32_e32 v11, v9, v11
	v_sub_f32_e32 v9, v9, v13
	v_add_f32_e32 v11, v8, v11
	v_add_f32_e32 v8, v8, v9
	;; [unrolled: 1-line block ×3, first 2 shown]
	v_rcp_f32_e32 v24, v21
	v_sub_f32_e32 v9, v12, v21
	v_add_f32_e32 v23, v8, v9
	v_add_f32_e32 v9, v10, v11
	v_mul_f32_e32 v26, v9, v24
	v_sub_f32_e32 v8, v10, v9
	v_mul_f32_e32 v10, v21, v26
	v_fma_f32 v12, v26, v21, -v10
	v_fmac_f32_e32 v12, v26, v23
	v_add_f32_e32 v25, v11, v8
	v_add_f32_e32 v8, v10, v12
	v_sub_f32_e32 v11, v9, v8
	v_pk_add_f32 v[14:15], v[8:9], v[10:11] neg_lo:[0,1] neg_hi:[0,1]
	v_mov_b32_e32 v13, v8
	v_pk_add_f32 v[8:9], v[14:15], v[12:13] neg_lo:[0,1] neg_hi:[0,1]
	v_cmp_eq_f32_e32 vcc, s87, v30
	v_add_f32_e32 v9, v25, v9
	v_add_f32_e32 v8, v8, v9
	v_add_f32_e32 v9, v11, v8
	v_mul_f32_e32 v25, v24, v9
	v_mul_f32_e32 v10, v21, v25
	v_fma_f32 v12, v25, v21, -v10
	v_fmac_f32_e32 v12, v25, v23
	v_sub_f32_e32 v11, v11, v9
	v_add_f32_e32 v21, v8, v11
	v_add_f32_e32 v8, v10, v12
	v_sub_f32_e32 v11, v9, v8
	v_pk_add_f32 v[14:15], v[8:9], v[10:11] neg_lo:[0,1] neg_hi:[0,1]
	v_mov_b32_e32 v13, v8
	v_pk_add_f32 v[8:9], v[14:15], v[12:13] neg_lo:[0,1] neg_hi:[0,1]
	s_or_b64 vcc, s[2:3], vcc
	v_add_f32_e32 v9, v21, v9
	v_add_f32_e32 v8, v8, v9
	;; [unrolled: 1-line block ×4, first 2 shown]
	v_sub_f32_e32 v10, v9, v26
	v_mul_f32_e32 v8, v24, v8
	v_sub_f32_e32 v10, v25, v10
	v_add_f32_e32 v10, v10, v8
	v_add_f32_e32 v12, v9, v10
	v_mul_f32_e32 v13, v12, v12
	v_fmamk_f32 v8, v13, 0x3e9b6dac, v50
	v_fmaak_f32 v21, v13, v8, 0x3f2aaada
	v_cvt_f32_i32_e32 v8, v22
	v_sub_f32_e32 v9, v12, v9
	v_sub_f32_e32 v9, v10, v9
	v_ldexp_f32 v14, v9, 1
	v_mul_f32_e32 v9, v12, v13
	v_ldexp_f32 v11, v12, 1
	v_pk_mul_f32 v[12:13], v[8:9], v[20:21]
	s_nop 0
	v_fma_f32 v10, v8, s89, -v12
	v_fmac_f32_e32 v10, 0xb102e308, v8
	v_pk_add_f32 v[8:9], v[12:13], v[10:11]
	s_nop 0
	v_sub_f32_e32 v11, v9, v11
	v_sub_f32_e32 v11, v13, v11
	v_add_f32_e32 v15, v14, v11
	v_mov_b32_e32 v14, v12
	v_pk_add_f32 v[12:13], v[8:9], v[12:13] neg_lo:[0,1] neg_hi:[0,1]
	v_pk_add_f32 v[22:23], v[8:9], v[14:15]
	v_mov_b32_e32 v11, v8
	v_mov_b32_e32 v13, v23
	v_pk_add_f32 v[24:25], v[10:11], v[12:13] neg_lo:[0,1] neg_hi:[0,1]
	v_pk_add_f32 v[10:11], v[10:11], v[12:13]
	v_mov_b32_e32 v14, v15
	v_mov_b32_e32 v12, v11
	v_pk_add_f32 v[26:27], v[12:13], v[8:9] neg_lo:[0,1] neg_hi:[0,1]
	v_mov_b32_e32 v10, v23
	v_mov_b32_e32 v13, v26
	v_pk_add_f32 v[28:29], v[22:23], v[12:13] neg_lo:[0,1] neg_hi:[0,1]
	v_mov_b32_e32 v22, v9
	v_mov_b32_e32 v23, v26
	;; [unrolled: 1-line block ×3, first 2 shown]
	v_pk_add_f32 v[10:11], v[10:11], v[22:23] neg_lo:[0,1] neg_hi:[0,1]
	v_mov_b32_e32 v15, v8
	v_pk_add_f32 v[8:9], v[14:15], v[10:11] neg_lo:[0,1] neg_hi:[0,1]
	v_mov_b32_e32 v28, v24
	v_pk_add_f32 v[10:11], v[28:29], v[8:9]
	s_nop 0
	v_mov_b32_e32 v14, v11
	v_pk_add_f32 v[14:15], v[10:11], v[14:15]
	s_nop 0
	v_pk_add_f32 v[12:13], v[12:13], v[14:15]
	v_mov_b32_e32 v9, v14
	v_mov_b32_e32 v11, v12
	v_pk_add_f32 v[22:23], v[10:11], v[24:25] neg_lo:[0,1] neg_hi:[0,1]
	s_nop 0
	v_sub_f32_e32 v10, v10, v22
	v_pk_add_f32 v[8:9], v[8:9], v[22:23] neg_lo:[0,1] neg_hi:[0,1]
	v_sub_f32_e32 v10, v24, v10
	v_add_f32_e32 v8, v8, v10
	v_add_f32_e32 v8, v8, v9
	;; [unrolled: 1-line block ×3, first 2 shown]
	v_cndmask_b32_e32 v66, v8, v30, vcc
.LBB107_22:                             ;   in Loop: Header=BB107_12 Depth=1
	s_or_b64 exec, exec, s[6:7]
	v_cvt_f32_f16_e32 v8, v6
	v_add_f32_e32 v67, s33, v8
	v_cmp_ge_f32_e32 vcc, s83, v67
	s_and_b64 s[2:3], s[60:61], vcc
	s_and_saveexec_b64 s[6:7], s[2:3]
	s_cbranch_execz .LBB107_24
; %bb.23:                               ;   in Loop: Header=BB107_12 Depth=1
	v_mul_f32_e32 v8, 0x3fb8aa3b, v67
	v_rndne_f32_e32 v9, v8
	v_sub_f32_e32 v10, v8, v9
	v_fma_f32 v8, v67, s84, -v8
	v_fmac_f32_e32 v8, 0x32a5705f, v67
	v_add_f32_e32 v8, v10, v8
	v_cvt_i32_f32_e32 v9, v9
	v_exp_f32_e32 v8, v8
	v_cmp_ngt_f32_e32 vcc, s85, v67
	v_ldexp_f32 v8, v8, v9
	s_nop 0
	v_cndmask_b32_e32 v8, 0, v8, vcc
	v_cmp_nlt_f32_e32 vcc, s86, v67
	s_nop 1
	v_cndmask_b32_e32 v30, v51, v8, vcc
	v_add_f32_e32 v10, 1.0, v30
	v_add_f32_e32 v8, -1.0, v10
	v_sub_f32_e32 v9, v8, v10
	v_add_f32_e32 v9, 1.0, v9
	v_sub_f32_e32 v8, v30, v8
	v_add_f32_e32 v11, v8, v9
	v_frexp_mant_f32_e32 v12, v10
	v_cvt_f64_f32_e32 v[8:9], v10
	v_frexp_exp_i32_f64_e32 v8, v[8:9]
	v_cmp_gt_f32_e32 vcc, s88, v12
	v_cmp_gt_f32_e64 s[2:3], s90, v30
	s_nop 0
	v_subbrev_co_u32_e32 v22, vcc, 0, v8, vcc
	v_sub_u32_e32 v8, 0, v22
	v_ldexp_f32 v9, v10, v8
	v_add_f32_e32 v10, -1.0, v9
	v_add_f32_e32 v12, 1.0, v9
	v_ldexp_f32 v8, v11, v8
	v_add_f32_e32 v11, 1.0, v10
	v_add_f32_e32 v13, -1.0, v12
	v_sub_f32_e32 v11, v9, v11
	v_sub_f32_e32 v9, v9, v13
	v_add_f32_e32 v11, v8, v11
	v_add_f32_e32 v8, v8, v9
	;; [unrolled: 1-line block ×3, first 2 shown]
	v_rcp_f32_e32 v24, v21
	v_sub_f32_e32 v9, v12, v21
	v_add_f32_e32 v23, v8, v9
	v_add_f32_e32 v9, v10, v11
	v_mul_f32_e32 v26, v9, v24
	v_sub_f32_e32 v8, v10, v9
	v_mul_f32_e32 v10, v21, v26
	v_fma_f32 v12, v26, v21, -v10
	v_fmac_f32_e32 v12, v26, v23
	v_add_f32_e32 v25, v11, v8
	v_add_f32_e32 v8, v10, v12
	v_sub_f32_e32 v11, v9, v8
	v_pk_add_f32 v[14:15], v[8:9], v[10:11] neg_lo:[0,1] neg_hi:[0,1]
	v_mov_b32_e32 v13, v8
	v_pk_add_f32 v[8:9], v[14:15], v[12:13] neg_lo:[0,1] neg_hi:[0,1]
	v_cmp_eq_f32_e32 vcc, s87, v30
	v_add_f32_e32 v9, v25, v9
	v_add_f32_e32 v8, v8, v9
	;; [unrolled: 1-line block ×3, first 2 shown]
	v_mul_f32_e32 v25, v24, v9
	v_mul_f32_e32 v10, v21, v25
	v_fma_f32 v12, v25, v21, -v10
	v_fmac_f32_e32 v12, v25, v23
	v_sub_f32_e32 v11, v11, v9
	v_add_f32_e32 v21, v8, v11
	v_add_f32_e32 v8, v10, v12
	v_sub_f32_e32 v11, v9, v8
	v_pk_add_f32 v[14:15], v[8:9], v[10:11] neg_lo:[0,1] neg_hi:[0,1]
	v_mov_b32_e32 v13, v8
	v_pk_add_f32 v[8:9], v[14:15], v[12:13] neg_lo:[0,1] neg_hi:[0,1]
	s_or_b64 vcc, s[2:3], vcc
	v_add_f32_e32 v9, v21, v9
	v_add_f32_e32 v8, v8, v9
	;; [unrolled: 1-line block ×4, first 2 shown]
	v_sub_f32_e32 v10, v9, v26
	v_mul_f32_e32 v8, v24, v8
	v_sub_f32_e32 v10, v25, v10
	v_add_f32_e32 v10, v10, v8
	v_add_f32_e32 v12, v9, v10
	v_mul_f32_e32 v13, v12, v12
	v_fmamk_f32 v8, v13, 0x3e9b6dac, v50
	v_fmaak_f32 v21, v13, v8, 0x3f2aaada
	v_cvt_f32_i32_e32 v8, v22
	v_sub_f32_e32 v9, v12, v9
	v_sub_f32_e32 v9, v10, v9
	v_ldexp_f32 v14, v9, 1
	v_mul_f32_e32 v9, v12, v13
	v_ldexp_f32 v11, v12, 1
	v_pk_mul_f32 v[12:13], v[8:9], v[20:21]
	s_nop 0
	v_fma_f32 v10, v8, s89, -v12
	v_fmac_f32_e32 v10, 0xb102e308, v8
	v_pk_add_f32 v[8:9], v[12:13], v[10:11]
	s_nop 0
	v_sub_f32_e32 v11, v9, v11
	v_sub_f32_e32 v11, v13, v11
	v_add_f32_e32 v15, v14, v11
	v_mov_b32_e32 v14, v12
	v_pk_add_f32 v[12:13], v[8:9], v[12:13] neg_lo:[0,1] neg_hi:[0,1]
	v_pk_add_f32 v[22:23], v[8:9], v[14:15]
	v_mov_b32_e32 v11, v8
	v_mov_b32_e32 v13, v23
	v_pk_add_f32 v[24:25], v[10:11], v[12:13] neg_lo:[0,1] neg_hi:[0,1]
	v_pk_add_f32 v[10:11], v[10:11], v[12:13]
	v_mov_b32_e32 v14, v15
	v_mov_b32_e32 v12, v11
	v_pk_add_f32 v[26:27], v[12:13], v[8:9] neg_lo:[0,1] neg_hi:[0,1]
	v_mov_b32_e32 v10, v23
	v_mov_b32_e32 v13, v26
	v_pk_add_f32 v[28:29], v[22:23], v[12:13] neg_lo:[0,1] neg_hi:[0,1]
	v_mov_b32_e32 v22, v9
	v_mov_b32_e32 v23, v26
	;; [unrolled: 1-line block ×3, first 2 shown]
	v_pk_add_f32 v[10:11], v[10:11], v[22:23] neg_lo:[0,1] neg_hi:[0,1]
	v_mov_b32_e32 v15, v8
	v_pk_add_f32 v[8:9], v[14:15], v[10:11] neg_lo:[0,1] neg_hi:[0,1]
	v_mov_b32_e32 v28, v24
	v_pk_add_f32 v[10:11], v[28:29], v[8:9]
	s_nop 0
	v_mov_b32_e32 v14, v11
	v_pk_add_f32 v[14:15], v[10:11], v[14:15]
	s_nop 0
	v_pk_add_f32 v[12:13], v[12:13], v[14:15]
	v_mov_b32_e32 v9, v14
	v_mov_b32_e32 v11, v12
	v_pk_add_f32 v[22:23], v[10:11], v[24:25] neg_lo:[0,1] neg_hi:[0,1]
	s_nop 0
	v_sub_f32_e32 v10, v10, v22
	v_pk_add_f32 v[8:9], v[8:9], v[22:23] neg_lo:[0,1] neg_hi:[0,1]
	v_sub_f32_e32 v10, v24, v10
	v_add_f32_e32 v8, v8, v10
	v_add_f32_e32 v8, v8, v9
	;; [unrolled: 1-line block ×3, first 2 shown]
	v_cndmask_b32_e32 v67, v8, v30, vcc
.LBB107_24:                             ;   in Loop: Header=BB107_12 Depth=1
	s_or_b64 exec, exec, s[6:7]
	v_cvt_f32_f16_e32 v8, v59
	v_add_f32_e32 v68, s33, v8
	v_cmp_ge_f32_e32 vcc, s83, v68
	s_and_b64 s[2:3], s[60:61], vcc
	s_and_saveexec_b64 s[6:7], s[2:3]
	s_cbranch_execz .LBB107_26
; %bb.25:                               ;   in Loop: Header=BB107_12 Depth=1
	v_mul_f32_e32 v8, 0x3fb8aa3b, v68
	v_rndne_f32_e32 v9, v8
	v_sub_f32_e32 v10, v8, v9
	v_fma_f32 v8, v68, s84, -v8
	v_fmac_f32_e32 v8, 0x32a5705f, v68
	v_add_f32_e32 v8, v10, v8
	v_cvt_i32_f32_e32 v9, v9
	v_exp_f32_e32 v8, v8
	v_cmp_ngt_f32_e32 vcc, s85, v68
	v_ldexp_f32 v8, v8, v9
	s_nop 0
	v_cndmask_b32_e32 v8, 0, v8, vcc
	v_cmp_nlt_f32_e32 vcc, s86, v68
	s_nop 1
	v_cndmask_b32_e32 v30, v51, v8, vcc
	v_add_f32_e32 v10, 1.0, v30
	v_add_f32_e32 v8, -1.0, v10
	v_sub_f32_e32 v9, v8, v10
	v_add_f32_e32 v9, 1.0, v9
	v_sub_f32_e32 v8, v30, v8
	v_add_f32_e32 v11, v8, v9
	v_frexp_mant_f32_e32 v12, v10
	v_cvt_f64_f32_e32 v[8:9], v10
	v_frexp_exp_i32_f64_e32 v8, v[8:9]
	v_cmp_gt_f32_e32 vcc, s88, v12
	v_cmp_gt_f32_e64 s[2:3], s90, v30
	s_nop 0
	v_subbrev_co_u32_e32 v22, vcc, 0, v8, vcc
	v_sub_u32_e32 v8, 0, v22
	v_ldexp_f32 v9, v10, v8
	v_add_f32_e32 v10, -1.0, v9
	v_add_f32_e32 v12, 1.0, v9
	v_ldexp_f32 v8, v11, v8
	v_add_f32_e32 v11, 1.0, v10
	v_add_f32_e32 v13, -1.0, v12
	v_sub_f32_e32 v11, v9, v11
	v_sub_f32_e32 v9, v9, v13
	v_add_f32_e32 v11, v8, v11
	v_add_f32_e32 v8, v8, v9
	;; [unrolled: 1-line block ×3, first 2 shown]
	v_rcp_f32_e32 v24, v21
	v_sub_f32_e32 v9, v12, v21
	v_add_f32_e32 v23, v8, v9
	v_add_f32_e32 v9, v10, v11
	v_mul_f32_e32 v26, v9, v24
	v_sub_f32_e32 v8, v10, v9
	v_mul_f32_e32 v10, v21, v26
	v_fma_f32 v12, v26, v21, -v10
	v_fmac_f32_e32 v12, v26, v23
	v_add_f32_e32 v25, v11, v8
	v_add_f32_e32 v8, v10, v12
	v_sub_f32_e32 v11, v9, v8
	v_pk_add_f32 v[14:15], v[8:9], v[10:11] neg_lo:[0,1] neg_hi:[0,1]
	v_mov_b32_e32 v13, v8
	v_pk_add_f32 v[8:9], v[14:15], v[12:13] neg_lo:[0,1] neg_hi:[0,1]
	v_cmp_eq_f32_e32 vcc, s87, v30
	v_add_f32_e32 v9, v25, v9
	v_add_f32_e32 v8, v8, v9
	;; [unrolled: 1-line block ×3, first 2 shown]
	v_mul_f32_e32 v25, v24, v9
	v_mul_f32_e32 v10, v21, v25
	v_fma_f32 v12, v25, v21, -v10
	v_fmac_f32_e32 v12, v25, v23
	v_sub_f32_e32 v11, v11, v9
	v_add_f32_e32 v21, v8, v11
	v_add_f32_e32 v8, v10, v12
	v_sub_f32_e32 v11, v9, v8
	v_pk_add_f32 v[14:15], v[8:9], v[10:11] neg_lo:[0,1] neg_hi:[0,1]
	v_mov_b32_e32 v13, v8
	v_pk_add_f32 v[8:9], v[14:15], v[12:13] neg_lo:[0,1] neg_hi:[0,1]
	s_or_b64 vcc, s[2:3], vcc
	v_add_f32_e32 v9, v21, v9
	v_add_f32_e32 v8, v8, v9
	;; [unrolled: 1-line block ×4, first 2 shown]
	v_sub_f32_e32 v10, v9, v26
	v_mul_f32_e32 v8, v24, v8
	v_sub_f32_e32 v10, v25, v10
	v_add_f32_e32 v10, v10, v8
	v_add_f32_e32 v12, v9, v10
	v_mul_f32_e32 v13, v12, v12
	v_fmamk_f32 v8, v13, 0x3e9b6dac, v50
	v_fmaak_f32 v21, v13, v8, 0x3f2aaada
	v_cvt_f32_i32_e32 v8, v22
	v_sub_f32_e32 v9, v12, v9
	v_sub_f32_e32 v9, v10, v9
	v_ldexp_f32 v14, v9, 1
	v_mul_f32_e32 v9, v12, v13
	v_ldexp_f32 v11, v12, 1
	v_pk_mul_f32 v[12:13], v[8:9], v[20:21]
	s_nop 0
	v_fma_f32 v10, v8, s89, -v12
	v_fmac_f32_e32 v10, 0xb102e308, v8
	v_pk_add_f32 v[8:9], v[12:13], v[10:11]
	s_nop 0
	v_sub_f32_e32 v11, v9, v11
	v_sub_f32_e32 v11, v13, v11
	v_add_f32_e32 v15, v14, v11
	v_mov_b32_e32 v14, v12
	v_pk_add_f32 v[12:13], v[8:9], v[12:13] neg_lo:[0,1] neg_hi:[0,1]
	v_pk_add_f32 v[22:23], v[8:9], v[14:15]
	v_mov_b32_e32 v11, v8
	v_mov_b32_e32 v13, v23
	v_pk_add_f32 v[24:25], v[10:11], v[12:13] neg_lo:[0,1] neg_hi:[0,1]
	v_pk_add_f32 v[10:11], v[10:11], v[12:13]
	v_mov_b32_e32 v14, v15
	v_mov_b32_e32 v12, v11
	v_pk_add_f32 v[26:27], v[12:13], v[8:9] neg_lo:[0,1] neg_hi:[0,1]
	v_mov_b32_e32 v10, v23
	v_mov_b32_e32 v13, v26
	v_pk_add_f32 v[28:29], v[22:23], v[12:13] neg_lo:[0,1] neg_hi:[0,1]
	v_mov_b32_e32 v22, v9
	v_mov_b32_e32 v23, v26
	;; [unrolled: 1-line block ×3, first 2 shown]
	v_pk_add_f32 v[10:11], v[10:11], v[22:23] neg_lo:[0,1] neg_hi:[0,1]
	v_mov_b32_e32 v15, v8
	v_pk_add_f32 v[8:9], v[14:15], v[10:11] neg_lo:[0,1] neg_hi:[0,1]
	v_mov_b32_e32 v28, v24
	v_pk_add_f32 v[10:11], v[28:29], v[8:9]
	s_nop 0
	v_mov_b32_e32 v14, v11
	v_pk_add_f32 v[14:15], v[10:11], v[14:15]
	s_nop 0
	v_pk_add_f32 v[12:13], v[12:13], v[14:15]
	v_mov_b32_e32 v9, v14
	v_mov_b32_e32 v11, v12
	v_pk_add_f32 v[22:23], v[10:11], v[24:25] neg_lo:[0,1] neg_hi:[0,1]
	s_nop 0
	v_sub_f32_e32 v10, v10, v22
	v_pk_add_f32 v[8:9], v[8:9], v[22:23] neg_lo:[0,1] neg_hi:[0,1]
	v_sub_f32_e32 v10, v24, v10
	v_add_f32_e32 v8, v8, v10
	v_add_f32_e32 v8, v8, v9
	v_add_f32_e32 v8, v12, v8
	v_cndmask_b32_e32 v68, v8, v30, vcc
.LBB107_26:                             ;   in Loop: Header=BB107_12 Depth=1
	s_or_b64 exec, exec, s[6:7]
	v_cvt_f32_f16_e32 v8, v7
	v_add_f32_e32 v69, s33, v8
	v_cmp_ge_f32_e32 vcc, s83, v69
	s_and_b64 s[2:3], s[60:61], vcc
	s_and_saveexec_b64 s[6:7], s[2:3]
	s_cbranch_execz .LBB107_28
; %bb.27:                               ;   in Loop: Header=BB107_12 Depth=1
	v_mul_f32_e32 v8, 0x3fb8aa3b, v69
	v_rndne_f32_e32 v9, v8
	v_sub_f32_e32 v10, v8, v9
	v_fma_f32 v8, v69, s84, -v8
	v_fmac_f32_e32 v8, 0x32a5705f, v69
	v_add_f32_e32 v8, v10, v8
	v_cvt_i32_f32_e32 v9, v9
	v_exp_f32_e32 v8, v8
	v_cmp_ngt_f32_e32 vcc, s85, v69
	v_ldexp_f32 v8, v8, v9
	s_nop 0
	v_cndmask_b32_e32 v8, 0, v8, vcc
	v_cmp_nlt_f32_e32 vcc, s86, v69
	s_nop 1
	v_cndmask_b32_e32 v30, v51, v8, vcc
	v_add_f32_e32 v10, 1.0, v30
	v_add_f32_e32 v8, -1.0, v10
	v_sub_f32_e32 v9, v8, v10
	v_add_f32_e32 v9, 1.0, v9
	v_sub_f32_e32 v8, v30, v8
	v_add_f32_e32 v11, v8, v9
	v_frexp_mant_f32_e32 v12, v10
	v_cvt_f64_f32_e32 v[8:9], v10
	v_frexp_exp_i32_f64_e32 v8, v[8:9]
	v_cmp_gt_f32_e32 vcc, s88, v12
	v_cmp_gt_f32_e64 s[2:3], s90, v30
	s_nop 0
	v_subbrev_co_u32_e32 v22, vcc, 0, v8, vcc
	v_sub_u32_e32 v8, 0, v22
	v_ldexp_f32 v9, v10, v8
	v_add_f32_e32 v10, -1.0, v9
	v_add_f32_e32 v12, 1.0, v9
	v_ldexp_f32 v8, v11, v8
	v_add_f32_e32 v11, 1.0, v10
	v_add_f32_e32 v13, -1.0, v12
	v_sub_f32_e32 v11, v9, v11
	v_sub_f32_e32 v9, v9, v13
	v_add_f32_e32 v11, v8, v11
	v_add_f32_e32 v8, v8, v9
	;; [unrolled: 1-line block ×3, first 2 shown]
	v_rcp_f32_e32 v24, v21
	v_sub_f32_e32 v9, v12, v21
	v_add_f32_e32 v23, v8, v9
	v_add_f32_e32 v9, v10, v11
	v_mul_f32_e32 v26, v9, v24
	v_sub_f32_e32 v8, v10, v9
	v_mul_f32_e32 v10, v21, v26
	v_fma_f32 v12, v26, v21, -v10
	v_fmac_f32_e32 v12, v26, v23
	v_add_f32_e32 v25, v11, v8
	v_add_f32_e32 v8, v10, v12
	v_sub_f32_e32 v11, v9, v8
	v_pk_add_f32 v[14:15], v[8:9], v[10:11] neg_lo:[0,1] neg_hi:[0,1]
	v_mov_b32_e32 v13, v8
	v_pk_add_f32 v[8:9], v[14:15], v[12:13] neg_lo:[0,1] neg_hi:[0,1]
	v_cmp_eq_f32_e32 vcc, s87, v30
	v_add_f32_e32 v9, v25, v9
	v_add_f32_e32 v8, v8, v9
	;; [unrolled: 1-line block ×3, first 2 shown]
	v_mul_f32_e32 v25, v24, v9
	v_mul_f32_e32 v10, v21, v25
	v_fma_f32 v12, v25, v21, -v10
	v_fmac_f32_e32 v12, v25, v23
	v_sub_f32_e32 v11, v11, v9
	v_add_f32_e32 v21, v8, v11
	v_add_f32_e32 v8, v10, v12
	v_sub_f32_e32 v11, v9, v8
	v_pk_add_f32 v[14:15], v[8:9], v[10:11] neg_lo:[0,1] neg_hi:[0,1]
	v_mov_b32_e32 v13, v8
	v_pk_add_f32 v[8:9], v[14:15], v[12:13] neg_lo:[0,1] neg_hi:[0,1]
	s_or_b64 vcc, s[2:3], vcc
	v_add_f32_e32 v9, v21, v9
	v_add_f32_e32 v8, v8, v9
	v_add_f32_e32 v9, v26, v25
	v_add_f32_e32 v8, v11, v8
	v_sub_f32_e32 v10, v9, v26
	v_mul_f32_e32 v8, v24, v8
	v_sub_f32_e32 v10, v25, v10
	v_add_f32_e32 v10, v10, v8
	v_add_f32_e32 v12, v9, v10
	v_mul_f32_e32 v13, v12, v12
	v_fmamk_f32 v8, v13, 0x3e9b6dac, v50
	v_fmaak_f32 v21, v13, v8, 0x3f2aaada
	v_cvt_f32_i32_e32 v8, v22
	v_sub_f32_e32 v9, v12, v9
	v_sub_f32_e32 v9, v10, v9
	v_ldexp_f32 v14, v9, 1
	v_mul_f32_e32 v9, v12, v13
	v_ldexp_f32 v11, v12, 1
	v_pk_mul_f32 v[12:13], v[8:9], v[20:21]
	s_nop 0
	v_fma_f32 v10, v8, s89, -v12
	v_fmac_f32_e32 v10, 0xb102e308, v8
	v_pk_add_f32 v[8:9], v[12:13], v[10:11]
	s_nop 0
	v_sub_f32_e32 v11, v9, v11
	v_sub_f32_e32 v11, v13, v11
	v_add_f32_e32 v15, v14, v11
	v_mov_b32_e32 v14, v12
	v_pk_add_f32 v[12:13], v[8:9], v[12:13] neg_lo:[0,1] neg_hi:[0,1]
	v_pk_add_f32 v[22:23], v[8:9], v[14:15]
	v_mov_b32_e32 v11, v8
	v_mov_b32_e32 v13, v23
	v_pk_add_f32 v[24:25], v[10:11], v[12:13] neg_lo:[0,1] neg_hi:[0,1]
	v_pk_add_f32 v[10:11], v[10:11], v[12:13]
	v_mov_b32_e32 v14, v15
	v_mov_b32_e32 v12, v11
	v_pk_add_f32 v[26:27], v[12:13], v[8:9] neg_lo:[0,1] neg_hi:[0,1]
	v_mov_b32_e32 v10, v23
	v_mov_b32_e32 v13, v26
	v_pk_add_f32 v[28:29], v[22:23], v[12:13] neg_lo:[0,1] neg_hi:[0,1]
	v_mov_b32_e32 v22, v9
	v_mov_b32_e32 v23, v26
	;; [unrolled: 1-line block ×3, first 2 shown]
	v_pk_add_f32 v[10:11], v[10:11], v[22:23] neg_lo:[0,1] neg_hi:[0,1]
	v_mov_b32_e32 v15, v8
	v_pk_add_f32 v[8:9], v[14:15], v[10:11] neg_lo:[0,1] neg_hi:[0,1]
	v_mov_b32_e32 v28, v24
	v_pk_add_f32 v[10:11], v[28:29], v[8:9]
	s_nop 0
	v_mov_b32_e32 v14, v11
	v_pk_add_f32 v[14:15], v[10:11], v[14:15]
	s_nop 0
	v_pk_add_f32 v[12:13], v[12:13], v[14:15]
	v_mov_b32_e32 v9, v14
	v_mov_b32_e32 v11, v12
	v_pk_add_f32 v[22:23], v[10:11], v[24:25] neg_lo:[0,1] neg_hi:[0,1]
	s_nop 0
	v_sub_f32_e32 v10, v10, v22
	v_pk_add_f32 v[8:9], v[8:9], v[22:23] neg_lo:[0,1] neg_hi:[0,1]
	v_sub_f32_e32 v10, v24, v10
	v_add_f32_e32 v8, v8, v10
	v_add_f32_e32 v8, v8, v9
	;; [unrolled: 1-line block ×3, first 2 shown]
	v_cndmask_b32_e32 v69, v8, v30, vcc
.LBB107_28:                             ;   in Loop: Header=BB107_12 Depth=1
	s_or_b64 exec, exec, s[6:7]
	v_cvt_f32_f16_e32 v8, v60
	v_add_f32_e32 v21, s33, v8
	v_cmp_ge_f32_e32 vcc, s83, v21
	s_and_b64 s[2:3], s[60:61], vcc
	s_and_saveexec_b64 s[6:7], s[2:3]
	s_cbranch_execz .LBB107_30
; %bb.29:                               ;   in Loop: Header=BB107_12 Depth=1
	v_mul_f32_e32 v8, 0x3fb8aa3b, v21
	v_rndne_f32_e32 v9, v8
	v_sub_f32_e32 v10, v8, v9
	v_fma_f32 v8, v21, s84, -v8
	v_fmac_f32_e32 v8, 0x32a5705f, v21
	v_add_f32_e32 v8, v10, v8
	v_cvt_i32_f32_e32 v9, v9
	v_exp_f32_e32 v8, v8
	v_cmp_ngt_f32_e32 vcc, s85, v21
	v_ldexp_f32 v8, v8, v9
	s_nop 0
	v_cndmask_b32_e32 v8, 0, v8, vcc
	v_cmp_nlt_f32_e32 vcc, s86, v21
	s_nop 1
	v_cndmask_b32_e32 v30, v51, v8, vcc
	v_add_f32_e32 v10, 1.0, v30
	v_add_f32_e32 v8, -1.0, v10
	v_sub_f32_e32 v9, v8, v10
	v_add_f32_e32 v9, 1.0, v9
	v_sub_f32_e32 v8, v30, v8
	v_add_f32_e32 v11, v8, v9
	v_frexp_mant_f32_e32 v12, v10
	v_cvt_f64_f32_e32 v[8:9], v10
	v_frexp_exp_i32_f64_e32 v8, v[8:9]
	v_cmp_gt_f32_e32 vcc, s88, v12
	v_cmp_gt_f32_e64 s[2:3], s90, v30
	s_nop 0
	v_subbrev_co_u32_e32 v22, vcc, 0, v8, vcc
	v_sub_u32_e32 v8, 0, v22
	v_ldexp_f32 v9, v10, v8
	v_add_f32_e32 v10, -1.0, v9
	v_add_f32_e32 v12, 1.0, v9
	v_ldexp_f32 v8, v11, v8
	v_add_f32_e32 v11, 1.0, v10
	v_add_f32_e32 v13, -1.0, v12
	v_sub_f32_e32 v11, v9, v11
	v_sub_f32_e32 v9, v9, v13
	v_add_f32_e32 v11, v8, v11
	v_add_f32_e32 v8, v8, v9
	;; [unrolled: 1-line block ×3, first 2 shown]
	v_rcp_f32_e32 v24, v21
	v_sub_f32_e32 v9, v12, v21
	v_add_f32_e32 v23, v8, v9
	v_add_f32_e32 v9, v10, v11
	v_mul_f32_e32 v26, v9, v24
	v_sub_f32_e32 v8, v10, v9
	v_mul_f32_e32 v10, v21, v26
	v_fma_f32 v12, v26, v21, -v10
	v_fmac_f32_e32 v12, v26, v23
	v_add_f32_e32 v25, v11, v8
	v_add_f32_e32 v8, v10, v12
	v_sub_f32_e32 v11, v9, v8
	v_pk_add_f32 v[14:15], v[8:9], v[10:11] neg_lo:[0,1] neg_hi:[0,1]
	v_mov_b32_e32 v13, v8
	v_pk_add_f32 v[8:9], v[14:15], v[12:13] neg_lo:[0,1] neg_hi:[0,1]
	v_cmp_eq_f32_e32 vcc, s87, v30
	v_add_f32_e32 v9, v25, v9
	v_add_f32_e32 v8, v8, v9
	;; [unrolled: 1-line block ×3, first 2 shown]
	v_mul_f32_e32 v25, v24, v9
	v_mul_f32_e32 v10, v21, v25
	v_fma_f32 v12, v25, v21, -v10
	v_fmac_f32_e32 v12, v25, v23
	v_sub_f32_e32 v11, v11, v9
	v_add_f32_e32 v21, v8, v11
	v_add_f32_e32 v8, v10, v12
	v_sub_f32_e32 v11, v9, v8
	v_pk_add_f32 v[14:15], v[8:9], v[10:11] neg_lo:[0,1] neg_hi:[0,1]
	v_mov_b32_e32 v13, v8
	v_pk_add_f32 v[8:9], v[14:15], v[12:13] neg_lo:[0,1] neg_hi:[0,1]
	s_or_b64 vcc, s[2:3], vcc
	v_add_f32_e32 v9, v21, v9
	v_add_f32_e32 v8, v8, v9
	;; [unrolled: 1-line block ×4, first 2 shown]
	v_sub_f32_e32 v10, v9, v26
	v_mul_f32_e32 v8, v24, v8
	v_sub_f32_e32 v10, v25, v10
	v_add_f32_e32 v10, v10, v8
	v_add_f32_e32 v12, v9, v10
	v_mul_f32_e32 v13, v12, v12
	v_fmamk_f32 v8, v13, 0x3e9b6dac, v50
	v_fmaak_f32 v21, v13, v8, 0x3f2aaada
	v_cvt_f32_i32_e32 v8, v22
	v_sub_f32_e32 v9, v12, v9
	v_sub_f32_e32 v9, v10, v9
	v_ldexp_f32 v14, v9, 1
	v_mul_f32_e32 v9, v12, v13
	v_ldexp_f32 v11, v12, 1
	v_pk_mul_f32 v[12:13], v[8:9], v[20:21]
	s_nop 0
	v_fma_f32 v10, v8, s89, -v12
	v_fmac_f32_e32 v10, 0xb102e308, v8
	v_pk_add_f32 v[8:9], v[12:13], v[10:11]
	s_nop 0
	v_sub_f32_e32 v11, v9, v11
	v_sub_f32_e32 v11, v13, v11
	v_add_f32_e32 v15, v14, v11
	v_mov_b32_e32 v14, v12
	v_pk_add_f32 v[12:13], v[8:9], v[12:13] neg_lo:[0,1] neg_hi:[0,1]
	v_pk_add_f32 v[22:23], v[8:9], v[14:15]
	v_mov_b32_e32 v11, v8
	v_mov_b32_e32 v13, v23
	v_pk_add_f32 v[24:25], v[10:11], v[12:13] neg_lo:[0,1] neg_hi:[0,1]
	v_pk_add_f32 v[10:11], v[10:11], v[12:13]
	v_mov_b32_e32 v14, v15
	v_mov_b32_e32 v12, v11
	v_pk_add_f32 v[26:27], v[12:13], v[8:9] neg_lo:[0,1] neg_hi:[0,1]
	v_mov_b32_e32 v10, v23
	v_mov_b32_e32 v13, v26
	v_pk_add_f32 v[28:29], v[22:23], v[12:13] neg_lo:[0,1] neg_hi:[0,1]
	v_mov_b32_e32 v22, v9
	v_mov_b32_e32 v23, v26
	;; [unrolled: 1-line block ×3, first 2 shown]
	v_pk_add_f32 v[10:11], v[10:11], v[22:23] neg_lo:[0,1] neg_hi:[0,1]
	v_mov_b32_e32 v15, v8
	v_pk_add_f32 v[8:9], v[14:15], v[10:11] neg_lo:[0,1] neg_hi:[0,1]
	v_mov_b32_e32 v28, v24
	v_pk_add_f32 v[10:11], v[28:29], v[8:9]
	s_nop 0
	v_mov_b32_e32 v14, v11
	v_pk_add_f32 v[14:15], v[10:11], v[14:15]
	s_nop 0
	v_pk_add_f32 v[12:13], v[12:13], v[14:15]
	v_mov_b32_e32 v9, v14
	v_mov_b32_e32 v11, v12
	v_pk_add_f32 v[22:23], v[10:11], v[24:25] neg_lo:[0,1] neg_hi:[0,1]
	s_nop 0
	v_sub_f32_e32 v10, v10, v22
	v_pk_add_f32 v[8:9], v[8:9], v[22:23] neg_lo:[0,1] neg_hi:[0,1]
	v_sub_f32_e32 v10, v24, v10
	v_add_f32_e32 v8, v8, v10
	v_add_f32_e32 v8, v8, v9
	v_add_f32_e32 v8, v12, v8
	v_cndmask_b32_e32 v21, v8, v30, vcc
.LBB107_30:                             ;   in Loop: Header=BB107_12 Depth=1
	s_or_b64 exec, exec, s[6:7]
	v_cvt_f32_f16_e32 v8, v3
	v_cvt_f32_f16_e32 v9, v61
	;; [unrolled: 1-line block ×8, first 2 shown]
	v_mul_f32_e32 v24, s80, v8
	v_mul_f32_e32 v23, s80, v9
	;; [unrolled: 1-line block ×7, first 2 shown]
	s_lshl_b32 s2, s93, 9
	v_mul_f32_e32 v25, s80, v11
	s_and_b64 vcc, exec, s[62:63]
	s_waitcnt lgkmcnt(0)
	; wave barrier
	s_cbranch_vccz .LBB107_11
; %bb.31:                               ;   in Loop: Header=BB107_12 Depth=1
	v_mul_f32_e32 v71, v69, v8
	v_and_b32_e32 v8, 15, v52
	v_cmp_ne_u32_e64 s[6:7], 0, v8
	v_cmp_lt_u32_e64 s[8:9], 1, v8
	v_cmp_lt_u32_e64 s[10:11], 3, v8
	v_cmp_lt_u32_e64 s[12:13], 7, v8
	v_and_b32_e32 v8, 16, v52
	v_mul_f32_e32 v72, v68, v9
	s_sub_i32 s3, s54, s2
	v_cmp_ne_u32_e64 s[14:15], 0, v8
	v_add_u32_e32 v8, -1, v52
	v_and_b32_e32 v9, 64, v52
	s_cmp_lg_u32 s93, 0
	v_cmp_lt_i32_e32 vcc, v8, v9
	s_cselect_b64 s[66:67], -1, 0
	s_cmp_eq_u32 s93, s82
	v_cndmask_b32_e32 v8, v8, v52, vcc
	v_cmp_gt_u32_e32 vcc, s3, v42
	s_cselect_b64 s[68:69], -1, 0
	s_or_b64 s[18:19], s[64:65], vcc
	v_cmp_gt_u32_e32 vcc, s3, v43
	s_or_b64 s[20:21], s[64:65], vcc
	v_cmp_gt_u32_e32 vcc, s3, v44
	;; [unrolled: 2-line block ×6, first 2 shown]
	s_mov_b32 s56, 0
	s_or_b64 s[30:31], s[64:65], vcc
	v_cmp_gt_u32_e32 vcc, s3, v49
	v_mul_f32_e32 v70, v21, v11
	v_mul_f32_e32 v73, v67, v10
	;; [unrolled: 1-line block ×6, first 2 shown]
	v_lshl_add_u64 v[30:31], s[42:43], 0, v[16:17]
	v_lshl_add_u64 v[32:33], s[46:47], 0, v[16:17]
	v_cmp_lt_u32_e64 s[16:17], 31, v52
	v_lshlrev_b32_e32 v78, 2, v8
	s_or_b64 s[34:35], s[64:65], vcc
	s_mov_b32 s70, s56
	s_mov_b32 s72, s56
	;; [unrolled: 1-line block ×5, first 2 shown]
	s_branch .LBB107_33
.LBB107_32:                             ;   in Loop: Header=BB107_33 Depth=2
	s_or_b64 exec, exec, s[76:77]
	v_mul_f32_e32 v34, v79, v87
	v_fma_f32 v35, v79, v88, v12
	v_cndmask_b32_e64 v12, v35, v12, s[4:5]
	v_cndmask_b32_e64 v34, v34, v79, s[4:5]
	s_waitcnt lgkmcnt(0)
	v_fmac_f32_e32 v12, v40, v34
	v_fmac_f32_e32 v13, v12, v80
	;; [unrolled: 1-line block ×5, first 2 shown]
	v_cvt_f32_f16_sdwa v35, v8 dst_sel:DWORD dst_unused:UNUSED_PAD src0_sel:WORD_1
	v_cvt_f32_f16_sdwa v41, v9 dst_sel:DWORD dst_unused:UNUSED_PAD src0_sel:WORD_1
	v_cvt_f32_f16_e32 v34, v8
	v_cvt_f32_f16_e32 v40, v9
	v_cvt_f32_f16_sdwa v9, v10 dst_sel:DWORD dst_unused:UNUSED_PAD src0_sel:WORD_1
	v_cvt_f32_f16_sdwa v81, v11 dst_sel:DWORD dst_unused:UNUSED_PAD src0_sel:WORD_1
	v_cvt_f32_f16_e32 v80, v11
	v_cvt_f32_f16_e32 v8, v10
	v_fmac_f32_e32 v15, v14, v84
	v_fmac_f32_e32 v38, v15, v85
	;; [unrolled: 1-line block ×3, first 2 shown]
	s_add_i32 s94, s94, 8
	s_add_i32 s3, s3, -1
	s_add_i32 s74, s74, s38
	s_add_i32 s72, s72, s48
	;; [unrolled: 1-line block ×4, first 2 shown]
	v_pk_fma_f32 v[26:27], v[36:37], v[40:41], v[26:27]
	v_pk_fma_f32 v[28:29], v[12:13], v[34:35], v[28:29]
	v_pk_fma_f32 v[24:25], v[38:39], v[80:81], v[24:25]
	s_cmp_eq_u32 s3, 0
	v_pk_fma_f32 v[22:23], v[14:15], v[8:9], v[22:23]
	s_cbranch_scc1 .LBB107_11
.LBB107_33:                             ;   Parent Loop BB107_12 Depth=1
                                        ; =>  This Inner Loop Header: Depth=2
	s_lshl_b64 s[76:77], s[56:57], 2
	s_mov_b32 s71, s57
	s_add_u32 s76, s39, s76
	v_lshl_add_u64 v[8:9], s[70:71], 1, v[30:31]
	s_mov_b32 s73, s57
	s_addc_u32 s77, s40, s77
	global_load_dwordx4 v[12:15], v[8:9], off
	v_lshl_add_u64 v[8:9], s[72:73], 1, v[32:33]
	global_load_dword v36, v17, s[76:77]
	s_andn2_b64 vcc, exec, s[66:67]
	global_load_dwordx4 v[8:11], v[8:9], off
	s_cbranch_vccnz .LBB107_35
; %bb.34:                               ;   in Loop: Header=BB107_33 Depth=2
	v_mov_b32_e32 v34, s94
	ds_read_b64 v[34:35], v34
	s_cbranch_execz .LBB107_36
	s_branch .LBB107_39
.LBB107_35:                             ;   in Loop: Header=BB107_33 Depth=2
                                        ; implicit-def: $vgpr35
.LBB107_36:                             ;   in Loop: Header=BB107_33 Depth=2
	s_andn2_b64 vcc, exec, s[52:53]
	s_waitcnt lgkmcnt(0)
	v_mov_b32_e32 v35, 0
	s_cbranch_vccnz .LBB107_38
; %bb.37:                               ;   in Loop: Header=BB107_33 Depth=2
	s_mov_b32 s75, s57
	s_lshl_b64 s[76:77], s[74:75], 2
	s_add_u32 s76, s45, s76
	s_addc_u32 s77, s49, s77
	global_load_dword v35, v17, s[76:77]
.LBB107_38:                             ;   in Loop: Header=BB107_33 Depth=2
	v_mov_b32_e32 v34, 1.0
.LBB107_39:                             ;   in Loop: Header=BB107_33 Depth=2
	s_waitcnt vmcnt(1)
	v_mul_f32_e32 v38, 0x3fb8aa3b, v36
	v_cvt_f32_f16_e32 v36, v12
	v_cvt_f32_f16_sdwa v37, v12 dst_sel:DWORD dst_unused:UNUSED_PAD src0_sel:WORD_1
	v_mul_f32_e32 v12, v38, v63
	v_cmp_gt_f32_e32 vcc, s92, v12
	v_cvt_f32_f16_e32 v41, v14
	v_cvt_f32_f16_sdwa v84, v14 dst_sel:DWORD dst_unused:UNUSED_PAD src0_sel:WORD_1
	v_cndmask_b32_e32 v12, 0, v53, vcc
	v_mul_f32_e32 v14, v38, v64
	v_cvt_f32_f16_e32 v39, v13
	v_cvt_f32_f16_sdwa v40, v13 dst_sel:DWORD dst_unused:UNUSED_PAD src0_sel:WORD_1
	v_fmac_f32_e32 v12, v38, v63
	v_cndmask_b32_e32 v13, 1.0, v54, vcc
	v_cmp_gt_f32_e32 vcc, s92, v14
	v_exp_f32_e32 v12, v12
	v_cvt_f32_f16_e32 v85, v15
	v_cndmask_b32_e32 v14, 0, v53, vcc
	v_fmac_f32_e32 v14, v38, v64
	v_exp_f32_e32 v14, v14
	v_cvt_f32_f16_sdwa v86, v15 dst_sel:DWORD dst_unused:UNUSED_PAD src0_sel:WORD_1
	v_mul_f32_e32 v13, v12, v13
	v_mul_f32_e32 v15, v38, v65
	v_cndmask_b32_e64 v79, 1.0, v13, s[18:19]
	v_cndmask_b32_e32 v13, 1.0, v54, vcc
	v_cmp_gt_f32_e32 vcc, s92, v15
	v_mul_f32_e32 v12, v77, v36
	v_mul_f32_e32 v14, v14, v13
	v_cndmask_b32_e32 v15, 0, v53, vcc
	v_mul_f32_e32 v36, v38, v66
	v_fmac_f32_e32 v15, v38, v65
	v_cndmask_b32_e64 v80, 1.0, v14, s[20:21]
	v_cndmask_b32_e32 v14, 1.0, v54, vcc
	v_cmp_gt_f32_e32 vcc, s92, v36
	v_exp_f32_e32 v15, v15
	v_mul_f32_e32 v13, v76, v37
	v_cndmask_b32_e32 v36, 0, v53, vcc
	v_fmac_f32_e32 v36, v38, v66
	v_exp_f32_e32 v37, v36
	v_mul_f32_e32 v14, v15, v14
	v_cndmask_b32_e64 v81, 1.0, v14, s[22:23]
	v_cndmask_b32_e32 v14, 1.0, v54, vcc
	v_mul_f32_e32 v14, v37, v14
	v_mul_f32_e32 v37, v38, v67
	v_cmp_gt_f32_e32 vcc, s92, v37
	v_mul_f32_e32 v15, v75, v39
	v_cndmask_b32_e64 v36, 0, v15, s[22:23]
	v_cndmask_b32_e32 v37, 0, v53, vcc
	v_fmac_f32_e32 v37, v38, v67
	v_exp_f32_e32 v39, v37
	v_mul_f32_e32 v15, v74, v40
	v_cndmask_b32_e64 v82, 1.0, v14, s[24:25]
	v_cndmask_b32_e32 v14, 1.0, v54, vcc
	v_cndmask_b32_e64 v37, 0, v15, s[24:25]
	v_mul_f32_e32 v15, v39, v14
	v_mul_f32_e32 v39, v38, v68
	v_cmp_gt_f32_e32 vcc, s92, v39
	v_mul_f32_e32 v40, v38, v69
	v_cndmask_b32_e64 v83, 1.0, v15, s[26:27]
	v_cndmask_b32_e32 v39, 0, v53, vcc
	v_fmac_f32_e32 v39, v38, v68
	v_exp_f32_e32 v39, v39
	v_cndmask_b32_e32 v15, 1.0, v54, vcc
	v_cmp_gt_f32_e32 vcc, s92, v40
	v_mul_f32_e32 v14, v73, v41
	v_mul_f32_e32 v39, v39, v15
	v_cndmask_b32_e32 v40, 0, v53, vcc
	v_mul_f32_e32 v41, v38, v21
	v_mul_f32_e32 v15, v72, v84
	v_fmac_f32_e32 v40, v38, v69
	v_cndmask_b32_e64 v84, 1.0, v39, s[28:29]
	v_cndmask_b32_e32 v39, 1.0, v54, vcc
	v_cmp_gt_f32_e32 vcc, s92, v41
	v_exp_f32_e32 v40, v40
	v_cndmask_b32_e64 v12, 0, v12, s[18:19]
	v_cndmask_b32_e32 v41, 0, v53, vcc
	v_fmac_f32_e32 v41, v38, v21
	v_exp_f32_e32 v41, v41
	v_mul_f32_e32 v39, v40, v39
	v_mul_f32_e32 v40, v71, v85
	v_cndmask_b32_e64 v85, 1.0, v39, s[30:31]
	v_cndmask_b32_e32 v39, 1.0, v54, vcc
	v_cndmask_b32_e64 v13, 0, v13, s[20:21]
	v_cndmask_b32_e64 v38, 0, v40, s[30:31]
	v_mul_f32_e32 v40, v41, v39
	v_mul_f32_e32 v39, v70, v86
	v_cndmask_b32_e64 v86, 1.0, v40, s[34:35]
	v_mul_f32_e32 v40, v80, v79
	v_fma_f32 v41, v80, v12, v13
	v_mul_f32_e32 v40, v40, v81
	v_fma_f32 v41, v41, v81, v36
	v_cndmask_b32_e64 v14, 0, v14, s[26:27]
	v_mul_f32_e32 v40, v40, v82
	v_fma_f32 v41, v41, v82, v37
	v_cndmask_b32_e64 v15, 0, v15, s[28:29]
	v_mul_f32_e32 v40, v40, v83
	v_fma_f32 v41, v41, v83, v14
	v_mul_f32_e32 v40, v40, v84
	v_fma_f32 v41, v41, v84, v15
	v_cndmask_b32_e64 v39, 0, v39, s[34:35]
	v_mul_f32_e32 v40, v40, v85
	v_fma_f32 v41, v41, v85, v38
	v_mul_f32_e32 v40, v40, v86
	v_fma_f32 v41, v41, v86, v39
	s_nop 0
	v_mov_b32_dpp v88, v40 row_shr:1 row_mask:0xf bank_mask:0xf
	v_mov_b32_dpp v87, v41 row_shr:1 row_mask:0xf bank_mask:0xf
	s_and_saveexec_b64 s[76:77], s[6:7]
; %bb.40:                               ;   in Loop: Header=BB107_33 Depth=2
	v_mul_f32_e32 v88, v40, v88
	v_fmac_f32_e32 v41, v40, v87
	v_mov_b32_e32 v40, v88
; %bb.41:                               ;   in Loop: Header=BB107_33 Depth=2
	s_or_b64 exec, exec, s[76:77]
	s_nop 0
	v_mov_b32_dpp v87, v40 row_shr:2 row_mask:0xf bank_mask:0xf
	v_mov_b32_dpp v88, v41 row_shr:2 row_mask:0xf bank_mask:0xf
	s_and_saveexec_b64 s[76:77], s[8:9]
; %bb.42:                               ;   in Loop: Header=BB107_33 Depth=2
	v_fmac_f32_e32 v41, v40, v88
	v_mul_f32_e32 v40, v40, v87
; %bb.43:                               ;   in Loop: Header=BB107_33 Depth=2
	s_or_b64 exec, exec, s[76:77]
	s_nop 0
	v_mov_b32_dpp v87, v40 row_shr:4 row_mask:0xf bank_mask:0xf
	v_mov_b32_dpp v88, v41 row_shr:4 row_mask:0xf bank_mask:0xf
	s_and_saveexec_b64 s[76:77], s[10:11]
; %bb.44:                               ;   in Loop: Header=BB107_33 Depth=2
	v_fmac_f32_e32 v41, v40, v88
	v_mul_f32_e32 v40, v40, v87
	;; [unrolled: 9-line block ×3, first 2 shown]
; %bb.47:                               ;   in Loop: Header=BB107_33 Depth=2
	s_or_b64 exec, exec, s[76:77]
	s_nop 0
	v_mov_b32_dpp v87, v40 row_bcast:15 row_mask:0xf bank_mask:0xf
	v_mov_b32_dpp v88, v41 row_bcast:15 row_mask:0xf bank_mask:0xf
	s_and_saveexec_b64 s[76:77], s[14:15]
; %bb.48:                               ;   in Loop: Header=BB107_33 Depth=2
	v_fmac_f32_e32 v41, v40, v88
	v_mul_f32_e32 v40, v40, v87
; %bb.49:                               ;   in Loop: Header=BB107_33 Depth=2
	s_or_b64 exec, exec, s[76:77]
	s_nop 0
	v_mov_b32_dpp v87, v40 row_bcast:31 row_mask:0xf bank_mask:0xf
	v_mov_b32_dpp v88, v41 row_bcast:31 row_mask:0xf bank_mask:0xf
	v_mov_b32_e32 v89, v41
	v_mul_f32_e32 v87, v40, v87
	v_fmac_f32_e32 v89, v40, v88
	v_cndmask_b32_e64 v40, v40, v87, s[16:17]
	v_cndmask_b32_e64 v41, v41, v89, s[16:17]
	s_and_saveexec_b64 s[76:77], s[36:37]
	s_cbranch_execz .LBB107_51
; %bb.50:                               ;   in Loop: Header=BB107_33 Depth=2
	ds_write_b64 v17, v[40:41] offset:2112
.LBB107_51:                             ;   in Loop: Header=BB107_33 Depth=2
	s_or_b64 exec, exec, s[76:77]
	ds_bpermute_b32 v87, v78, v40
	ds_bpermute_b32 v88, v78, v41
	s_waitcnt vmcnt(0) lgkmcnt(2)
	v_mov_b32_e32 v41, v35
	s_waitcnt lgkmcnt(0)
	; wave barrier
	s_waitcnt lgkmcnt(0)
	s_and_saveexec_b64 s[76:77], s[0:1]
	s_cbranch_execz .LBB107_55
; %bb.52:                               ;   in Loop: Header=BB107_33 Depth=2
	ds_read_b64 v[40:41], v17 offset:2112
	s_and_saveexec_b64 s[78:79], s[4:5]
	s_cbranch_execz .LBB107_54
; %bb.53:                               ;   in Loop: Header=BB107_33 Depth=2
	ds_write_b64 v17, v[34:35] offset:2112
.LBB107_54:                             ;   in Loop: Header=BB107_33 Depth=2
	s_or_b64 exec, exec, s[78:79]
	s_waitcnt lgkmcnt(0)
	v_fmac_f32_e32 v41, v35, v40
	v_mul_f32_e32 v34, v34, v40
	v_mov_b32_e32 v35, v41
.LBB107_55:                             ;   in Loop: Header=BB107_33 Depth=2
	s_or_b64 exec, exec, s[76:77]
	s_waitcnt lgkmcnt(0)
	; wave barrier
	ds_read_b32 v40, v17 offset:2116
	s_and_saveexec_b64 s[76:77], s[4:5]
	s_cbranch_execz .LBB107_32
; %bb.56:                               ;   in Loop: Header=BB107_33 Depth=2
	v_mov_b32_e32 v89, s94
	s_andn2_b64 vcc, exec, s[68:69]
	ds_write_b64 v89, v[34:35]
	s_cbranch_vccnz .LBB107_32
; %bb.57:                               ;   in Loop: Header=BB107_33 Depth=2
	s_mov_b32 s75, s57
	s_lshl_b64 s[78:79], s[74:75], 2
	s_add_u32 s78, s45, s78
	s_addc_u32 s79, s49, s79
	global_store_dword v17, v41, s[78:79]
	s_branch .LBB107_32
.LBB107_58:
	s_endpgm
	.section	.rodata,"a",@progbits
	.p2align	6, 0x0
	.amdhsa_kernel _Z25selective_scan_fwd_kernelI32Selective_Scan_fwd_kernel_traitsILi64ELi8ELi1ELb1ELb1ELb1ELb0ELb0EN3c104HalfEffEEv13SSMParamsBase
		.amdhsa_group_segment_fixed_size 0
		.amdhsa_private_segment_fixed_size 0
		.amdhsa_kernarg_size 248
		.amdhsa_user_sgpr_count 2
		.amdhsa_user_sgpr_dispatch_ptr 0
		.amdhsa_user_sgpr_queue_ptr 0
		.amdhsa_user_sgpr_kernarg_segment_ptr 1
		.amdhsa_user_sgpr_dispatch_id 0
		.amdhsa_user_sgpr_kernarg_preload_length 0
		.amdhsa_user_sgpr_kernarg_preload_offset 0
		.amdhsa_user_sgpr_private_segment_size 0
		.amdhsa_uses_dynamic_stack 0
		.amdhsa_enable_private_segment 0
		.amdhsa_system_sgpr_workgroup_id_x 1
		.amdhsa_system_sgpr_workgroup_id_y 1
		.amdhsa_system_sgpr_workgroup_id_z 0
		.amdhsa_system_sgpr_workgroup_info 0
		.amdhsa_system_vgpr_workitem_id 0
		.amdhsa_next_free_vgpr 90
		.amdhsa_next_free_sgpr 95
		.amdhsa_accum_offset 92
		.amdhsa_reserve_vcc 1
		.amdhsa_float_round_mode_32 0
		.amdhsa_float_round_mode_16_64 0
		.amdhsa_float_denorm_mode_32 3
		.amdhsa_float_denorm_mode_16_64 3
		.amdhsa_dx10_clamp 1
		.amdhsa_ieee_mode 1
		.amdhsa_fp16_overflow 0
		.amdhsa_tg_split 0
		.amdhsa_exception_fp_ieee_invalid_op 0
		.amdhsa_exception_fp_denorm_src 0
		.amdhsa_exception_fp_ieee_div_zero 0
		.amdhsa_exception_fp_ieee_overflow 0
		.amdhsa_exception_fp_ieee_underflow 0
		.amdhsa_exception_fp_ieee_inexact 0
		.amdhsa_exception_int_div_zero 0
	.end_amdhsa_kernel
	.section	.text._Z25selective_scan_fwd_kernelI32Selective_Scan_fwd_kernel_traitsILi64ELi8ELi1ELb1ELb1ELb1ELb0ELb0EN3c104HalfEffEEv13SSMParamsBase,"axG",@progbits,_Z25selective_scan_fwd_kernelI32Selective_Scan_fwd_kernel_traitsILi64ELi8ELi1ELb1ELb1ELb1ELb0ELb0EN3c104HalfEffEEv13SSMParamsBase,comdat
.Lfunc_end107:
	.size	_Z25selective_scan_fwd_kernelI32Selective_Scan_fwd_kernel_traitsILi64ELi8ELi1ELb1ELb1ELb1ELb0ELb0EN3c104HalfEffEEv13SSMParamsBase, .Lfunc_end107-_Z25selective_scan_fwd_kernelI32Selective_Scan_fwd_kernel_traitsILi64ELi8ELi1ELb1ELb1ELb1ELb0ELb0EN3c104HalfEffEEv13SSMParamsBase
                                        ; -- End function
	.section	.AMDGPU.csdata,"",@progbits
; Kernel info:
; codeLenInByte = 8352
; NumSgprs: 101
; NumVgprs: 90
; NumAgprs: 0
; TotalNumVgprs: 90
; ScratchSize: 0
; MemoryBound: 0
; FloatMode: 240
; IeeeMode: 1
; LDSByteSize: 0 bytes/workgroup (compile time only)
; SGPRBlocks: 12
; VGPRBlocks: 11
; NumSGPRsForWavesPerEU: 101
; NumVGPRsForWavesPerEU: 90
; AccumOffset: 92
; Occupancy: 5
; WaveLimiterHint : 0
; COMPUTE_PGM_RSRC2:SCRATCH_EN: 0
; COMPUTE_PGM_RSRC2:USER_SGPR: 2
; COMPUTE_PGM_RSRC2:TRAP_HANDLER: 0
; COMPUTE_PGM_RSRC2:TGID_X_EN: 1
; COMPUTE_PGM_RSRC2:TGID_Y_EN: 1
; COMPUTE_PGM_RSRC2:TGID_Z_EN: 0
; COMPUTE_PGM_RSRC2:TIDIG_COMP_CNT: 0
; COMPUTE_PGM_RSRC3_GFX90A:ACCUM_OFFSET: 22
; COMPUTE_PGM_RSRC3_GFX90A:TG_SPLIT: 0
	.section	.text._Z25selective_scan_fwd_kernelI32Selective_Scan_fwd_kernel_traitsILi64ELi8ELi1ELb0ELb1ELb1ELb1ELb1EN3c104HalfEffEEv13SSMParamsBase,"axG",@progbits,_Z25selective_scan_fwd_kernelI32Selective_Scan_fwd_kernel_traitsILi64ELi8ELi1ELb0ELb1ELb1ELb1ELb1EN3c104HalfEffEEv13SSMParamsBase,comdat
	.protected	_Z25selective_scan_fwd_kernelI32Selective_Scan_fwd_kernel_traitsILi64ELi8ELi1ELb0ELb1ELb1ELb1ELb1EN3c104HalfEffEEv13SSMParamsBase ; -- Begin function _Z25selective_scan_fwd_kernelI32Selective_Scan_fwd_kernel_traitsILi64ELi8ELi1ELb0ELb1ELb1ELb1ELb1EN3c104HalfEffEEv13SSMParamsBase
	.globl	_Z25selective_scan_fwd_kernelI32Selective_Scan_fwd_kernel_traitsILi64ELi8ELi1ELb0ELb1ELb1ELb1ELb1EN3c104HalfEffEEv13SSMParamsBase
	.p2align	8
	.type	_Z25selective_scan_fwd_kernelI32Selective_Scan_fwd_kernel_traitsILi64ELi8ELi1ELb0ELb1ELb1ELb1ELb1EN3c104HalfEffEEv13SSMParamsBase,@function
_Z25selective_scan_fwd_kernelI32Selective_Scan_fwd_kernel_traitsILi64ELi8ELi1ELb0ELb1ELb1ELb1ELb1EN3c104HalfEffEEv13SSMParamsBase: ; @_Z25selective_scan_fwd_kernelI32Selective_Scan_fwd_kernel_traitsILi64ELi8ELi1ELb0ELb1ELb1ELb1ELb1EN3c104HalfEffEEv13SSMParamsBase
; %bb.0:
	s_load_dword s37, s[0:1], 0x18
	s_load_dwordx4 s[4:7], s[0:1], 0xe8
	s_load_dwordx8 s[20:27], s[0:1], 0xc8
	s_mov_b32 s34, s3
	s_ashr_i32 s3, s2, 31
	s_lshl_b64 s[8:9], s[2:3], 2
	s_waitcnt lgkmcnt(0)
	s_abs_i32 s36, s37
	v_cvt_f32_u32_e32 v1, s36
	s_add_u32 s28, s26, s8
	s_addc_u32 s29, s27, s9
	s_cmp_eq_u64 s[6:7], 0
	v_rcp_iflag_f32_e32 v1, v1
	s_nop 0
	v_mul_f32_e32 v1, 0x4f7ffffe, v1
	v_cvt_u32_f32_e32 v1, v1
	s_nop 0
	v_readfirstlane_b32 s38, v1
	s_cbranch_scc1 .LBB108_169
; %bb.1:
	s_add_u32 s6, s6, s2
	s_addc_u32 s7, s7, s3
	v_mov_b32_e32 v1, 0
	global_load_ubyte v1, v1, s[6:7]
	s_waitcnt vmcnt(0)
	v_and_b32_e32 v1, 1, v1
	v_cmp_eq_u32_e64 s[68:69], 1, v1
	s_load_dwordx2 s[6:7], s[0:1], 0x20
	s_cmp_eq_u64 s[4:5], 0
	s_cbranch_scc1 .LBB108_3
.LBB108_2:
	s_add_u32 s2, s4, s8
	s_addc_u32 s3, s5, s9
	s_load_dword s2, s[2:3], 0x0
	s_waitcnt lgkmcnt(0)
	s_ashr_i32 s3, s2, 31
.LBB108_3:
	s_waitcnt lgkmcnt(0)
	s_cmp_eq_u64 s[6:7], s[2:3]
	s_cbranch_scc1 .LBB108_168
; %bb.4:
	s_load_dwordx16 s[4:19], s[0:1], 0x88
	s_load_dwordx2 s[26:27], s[28:29], 0x0
	s_mov_b32 s33, 0
	s_mov_b32 s92, 0
	s_waitcnt lgkmcnt(0)
	s_cmp_eq_u64 s[10:11], 0
	s_cbranch_scc1 .LBB108_6
; %bb.5:
	s_ashr_i32 s35, s34, 31
	s_lshl_b64 s[28:29], s[34:35], 2
	s_add_u32 s10, s10, s28
	s_addc_u32 s11, s11, s29
	s_load_dword s92, s[10:11], 0x0
.LBB108_6:
	s_cmp_eq_u64 s[16:17], 0
	s_cbranch_scc1 .LBB108_8
; %bb.7:
	s_ashr_i32 s35, s34, 31
	s_lshl_b64 s[10:11], s[34:35], 2
	s_add_u32 s10, s16, s10
	s_addc_u32 s11, s17, s11
	s_load_dword s33, s[10:11], 0x0
.LBB108_8:
	s_sub_i32 s35, s27, s26
	s_cmp_lt_i32 s35, 1
	s_cbranch_scc1 .LBB108_168
; %bb.9:
	s_sub_i32 s3, 0, s36
	s_mul_i32 s3, s3, s38
	s_mul_hi_u32 s3, s38, s3
	s_abs_i32 s16, s34
	s_add_i32 s38, s38, s3
	s_load_dwordx8 s[52:59], s[0:1], 0x2c
	s_load_dwordx2 s[10:11], s[0:1], 0x7c
	s_load_dwordx4 s[28:31], s[0:1], 0x6c
	s_load_dwordx8 s[60:67], s[0:1], 0x4c
	s_load_dword s94, s[0:1], 0x84
	s_mul_hi_u32 s3, s16, s38
	s_load_dword s38, s[0:1], 0xc
	s_load_dword s17, s[0:1], 0x28
	s_ashr_i32 s0, s34, 31
	s_ashr_i32 s1, s37, 31
	s_xor_b32 s0, s0, s1
	s_mul_i32 s1, s3, s36
	s_sub_i32 s1, s16, s1
	s_add_i32 s16, s3, 1
	s_sub_i32 s27, s1, s36
	s_cmp_ge_u32 s1, s36
	s_cselect_b32 s3, s16, s3
	s_cselect_b32 s1, s27, s1
	s_add_i32 s16, s3, 1
	s_cmp_ge_u32 s1, s36
	s_cselect_b32 s1, s16, s3
	s_xor_b32 s1, s1, s0
	s_waitcnt lgkmcnt(0)
	s_mul_i32 s70, s26, s62
	s_mov_b32 s71, 0
	s_sub_i32 s3, s1, s0
	s_lshl_b64 s[0:1], s[70:71], 1
	s_add_u32 s12, s12, s0
	s_mul_i32 s70, s63, s34
	s_addc_u32 s13, s13, s1
	s_lshl_b64 s[0:1], s[70:71], 1
	s_add_u32 s62, s12, s0
	s_mul_i32 s70, s26, s64
	s_addc_u32 s63, s13, s1
	;; [unrolled: 4-line block ×10, first 2 shown]
	s_lshl_b64 s[0:1], s[70:71], 2
	v_mbcnt_lo_u32_b32 v1, -1, 0
	s_add_u32 s57, s2, s0
	v_mbcnt_hi_u32_b32 v10, -1, v1
	s_addc_u32 s61, s3, s1
	s_add_i32 s0, s35, 0x7ff
	v_lshrrev_b32_e32 v1, 5, v10
	s_lshr_b32 s1, s0, 11
	v_and_b32_e32 v1, 2, v1
	v_add_u32_e32 v40, 64, v10
	v_or_b32_e32 v41, 0x80, v10
	v_add_u32_e32 v42, 0xc0, v10
	v_or_b32_e32 v43, 0x100, v10
	;; [unrolled: 2-line block ×3, first 2 shown]
	v_add_u32_e32 v46, 0x1c0, v10
	v_add_u32_e32 v1, v1, v10
	s_bitcmp1_b32 s17, 0
	v_lshl_add_u32 v47, v1, 1, 0
	v_lshrrev_b32_e32 v1, 5, v40
	v_lshrrev_b32_e32 v2, 5, v41
	;; [unrolled: 1-line block ×7, first 2 shown]
	s_cselect_b64 s[72:73], -1, 0
                                        ; implicit-def: $vgpr95 : SGPR spill to VGPR lane
	s_cmp_gt_i32 s38, 0
	v_and_b32_e32 v1, 6, v1
	v_and_b32_e32 v2, 6, v2
	;; [unrolled: 1-line block ×7, first 2 shown]
	v_writelane_b32 v95, s38, 0
	s_cselect_b64 s[2:3], -1, 0
	v_add_lshl_u32 v1, v1, v10, 1
	v_add_lshl_u32 v2, v2, v10, 1
	;; [unrolled: 1-line block ×7, first 2 shown]
	v_writelane_b32 v95, s2, 1
	s_add_i32 s0, 0, 0x420
	v_add_u32_e32 v56, s0, v1
	v_writelane_b32 v95, s3, 2
	v_add_u32_e32 v57, s0, v2
	v_add_u32_e32 v58, s0, v3
	;; [unrolled: 1-line block ×6, first 2 shown]
	s_and_b32 s0, s35, 0x1ff
	v_writelane_b32 v95, s35, 3
	s_cmp_eq_u32 s0, 0
	s_cselect_b64 s[76:77], -1, 0
	v_writelane_b32 v95, s1, 4
	s_add_i32 s0, s1, -1
	s_mul_i32 s70, s26, s28
	v_writelane_b32 v95, s0, 5
	s_lshl_b64 s[0:1], s[70:71], 1
	s_add_u32 s14, s18, s0
	s_mul_i32 s70, s29, s34
	s_addc_u32 s15, s19, s1
	s_lshl_b64 s[12:13], s[70:71], 1
	s_add_u32 s18, s14, s12
	s_mul_i32 s70, s26, s66
	s_addc_u32 s19, s15, s13
	s_lshl_b64 s[12:13], s[70:71], 1
	s_add_u32 s14, s22, s12
	s_mul_i32 s70, s67, s34
	v_lshrrev_b32_e32 v8, 2, v10
	s_addc_u32 s15, s23, s13
	s_lshl_b64 s[12:13], s[70:71], 1
	v_and_b32_e32 v8, 30, v8
	s_add_u32 s20, s14, s12
	s_mul_i32 s70, s26, s30
	v_lshl_add_u32 v8, v10, 3, v8
	s_addc_u32 s21, s15, s13
	s_lshl_b64 s[14:15], s[70:71], 1
	v_mov_b32_e32 v9, 0
	v_add_u32_e32 v48, 0, v1
	v_lshl_add_u32 v55, v8, 1, 0
	v_and_b32_e32 v1, 15, v10
	s_add_u32 s22, s24, s14
	v_lshlrev_b32_e32 v8, 1, v10
	s_mul_i32 s70, s31, s34
	v_cmp_ne_u32_e64 s[0:1], 0, v1
	v_cmp_lt_u32_e64 s[2:3], 1, v1
	v_cmp_lt_u32_e64 s[4:5], 3, v1
	;; [unrolled: 1-line block ×3, first 2 shown]
	v_and_b32_e32 v1, 16, v10
	s_addc_u32 s23, s25, s15
	v_lshl_add_u64 v[12:13], s[18:19], 0, v[8:9]
	s_lshl_b64 s[18:19], s[70:71], 1
	v_add_u32_e32 v49, 0, v2
	v_cmp_ne_u32_e64 s[8:9], 0, v1
	v_add_u32_e32 v1, -1, v10
	v_and_b32_e32 v2, 64, v10
	s_add_u32 s18, s22, s18
	v_cmp_lt_i32_e32 vcc, v1, v2
	s_addc_u32 s19, s23, s19
	v_lshlrev_b32_e32 v11, 3, v0
	v_cndmask_b32_e32 v1, v1, v10, vcc
	v_lshl_add_u64 v[16:17], s[18:19], 0, v[8:9]
	s_add_i32 s18, 0, 0x848
	v_add_u32_e32 v50, 0, v3
	v_add_u32_e32 v51, 0, v4
	;; [unrolled: 1-line block ×5, first 2 shown]
	v_cmp_lt_u32_e64 s[10:11], 31, v10
	v_cmp_eq_u32_e64 s[12:13], 63, v0
	v_lshlrev_b32_e32 v63, 2, v1
	v_cmp_gt_u32_e64 s[14:15], 64, v0
	v_cmp_eq_u32_e64 s[16:17], 0, v0
	v_lshl_add_u64 v[14:15], s[20:21], 0, v[8:9]
	v_or_b32_e32 v70, 7, v11
	v_lshlrev_b32_e32 v8, 1, v10
	s_mov_b32 s40, 0x41a00000
	s_mov_b32 s41, 0x3fb8aa3b
	;; [unrolled: 1-line block ×6, first 2 shown]
	v_mov_b32_e32 v71, 0x3ecc95a3
	s_mov_b32 s46, 0x3f317218
	s_mov_b32 s47, 0x33800000
	v_writelane_b32 v95, s18, 6
	s_mov_b32 s98, 0xc2fc0000
	s_mov_b32 s74, 0xbfb8aa3b
	;; [unrolled: 1-line block ×5, first 2 shown]
	v_mov_b32_e32 v72, 0x7f800000
	v_mov_b32_e32 v18, 0x3f317218
	;; [unrolled: 1-line block ×4, first 2 shown]
	s_mov_b32 s95, 0
                                        ; implicit-def: $vgpr0
	s_branch .LBB108_11
.LBB108_10:                             ;   in Loop: Header=BB108_11 Depth=1
	s_or_b64 exec, exec, s[18:19]
	s_add_u32 s64, s64, 0x400
	s_addc_u32 s65, s65, 0
	s_add_u32 s62, s62, 0x400
	s_addc_u32 s63, s63, 0
	;; [unrolled: 2-line block ×4, first 2 shown]
	s_add_i32 s95, s95, 1
	v_readlane_b32 s18, v95, 4
	s_cmp_lg_u32 s95, s18
	s_cbranch_scc0 .LBB108_168
.LBB108_11:                             ; =>This Loop Header: Depth=1
                                        ;     Child Loop BB108_60 Depth 2
	s_lshl_b32 s66, s95, 9
	v_readlane_b32 s18, v95, 3
	s_sub_i32 s50, s18, s66
	v_lshl_add_u64 v[0:1], s[62:63], 0, v[8:9]
	v_cmp_gt_u32_e64 s[18:19], s50, v10
	s_waitcnt lgkmcnt(0)
	v_mov_b32_e32 v2, 0
	s_waitcnt lgkmcnt(0)
	; wave barrier
	s_and_saveexec_b64 s[20:21], s[18:19]
	s_cbranch_execz .LBB108_13
; %bb.12:                               ;   in Loop: Header=BB108_11 Depth=1
	global_load_ushort v2, v[0:1], off
.LBB108_13:                             ;   in Loop: Header=BB108_11 Depth=1
	s_or_b64 exec, exec, s[20:21]
	v_cmp_gt_u32_e64 s[20:21], s50, v40
	v_mov_b32_e32 v3, 0
	v_mov_b32_e32 v4, 0
	s_and_saveexec_b64 s[22:23], s[20:21]
	s_cbranch_execz .LBB108_15
; %bb.14:                               ;   in Loop: Header=BB108_11 Depth=1
	global_load_ushort v4, v[0:1], off offset:128
.LBB108_15:                             ;   in Loop: Header=BB108_11 Depth=1
	s_or_b64 exec, exec, s[22:23]
	v_cmp_gt_u32_e64 s[22:23], s50, v41
	s_and_saveexec_b64 s[24:25], s[22:23]
	s_cbranch_execz .LBB108_17
; %bb.16:                               ;   in Loop: Header=BB108_11 Depth=1
	global_load_ushort v3, v[0:1], off offset:256
.LBB108_17:                             ;   in Loop: Header=BB108_11 Depth=1
	s_or_b64 exec, exec, s[24:25]
	v_cmp_gt_u32_e64 s[24:25], s50, v42
	v_mov_b32_e32 v5, 0
	v_mov_b32_e32 v7, 0
	s_and_saveexec_b64 s[26:27], s[24:25]
	s_cbranch_execz .LBB108_19
; %bb.18:                               ;   in Loop: Header=BB108_11 Depth=1
	global_load_ushort v7, v[0:1], off offset:384
.LBB108_19:                             ;   in Loop: Header=BB108_11 Depth=1
	s_or_b64 exec, exec, s[26:27]
	v_cmp_gt_u32_e64 s[26:27], s50, v43
	s_and_saveexec_b64 s[28:29], s[26:27]
	s_cbranch_execz .LBB108_21
; %bb.20:                               ;   in Loop: Header=BB108_11 Depth=1
	global_load_ushort v5, v[0:1], off offset:512
.LBB108_21:                             ;   in Loop: Header=BB108_11 Depth=1
	;; [unrolled: 16-line block ×3, first 2 shown]
	s_or_b64 exec, exec, s[34:35]
	v_cmp_gt_u32_e64 s[34:35], s50, v46
	v_mov_b32_e32 v6, 0
	v_mov_b32_e32 v21, 0
	s_and_saveexec_b64 s[36:37], s[34:35]
	s_cbranch_execz .LBB108_27
; %bb.26:                               ;   in Loop: Header=BB108_11 Depth=1
	global_load_ushort v21, v[0:1], off offset:896
.LBB108_27:                             ;   in Loop: Header=BB108_11 Depth=1
	s_or_b64 exec, exec, s[36:37]
	s_waitcnt vmcnt(0)
	ds_write_b16 v47, v2
	ds_write_b16 v48, v4 offset:128
	ds_write_b16 v49, v3 offset:256
	;; [unrolled: 1-line block ×7, first 2 shown]
	; wave barrier
	ds_read_b128 v[0:3], v55
	v_lshl_add_u64 v[4:5], s[64:65], 0, v[8:9]
	s_waitcnt lgkmcnt(0)
	; wave barrier
	s_waitcnt lgkmcnt(0)
	s_and_saveexec_b64 s[36:37], s[18:19]
	s_cbranch_execz .LBB108_29
; %bb.28:                               ;   in Loop: Header=BB108_11 Depth=1
	global_load_ushort v6, v[4:5], off
.LBB108_29:                             ;   in Loop: Header=BB108_11 Depth=1
	s_or_b64 exec, exec, s[36:37]
	v_mov_b32_e32 v7, 0
	v_mov_b32_e32 v19, 0
	s_and_saveexec_b64 s[36:37], s[20:21]
	s_cbranch_execz .LBB108_31
; %bb.30:                               ;   in Loop: Header=BB108_11 Depth=1
	global_load_ushort v19, v[4:5], off offset:128
.LBB108_31:                             ;   in Loop: Header=BB108_11 Depth=1
	s_or_b64 exec, exec, s[36:37]
	s_and_saveexec_b64 s[36:37], s[22:23]
	s_cbranch_execz .LBB108_33
; %bb.32:                               ;   in Loop: Header=BB108_11 Depth=1
	global_load_ushort v7, v[4:5], off offset:256
.LBB108_33:                             ;   in Loop: Header=BB108_11 Depth=1
	s_or_b64 exec, exec, s[36:37]
	v_mov_b32_e32 v20, 0
	v_mov_b32_e32 v21, 0
	s_and_saveexec_b64 s[36:37], s[24:25]
	s_cbranch_execz .LBB108_35
; %bb.34:                               ;   in Loop: Header=BB108_11 Depth=1
	global_load_ushort v21, v[4:5], off offset:384
.LBB108_35:                             ;   in Loop: Header=BB108_11 Depth=1
	s_or_b64 exec, exec, s[36:37]
	s_and_saveexec_b64 s[36:37], s[26:27]
	s_cbranch_execz .LBB108_37
; %bb.36:                               ;   in Loop: Header=BB108_11 Depth=1
	global_load_ushort v20, v[4:5], off offset:512
.LBB108_37:                             ;   in Loop: Header=BB108_11 Depth=1
	s_or_b64 exec, exec, s[36:37]
	v_mov_b32_e32 v22, 0
	v_mov_b32_e32 v23, 0
	s_and_saveexec_b64 s[36:37], s[28:29]
	s_cbranch_execnz .LBB108_151
; %bb.38:                               ;   in Loop: Header=BB108_11 Depth=1
	s_or_b64 exec, exec, s[36:37]
	s_and_saveexec_b64 s[36:37], s[30:31]
	s_cbranch_execnz .LBB108_152
.LBB108_39:                             ;   in Loop: Header=BB108_11 Depth=1
	s_or_b64 exec, exec, s[36:37]
	v_mov_b32_e32 v24, 0
	s_and_saveexec_b64 s[36:37], s[34:35]
	s_cbranch_execz .LBB108_41
.LBB108_40:                             ;   in Loop: Header=BB108_11 Depth=1
	global_load_ushort v24, v[4:5], off offset:896
.LBB108_41:                             ;   in Loop: Header=BB108_11 Depth=1
	s_or_b64 exec, exec, s[36:37]
	s_waitcnt vmcnt(0)
	ds_write_b16 v47, v6
	ds_write_b16 v48, v19 offset:128
	ds_write_b16 v49, v7 offset:256
	;; [unrolled: 1-line block ×7, first 2 shown]
	; wave barrier
	ds_read_b128 v[4:7], v55
	s_waitcnt lgkmcnt(0)
	v_cvt_f32_f16_e32 v19, v4
	v_add_f32_e32 v75, s33, v19
	v_cmp_ge_f32_e32 vcc, s40, v75
	s_and_b64 s[36:37], s[72:73], vcc
	s_and_saveexec_b64 s[38:39], s[36:37]
	s_cbranch_execz .LBB108_43
; %bb.42:                               ;   in Loop: Header=BB108_11 Depth=1
	v_mul_f32_e32 v19, 0x3fb8aa3b, v75
	v_rndne_f32_e32 v20, v19
	v_sub_f32_e32 v21, v19, v20
	v_fma_f32 v19, v75, s41, -v19
	v_fmac_f32_e32 v19, 0x32a5705f, v75
	v_add_f32_e32 v19, v21, v19
	v_cvt_i32_f32_e32 v20, v20
	v_exp_f32_e32 v19, v19
	v_cmp_ngt_f32_e32 vcc, s42, v75
	v_ldexp_f32 v19, v19, v20
	s_nop 0
	v_cndmask_b32_e32 v19, 0, v19, vcc
	v_cmp_nlt_f32_e32 vcc, s43, v75
	s_nop 1
	v_cndmask_b32_e32 v36, v72, v19, vcc
	v_add_f32_e32 v19, 1.0, v36
	v_add_f32_e32 v20, -1.0, v19
	v_sub_f32_e32 v21, v20, v19
	v_add_f32_e32 v21, 1.0, v21
	v_sub_f32_e32 v20, v36, v20
	v_add_f32_e32 v22, v20, v21
	v_frexp_mant_f32_e32 v23, v19
	v_cvt_f64_f32_e32 v[20:21], v19
	v_frexp_exp_i32_f64_e32 v20, v[20:21]
	v_cmp_gt_f32_e32 vcc, s45, v23
	v_cmp_gt_f32_e64 s[36:37], s47, v36
	s_nop 0
	v_subbrev_co_u32_e32 v28, vcc, 0, v20, vcc
	v_sub_u32_e32 v20, 0, v28
	v_ldexp_f32 v19, v19, v20
	v_ldexp_f32 v20, v22, v20
	v_add_f32_e32 v22, -1.0, v19
	v_add_f32_e32 v21, 1.0, v22
	v_sub_f32_e32 v21, v19, v21
	v_add_f32_e32 v23, v20, v21
	v_add_f32_e32 v21, 1.0, v19
	v_add_f32_e32 v24, -1.0, v21
	v_sub_f32_e32 v19, v19, v24
	v_add_f32_e32 v19, v20, v19
	v_add_f32_e32 v29, v21, v19
	v_rcp_f32_e32 v30, v29
	v_sub_f32_e32 v20, v21, v29
	v_add_f32_e32 v21, v22, v23
	v_add_f32_e32 v19, v19, v20
	v_mul_f32_e32 v32, v21, v30
	v_sub_f32_e32 v20, v22, v21
	v_mul_f32_e32 v22, v29, v32
	v_fma_f32 v24, v32, v29, -v22
	v_fmac_f32_e32 v24, v32, v19
	v_add_f32_e32 v31, v23, v20
	v_add_f32_e32 v20, v22, v24
	v_sub_f32_e32 v23, v21, v20
	v_pk_add_f32 v[26:27], v[20:21], v[22:23] neg_lo:[0,1] neg_hi:[0,1]
	v_mov_b32_e32 v25, v20
	v_pk_add_f32 v[20:21], v[26:27], v[24:25] neg_lo:[0,1] neg_hi:[0,1]
	v_cmp_eq_f32_e32 vcc, s44, v36
	v_add_f32_e32 v21, v31, v21
	v_add_f32_e32 v20, v20, v21
	;; [unrolled: 1-line block ×3, first 2 shown]
	v_mul_f32_e32 v31, v30, v21
	v_mul_f32_e32 v22, v29, v31
	v_fma_f32 v24, v31, v29, -v22
	v_fmac_f32_e32 v24, v31, v19
	v_sub_f32_e32 v19, v23, v21
	v_add_f32_e32 v19, v20, v19
	v_add_f32_e32 v20, v22, v24
	v_sub_f32_e32 v23, v21, v20
	v_pk_add_f32 v[26:27], v[20:21], v[22:23] neg_lo:[0,1] neg_hi:[0,1]
	v_mov_b32_e32 v25, v20
	v_pk_add_f32 v[20:21], v[26:27], v[24:25] neg_lo:[0,1] neg_hi:[0,1]
	s_or_b64 vcc, s[36:37], vcc
	v_add_f32_e32 v19, v19, v21
	v_add_f32_e32 v19, v20, v19
	;; [unrolled: 1-line block ×4, first 2 shown]
	v_sub_f32_e32 v20, v21, v32
	v_mul_f32_e32 v19, v30, v19
	v_sub_f32_e32 v20, v31, v20
	v_add_f32_e32 v22, v20, v19
	v_add_f32_e32 v24, v21, v22
	v_cvt_f32_i32_e32 v20, v28
	v_mul_f32_e32 v25, v24, v24
	v_sub_f32_e32 v21, v24, v21
	v_fmamk_f32 v19, v25, 0x3e9b6dac, v71
	v_sub_f32_e32 v21, v22, v21
	v_fmaak_f32 v19, v25, v19, 0x3f2aaada
	v_ldexp_f32 v26, v21, 1
	v_mul_f32_e32 v21, v24, v25
	v_ldexp_f32 v23, v24, 1
	v_pk_mul_f32 v[24:25], v[20:21], v[18:19]
	s_nop 0
	v_fma_f32 v22, v20, s46, -v24
	v_fmac_f32_e32 v22, 0xb102e308, v20
	v_pk_add_f32 v[20:21], v[24:25], v[22:23]
	s_nop 0
	v_sub_f32_e32 v19, v21, v23
	v_sub_f32_e32 v19, v25, v19
	v_add_f32_e32 v27, v26, v19
	v_mov_b32_e32 v26, v24
	v_pk_add_f32 v[24:25], v[20:21], v[24:25] neg_lo:[0,1] neg_hi:[0,1]
	v_pk_add_f32 v[28:29], v[20:21], v[26:27]
	v_mov_b32_e32 v23, v20
	v_mov_b32_e32 v25, v29
	v_pk_add_f32 v[30:31], v[22:23], v[24:25] neg_lo:[0,1] neg_hi:[0,1]
	v_pk_add_f32 v[22:23], v[22:23], v[24:25]
	v_mov_b32_e32 v26, v27
	v_mov_b32_e32 v24, v23
	v_pk_add_f32 v[32:33], v[24:25], v[20:21] neg_lo:[0,1] neg_hi:[0,1]
	v_mov_b32_e32 v22, v29
	v_mov_b32_e32 v19, v32
	v_pk_add_f32 v[34:35], v[28:29], v[18:19] neg_lo:[0,1] neg_hi:[0,1]
	v_mov_b32_e32 v28, v21
	v_mov_b32_e32 v29, v32
	;; [unrolled: 1-line block ×3, first 2 shown]
	v_pk_add_f32 v[22:23], v[22:23], v[28:29] neg_lo:[0,1] neg_hi:[0,1]
	v_mov_b32_e32 v27, v20
	v_pk_add_f32 v[20:21], v[26:27], v[22:23] neg_lo:[0,1] neg_hi:[0,1]
	v_mov_b32_e32 v34, v30
	v_pk_add_f32 v[22:23], v[34:35], v[20:21]
	s_nop 0
	v_mov_b32_e32 v26, v23
	v_pk_add_f32 v[26:27], v[22:23], v[26:27]
	s_nop 0
	v_pk_add_f32 v[24:25], v[24:25], v[26:27]
	v_mov_b32_e32 v21, v26
	v_mov_b32_e32 v23, v24
	v_pk_add_f32 v[28:29], v[22:23], v[30:31] neg_lo:[0,1] neg_hi:[0,1]
	s_nop 0
	v_sub_f32_e32 v19, v22, v28
	v_pk_add_f32 v[20:21], v[20:21], v[28:29] neg_lo:[0,1] neg_hi:[0,1]
	v_sub_f32_e32 v19, v30, v19
	v_add_f32_e32 v19, v20, v19
	v_add_f32_e32 v19, v19, v21
	;; [unrolled: 1-line block ×3, first 2 shown]
	v_cndmask_b32_e32 v75, v19, v36, vcc
.LBB108_43:                             ;   in Loop: Header=BB108_11 Depth=1
	s_or_b64 exec, exec, s[38:39]
	v_cvt_f32_f16_sdwa v4, v4 dst_sel:DWORD dst_unused:UNUSED_PAD src0_sel:WORD_1
	v_add_f32_e32 v76, s33, v4
	v_cmp_ge_f32_e32 vcc, s40, v76
	s_and_b64 s[36:37], s[72:73], vcc
	s_and_saveexec_b64 s[38:39], s[36:37]
	s_cbranch_execz .LBB108_45
; %bb.44:                               ;   in Loop: Header=BB108_11 Depth=1
	v_mul_f32_e32 v4, 0x3fb8aa3b, v76
	v_rndne_f32_e32 v19, v4
	v_sub_f32_e32 v20, v4, v19
	v_fma_f32 v4, v76, s41, -v4
	v_fmac_f32_e32 v4, 0x32a5705f, v76
	v_add_f32_e32 v4, v20, v4
	v_cvt_i32_f32_e32 v19, v19
	v_exp_f32_e32 v4, v4
	v_cmp_ngt_f32_e32 vcc, s42, v76
	v_ldexp_f32 v4, v4, v19
	s_nop 0
	v_cndmask_b32_e32 v4, 0, v4, vcc
	v_cmp_nlt_f32_e32 vcc, s43, v76
	s_nop 1
	v_cndmask_b32_e32 v34, v72, v4, vcc
	v_add_f32_e32 v4, 1.0, v34
	v_add_f32_e32 v19, -1.0, v4
	v_sub_f32_e32 v20, v19, v4
	v_add_f32_e32 v20, 1.0, v20
	v_sub_f32_e32 v19, v34, v19
	v_add_f32_e32 v19, v19, v20
	v_frexp_mant_f32_e32 v22, v4
	v_cvt_f64_f32_e32 v[20:21], v4
	v_frexp_exp_i32_f64_e32 v20, v[20:21]
	v_cmp_gt_f32_e32 vcc, s45, v22
	v_cmp_gt_f32_e64 s[36:37], s47, v34
	s_nop 0
	v_subbrev_co_u32_e32 v28, vcc, 0, v20, vcc
	v_sub_u32_e32 v20, 0, v28
	v_ldexp_f32 v4, v4, v20
	v_ldexp_f32 v19, v19, v20
	v_add_f32_e32 v20, -1.0, v4
	v_add_f32_e32 v21, 1.0, v20
	v_sub_f32_e32 v21, v4, v21
	v_add_f32_e32 v22, v19, v21
	v_add_f32_e32 v21, 1.0, v4
	v_add_f32_e32 v23, -1.0, v21
	v_sub_f32_e32 v4, v4, v23
	v_add_f32_e32 v4, v19, v4
	v_add_f32_e32 v19, v21, v4
	v_rcp_f32_e32 v29, v19
	v_sub_f32_e32 v21, v21, v19
	v_add_f32_e32 v4, v4, v21
	v_add_f32_e32 v21, v20, v22
	v_sub_f32_e32 v20, v20, v21
	v_mul_f32_e32 v31, v21, v29
	v_add_f32_e32 v30, v22, v20
	v_mul_f32_e32 v22, v19, v31
	v_fma_f32 v24, v31, v19, -v22
	v_fmac_f32_e32 v24, v31, v4
	v_add_f32_e32 v20, v22, v24
	v_sub_f32_e32 v23, v21, v20
	v_pk_add_f32 v[26:27], v[20:21], v[22:23] neg_lo:[0,1] neg_hi:[0,1]
	v_mov_b32_e32 v25, v20
	v_pk_add_f32 v[20:21], v[26:27], v[24:25] neg_lo:[0,1] neg_hi:[0,1]
	v_cmp_eq_f32_e32 vcc, s44, v34
	v_add_f32_e32 v21, v30, v21
	v_add_f32_e32 v20, v20, v21
	;; [unrolled: 1-line block ×3, first 2 shown]
	v_mul_f32_e32 v30, v29, v21
	v_mul_f32_e32 v22, v19, v30
	v_fma_f32 v24, v30, v19, -v22
	v_fmac_f32_e32 v24, v30, v4
	v_sub_f32_e32 v4, v23, v21
	v_add_f32_e32 v4, v20, v4
	v_add_f32_e32 v20, v22, v24
	v_sub_f32_e32 v23, v21, v20
	v_pk_add_f32 v[26:27], v[20:21], v[22:23] neg_lo:[0,1] neg_hi:[0,1]
	v_mov_b32_e32 v25, v20
	v_pk_add_f32 v[20:21], v[26:27], v[24:25] neg_lo:[0,1] neg_hi:[0,1]
	s_or_b64 vcc, s[36:37], vcc
	v_add_f32_e32 v4, v4, v21
	v_add_f32_e32 v4, v20, v4
	;; [unrolled: 1-line block ×4, first 2 shown]
	v_sub_f32_e32 v19, v21, v31
	v_mul_f32_e32 v4, v29, v4
	v_sub_f32_e32 v19, v30, v19
	v_add_f32_e32 v4, v19, v4
	v_add_f32_e32 v22, v21, v4
	v_cvt_f32_i32_e32 v20, v28
	v_mul_f32_e32 v24, v22, v22
	v_fmamk_f32 v19, v24, 0x3e9b6dac, v71
	v_sub_f32_e32 v21, v22, v21
	v_fmaak_f32 v19, v24, v19, 0x3f2aaada
	v_sub_f32_e32 v4, v4, v21
	v_mul_f32_e32 v21, v22, v24
	v_pk_mul_f32 v[24:25], v[20:21], v[18:19]
	v_ldexp_f32 v23, v22, 1
	v_fma_f32 v22, v20, s46, -v24
	v_fmac_f32_e32 v22, 0xb102e308, v20
	v_pk_add_f32 v[20:21], v[24:25], v[22:23]
	v_ldexp_f32 v4, v4, 1
	v_sub_f32_e32 v19, v21, v23
	v_sub_f32_e32 v19, v25, v19
	v_add_f32_e32 v27, v4, v19
	v_mov_b32_e32 v26, v24
	v_pk_add_f32 v[24:25], v[20:21], v[24:25] neg_lo:[0,1] neg_hi:[0,1]
	v_pk_add_f32 v[28:29], v[20:21], v[26:27]
	v_mov_b32_e32 v23, v20
	v_mov_b32_e32 v25, v29
	v_pk_add_f32 v[30:31], v[22:23], v[24:25] neg_lo:[0,1] neg_hi:[0,1]
	v_pk_add_f32 v[22:23], v[22:23], v[24:25]
	s_nop 0
	v_mov_b32_e32 v4, v23
	v_pk_add_f32 v[24:25], v[4:5], v[20:21] neg_lo:[0,1] neg_hi:[0,1]
	v_mov_b32_e32 v22, v29
	v_mov_b32_e32 v19, v24
	v_pk_add_f32 v[32:33], v[28:29], v[18:19] neg_lo:[0,1] neg_hi:[0,1]
	v_mov_b32_e32 v28, v21
	v_mov_b32_e32 v29, v24
	;; [unrolled: 1-line block ×3, first 2 shown]
	v_pk_add_f32 v[22:23], v[22:23], v[28:29] neg_lo:[0,1] neg_hi:[0,1]
	v_mov_b32_e32 v24, v27
	v_mov_b32_e32 v25, v20
	v_pk_add_f32 v[20:21], v[24:25], v[22:23] neg_lo:[0,1] neg_hi:[0,1]
	v_mov_b32_e32 v32, v30
	v_pk_add_f32 v[22:23], v[32:33], v[20:21]
	s_nop 0
	v_mov_b32_e32 v24, v23
	v_pk_add_f32 v[24:25], v[22:23], v[24:25]
	s_nop 0
	v_pk_add_f32 v[26:27], v[4:5], v[24:25]
	v_mov_b32_e32 v21, v24
	v_mov_b32_e32 v23, v26
	v_pk_add_f32 v[28:29], v[22:23], v[30:31] neg_lo:[0,1] neg_hi:[0,1]
	s_nop 0
	v_sub_f32_e32 v4, v22, v28
	v_pk_add_f32 v[20:21], v[20:21], v[28:29] neg_lo:[0,1] neg_hi:[0,1]
	v_sub_f32_e32 v4, v30, v4
	v_add_f32_e32 v4, v20, v4
	v_add_f32_e32 v4, v4, v21
	v_add_f32_e32 v4, v26, v4
	v_cndmask_b32_e32 v76, v4, v34, vcc
.LBB108_45:                             ;   in Loop: Header=BB108_11 Depth=1
	s_or_b64 exec, exec, s[38:39]
	v_cvt_f32_f16_e32 v4, v5
	v_add_f32_e32 v77, s33, v4
	v_cmp_ge_f32_e32 vcc, s40, v77
	s_and_b64 s[36:37], s[72:73], vcc
	s_and_saveexec_b64 s[38:39], s[36:37]
	s_cbranch_execz .LBB108_47
; %bb.46:                               ;   in Loop: Header=BB108_11 Depth=1
	v_mul_f32_e32 v4, 0x3fb8aa3b, v77
	v_rndne_f32_e32 v19, v4
	v_sub_f32_e32 v20, v4, v19
	v_fma_f32 v4, v77, s41, -v4
	v_fmac_f32_e32 v4, 0x32a5705f, v77
	v_add_f32_e32 v4, v20, v4
	v_cvt_i32_f32_e32 v19, v19
	v_exp_f32_e32 v4, v4
	v_cmp_ngt_f32_e32 vcc, s42, v77
	v_ldexp_f32 v4, v4, v19
	s_nop 0
	v_cndmask_b32_e32 v4, 0, v4, vcc
	v_cmp_nlt_f32_e32 vcc, s43, v77
	s_nop 1
	v_cndmask_b32_e32 v34, v72, v4, vcc
	v_add_f32_e32 v4, 1.0, v34
	v_add_f32_e32 v19, -1.0, v4
	v_sub_f32_e32 v20, v19, v4
	v_add_f32_e32 v20, 1.0, v20
	v_sub_f32_e32 v19, v34, v19
	v_add_f32_e32 v19, v19, v20
	v_frexp_mant_f32_e32 v22, v4
	v_cvt_f64_f32_e32 v[20:21], v4
	v_frexp_exp_i32_f64_e32 v20, v[20:21]
	v_cmp_gt_f32_e32 vcc, s45, v22
	v_cmp_gt_f32_e64 s[36:37], s47, v34
	s_nop 0
	v_subbrev_co_u32_e32 v28, vcc, 0, v20, vcc
	v_sub_u32_e32 v20, 0, v28
	v_ldexp_f32 v4, v4, v20
	v_ldexp_f32 v19, v19, v20
	v_add_f32_e32 v20, -1.0, v4
	v_add_f32_e32 v21, 1.0, v20
	v_sub_f32_e32 v21, v4, v21
	v_add_f32_e32 v22, v19, v21
	v_add_f32_e32 v21, 1.0, v4
	v_add_f32_e32 v23, -1.0, v21
	v_sub_f32_e32 v4, v4, v23
	v_add_f32_e32 v4, v19, v4
	v_add_f32_e32 v19, v21, v4
	v_rcp_f32_e32 v29, v19
	v_sub_f32_e32 v21, v21, v19
	v_add_f32_e32 v4, v4, v21
	v_add_f32_e32 v21, v20, v22
	v_sub_f32_e32 v20, v20, v21
	v_mul_f32_e32 v31, v21, v29
	v_add_f32_e32 v30, v22, v20
	v_mul_f32_e32 v22, v19, v31
	v_fma_f32 v24, v31, v19, -v22
	v_fmac_f32_e32 v24, v31, v4
	v_add_f32_e32 v20, v22, v24
	v_sub_f32_e32 v23, v21, v20
	v_pk_add_f32 v[26:27], v[20:21], v[22:23] neg_lo:[0,1] neg_hi:[0,1]
	v_mov_b32_e32 v25, v20
	v_pk_add_f32 v[20:21], v[26:27], v[24:25] neg_lo:[0,1] neg_hi:[0,1]
	v_cmp_eq_f32_e32 vcc, s44, v34
	v_add_f32_e32 v21, v30, v21
	v_add_f32_e32 v20, v20, v21
	;; [unrolled: 1-line block ×3, first 2 shown]
	v_mul_f32_e32 v30, v29, v21
	v_mul_f32_e32 v22, v19, v30
	v_fma_f32 v24, v30, v19, -v22
	v_fmac_f32_e32 v24, v30, v4
	v_sub_f32_e32 v4, v23, v21
	v_add_f32_e32 v4, v20, v4
	v_add_f32_e32 v20, v22, v24
	v_sub_f32_e32 v23, v21, v20
	v_pk_add_f32 v[26:27], v[20:21], v[22:23] neg_lo:[0,1] neg_hi:[0,1]
	v_mov_b32_e32 v25, v20
	v_pk_add_f32 v[20:21], v[26:27], v[24:25] neg_lo:[0,1] neg_hi:[0,1]
	s_or_b64 vcc, s[36:37], vcc
	v_add_f32_e32 v4, v4, v21
	v_add_f32_e32 v4, v20, v4
	;; [unrolled: 1-line block ×4, first 2 shown]
	v_sub_f32_e32 v19, v21, v31
	v_mul_f32_e32 v4, v29, v4
	v_sub_f32_e32 v19, v30, v19
	v_add_f32_e32 v4, v19, v4
	v_add_f32_e32 v22, v21, v4
	v_cvt_f32_i32_e32 v20, v28
	v_mul_f32_e32 v24, v22, v22
	v_fmamk_f32 v19, v24, 0x3e9b6dac, v71
	v_sub_f32_e32 v21, v22, v21
	v_fmaak_f32 v19, v24, v19, 0x3f2aaada
	v_sub_f32_e32 v4, v4, v21
	v_mul_f32_e32 v21, v22, v24
	v_pk_mul_f32 v[24:25], v[20:21], v[18:19]
	v_ldexp_f32 v23, v22, 1
	v_fma_f32 v22, v20, s46, -v24
	v_fmac_f32_e32 v22, 0xb102e308, v20
	v_pk_add_f32 v[20:21], v[24:25], v[22:23]
	v_ldexp_f32 v4, v4, 1
	v_sub_f32_e32 v19, v21, v23
	v_sub_f32_e32 v19, v25, v19
	v_add_f32_e32 v27, v4, v19
	v_mov_b32_e32 v26, v24
	v_pk_add_f32 v[24:25], v[20:21], v[24:25] neg_lo:[0,1] neg_hi:[0,1]
	v_pk_add_f32 v[28:29], v[20:21], v[26:27]
	v_mov_b32_e32 v23, v20
	v_mov_b32_e32 v25, v29
	v_pk_add_f32 v[30:31], v[22:23], v[24:25] neg_lo:[0,1] neg_hi:[0,1]
	v_pk_add_f32 v[22:23], v[22:23], v[24:25]
	s_nop 0
	v_mov_b32_e32 v4, v23
	v_pk_add_f32 v[24:25], v[4:5], v[20:21] neg_lo:[0,1] neg_hi:[0,1]
	v_mov_b32_e32 v22, v29
	v_mov_b32_e32 v19, v24
	v_pk_add_f32 v[32:33], v[28:29], v[18:19] neg_lo:[0,1] neg_hi:[0,1]
	v_mov_b32_e32 v28, v21
	v_mov_b32_e32 v29, v24
	;; [unrolled: 1-line block ×3, first 2 shown]
	v_pk_add_f32 v[22:23], v[22:23], v[28:29] neg_lo:[0,1] neg_hi:[0,1]
	v_mov_b32_e32 v24, v27
	v_mov_b32_e32 v25, v20
	v_pk_add_f32 v[20:21], v[24:25], v[22:23] neg_lo:[0,1] neg_hi:[0,1]
	v_mov_b32_e32 v32, v30
	v_pk_add_f32 v[22:23], v[32:33], v[20:21]
	s_nop 0
	v_mov_b32_e32 v24, v23
	v_pk_add_f32 v[24:25], v[22:23], v[24:25]
	s_nop 0
	v_pk_add_f32 v[26:27], v[4:5], v[24:25]
	v_mov_b32_e32 v21, v24
	v_mov_b32_e32 v23, v26
	v_pk_add_f32 v[28:29], v[22:23], v[30:31] neg_lo:[0,1] neg_hi:[0,1]
	s_nop 0
	v_sub_f32_e32 v4, v22, v28
	v_pk_add_f32 v[20:21], v[20:21], v[28:29] neg_lo:[0,1] neg_hi:[0,1]
	v_sub_f32_e32 v4, v30, v4
	v_add_f32_e32 v4, v20, v4
	v_add_f32_e32 v4, v4, v21
	;; [unrolled: 1-line block ×3, first 2 shown]
	v_cndmask_b32_e32 v77, v4, v34, vcc
.LBB108_47:                             ;   in Loop: Header=BB108_11 Depth=1
	s_or_b64 exec, exec, s[38:39]
	v_cvt_f32_f16_sdwa v4, v5 dst_sel:DWORD dst_unused:UNUSED_PAD src0_sel:WORD_1
	v_add_f32_e32 v78, s33, v4
	v_cmp_ge_f32_e32 vcc, s40, v78
	s_and_b64 s[36:37], s[72:73], vcc
	s_and_saveexec_b64 s[38:39], s[36:37]
	s_cbranch_execz .LBB108_49
; %bb.48:                               ;   in Loop: Header=BB108_11 Depth=1
	v_mul_f32_e32 v4, 0x3fb8aa3b, v78
	v_rndne_f32_e32 v5, v4
	v_sub_f32_e32 v19, v4, v5
	v_fma_f32 v4, v78, s41, -v4
	v_fmac_f32_e32 v4, 0x32a5705f, v78
	v_add_f32_e32 v4, v19, v4
	v_cvt_i32_f32_e32 v5, v5
	v_exp_f32_e32 v4, v4
	v_cmp_ngt_f32_e32 vcc, s42, v78
	v_ldexp_f32 v4, v4, v5
	s_nop 0
	v_cndmask_b32_e32 v4, 0, v4, vcc
	v_cmp_nlt_f32_e32 vcc, s43, v78
	s_nop 1
	v_cndmask_b32_e32 v34, v72, v4, vcc
	v_add_f32_e32 v19, 1.0, v34
	v_add_f32_e32 v4, -1.0, v19
	v_sub_f32_e32 v5, v4, v19
	v_add_f32_e32 v5, 1.0, v5
	v_sub_f32_e32 v4, v34, v4
	v_add_f32_e32 v20, v4, v5
	v_frexp_mant_f32_e32 v21, v19
	v_cvt_f64_f32_e32 v[4:5], v19
	v_frexp_exp_i32_f64_e32 v4, v[4:5]
	v_cmp_gt_f32_e32 vcc, s45, v21
	v_cmp_gt_f32_e64 s[36:37], s47, v34
	s_nop 0
	v_subbrev_co_u32_e32 v26, vcc, 0, v4, vcc
	v_sub_u32_e32 v4, 0, v26
	v_ldexp_f32 v5, v19, v4
	v_add_f32_e32 v19, -1.0, v5
	v_add_f32_e32 v21, 1.0, v5
	v_ldexp_f32 v4, v20, v4
	v_add_f32_e32 v20, 1.0, v19
	v_add_f32_e32 v22, -1.0, v21
	v_sub_f32_e32 v20, v5, v20
	v_sub_f32_e32 v5, v5, v22
	v_add_f32_e32 v20, v4, v20
	v_add_f32_e32 v4, v4, v5
	;; [unrolled: 1-line block ×3, first 2 shown]
	v_rcp_f32_e32 v29, v27
	v_sub_f32_e32 v5, v21, v27
	v_add_f32_e32 v28, v4, v5
	v_add_f32_e32 v5, v19, v20
	v_sub_f32_e32 v4, v19, v5
	v_mul_f32_e32 v30, v5, v29
	v_add_f32_e32 v19, v20, v4
	v_mul_f32_e32 v20, v27, v30
	v_fma_f32 v22, v30, v27, -v20
	v_fmac_f32_e32 v22, v30, v28
	v_add_f32_e32 v4, v20, v22
	v_sub_f32_e32 v21, v5, v4
	v_pk_add_f32 v[24:25], v[4:5], v[20:21] neg_lo:[0,1] neg_hi:[0,1]
	v_mov_b32_e32 v23, v4
	v_pk_add_f32 v[4:5], v[24:25], v[22:23] neg_lo:[0,1] neg_hi:[0,1]
	v_cmp_eq_f32_e32 vcc, s44, v34
	v_add_f32_e32 v5, v19, v5
	v_add_f32_e32 v4, v4, v5
	;; [unrolled: 1-line block ×3, first 2 shown]
	v_mul_f32_e32 v19, v29, v5
	v_mul_f32_e32 v20, v27, v19
	v_fma_f32 v22, v19, v27, -v20
	v_fmac_f32_e32 v22, v19, v28
	v_sub_f32_e32 v21, v21, v5
	v_add_f32_e32 v27, v4, v21
	v_add_f32_e32 v4, v20, v22
	v_sub_f32_e32 v21, v5, v4
	v_pk_add_f32 v[24:25], v[4:5], v[20:21] neg_lo:[0,1] neg_hi:[0,1]
	v_mov_b32_e32 v23, v4
	v_pk_add_f32 v[4:5], v[24:25], v[22:23] neg_lo:[0,1] neg_hi:[0,1]
	s_or_b64 vcc, s[36:37], vcc
	v_add_f32_e32 v5, v27, v5
	v_add_f32_e32 v4, v4, v5
	;; [unrolled: 1-line block ×4, first 2 shown]
	v_sub_f32_e32 v20, v5, v30
	v_mul_f32_e32 v4, v29, v4
	v_sub_f32_e32 v19, v19, v20
	v_add_f32_e32 v20, v19, v4
	v_add_f32_e32 v22, v5, v20
	v_mul_f32_e32 v23, v22, v22
	v_fmamk_f32 v4, v23, 0x3e9b6dac, v71
	v_fmaak_f32 v19, v23, v4, 0x3f2aaada
	v_cvt_f32_i32_e32 v4, v26
	v_sub_f32_e32 v5, v22, v5
	v_sub_f32_e32 v5, v20, v5
	v_ldexp_f32 v24, v5, 1
	v_mul_f32_e32 v5, v22, v23
	v_ldexp_f32 v21, v22, 1
	v_pk_mul_f32 v[22:23], v[4:5], v[18:19]
	s_nop 0
	v_fma_f32 v20, v4, s46, -v22
	v_fmac_f32_e32 v20, 0xb102e308, v4
	v_pk_add_f32 v[4:5], v[22:23], v[20:21]
	s_nop 0
	v_sub_f32_e32 v19, v5, v21
	v_sub_f32_e32 v19, v23, v19
	v_add_f32_e32 v25, v24, v19
	v_mov_b32_e32 v24, v22
	v_pk_add_f32 v[22:23], v[4:5], v[22:23] neg_lo:[0,1] neg_hi:[0,1]
	v_pk_add_f32 v[26:27], v[4:5], v[24:25]
	v_mov_b32_e32 v21, v4
	v_mov_b32_e32 v23, v27
	v_pk_add_f32 v[28:29], v[20:21], v[22:23] neg_lo:[0,1] neg_hi:[0,1]
	v_pk_add_f32 v[20:21], v[20:21], v[22:23]
	v_mov_b32_e32 v24, v25
	v_mov_b32_e32 v22, v21
	v_pk_add_f32 v[30:31], v[22:23], v[4:5] neg_lo:[0,1] neg_hi:[0,1]
	v_mov_b32_e32 v20, v27
	v_mov_b32_e32 v19, v30
	v_pk_add_f32 v[32:33], v[26:27], v[18:19] neg_lo:[0,1] neg_hi:[0,1]
	v_mov_b32_e32 v26, v5
	v_mov_b32_e32 v27, v30
	;; [unrolled: 1-line block ×3, first 2 shown]
	v_pk_add_f32 v[20:21], v[20:21], v[26:27] neg_lo:[0,1] neg_hi:[0,1]
	v_mov_b32_e32 v25, v4
	v_pk_add_f32 v[4:5], v[24:25], v[20:21] neg_lo:[0,1] neg_hi:[0,1]
	v_mov_b32_e32 v32, v28
	v_pk_add_f32 v[20:21], v[32:33], v[4:5]
	s_nop 0
	v_mov_b32_e32 v24, v21
	v_pk_add_f32 v[24:25], v[20:21], v[24:25]
	s_nop 0
	v_pk_add_f32 v[22:23], v[22:23], v[24:25]
	v_mov_b32_e32 v5, v24
	v_mov_b32_e32 v21, v22
	v_pk_add_f32 v[26:27], v[20:21], v[28:29] neg_lo:[0,1] neg_hi:[0,1]
	s_nop 0
	v_sub_f32_e32 v19, v20, v26
	v_pk_add_f32 v[4:5], v[4:5], v[26:27] neg_lo:[0,1] neg_hi:[0,1]
	v_sub_f32_e32 v19, v28, v19
	v_add_f32_e32 v4, v4, v19
	v_add_f32_e32 v4, v4, v5
	;; [unrolled: 1-line block ×3, first 2 shown]
	v_cndmask_b32_e32 v78, v4, v34, vcc
.LBB108_49:                             ;   in Loop: Header=BB108_11 Depth=1
	s_or_b64 exec, exec, s[38:39]
	v_cvt_f32_f16_e32 v4, v6
	v_add_f32_e32 v79, s33, v4
	v_cmp_ge_f32_e32 vcc, s40, v79
	s_and_b64 s[36:37], s[72:73], vcc
	s_and_saveexec_b64 s[38:39], s[36:37]
	s_cbranch_execz .LBB108_51
; %bb.50:                               ;   in Loop: Header=BB108_11 Depth=1
	v_mul_f32_e32 v4, 0x3fb8aa3b, v79
	v_rndne_f32_e32 v5, v4
	v_sub_f32_e32 v19, v4, v5
	v_fma_f32 v4, v79, s41, -v4
	v_fmac_f32_e32 v4, 0x32a5705f, v79
	v_add_f32_e32 v4, v19, v4
	v_cvt_i32_f32_e32 v5, v5
	v_exp_f32_e32 v4, v4
	v_cmp_ngt_f32_e32 vcc, s42, v79
	v_ldexp_f32 v4, v4, v5
	s_nop 0
	v_cndmask_b32_e32 v4, 0, v4, vcc
	v_cmp_nlt_f32_e32 vcc, s43, v79
	s_nop 1
	v_cndmask_b32_e32 v34, v72, v4, vcc
	v_add_f32_e32 v19, 1.0, v34
	v_add_f32_e32 v4, -1.0, v19
	v_sub_f32_e32 v5, v4, v19
	v_add_f32_e32 v5, 1.0, v5
	v_sub_f32_e32 v4, v34, v4
	v_add_f32_e32 v20, v4, v5
	v_frexp_mant_f32_e32 v21, v19
	v_cvt_f64_f32_e32 v[4:5], v19
	v_frexp_exp_i32_f64_e32 v4, v[4:5]
	v_cmp_gt_f32_e32 vcc, s45, v21
	v_cmp_gt_f32_e64 s[36:37], s47, v34
	s_nop 0
	v_subbrev_co_u32_e32 v26, vcc, 0, v4, vcc
	v_sub_u32_e32 v4, 0, v26
	v_ldexp_f32 v5, v19, v4
	v_add_f32_e32 v19, -1.0, v5
	v_add_f32_e32 v21, 1.0, v5
	v_ldexp_f32 v4, v20, v4
	v_add_f32_e32 v20, 1.0, v19
	v_add_f32_e32 v22, -1.0, v21
	v_sub_f32_e32 v20, v5, v20
	v_sub_f32_e32 v5, v5, v22
	v_add_f32_e32 v20, v4, v20
	v_add_f32_e32 v4, v4, v5
	;; [unrolled: 1-line block ×3, first 2 shown]
	v_rcp_f32_e32 v29, v27
	v_sub_f32_e32 v5, v21, v27
	v_add_f32_e32 v28, v4, v5
	v_add_f32_e32 v5, v19, v20
	v_sub_f32_e32 v4, v19, v5
	v_mul_f32_e32 v30, v5, v29
	v_add_f32_e32 v19, v20, v4
	v_mul_f32_e32 v20, v27, v30
	v_fma_f32 v22, v30, v27, -v20
	v_fmac_f32_e32 v22, v30, v28
	v_add_f32_e32 v4, v20, v22
	v_sub_f32_e32 v21, v5, v4
	v_pk_add_f32 v[24:25], v[4:5], v[20:21] neg_lo:[0,1] neg_hi:[0,1]
	v_mov_b32_e32 v23, v4
	v_pk_add_f32 v[4:5], v[24:25], v[22:23] neg_lo:[0,1] neg_hi:[0,1]
	v_cmp_eq_f32_e32 vcc, s44, v34
	v_add_f32_e32 v5, v19, v5
	v_add_f32_e32 v4, v4, v5
	;; [unrolled: 1-line block ×3, first 2 shown]
	v_mul_f32_e32 v19, v29, v5
	v_mul_f32_e32 v20, v27, v19
	v_fma_f32 v22, v19, v27, -v20
	v_fmac_f32_e32 v22, v19, v28
	v_sub_f32_e32 v21, v21, v5
	v_add_f32_e32 v27, v4, v21
	v_add_f32_e32 v4, v20, v22
	v_sub_f32_e32 v21, v5, v4
	v_pk_add_f32 v[24:25], v[4:5], v[20:21] neg_lo:[0,1] neg_hi:[0,1]
	v_mov_b32_e32 v23, v4
	v_pk_add_f32 v[4:5], v[24:25], v[22:23] neg_lo:[0,1] neg_hi:[0,1]
	s_or_b64 vcc, s[36:37], vcc
	v_add_f32_e32 v5, v27, v5
	v_add_f32_e32 v4, v4, v5
	;; [unrolled: 1-line block ×4, first 2 shown]
	v_sub_f32_e32 v20, v5, v30
	v_mul_f32_e32 v4, v29, v4
	v_sub_f32_e32 v19, v19, v20
	v_add_f32_e32 v20, v19, v4
	v_add_f32_e32 v22, v5, v20
	v_mul_f32_e32 v23, v22, v22
	v_fmamk_f32 v4, v23, 0x3e9b6dac, v71
	v_fmaak_f32 v19, v23, v4, 0x3f2aaada
	v_cvt_f32_i32_e32 v4, v26
	v_sub_f32_e32 v5, v22, v5
	v_sub_f32_e32 v5, v20, v5
	v_ldexp_f32 v24, v5, 1
	v_mul_f32_e32 v5, v22, v23
	v_ldexp_f32 v21, v22, 1
	v_pk_mul_f32 v[22:23], v[4:5], v[18:19]
	s_nop 0
	v_fma_f32 v20, v4, s46, -v22
	v_fmac_f32_e32 v20, 0xb102e308, v4
	v_pk_add_f32 v[4:5], v[22:23], v[20:21]
	s_nop 0
	v_sub_f32_e32 v19, v5, v21
	v_sub_f32_e32 v19, v23, v19
	v_add_f32_e32 v25, v24, v19
	v_mov_b32_e32 v24, v22
	v_pk_add_f32 v[22:23], v[4:5], v[22:23] neg_lo:[0,1] neg_hi:[0,1]
	v_pk_add_f32 v[26:27], v[4:5], v[24:25]
	v_mov_b32_e32 v21, v4
	v_mov_b32_e32 v23, v27
	v_pk_add_f32 v[28:29], v[20:21], v[22:23] neg_lo:[0,1] neg_hi:[0,1]
	v_pk_add_f32 v[20:21], v[20:21], v[22:23]
	v_mov_b32_e32 v24, v25
	v_mov_b32_e32 v22, v21
	v_pk_add_f32 v[30:31], v[22:23], v[4:5] neg_lo:[0,1] neg_hi:[0,1]
	v_mov_b32_e32 v20, v27
	v_mov_b32_e32 v19, v30
	v_pk_add_f32 v[32:33], v[26:27], v[18:19] neg_lo:[0,1] neg_hi:[0,1]
	v_mov_b32_e32 v26, v5
	v_mov_b32_e32 v27, v30
	;; [unrolled: 1-line block ×3, first 2 shown]
	v_pk_add_f32 v[20:21], v[20:21], v[26:27] neg_lo:[0,1] neg_hi:[0,1]
	v_mov_b32_e32 v25, v4
	v_pk_add_f32 v[4:5], v[24:25], v[20:21] neg_lo:[0,1] neg_hi:[0,1]
	v_mov_b32_e32 v32, v28
	v_pk_add_f32 v[20:21], v[32:33], v[4:5]
	s_nop 0
	v_mov_b32_e32 v24, v21
	v_pk_add_f32 v[24:25], v[20:21], v[24:25]
	s_nop 0
	v_pk_add_f32 v[22:23], v[22:23], v[24:25]
	v_mov_b32_e32 v5, v24
	v_mov_b32_e32 v21, v22
	v_pk_add_f32 v[26:27], v[20:21], v[28:29] neg_lo:[0,1] neg_hi:[0,1]
	s_nop 0
	v_sub_f32_e32 v19, v20, v26
	v_pk_add_f32 v[4:5], v[4:5], v[26:27] neg_lo:[0,1] neg_hi:[0,1]
	v_sub_f32_e32 v19, v28, v19
	v_add_f32_e32 v4, v4, v19
	v_add_f32_e32 v4, v4, v5
	;; [unrolled: 1-line block ×3, first 2 shown]
	v_cndmask_b32_e32 v79, v4, v34, vcc
.LBB108_51:                             ;   in Loop: Header=BB108_11 Depth=1
	s_or_b64 exec, exec, s[38:39]
	v_cvt_f32_f16_sdwa v4, v6 dst_sel:DWORD dst_unused:UNUSED_PAD src0_sel:WORD_1
	v_add_f32_e32 v80, s33, v4
	v_cmp_ge_f32_e32 vcc, s40, v80
	s_and_b64 s[36:37], s[72:73], vcc
	s_and_saveexec_b64 s[38:39], s[36:37]
	s_cbranch_execz .LBB108_53
; %bb.52:                               ;   in Loop: Header=BB108_11 Depth=1
	v_mul_f32_e32 v4, 0x3fb8aa3b, v80
	v_rndne_f32_e32 v5, v4
	v_sub_f32_e32 v6, v4, v5
	v_fma_f32 v4, v80, s41, -v4
	v_fmac_f32_e32 v4, 0x32a5705f, v80
	v_add_f32_e32 v4, v6, v4
	v_cvt_i32_f32_e32 v5, v5
	v_exp_f32_e32 v4, v4
	v_cmp_ngt_f32_e32 vcc, s42, v80
	v_ldexp_f32 v4, v4, v5
	s_nop 0
	v_cndmask_b32_e32 v4, 0, v4, vcc
	v_cmp_nlt_f32_e32 vcc, s43, v80
	s_nop 1
	v_cndmask_b32_e32 v32, v72, v4, vcc
	v_add_f32_e32 v6, 1.0, v32
	v_add_f32_e32 v4, -1.0, v6
	v_sub_f32_e32 v5, v4, v6
	v_add_f32_e32 v5, 1.0, v5
	v_sub_f32_e32 v4, v32, v4
	v_add_f32_e32 v19, v4, v5
	v_frexp_mant_f32_e32 v20, v6
	v_cvt_f64_f32_e32 v[4:5], v6
	v_frexp_exp_i32_f64_e32 v4, v[4:5]
	v_cmp_gt_f32_e32 vcc, s45, v20
	v_cmp_gt_f32_e64 s[36:37], s47, v32
	s_nop 0
	v_subbrev_co_u32_e32 v26, vcc, 0, v4, vcc
	v_sub_u32_e32 v4, 0, v26
	v_ldexp_f32 v5, v6, v4
	v_add_f32_e32 v6, -1.0, v5
	v_add_f32_e32 v20, 1.0, v5
	v_ldexp_f32 v4, v19, v4
	v_add_f32_e32 v19, 1.0, v6
	v_add_f32_e32 v21, -1.0, v20
	v_sub_f32_e32 v19, v5, v19
	v_sub_f32_e32 v5, v5, v21
	v_add_f32_e32 v19, v4, v19
	v_add_f32_e32 v4, v4, v5
	;; [unrolled: 1-line block ×3, first 2 shown]
	v_rcp_f32_e32 v29, v27
	v_sub_f32_e32 v5, v20, v27
	v_add_f32_e32 v28, v4, v5
	v_add_f32_e32 v5, v6, v19
	v_sub_f32_e32 v4, v6, v5
	v_add_f32_e32 v6, v19, v4
	v_mul_f32_e32 v19, v5, v29
	v_mul_f32_e32 v20, v27, v19
	v_fma_f32 v22, v19, v27, -v20
	v_fmac_f32_e32 v22, v19, v28
	v_add_f32_e32 v4, v20, v22
	v_sub_f32_e32 v21, v5, v4
	v_pk_add_f32 v[24:25], v[4:5], v[20:21] neg_lo:[0,1] neg_hi:[0,1]
	v_mov_b32_e32 v23, v4
	v_pk_add_f32 v[4:5], v[24:25], v[22:23] neg_lo:[0,1] neg_hi:[0,1]
	v_cmp_eq_f32_e32 vcc, s44, v32
	v_add_f32_e32 v5, v6, v5
	v_add_f32_e32 v4, v4, v5
	v_add_f32_e32 v5, v21, v4
	v_mul_f32_e32 v6, v29, v5
	v_mul_f32_e32 v20, v27, v6
	v_fma_f32 v22, v6, v27, -v20
	v_fmac_f32_e32 v22, v6, v28
	v_sub_f32_e32 v21, v21, v5
	v_add_f32_e32 v27, v4, v21
	v_add_f32_e32 v4, v20, v22
	v_sub_f32_e32 v21, v5, v4
	v_pk_add_f32 v[24:25], v[4:5], v[20:21] neg_lo:[0,1] neg_hi:[0,1]
	v_mov_b32_e32 v23, v4
	v_pk_add_f32 v[4:5], v[24:25], v[22:23] neg_lo:[0,1] neg_hi:[0,1]
	s_or_b64 vcc, s[36:37], vcc
	v_add_f32_e32 v5, v27, v5
	v_add_f32_e32 v4, v4, v5
	;; [unrolled: 1-line block ×4, first 2 shown]
	v_sub_f32_e32 v19, v5, v19
	v_mul_f32_e32 v4, v29, v4
	v_sub_f32_e32 v6, v6, v19
	v_add_f32_e32 v6, v6, v4
	v_add_f32_e32 v20, v5, v6
	v_mul_f32_e32 v22, v20, v20
	v_fmamk_f32 v4, v22, 0x3e9b6dac, v71
	v_fmaak_f32 v19, v22, v4, 0x3f2aaada
	v_cvt_f32_i32_e32 v4, v26
	v_sub_f32_e32 v5, v20, v5
	v_sub_f32_e32 v5, v6, v5
	v_ldexp_f32 v6, v5, 1
	v_mul_f32_e32 v5, v20, v22
	v_pk_mul_f32 v[22:23], v[4:5], v[18:19]
	v_ldexp_f32 v21, v20, 1
	v_fma_f32 v20, v4, s46, -v22
	v_fmac_f32_e32 v20, 0xb102e308, v4
	v_pk_add_f32 v[4:5], v[22:23], v[20:21]
	v_mov_b32_e32 v24, v22
	v_sub_f32_e32 v19, v5, v21
	v_sub_f32_e32 v19, v23, v19
	v_add_f32_e32 v25, v6, v19
	v_pk_add_f32 v[22:23], v[4:5], v[22:23] neg_lo:[0,1] neg_hi:[0,1]
	v_pk_add_f32 v[26:27], v[4:5], v[24:25]
	v_mov_b32_e32 v21, v4
	v_mov_b32_e32 v23, v27
	v_pk_add_f32 v[28:29], v[20:21], v[22:23] neg_lo:[0,1] neg_hi:[0,1]
	v_pk_add_f32 v[20:21], v[20:21], v[22:23]
	s_nop 0
	v_mov_b32_e32 v6, v21
	v_pk_add_f32 v[22:23], v[6:7], v[4:5] neg_lo:[0,1] neg_hi:[0,1]
	v_mov_b32_e32 v20, v27
	v_mov_b32_e32 v19, v22
	v_pk_add_f32 v[30:31], v[26:27], v[18:19] neg_lo:[0,1] neg_hi:[0,1]
	v_mov_b32_e32 v26, v5
	v_mov_b32_e32 v27, v22
	;; [unrolled: 1-line block ×3, first 2 shown]
	v_pk_add_f32 v[20:21], v[20:21], v[26:27] neg_lo:[0,1] neg_hi:[0,1]
	v_mov_b32_e32 v22, v25
	v_mov_b32_e32 v23, v4
	v_pk_add_f32 v[4:5], v[22:23], v[20:21] neg_lo:[0,1] neg_hi:[0,1]
	v_mov_b32_e32 v30, v28
	v_pk_add_f32 v[20:21], v[30:31], v[4:5]
	s_nop 0
	v_mov_b32_e32 v22, v21
	v_pk_add_f32 v[22:23], v[20:21], v[22:23]
	s_nop 0
	v_pk_add_f32 v[24:25], v[6:7], v[22:23]
	v_mov_b32_e32 v5, v22
	v_mov_b32_e32 v21, v24
	v_pk_add_f32 v[26:27], v[20:21], v[28:29] neg_lo:[0,1] neg_hi:[0,1]
	s_nop 0
	v_sub_f32_e32 v6, v20, v26
	v_pk_add_f32 v[4:5], v[4:5], v[26:27] neg_lo:[0,1] neg_hi:[0,1]
	v_sub_f32_e32 v6, v28, v6
	v_add_f32_e32 v4, v4, v6
	v_add_f32_e32 v4, v4, v5
	v_add_f32_e32 v4, v24, v4
	v_cndmask_b32_e32 v80, v4, v32, vcc
.LBB108_53:                             ;   in Loop: Header=BB108_11 Depth=1
	s_or_b64 exec, exec, s[38:39]
	v_cvt_f32_f16_e32 v4, v7
	v_add_f32_e32 v81, s33, v4
	v_cmp_ge_f32_e32 vcc, s40, v81
	s_and_b64 s[36:37], s[72:73], vcc
	s_and_saveexec_b64 s[38:39], s[36:37]
	s_cbranch_execz .LBB108_55
; %bb.54:                               ;   in Loop: Header=BB108_11 Depth=1
	v_mul_f32_e32 v4, 0x3fb8aa3b, v81
	v_rndne_f32_e32 v5, v4
	v_sub_f32_e32 v6, v4, v5
	v_fma_f32 v4, v81, s41, -v4
	v_fmac_f32_e32 v4, 0x32a5705f, v81
	v_add_f32_e32 v4, v6, v4
	v_cvt_i32_f32_e32 v5, v5
	v_exp_f32_e32 v4, v4
	v_cmp_ngt_f32_e32 vcc, s42, v81
	v_ldexp_f32 v4, v4, v5
	s_nop 0
	v_cndmask_b32_e32 v4, 0, v4, vcc
	v_cmp_nlt_f32_e32 vcc, s43, v81
	s_nop 1
	v_cndmask_b32_e32 v32, v72, v4, vcc
	v_add_f32_e32 v6, 1.0, v32
	v_add_f32_e32 v4, -1.0, v6
	v_sub_f32_e32 v5, v4, v6
	v_add_f32_e32 v5, 1.0, v5
	v_sub_f32_e32 v4, v32, v4
	v_add_f32_e32 v19, v4, v5
	v_frexp_mant_f32_e32 v20, v6
	v_cvt_f64_f32_e32 v[4:5], v6
	v_frexp_exp_i32_f64_e32 v4, v[4:5]
	v_cmp_gt_f32_e32 vcc, s45, v20
	v_cmp_gt_f32_e64 s[36:37], s47, v32
	s_nop 0
	v_subbrev_co_u32_e32 v26, vcc, 0, v4, vcc
	v_sub_u32_e32 v4, 0, v26
	v_ldexp_f32 v5, v6, v4
	v_add_f32_e32 v6, -1.0, v5
	v_add_f32_e32 v20, 1.0, v5
	v_ldexp_f32 v4, v19, v4
	v_add_f32_e32 v19, 1.0, v6
	v_add_f32_e32 v21, -1.0, v20
	v_sub_f32_e32 v19, v5, v19
	v_sub_f32_e32 v5, v5, v21
	v_add_f32_e32 v19, v4, v19
	v_add_f32_e32 v4, v4, v5
	;; [unrolled: 1-line block ×3, first 2 shown]
	v_rcp_f32_e32 v29, v27
	v_sub_f32_e32 v5, v20, v27
	v_add_f32_e32 v28, v4, v5
	v_add_f32_e32 v5, v6, v19
	v_sub_f32_e32 v4, v6, v5
	v_add_f32_e32 v6, v19, v4
	v_mul_f32_e32 v19, v5, v29
	v_mul_f32_e32 v20, v27, v19
	v_fma_f32 v22, v19, v27, -v20
	v_fmac_f32_e32 v22, v19, v28
	v_add_f32_e32 v4, v20, v22
	v_sub_f32_e32 v21, v5, v4
	v_pk_add_f32 v[24:25], v[4:5], v[20:21] neg_lo:[0,1] neg_hi:[0,1]
	v_mov_b32_e32 v23, v4
	v_pk_add_f32 v[4:5], v[24:25], v[22:23] neg_lo:[0,1] neg_hi:[0,1]
	v_cmp_eq_f32_e32 vcc, s44, v32
	v_add_f32_e32 v5, v6, v5
	v_add_f32_e32 v4, v4, v5
	;; [unrolled: 1-line block ×3, first 2 shown]
	v_mul_f32_e32 v6, v29, v5
	v_mul_f32_e32 v20, v27, v6
	v_fma_f32 v22, v6, v27, -v20
	v_fmac_f32_e32 v22, v6, v28
	v_sub_f32_e32 v21, v21, v5
	v_add_f32_e32 v27, v4, v21
	v_add_f32_e32 v4, v20, v22
	v_sub_f32_e32 v21, v5, v4
	v_pk_add_f32 v[24:25], v[4:5], v[20:21] neg_lo:[0,1] neg_hi:[0,1]
	v_mov_b32_e32 v23, v4
	v_pk_add_f32 v[4:5], v[24:25], v[22:23] neg_lo:[0,1] neg_hi:[0,1]
	s_or_b64 vcc, s[36:37], vcc
	v_add_f32_e32 v5, v27, v5
	v_add_f32_e32 v4, v4, v5
	;; [unrolled: 1-line block ×4, first 2 shown]
	v_sub_f32_e32 v19, v5, v19
	v_mul_f32_e32 v4, v29, v4
	v_sub_f32_e32 v6, v6, v19
	v_add_f32_e32 v6, v6, v4
	v_add_f32_e32 v20, v5, v6
	v_mul_f32_e32 v22, v20, v20
	v_fmamk_f32 v4, v22, 0x3e9b6dac, v71
	v_fmaak_f32 v19, v22, v4, 0x3f2aaada
	v_cvt_f32_i32_e32 v4, v26
	v_sub_f32_e32 v5, v20, v5
	v_sub_f32_e32 v5, v6, v5
	v_ldexp_f32 v6, v5, 1
	v_mul_f32_e32 v5, v20, v22
	v_pk_mul_f32 v[22:23], v[4:5], v[18:19]
	v_ldexp_f32 v21, v20, 1
	v_fma_f32 v20, v4, s46, -v22
	v_fmac_f32_e32 v20, 0xb102e308, v4
	v_pk_add_f32 v[4:5], v[22:23], v[20:21]
	v_mov_b32_e32 v24, v22
	v_sub_f32_e32 v19, v5, v21
	v_sub_f32_e32 v19, v23, v19
	v_add_f32_e32 v25, v6, v19
	v_pk_add_f32 v[22:23], v[4:5], v[22:23] neg_lo:[0,1] neg_hi:[0,1]
	v_pk_add_f32 v[26:27], v[4:5], v[24:25]
	v_mov_b32_e32 v21, v4
	v_mov_b32_e32 v23, v27
	v_pk_add_f32 v[28:29], v[20:21], v[22:23] neg_lo:[0,1] neg_hi:[0,1]
	v_pk_add_f32 v[20:21], v[20:21], v[22:23]
	s_nop 0
	v_mov_b32_e32 v6, v21
	v_pk_add_f32 v[22:23], v[6:7], v[4:5] neg_lo:[0,1] neg_hi:[0,1]
	v_mov_b32_e32 v20, v27
	v_mov_b32_e32 v19, v22
	v_pk_add_f32 v[30:31], v[26:27], v[18:19] neg_lo:[0,1] neg_hi:[0,1]
	v_mov_b32_e32 v26, v5
	v_mov_b32_e32 v27, v22
	;; [unrolled: 1-line block ×3, first 2 shown]
	v_pk_add_f32 v[20:21], v[20:21], v[26:27] neg_lo:[0,1] neg_hi:[0,1]
	v_mov_b32_e32 v22, v25
	v_mov_b32_e32 v23, v4
	v_pk_add_f32 v[4:5], v[22:23], v[20:21] neg_lo:[0,1] neg_hi:[0,1]
	v_mov_b32_e32 v30, v28
	v_pk_add_f32 v[20:21], v[30:31], v[4:5]
	s_nop 0
	v_mov_b32_e32 v22, v21
	v_pk_add_f32 v[22:23], v[20:21], v[22:23]
	s_nop 0
	v_pk_add_f32 v[24:25], v[6:7], v[22:23]
	v_mov_b32_e32 v5, v22
	v_mov_b32_e32 v21, v24
	v_pk_add_f32 v[26:27], v[20:21], v[28:29] neg_lo:[0,1] neg_hi:[0,1]
	s_nop 0
	v_sub_f32_e32 v6, v20, v26
	v_pk_add_f32 v[4:5], v[4:5], v[26:27] neg_lo:[0,1] neg_hi:[0,1]
	v_sub_f32_e32 v6, v28, v6
	v_add_f32_e32 v4, v4, v6
	v_add_f32_e32 v4, v4, v5
	;; [unrolled: 1-line block ×3, first 2 shown]
	v_cndmask_b32_e32 v81, v4, v32, vcc
.LBB108_55:                             ;   in Loop: Header=BB108_11 Depth=1
	s_or_b64 exec, exec, s[38:39]
	v_cvt_f32_f16_sdwa v4, v7 dst_sel:DWORD dst_unused:UNUSED_PAD src0_sel:WORD_1
	v_add_f32_e32 v19, s33, v4
	v_cmp_ge_f32_e32 vcc, s40, v19
	s_and_b64 s[36:37], s[72:73], vcc
	s_and_saveexec_b64 s[38:39], s[36:37]
	s_cbranch_execz .LBB108_57
; %bb.56:                               ;   in Loop: Header=BB108_11 Depth=1
	v_mul_f32_e32 v4, 0x3fb8aa3b, v19
	v_rndne_f32_e32 v5, v4
	v_sub_f32_e32 v6, v4, v5
	v_fma_f32 v4, v19, s41, -v4
	v_fmac_f32_e32 v4, 0x32a5705f, v19
	v_add_f32_e32 v4, v6, v4
	v_cvt_i32_f32_e32 v5, v5
	v_exp_f32_e32 v4, v4
	v_cmp_ngt_f32_e32 vcc, s42, v19
	v_ldexp_f32 v4, v4, v5
	s_nop 0
	v_cndmask_b32_e32 v4, 0, v4, vcc
	v_cmp_nlt_f32_e32 vcc, s43, v19
	s_nop 1
	v_cndmask_b32_e32 v32, v72, v4, vcc
	v_add_f32_e32 v6, 1.0, v32
	v_add_f32_e32 v4, -1.0, v6
	v_sub_f32_e32 v5, v4, v6
	v_add_f32_e32 v5, 1.0, v5
	v_sub_f32_e32 v4, v32, v4
	v_add_f32_e32 v7, v4, v5
	v_frexp_mant_f32_e32 v19, v6
	v_cvt_f64_f32_e32 v[4:5], v6
	v_frexp_exp_i32_f64_e32 v4, v[4:5]
	v_cmp_gt_f32_e32 vcc, s45, v19
	v_cmp_gt_f32_e64 s[36:37], s47, v32
	s_nop 0
	v_subbrev_co_u32_e32 v24, vcc, 0, v4, vcc
	v_sub_u32_e32 v4, 0, v24
	v_ldexp_f32 v5, v6, v4
	v_add_f32_e32 v6, -1.0, v5
	v_add_f32_e32 v19, 1.0, v5
	v_ldexp_f32 v4, v7, v4
	v_add_f32_e32 v7, 1.0, v6
	v_add_f32_e32 v20, -1.0, v19
	v_sub_f32_e32 v7, v5, v7
	v_sub_f32_e32 v5, v5, v20
	v_add_f32_e32 v7, v4, v7
	v_add_f32_e32 v4, v4, v5
	;; [unrolled: 1-line block ×3, first 2 shown]
	v_rcp_f32_e32 v26, v25
	v_sub_f32_e32 v5, v19, v25
	v_add_f32_e32 v19, v4, v5
	v_add_f32_e32 v5, v6, v7
	v_mul_f32_e32 v28, v5, v26
	v_sub_f32_e32 v4, v6, v5
	v_mul_f32_e32 v6, v25, v28
	v_fma_f32 v20, v28, v25, -v6
	v_fmac_f32_e32 v20, v28, v19
	v_add_f32_e32 v27, v7, v4
	v_add_f32_e32 v4, v6, v20
	v_sub_f32_e32 v7, v5, v4
	v_pk_add_f32 v[22:23], v[4:5], v[6:7] neg_lo:[0,1] neg_hi:[0,1]
	v_mov_b32_e32 v21, v4
	v_pk_add_f32 v[4:5], v[22:23], v[20:21] neg_lo:[0,1] neg_hi:[0,1]
	v_cmp_eq_f32_e32 vcc, s44, v32
	v_add_f32_e32 v5, v27, v5
	v_add_f32_e32 v4, v4, v5
	;; [unrolled: 1-line block ×3, first 2 shown]
	v_mul_f32_e32 v27, v26, v5
	v_mul_f32_e32 v6, v25, v27
	v_fma_f32 v20, v27, v25, -v6
	v_fmac_f32_e32 v20, v27, v19
	v_sub_f32_e32 v7, v7, v5
	v_add_f32_e32 v19, v4, v7
	v_add_f32_e32 v4, v6, v20
	v_sub_f32_e32 v7, v5, v4
	v_pk_add_f32 v[22:23], v[4:5], v[6:7] neg_lo:[0,1] neg_hi:[0,1]
	v_mov_b32_e32 v21, v4
	v_pk_add_f32 v[4:5], v[22:23], v[20:21] neg_lo:[0,1] neg_hi:[0,1]
	s_or_b64 vcc, s[36:37], vcc
	v_add_f32_e32 v5, v19, v5
	v_add_f32_e32 v4, v4, v5
	v_add_f32_e32 v5, v28, v27
	v_add_f32_e32 v4, v7, v4
	v_sub_f32_e32 v6, v5, v28
	v_mul_f32_e32 v4, v26, v4
	v_sub_f32_e32 v6, v27, v6
	v_add_f32_e32 v6, v6, v4
	v_add_f32_e32 v20, v5, v6
	v_mul_f32_e32 v21, v20, v20
	v_fmamk_f32 v4, v21, 0x3e9b6dac, v71
	v_fmaak_f32 v19, v21, v4, 0x3f2aaada
	v_cvt_f32_i32_e32 v4, v24
	v_sub_f32_e32 v5, v20, v5
	v_sub_f32_e32 v5, v6, v5
	v_ldexp_f32 v22, v5, 1
	v_mul_f32_e32 v5, v20, v21
	v_ldexp_f32 v7, v20, 1
	v_pk_mul_f32 v[20:21], v[4:5], v[18:19]
	s_nop 0
	v_fma_f32 v6, v4, s46, -v20
	v_fmac_f32_e32 v6, 0xb102e308, v4
	v_pk_add_f32 v[4:5], v[20:21], v[6:7]
	s_nop 0
	v_sub_f32_e32 v7, v5, v7
	v_sub_f32_e32 v7, v21, v7
	v_add_f32_e32 v23, v22, v7
	v_mov_b32_e32 v22, v20
	v_pk_add_f32 v[20:21], v[4:5], v[20:21] neg_lo:[0,1] neg_hi:[0,1]
	v_pk_add_f32 v[24:25], v[4:5], v[22:23]
	v_mov_b32_e32 v7, v4
	v_mov_b32_e32 v21, v25
	v_pk_add_f32 v[26:27], v[6:7], v[20:21] neg_lo:[0,1] neg_hi:[0,1]
	v_pk_add_f32 v[6:7], v[6:7], v[20:21]
	v_mov_b32_e32 v22, v23
	v_mov_b32_e32 v20, v7
	v_pk_add_f32 v[28:29], v[20:21], v[4:5] neg_lo:[0,1] neg_hi:[0,1]
	v_mov_b32_e32 v6, v25
	v_mov_b32_e32 v19, v28
	v_pk_add_f32 v[30:31], v[24:25], v[18:19] neg_lo:[0,1] neg_hi:[0,1]
	v_mov_b32_e32 v24, v5
	v_mov_b32_e32 v25, v28
	;; [unrolled: 1-line block ×3, first 2 shown]
	v_pk_add_f32 v[6:7], v[6:7], v[24:25] neg_lo:[0,1] neg_hi:[0,1]
	v_mov_b32_e32 v23, v4
	v_pk_add_f32 v[4:5], v[22:23], v[6:7] neg_lo:[0,1] neg_hi:[0,1]
	v_mov_b32_e32 v30, v26
	v_pk_add_f32 v[6:7], v[30:31], v[4:5]
	s_nop 0
	v_mov_b32_e32 v22, v7
	v_pk_add_f32 v[22:23], v[6:7], v[22:23]
	s_nop 0
	v_pk_add_f32 v[20:21], v[20:21], v[22:23]
	v_mov_b32_e32 v5, v22
	v_mov_b32_e32 v7, v20
	v_pk_add_f32 v[24:25], v[6:7], v[26:27] neg_lo:[0,1] neg_hi:[0,1]
	s_nop 0
	v_sub_f32_e32 v6, v6, v24
	v_pk_add_f32 v[4:5], v[4:5], v[24:25] neg_lo:[0,1] neg_hi:[0,1]
	v_sub_f32_e32 v6, v26, v6
	v_add_f32_e32 v4, v4, v6
	v_add_f32_e32 v4, v4, v5
	;; [unrolled: 1-line block ×3, first 2 shown]
	v_cndmask_b32_e32 v19, v4, v32, vcc
.LBB108_57:                             ;   in Loop: Header=BB108_11 Depth=1
	s_or_b64 exec, exec, s[38:39]
	v_cvt_f32_f16_e32 v4, v3
	v_cvt_f32_f16_sdwa v5, v2 dst_sel:DWORD dst_unused:UNUSED_PAD src0_sel:WORD_1
	v_cvt_f32_f16_e32 v2, v2
	v_cvt_f32_f16_sdwa v7, v3 dst_sel:DWORD dst_unused:UNUSED_PAD src0_sel:WORD_1
	v_cvt_f32_f16_sdwa v3, v1 dst_sel:DWORD dst_unused:UNUSED_PAD src0_sel:WORD_1
	v_cvt_f32_f16_e32 v1, v1
	v_cvt_f32_f16_sdwa v6, v0 dst_sel:DWORD dst_unused:UNUSED_PAD src0_sel:WORD_1
	v_cvt_f32_f16_e32 v0, v0
	v_readlane_b32 s36, v95, 1
	v_readlane_b32 s37, v95, 2
	v_mul_f32_e32 v22, s92, v4
	v_mul_f32_e32 v21, s92, v5
	;; [unrolled: 1-line block ×8, first 2 shown]
	s_and_b64 vcc, exec, s[36:37]
	s_waitcnt lgkmcnt(0)
	; wave barrier
	s_cbranch_vccz .LBB108_118
; %bb.58:                               ;   in Loop: Header=BB108_11 Depth=1
	s_cmp_lg_u32 s95, 0
	v_readlane_b32 s36, v95, 5
	v_mul_f32_e32 v89, v75, v0
	s_cselect_b64 s[78:79], -1, 0
	s_cmp_eq_u32 s95, s36
	v_cmp_gt_u32_e32 vcc, s50, v11
	v_or_b32_e32 v0, 1, v11
	s_cselect_b64 s[80:81], -1, 0
	s_or_b64 s[36:37], s[76:77], vcc
	v_cmp_gt_u32_e32 vcc, s50, v0
	v_or_b32_e32 v0, 2, v11
	s_or_b64 s[38:39], s[76:77], vcc
	v_cmp_gt_u32_e32 vcc, s50, v0
	v_or_b32_e32 v0, 3, v11
	s_or_b64 s[40:41], s[76:77], vcc
	v_cmp_gt_u32_e32 vcc, s50, v0
	v_or_b32_e32 v0, 4, v11
	s_or_b64 s[42:43], s[76:77], vcc
	v_cmp_gt_u32_e32 vcc, s50, v0
	v_or_b32_e32 v0, 5, v11
	s_or_b64 s[44:45], s[76:77], vcc
	v_cmp_gt_u32_e32 vcc, s50, v0
	v_or_b32_e32 v0, 6, v11
	s_or_b64 s[46:47], s[76:77], vcc
	v_cmp_gt_u32_e32 vcc, s50, v0
	s_mov_b32 s70, 0
	s_or_b64 s[48:49], s[76:77], vcc
	v_cmp_gt_u32_e32 vcc, s50, v70
	v_mul_f32_e32 v82, v19, v7
	v_lshl_add_u64 v[28:29], s[54:55], 0, v[8:9]
	v_lshl_add_u64 v[30:31], s[58:59], 0, v[8:9]
	v_mul_f32_e32 v83, v81, v4
	v_mul_f32_e32 v84, v80, v5
	;; [unrolled: 1-line block ×6, first 2 shown]
	s_or_b64 s[50:51], s[76:77], vcc
	s_mov_b32 s82, s70
	s_mov_b32 s84, s70
	;; [unrolled: 1-line block ×3, first 2 shown]
	v_readlane_b32 s67, v95, 0
	v_readlane_b32 s99, v95, 6
	s_branch .LBB108_60
.LBB108_59:                             ;   in Loop: Header=BB108_60 Depth=2
	s_or_b64 exec, exec, s[88:89]
	v_mul_f32_e32 v32, v90, v67
	v_fma_f32 v33, v90, v68, v4
	v_cndmask_b32_e64 v4, v33, v4, s[16:17]
	v_cndmask_b32_e64 v32, v32, v90, s[16:17]
	s_waitcnt lgkmcnt(0)
	v_fmac_f32_e32 v4, v38, v32
	v_fmac_f32_e32 v5, v4, v91
	;; [unrolled: 1-line block ×7, first 2 shown]
	v_cvt_f32_f16_sdwa v33, v0 dst_sel:DWORD dst_unused:UNUSED_PAD src0_sel:WORD_1
	v_cvt_f32_f16_sdwa v39, v1 dst_sel:DWORD dst_unused:UNUSED_PAD src0_sel:WORD_1
	v_cvt_f32_f16_e32 v32, v0
	v_cvt_f32_f16_e32 v38, v1
	v_cvt_f32_f16_sdwa v1, v2 dst_sel:DWORD dst_unused:UNUSED_PAD src0_sel:WORD_1
	v_cvt_f32_f16_sdwa v65, v3 dst_sel:DWORD dst_unused:UNUSED_PAD src0_sel:WORD_1
	v_cvt_f32_f16_e32 v64, v3
	v_cvt_f32_f16_e32 v0, v2
	v_fmac_f32_e32 v37, v36, v66
	s_add_i32 s99, s99, 8
	s_add_i32 s67, s67, -1
	s_add_i32 s86, s86, s94
	s_add_i32 s84, s84, s60
	;; [unrolled: 1-line block ×4, first 2 shown]
	v_pk_fma_f32 v[26:27], v[34:35], v[38:39], v[26:27]
	v_pk_fma_f32 v[24:25], v[4:5], v[32:33], v[24:25]
	;; [unrolled: 1-line block ×3, first 2 shown]
	s_cmp_eq_u32 s67, 0
	v_pk_fma_f32 v[20:21], v[6:7], v[0:1], v[20:21]
	s_cbranch_scc1 .LBB108_117
.LBB108_60:                             ;   Parent Loop BB108_11 Depth=1
                                        ; =>  This Inner Loop Header: Depth=2
	s_lshl_b64 s[88:89], s[70:71], 2
	s_add_u32 s88, s52, s88
	s_addc_u32 s89, s96, s89
	global_load_dword v34, v9, s[88:89]
	s_mov_b32 s83, s71
	v_lshl_add_u64 v[0:1], s[82:83], 1, v[28:29]
	v_mov_b32_e32 v2, 0
	v_mov_b32_e32 v3, 0
	s_and_saveexec_b64 s[88:89], s[18:19]
	s_cbranch_execnz .LBB108_80
; %bb.61:                               ;   in Loop: Header=BB108_60 Depth=2
	s_or_b64 exec, exec, s[88:89]
	s_and_saveexec_b64 s[88:89], s[20:21]
	s_cbranch_execnz .LBB108_81
.LBB108_62:                             ;   in Loop: Header=BB108_60 Depth=2
	s_or_b64 exec, exec, s[88:89]
	v_mov_b32_e32 v4, 0
	s_and_saveexec_b64 s[88:89], s[22:23]
	s_cbranch_execnz .LBB108_82
.LBB108_63:                             ;   in Loop: Header=BB108_60 Depth=2
	s_or_b64 exec, exec, s[88:89]
	s_and_saveexec_b64 s[88:89], s[24:25]
	s_cbranch_execnz .LBB108_83
.LBB108_64:                             ;   in Loop: Header=BB108_60 Depth=2
	s_or_b64 exec, exec, s[88:89]
	v_mov_b32_e32 v5, 0
	s_and_saveexec_b64 s[88:89], s[26:27]
	s_cbranch_execnz .LBB108_84
.LBB108_65:                             ;   in Loop: Header=BB108_60 Depth=2
	s_or_b64 exec, exec, s[88:89]
	s_and_saveexec_b64 s[88:89], s[28:29]
	s_cbranch_execnz .LBB108_85
.LBB108_66:                             ;   in Loop: Header=BB108_60 Depth=2
	s_or_b64 exec, exec, s[88:89]
	v_mov_b32_e32 v6, 0
	s_and_saveexec_b64 s[88:89], s[30:31]
	s_cbranch_execnz .LBB108_86
.LBB108_67:                             ;   in Loop: Header=BB108_60 Depth=2
	s_or_b64 exec, exec, s[88:89]
	s_and_saveexec_b64 s[88:89], s[34:35]
	s_cbranch_execz .LBB108_69
.LBB108_68:                             ;   in Loop: Header=BB108_60 Depth=2
	global_load_ushort v0, v[0:1], off offset:896
	s_waitcnt vmcnt(0)
	v_lshl_or_b32 v6, v0, 16, v6
.LBB108_69:                             ;   in Loop: Header=BB108_60 Depth=2
	s_or_b64 exec, exec, s[88:89]
	s_waitcnt vmcnt(0)
	ds_write_b16 v47, v3
	ds_write_b16 v48, v2 offset:128
	ds_write_b16 v49, v4 offset:256
	ds_write_b16_d16_hi v50, v4 offset:384
	ds_write_b16 v51, v5 offset:512
	ds_write_b16_d16_hi v52, v5 offset:640
	;; [unrolled: 2-line block ×3, first 2 shown]
	; wave barrier
	ds_read_b128 v[4:7], v55
	s_mov_b32 s85, s71
	v_lshl_add_u64 v[0:1], s[84:85], 1, v[30:31]
	v_mov_b32_e32 v2, 0
	v_mov_b32_e32 v3, 0
	s_and_saveexec_b64 s[88:89], s[18:19]
	s_cbranch_execnz .LBB108_87
; %bb.70:                               ;   in Loop: Header=BB108_60 Depth=2
	s_or_b64 exec, exec, s[88:89]
	s_and_saveexec_b64 s[88:89], s[20:21]
	s_cbranch_execnz .LBB108_88
.LBB108_71:                             ;   in Loop: Header=BB108_60 Depth=2
	s_or_b64 exec, exec, s[88:89]
	v_mov_b32_e32 v32, 0
	s_and_saveexec_b64 s[88:89], s[22:23]
	s_cbranch_execnz .LBB108_89
.LBB108_72:                             ;   in Loop: Header=BB108_60 Depth=2
	s_or_b64 exec, exec, s[88:89]
	s_and_saveexec_b64 s[88:89], s[24:25]
	s_cbranch_execnz .LBB108_90
.LBB108_73:                             ;   in Loop: Header=BB108_60 Depth=2
	s_or_b64 exec, exec, s[88:89]
	v_mov_b32_e32 v33, 0
	s_and_saveexec_b64 s[88:89], s[26:27]
	s_cbranch_execnz .LBB108_91
.LBB108_74:                             ;   in Loop: Header=BB108_60 Depth=2
	s_or_b64 exec, exec, s[88:89]
	s_and_saveexec_b64 s[88:89], s[28:29]
	s_cbranch_execnz .LBB108_92
.LBB108_75:                             ;   in Loop: Header=BB108_60 Depth=2
	s_or_b64 exec, exec, s[88:89]
	v_mov_b32_e32 v35, 0
	s_and_saveexec_b64 s[88:89], s[30:31]
	s_cbranch_execnz .LBB108_93
.LBB108_76:                             ;   in Loop: Header=BB108_60 Depth=2
	s_or_b64 exec, exec, s[88:89]
	s_and_saveexec_b64 s[88:89], s[34:35]
	s_cbranch_execz .LBB108_78
.LBB108_77:                             ;   in Loop: Header=BB108_60 Depth=2
	global_load_ushort v0, v[0:1], off offset:896
	s_waitcnt vmcnt(0)
	v_lshl_or_b32 v35, v0, 16, v35
.LBB108_78:                             ;   in Loop: Header=BB108_60 Depth=2
	s_or_b64 exec, exec, s[88:89]
	s_waitcnt vmcnt(0)
	ds_write_b16 v47, v3 offset:1056
	ds_write_b16 v56, v2 offset:128
	;; [unrolled: 1-line block ×3, first 2 shown]
	ds_write_b16_d16_hi v58, v32 offset:384
	ds_write_b16 v59, v33 offset:512
	ds_write_b16_d16_hi v60, v33 offset:640
	ds_write_b16 v61, v35 offset:768
	ds_write_b16_d16_hi v62, v35 offset:896
	; wave barrier
	ds_read_b128 v[0:3], v55 offset:1056
	s_andn2_b64 vcc, exec, s[78:79]
	s_cbranch_vccnz .LBB108_94
; %bb.79:                               ;   in Loop: Header=BB108_60 Depth=2
	v_mov_b32_e32 v32, s99
	ds_read_b64 v[32:33], v32
	s_cbranch_execz .LBB108_95
	s_branch .LBB108_98
.LBB108_80:                             ;   in Loop: Header=BB108_60 Depth=2
	global_load_ushort v3, v[0:1], off
	s_or_b64 exec, exec, s[88:89]
	s_and_saveexec_b64 s[88:89], s[20:21]
	s_cbranch_execz .LBB108_62
.LBB108_81:                             ;   in Loop: Header=BB108_60 Depth=2
	global_load_ushort v2, v[0:1], off offset:128
	s_or_b64 exec, exec, s[88:89]
	v_mov_b32_e32 v4, 0
	s_and_saveexec_b64 s[88:89], s[22:23]
	s_cbranch_execz .LBB108_63
.LBB108_82:                             ;   in Loop: Header=BB108_60 Depth=2
	global_load_ushort v4, v[0:1], off offset:256
	s_or_b64 exec, exec, s[88:89]
	s_and_saveexec_b64 s[88:89], s[24:25]
	s_cbranch_execz .LBB108_64
.LBB108_83:                             ;   in Loop: Header=BB108_60 Depth=2
	global_load_ushort v5, v[0:1], off offset:384
	s_waitcnt vmcnt(0)
	v_lshl_or_b32 v4, v5, 16, v4
	s_or_b64 exec, exec, s[88:89]
	v_mov_b32_e32 v5, 0
	s_and_saveexec_b64 s[88:89], s[26:27]
	s_cbranch_execz .LBB108_65
.LBB108_84:                             ;   in Loop: Header=BB108_60 Depth=2
	global_load_ushort v5, v[0:1], off offset:512
	s_or_b64 exec, exec, s[88:89]
	s_and_saveexec_b64 s[88:89], s[28:29]
	s_cbranch_execz .LBB108_66
.LBB108_85:                             ;   in Loop: Header=BB108_60 Depth=2
	global_load_ushort v6, v[0:1], off offset:640
	s_waitcnt vmcnt(0)
	v_lshl_or_b32 v5, v6, 16, v5
	s_or_b64 exec, exec, s[88:89]
	v_mov_b32_e32 v6, 0
	s_and_saveexec_b64 s[88:89], s[30:31]
	s_cbranch_execz .LBB108_67
.LBB108_86:                             ;   in Loop: Header=BB108_60 Depth=2
	global_load_ushort v6, v[0:1], off offset:768
	s_or_b64 exec, exec, s[88:89]
	s_and_saveexec_b64 s[88:89], s[34:35]
	s_cbranch_execnz .LBB108_68
	s_branch .LBB108_69
.LBB108_87:                             ;   in Loop: Header=BB108_60 Depth=2
	global_load_ushort v3, v[0:1], off
	s_or_b64 exec, exec, s[88:89]
	s_and_saveexec_b64 s[88:89], s[20:21]
	s_cbranch_execz .LBB108_71
.LBB108_88:                             ;   in Loop: Header=BB108_60 Depth=2
	global_load_ushort v2, v[0:1], off offset:128
	s_or_b64 exec, exec, s[88:89]
	v_mov_b32_e32 v32, 0
	s_and_saveexec_b64 s[88:89], s[22:23]
	s_cbranch_execz .LBB108_72
.LBB108_89:                             ;   in Loop: Header=BB108_60 Depth=2
	global_load_ushort v32, v[0:1], off offset:256
	s_or_b64 exec, exec, s[88:89]
	s_and_saveexec_b64 s[88:89], s[24:25]
	s_cbranch_execz .LBB108_73
.LBB108_90:                             ;   in Loop: Header=BB108_60 Depth=2
	global_load_ushort v33, v[0:1], off offset:384
	s_waitcnt vmcnt(0)
	v_lshl_or_b32 v32, v33, 16, v32
	s_or_b64 exec, exec, s[88:89]
	v_mov_b32_e32 v33, 0
	s_and_saveexec_b64 s[88:89], s[26:27]
	s_cbranch_execz .LBB108_74
.LBB108_91:                             ;   in Loop: Header=BB108_60 Depth=2
	global_load_ushort v33, v[0:1], off offset:512
	s_or_b64 exec, exec, s[88:89]
	s_and_saveexec_b64 s[88:89], s[28:29]
	s_cbranch_execz .LBB108_75
.LBB108_92:                             ;   in Loop: Header=BB108_60 Depth=2
	global_load_ushort v35, v[0:1], off offset:640
	s_waitcnt vmcnt(0)
	v_lshl_or_b32 v33, v35, 16, v33
	s_or_b64 exec, exec, s[88:89]
	v_mov_b32_e32 v35, 0
	s_and_saveexec_b64 s[88:89], s[30:31]
	s_cbranch_execz .LBB108_76
.LBB108_93:                             ;   in Loop: Header=BB108_60 Depth=2
	global_load_ushort v35, v[0:1], off offset:768
	s_or_b64 exec, exec, s[88:89]
	s_and_saveexec_b64 s[88:89], s[34:35]
	s_cbranch_execnz .LBB108_77
	s_branch .LBB108_78
.LBB108_94:                             ;   in Loop: Header=BB108_60 Depth=2
                                        ; implicit-def: $vgpr33
.LBB108_95:                             ;   in Loop: Header=BB108_60 Depth=2
	s_andn2_b64 vcc, exec, s[68:69]
	s_waitcnt lgkmcnt(0)
	v_mov_b32_e32 v33, 0
	s_cbranch_vccnz .LBB108_97
; %bb.96:                               ;   in Loop: Header=BB108_60 Depth=2
	s_mov_b32 s87, s71
	s_lshl_b64 s[88:89], s[86:87], 2
	s_add_u32 s88, s57, s88
	s_addc_u32 s89, s61, s89
	global_load_dword v33, v9, s[88:89]
.LBB108_97:                             ;   in Loop: Header=BB108_60 Depth=2
	v_mov_b32_e32 v32, 1.0
.LBB108_98:                             ;   in Loop: Header=BB108_60 Depth=2
	v_mul_f32_e32 v65, 0x3fb8aa3b, v34
	s_waitcnt lgkmcnt(9)
	v_cvt_f32_f16_e32 v35, v4
	v_cvt_f32_f16_sdwa v36, v4 dst_sel:DWORD dst_unused:UNUSED_PAD src0_sel:WORD_1
	v_mul_f32_e32 v4, v65, v75
	v_cmp_gt_f32_e32 vcc, s98, v4
	v_cvt_f32_f16_e32 v39, v6
	v_cvt_f32_f16_sdwa v64, v6 dst_sel:DWORD dst_unused:UNUSED_PAD src0_sel:WORD_1
	v_cndmask_b32_e32 v4, 0, v73, vcc
	v_mul_f32_e32 v6, v65, v76
	v_cvt_f32_f16_e32 v37, v5
	v_cvt_f32_f16_sdwa v38, v5 dst_sel:DWORD dst_unused:UNUSED_PAD src0_sel:WORD_1
	v_fmac_f32_e32 v4, v65, v75
	v_cndmask_b32_e32 v5, 1.0, v74, vcc
	v_cmp_gt_f32_e32 vcc, s98, v6
	v_exp_f32_e32 v4, v4
	v_cvt_f32_f16_e32 v66, v7
	v_cndmask_b32_e32 v6, 0, v73, vcc
	v_fmac_f32_e32 v6, v65, v76
	v_exp_f32_e32 v6, v6
	v_cvt_f32_f16_sdwa v67, v7 dst_sel:DWORD dst_unused:UNUSED_PAD src0_sel:WORD_1
	v_mul_f32_e32 v5, v4, v5
	v_mul_f32_e32 v7, v65, v77
	v_cndmask_b32_e64 v90, 1.0, v5, s[36:37]
	v_cndmask_b32_e32 v5, 1.0, v74, vcc
	v_cmp_gt_f32_e32 vcc, s98, v7
	v_mul_f32_e32 v6, v6, v5
	v_mul_f32_e32 v34, v65, v78
	v_cndmask_b32_e32 v7, 0, v73, vcc
	v_fmac_f32_e32 v7, v65, v77
	v_cndmask_b32_e64 v91, 1.0, v6, s[38:39]
	v_cndmask_b32_e32 v6, 1.0, v74, vcc
	v_cmp_gt_f32_e32 vcc, s98, v34
	v_exp_f32_e32 v7, v7
	v_mul_f32_e32 v4, v89, v35
	v_cndmask_b32_e32 v34, 0, v73, vcc
	v_fmac_f32_e32 v34, v65, v78
	v_exp_f32_e32 v35, v34
	v_mul_f32_e32 v6, v7, v6
	v_cndmask_b32_e64 v92, 1.0, v6, s[40:41]
	v_cndmask_b32_e32 v6, 1.0, v74, vcc
	v_mul_f32_e32 v6, v35, v6
	v_mul_f32_e32 v35, v65, v79
	v_cmp_gt_f32_e32 vcc, s98, v35
	v_mul_f32_e32 v5, v88, v36
	v_mul_f32_e32 v7, v87, v37
	v_cndmask_b32_e32 v35, 0, v73, vcc
	v_fmac_f32_e32 v35, v65, v79
	v_exp_f32_e32 v36, v35
	v_cndmask_b32_e64 v34, 0, v7, s[40:41]
	v_mul_f32_e32 v7, v86, v38
	v_cndmask_b32_e64 v93, 1.0, v6, s[42:43]
	v_cndmask_b32_e32 v6, 1.0, v74, vcc
	v_cndmask_b32_e64 v35, 0, v7, s[42:43]
	v_mul_f32_e32 v7, v36, v6
	v_mul_f32_e32 v36, v65, v80
	v_cmp_gt_f32_e32 vcc, s98, v36
	v_mul_f32_e32 v37, v65, v81
	v_cndmask_b32_e64 v94, 1.0, v7, s[44:45]
	v_cndmask_b32_e32 v36, 0, v73, vcc
	v_fmac_f32_e32 v36, v65, v80
	v_exp_f32_e32 v36, v36
	v_cndmask_b32_e32 v7, 1.0, v74, vcc
	v_cmp_gt_f32_e32 vcc, s98, v37
	v_mul_f32_e32 v38, v65, v19
	v_mul_f32_e32 v36, v36, v7
	v_cndmask_b32_e32 v37, 0, v73, vcc
	v_mul_f32_e32 v7, v84, v64
	v_fmac_f32_e32 v37, v65, v81
	v_cndmask_b32_e64 v64, 1.0, v36, s[46:47]
	v_cndmask_b32_e32 v36, 1.0, v74, vcc
	v_cmp_gt_f32_e32 vcc, s98, v38
	v_exp_f32_e32 v37, v37
	v_cndmask_b32_e64 v4, 0, v4, s[36:37]
	v_cndmask_b32_e32 v38, 0, v73, vcc
	v_fmac_f32_e32 v38, v65, v19
	v_exp_f32_e32 v38, v38
	v_mul_f32_e32 v37, v37, v36
	v_cndmask_b32_e64 v65, 1.0, v37, s[48:49]
	v_cndmask_b32_e32 v37, 1.0, v74, vcc
	v_cndmask_b32_e64 v5, 0, v5, s[38:39]
	v_mul_f32_e32 v38, v38, v37
	v_mul_f32_e32 v6, v85, v39
	;; [unrolled: 1-line block ×3, first 2 shown]
	v_cndmask_b32_e64 v66, 1.0, v38, s[50:51]
	v_mul_f32_e32 v38, v91, v90
	v_fma_f32 v39, v91, v4, v5
	v_mul_f32_e32 v38, v38, v92
	v_fma_f32 v39, v39, v92, v34
	v_cndmask_b32_e64 v6, 0, v6, s[44:45]
	v_mul_f32_e32 v38, v38, v93
	v_fma_f32 v39, v39, v93, v35
	v_cndmask_b32_e64 v7, 0, v7, s[46:47]
	;; [unrolled: 3-line block ×3, first 2 shown]
	v_mul_f32_e32 v37, v82, v67
	v_mul_f32_e32 v38, v38, v64
	v_fma_f32 v39, v39, v64, v7
	v_cndmask_b32_e64 v37, 0, v37, s[50:51]
	v_mul_f32_e32 v38, v38, v65
	v_fma_f32 v39, v39, v65, v36
	v_mul_f32_e32 v38, v38, v66
	v_fma_f32 v69, v39, v66, v37
	s_nop 0
	v_mov_b32_dpp v68, v38 row_shr:1 row_mask:0xf bank_mask:0xf
	v_mov_b32_dpp v67, v69 row_shr:1 row_mask:0xf bank_mask:0xf
	s_and_saveexec_b64 s[88:89], s[0:1]
; %bb.99:                               ;   in Loop: Header=BB108_60 Depth=2
	v_mul_f32_e32 v68, v38, v68
	v_fmac_f32_e32 v69, v38, v67
	v_mov_b32_e32 v38, v68
; %bb.100:                              ;   in Loop: Header=BB108_60 Depth=2
	s_or_b64 exec, exec, s[88:89]
	s_nop 0
	v_mov_b32_dpp v67, v38 row_shr:2 row_mask:0xf bank_mask:0xf
	v_mov_b32_dpp v68, v69 row_shr:2 row_mask:0xf bank_mask:0xf
	s_and_saveexec_b64 s[88:89], s[2:3]
; %bb.101:                              ;   in Loop: Header=BB108_60 Depth=2
	v_fmac_f32_e32 v69, v38, v68
	v_mul_f32_e32 v38, v38, v67
; %bb.102:                              ;   in Loop: Header=BB108_60 Depth=2
	s_or_b64 exec, exec, s[88:89]
	s_nop 0
	v_mov_b32_dpp v67, v38 row_shr:4 row_mask:0xf bank_mask:0xf
	v_mov_b32_dpp v68, v69 row_shr:4 row_mask:0xf bank_mask:0xf
	s_and_saveexec_b64 s[88:89], s[4:5]
; %bb.103:                              ;   in Loop: Header=BB108_60 Depth=2
	v_fmac_f32_e32 v69, v38, v68
	v_mul_f32_e32 v38, v38, v67
	;; [unrolled: 9-line block ×3, first 2 shown]
; %bb.106:                              ;   in Loop: Header=BB108_60 Depth=2
	s_or_b64 exec, exec, s[88:89]
	s_nop 0
	v_mov_b32_dpp v67, v38 row_bcast:15 row_mask:0xf bank_mask:0xf
	v_mov_b32_dpp v68, v69 row_bcast:15 row_mask:0xf bank_mask:0xf
	s_and_saveexec_b64 s[88:89], s[8:9]
; %bb.107:                              ;   in Loop: Header=BB108_60 Depth=2
	v_fmac_f32_e32 v69, v38, v68
	v_mul_f32_e32 v38, v38, v67
; %bb.108:                              ;   in Loop: Header=BB108_60 Depth=2
	s_or_b64 exec, exec, s[88:89]
	s_nop 0
	v_mov_b32_dpp v67, v38 row_bcast:31 row_mask:0xf bank_mask:0xf
	v_mov_b32_dpp v68, v69 row_bcast:31 row_mask:0xf bank_mask:0xf
	v_mov_b32_e32 v39, v69
	v_mul_f32_e32 v67, v38, v67
	v_fmac_f32_e32 v39, v38, v68
	v_cndmask_b32_e64 v38, v38, v67, s[10:11]
	v_cndmask_b32_e64 v39, v69, v39, s[10:11]
	s_and_saveexec_b64 s[88:89], s[12:13]
	s_cbranch_execz .LBB108_110
; %bb.109:                              ;   in Loop: Header=BB108_60 Depth=2
	ds_write_b64 v9, v[38:39] offset:2112
.LBB108_110:                            ;   in Loop: Header=BB108_60 Depth=2
	s_or_b64 exec, exec, s[88:89]
	ds_bpermute_b32 v67, v63, v38
	ds_bpermute_b32 v68, v63, v39
	s_waitcnt vmcnt(0) lgkmcnt(2)
	v_mov_b32_e32 v39, v33
	s_waitcnt lgkmcnt(0)
	; wave barrier
	s_waitcnt lgkmcnt(0)
	s_and_saveexec_b64 s[88:89], s[14:15]
	s_cbranch_execz .LBB108_114
; %bb.111:                              ;   in Loop: Header=BB108_60 Depth=2
	ds_read_b64 v[38:39], v9 offset:2112
	s_and_saveexec_b64 s[90:91], s[16:17]
	s_cbranch_execz .LBB108_113
; %bb.112:                              ;   in Loop: Header=BB108_60 Depth=2
	ds_write_b64 v9, v[32:33] offset:2112
.LBB108_113:                            ;   in Loop: Header=BB108_60 Depth=2
	s_or_b64 exec, exec, s[90:91]
	s_waitcnt lgkmcnt(0)
	v_fmac_f32_e32 v39, v33, v38
	v_mul_f32_e32 v32, v32, v38
	v_mov_b32_e32 v33, v39
.LBB108_114:                            ;   in Loop: Header=BB108_60 Depth=2
	s_or_b64 exec, exec, s[88:89]
	s_waitcnt lgkmcnt(0)
	; wave barrier
	ds_read_b32 v38, v9 offset:2116
	s_and_saveexec_b64 s[88:89], s[16:17]
	s_cbranch_execz .LBB108_59
; %bb.115:                              ;   in Loop: Header=BB108_60 Depth=2
	v_mov_b32_e32 v69, s99
	s_andn2_b64 vcc, exec, s[80:81]
	ds_write_b64 v69, v[32:33]
	s_cbranch_vccnz .LBB108_59
; %bb.116:                              ;   in Loop: Header=BB108_60 Depth=2
	s_mov_b32 s87, s71
	s_lshl_b64 s[90:91], s[86:87], 2
	s_add_u32 s90, s57, s90
	s_addc_u32 s91, s61, s91
	global_store_dword v9, v39, s[90:91]
	s_branch .LBB108_59
.LBB108_117:                            ;   in Loop: Header=BB108_11 Depth=1
	s_mov_b32 s40, 0x41a00000
	s_mov_b32 s41, 0x3fb8aa3b
	;; [unrolled: 1-line block ×8, first 2 shown]
.LBB108_118:                            ;   in Loop: Header=BB108_11 Depth=1
	v_cvt_f16_f32_e32 v0, v24
	v_cvt_f16_f32_e32 v1, v26
	;; [unrolled: 1-line block ×8, first 2 shown]
	v_pack_b32_f16 v3, v3, v4
	v_pack_b32_f16 v2, v2, v5
	;; [unrolled: 1-line block ×4, first 2 shown]
	s_waitcnt lgkmcnt(0)
	; wave barrier
	ds_write_b128 v55, v[0:3]
	; wave barrier
	ds_read_u16 v19, v48 offset:128
	ds_read_u16 v7, v49 offset:256
	;; [unrolled: 1-line block ×7, first 2 shown]
	s_mov_b32 s67, s71
	v_lshl_add_u64 v[0:1], s[66:67], 1, v[12:13]
	s_and_saveexec_b64 s[36:37], s[18:19]
	s_cbranch_execnz .LBB108_153
; %bb.119:                              ;   in Loop: Header=BB108_11 Depth=1
	s_or_b64 exec, exec, s[36:37]
	s_and_saveexec_b64 s[36:37], s[20:21]
	s_cbranch_execnz .LBB108_154
.LBB108_120:                            ;   in Loop: Header=BB108_11 Depth=1
	s_or_b64 exec, exec, s[36:37]
	s_and_saveexec_b64 s[36:37], s[22:23]
	s_cbranch_execnz .LBB108_155
.LBB108_121:                            ;   in Loop: Header=BB108_11 Depth=1
	s_or_b64 exec, exec, s[36:37]
	s_and_saveexec_b64 s[36:37], s[24:25]
	s_cbranch_execnz .LBB108_156
.LBB108_122:                            ;   in Loop: Header=BB108_11 Depth=1
	s_or_b64 exec, exec, s[36:37]
	s_and_saveexec_b64 s[36:37], s[26:27]
	s_cbranch_execnz .LBB108_157
.LBB108_123:                            ;   in Loop: Header=BB108_11 Depth=1
	s_or_b64 exec, exec, s[36:37]
	s_and_saveexec_b64 s[36:37], s[28:29]
	s_cbranch_execnz .LBB108_158
.LBB108_124:                            ;   in Loop: Header=BB108_11 Depth=1
	s_or_b64 exec, exec, s[36:37]
	s_and_saveexec_b64 s[36:37], s[30:31]
	s_cbranch_execnz .LBB108_159
.LBB108_125:                            ;   in Loop: Header=BB108_11 Depth=1
	s_or_b64 exec, exec, s[36:37]
	s_and_saveexec_b64 s[36:37], s[34:35]
	s_cbranch_execz .LBB108_127
.LBB108_126:                            ;   in Loop: Header=BB108_11 Depth=1
	s_waitcnt lgkmcnt(0)
	global_store_short v[0:1], v2, off offset:896
.LBB108_127:                            ;   in Loop: Header=BB108_11 Depth=1
	s_or_b64 exec, exec, s[36:37]
	v_lshl_add_u64 v[0:1], s[66:67], 1, v[14:15]
	s_waitcnt lgkmcnt(0)
	v_mov_b32_e32 v2, 0
	v_mov_b32_e32 v3, 0
	s_waitcnt lgkmcnt(0)
	; wave barrier
	s_and_saveexec_b64 s[36:37], s[18:19]
	s_cbranch_execz .LBB108_129
; %bb.128:                              ;   in Loop: Header=BB108_11 Depth=1
	global_load_ushort v3, v[0:1], off
.LBB108_129:                            ;   in Loop: Header=BB108_11 Depth=1
	s_or_b64 exec, exec, s[36:37]
	s_and_saveexec_b64 s[36:37], s[20:21]
	s_cbranch_execz .LBB108_131
; %bb.130:                              ;   in Loop: Header=BB108_11 Depth=1
	global_load_ushort v2, v[0:1], off offset:128
.LBB108_131:                            ;   in Loop: Header=BB108_11 Depth=1
	s_or_b64 exec, exec, s[36:37]
	v_mov_b32_e32 v4, 0
	v_mov_b32_e32 v5, 0
	s_and_saveexec_b64 s[36:37], s[22:23]
	s_cbranch_execz .LBB108_133
; %bb.132:                              ;   in Loop: Header=BB108_11 Depth=1
	global_load_ushort v5, v[0:1], off offset:256
.LBB108_133:                            ;   in Loop: Header=BB108_11 Depth=1
	s_or_b64 exec, exec, s[36:37]
	s_and_saveexec_b64 s[36:37], s[24:25]
	s_cbranch_execz .LBB108_135
; %bb.134:                              ;   in Loop: Header=BB108_11 Depth=1
	global_load_ushort v4, v[0:1], off offset:384
.LBB108_135:                            ;   in Loop: Header=BB108_11 Depth=1
	s_or_b64 exec, exec, s[36:37]
	v_mov_b32_e32 v6, 0
	v_mov_b32_e32 v7, 0
	s_and_saveexec_b64 s[36:37], s[26:27]
	s_cbranch_execz .LBB108_137
; %bb.136:                              ;   in Loop: Header=BB108_11 Depth=1
	global_load_ushort v7, v[0:1], off offset:512
.LBB108_137:                            ;   in Loop: Header=BB108_11 Depth=1
	;; [unrolled: 14-line block ×3, first 2 shown]
	s_or_b64 exec, exec, s[36:37]
	s_and_saveexec_b64 s[36:37], s[34:35]
	s_cbranch_execz .LBB108_143
; %bb.142:                              ;   in Loop: Header=BB108_11 Depth=1
	global_load_ushort v19, v[0:1], off offset:896
.LBB108_143:                            ;   in Loop: Header=BB108_11 Depth=1
	s_or_b64 exec, exec, s[36:37]
	s_waitcnt vmcnt(0)
	ds_write_b16 v47, v3
	ds_write_b16 v48, v2 offset:128
	ds_write_b16 v49, v5 offset:256
	;; [unrolled: 1-line block ×7, first 2 shown]
	; wave barrier
	ds_read_b128 v[0:3], v55
	s_waitcnt lgkmcnt(0)
	; wave barrier
	s_waitcnt lgkmcnt(0)
	v_cvt_f32_f16_e32 v6, v0
	v_cvt_f32_f16_e32 v28, v1
	v_cvt_f32_f16_sdwa v19, v1 dst_sel:DWORD dst_unused:UNUSED_PAD src0_sel:WORD_1
	v_mul_f32_e32 v4, 0xbfb8aa3b, v6
	v_rndne_f32_e32 v5, v4
	v_sub_f32_e32 v7, v4, v5
	v_fma_mix_f32 v4, v0, s74, -v4 op_sel_hi:[1,0,0]
	v_cvt_i32_f32_e32 v5, v5
	v_fma_mix_f32 v4, v0, s75, v4 op_sel_hi:[1,0,0]
	v_cmp_nlt_f32_e32 vcc, s97, v6
	v_add_f32_e32 v4, v7, v4
	v_exp_f32_e32 v4, v4
	v_cvt_f32_f16_sdwa v7, v0 dst_sel:DWORD dst_unused:UNUSED_PAD src0_sel:WORD_1
	v_ldexp_f32 v4, v4, v5
	v_mul_f32_e32 v5, 0xbfb8aa3b, v7
	v_rndne_f32_e32 v29, v5
	v_sub_f32_e32 v30, v5, v29
	v_fma_mix_f32 v5, v0, s74, -v5 op_sel:[1,0,0] op_sel_hi:[1,0,0]
	v_cndmask_b32_e32 v4, 0, v4, vcc
	v_fma_mix_f32 v0, v0, s75, v5 op_sel:[1,0,0] op_sel_hi:[1,0,0]
	v_cvt_i32_f32_e32 v5, v29
	v_add_f32_e32 v0, v30, v0
	v_exp_f32_e32 v0, v0
	v_cmp_ngt_f32_e32 vcc, s93, v6
	v_ldexp_f32 v0, v0, v5
	v_mul_f32_e32 v5, 0xbfb8aa3b, v28
	v_rndne_f32_e32 v29, v5
	v_sub_f32_e32 v30, v5, v29
	v_fma_mix_f32 v5, v1, s74, -v5 op_sel_hi:[1,0,0]
	v_cvt_i32_f32_e32 v29, v29
	v_fma_mix_f32 v5, v1, s75, v5 op_sel_hi:[1,0,0]
	v_cndmask_b32_e32 v4, v72, v4, vcc
	v_add_f32_e32 v5, v30, v5
	v_exp_f32_e32 v30, v5
	v_cmp_nlt_f32_e32 vcc, s97, v7
	s_nop 1
	v_cndmask_b32_e32 v0, 0, v0, vcc
	v_cmp_ngt_f32_e32 vcc, s93, v7
	s_nop 1
	v_cndmask_b32_e32 v5, v72, v0, vcc
	v_ldexp_f32 v0, v30, v29
	v_mul_f32_e32 v29, 0xbfb8aa3b, v19
	v_rndne_f32_e32 v30, v29
	v_sub_f32_e32 v31, v29, v30
	v_fma_mix_f32 v29, v1, s74, -v29 op_sel:[1,0,0] op_sel_hi:[1,0,0]
	v_pk_add_f32 v[4:5], v[4:5], 1.0 op_sel_hi:[1,0]
	v_fma_mix_f32 v1, v1, s75, v29 op_sel:[1,0,0] op_sel_hi:[1,0,0]
	v_cvt_i32_f32_e32 v29, v30
	v_add_f32_e32 v1, v31, v1
	v_exp_f32_e32 v1, v1
	v_cmp_nlt_f32_e32 vcc, s97, v28
	v_ldexp_f32 v1, v1, v29
	v_div_scale_f32 v29, s[36:37], v5, v5, v7
	v_rcp_f32_e32 v30, v29
	v_cndmask_b32_e32 v0, 0, v0, vcc
	v_cmp_ngt_f32_e32 vcc, s93, v28
	v_fma_f32 v31, -v29, v30, 1.0
	s_nop 0
	v_cndmask_b32_e32 v0, v72, v0, vcc
	v_cmp_nlt_f32_e32 vcc, s97, v19
	v_fmac_f32_e32 v30, v31, v30
	s_nop 0
	v_cndmask_b32_e32 v1, 0, v1, vcc
	v_cmp_ngt_f32_e32 vcc, s93, v19
	s_nop 1
	v_cndmask_b32_e32 v1, v72, v1, vcc
	v_div_scale_f32 v31, vcc, v7, v5, v7
	v_mul_f32_e32 v32, v31, v30
	v_fma_f32 v33, -v29, v32, v31
	v_fmac_f32_e32 v32, v33, v30
	v_fma_f32 v29, -v29, v32, v31
	v_div_scale_f32 v31, s[36:37], v4, v4, v6
	v_rcp_f32_e32 v33, v31
	v_div_fmas_f32 v29, v29, v30, v32
	v_div_fixup_f32 v5, v29, v5, v7
	v_pk_add_f32 v[0:1], v[0:1], 1.0 op_sel_hi:[1,0]
	v_fma_f32 v7, -v31, v33, 1.0
	v_fmac_f32_e32 v33, v7, v33
	v_div_scale_f32 v7, vcc, v6, v4, v6
	v_mul_f32_e32 v29, v7, v33
	v_fma_f32 v30, -v31, v29, v7
	v_fmac_f32_e32 v29, v30, v33
	v_div_scale_f32 v30, s[36:37], v1, v1, v19
	v_fma_f32 v7, -v31, v29, v7
	v_rcp_f32_e32 v31, v30
	v_div_fmas_f32 v7, v7, v33, v29
	v_div_fixup_f32 v4, v7, v4, v6
	v_pk_mul_f32 v[4:5], v[24:25], v[4:5]
	v_fma_f32 v6, -v30, v31, 1.0
	v_fmac_f32_e32 v31, v6, v31
	v_div_scale_f32 v6, vcc, v19, v1, v19
	v_mul_f32_e32 v7, v6, v31
	v_fma_f32 v29, -v30, v7, v6
	v_fmac_f32_e32 v7, v29, v31
	v_div_scale_f32 v29, s[36:37], v0, v0, v28
	v_fma_f32 v6, -v30, v7, v6
	v_rcp_f32_e32 v30, v29
	v_div_fmas_f32 v6, v6, v31, v7
	v_div_fixup_f32 v1, v6, v1, v19
	v_cvt_f32_f16_sdwa v25, v3 dst_sel:DWORD dst_unused:UNUSED_PAD src0_sel:WORD_1
	v_fma_f32 v6, -v29, v30, 1.0
	v_fmac_f32_e32 v30, v6, v30
	v_div_scale_f32 v6, vcc, v28, v0, v28
	v_mul_f32_e32 v7, v6, v30
	v_fma_f32 v19, -v29, v7, v6
	v_fmac_f32_e32 v7, v19, v30
	v_fma_f32 v6, -v29, v7, v6
	v_div_fmas_f32 v6, v6, v30, v7
	v_div_fixup_f32 v0, v6, v0, v28
	v_cvt_f32_f16_e32 v6, v2
	v_pk_mul_f32 v[0:1], v[26:27], v[0:1]
	v_cvt_f32_f16_e32 v26, v3
	v_cvt_f16_f32_e32 v19, v0
	v_mul_f32_e32 v0, 0xbfb8aa3b, v6
	v_cvt_f16_f32_e32 v7, v1
	v_rndne_f32_e32 v1, v0
	v_sub_f32_e32 v24, v0, v1
	v_fma_mix_f32 v0, v2, s74, -v0 op_sel_hi:[1,0,0]
	v_cvt_i32_f32_e32 v1, v1
	v_fma_mix_f32 v0, v2, s75, v0 op_sel_hi:[1,0,0]
	v_cmp_nlt_f32_e32 vcc, s97, v6
	v_add_f32_e32 v0, v24, v0
	v_exp_f32_e32 v0, v0
	v_cvt_f32_f16_sdwa v24, v2 dst_sel:DWORD dst_unused:UNUSED_PAD src0_sel:WORD_1
	v_cvt_f16_f32_e32 v5, v5
	v_cvt_f16_f32_e32 v4, v4
	v_ldexp_f32 v0, v0, v1
	v_mul_f32_e32 v1, 0xbfb8aa3b, v24
	v_rndne_f32_e32 v27, v1
	v_sub_f32_e32 v28, v1, v27
	v_fma_mix_f32 v1, v2, s74, -v1 op_sel:[1,0,0] op_sel_hi:[1,0,0]
	v_cndmask_b32_e32 v0, 0, v0, vcc
	v_fma_mix_f32 v1, v2, s75, v1 op_sel:[1,0,0] op_sel_hi:[1,0,0]
	v_cvt_i32_f32_e32 v2, v27
	v_add_f32_e32 v1, v28, v1
	v_exp_f32_e32 v1, v1
	v_cmp_ngt_f32_e32 vcc, s93, v6
	v_ldexp_f32 v1, v1, v2
	v_mul_f32_e32 v2, 0xbfb8aa3b, v26
	v_rndne_f32_e32 v27, v2
	v_sub_f32_e32 v28, v2, v27
	v_fma_mix_f32 v2, v3, s74, -v2 op_sel_hi:[1,0,0]
	v_cvt_i32_f32_e32 v27, v27
	v_fma_mix_f32 v2, v3, s75, v2 op_sel_hi:[1,0,0]
	v_cndmask_b32_e32 v0, v72, v0, vcc
	v_add_f32_e32 v2, v28, v2
	v_exp_f32_e32 v2, v2
	v_cmp_nlt_f32_e32 vcc, s97, v24
	v_ldexp_f32 v2, v2, v27
	v_mul_f32_e32 v27, 0xbfb8aa3b, v25
	v_rndne_f32_e32 v28, v27
	v_sub_f32_e32 v29, v27, v28
	v_fma_mix_f32 v27, v3, s74, -v27 op_sel:[1,0,0] op_sel_hi:[1,0,0]
	v_cndmask_b32_e32 v1, 0, v1, vcc
	v_fma_mix_f32 v3, v3, s75, v27 op_sel:[1,0,0] op_sel_hi:[1,0,0]
	v_cvt_i32_f32_e32 v27, v28
	v_add_f32_e32 v3, v29, v3
	v_exp_f32_e32 v3, v3
	v_cmp_ngt_f32_e32 vcc, s93, v24
	v_ldexp_f32 v3, v3, v27
	s_nop 0
	v_cndmask_b32_e32 v1, v72, v1, vcc
	v_pk_add_f32 v[0:1], v[0:1], 1.0 op_sel_hi:[1,0]
	v_cmp_nlt_f32_e32 vcc, s97, v26
	v_div_scale_f32 v27, s[36:37], v1, v1, v24
	v_rcp_f32_e32 v28, v27
	v_cndmask_b32_e32 v2, 0, v2, vcc
	v_cmp_ngt_f32_e32 vcc, s93, v26
	v_fma_f32 v29, -v27, v28, 1.0
	s_nop 0
	v_cndmask_b32_e32 v2, v72, v2, vcc
	v_cmp_nlt_f32_e32 vcc, s97, v25
	v_fmac_f32_e32 v28, v29, v28
	s_nop 0
	v_cndmask_b32_e32 v3, 0, v3, vcc
	v_cmp_ngt_f32_e32 vcc, s93, v25
	s_nop 1
	v_cndmask_b32_e32 v3, v72, v3, vcc
	v_div_scale_f32 v29, vcc, v24, v1, v24
	v_mul_f32_e32 v30, v29, v28
	v_fma_f32 v31, -v27, v30, v29
	v_fmac_f32_e32 v30, v31, v28
	v_fma_f32 v27, -v27, v30, v29
	v_div_scale_f32 v29, s[36:37], v0, v0, v6
	v_rcp_f32_e32 v31, v29
	v_div_fmas_f32 v27, v27, v28, v30
	v_div_fixup_f32 v1, v27, v1, v24
	v_pk_add_f32 v[2:3], v[2:3], 1.0 op_sel_hi:[1,0]
	v_fma_f32 v24, -v29, v31, 1.0
	v_fmac_f32_e32 v31, v24, v31
	v_div_scale_f32 v24, vcc, v6, v0, v6
	v_mul_f32_e32 v27, v24, v31
	v_fma_f32 v28, -v29, v27, v24
	v_fmac_f32_e32 v27, v28, v31
	v_div_scale_f32 v28, s[36:37], v3, v3, v25
	v_fma_f32 v24, -v29, v27, v24
	v_rcp_f32_e32 v29, v28
	v_div_fmas_f32 v24, v24, v31, v27
	v_div_fixup_f32 v0, v24, v0, v6
	v_pk_mul_f32 v[0:1], v[20:21], v[0:1]
	v_fma_f32 v6, -v28, v29, 1.0
	v_fmac_f32_e32 v29, v6, v29
	v_div_scale_f32 v6, vcc, v25, v3, v25
	v_mul_f32_e32 v24, v6, v29
	v_fma_f32 v27, -v28, v24, v6
	v_fmac_f32_e32 v24, v27, v29
	v_div_scale_f32 v27, s[36:37], v2, v2, v26
	v_fma_f32 v6, -v28, v24, v6
	v_rcp_f32_e32 v28, v27
	v_div_fmas_f32 v6, v6, v29, v24
	v_div_fixup_f32 v3, v6, v3, v25
	v_cvt_f16_f32_e32 v1, v1
	v_fma_f32 v6, -v27, v28, 1.0
	v_fmac_f32_e32 v28, v6, v28
	v_div_scale_f32 v6, vcc, v26, v2, v26
	v_mul_f32_e32 v24, v6, v28
	v_fma_f32 v25, -v27, v24, v6
	v_fmac_f32_e32 v24, v25, v28
	v_fma_f32 v6, -v27, v24, v6
	v_div_fmas_f32 v6, v6, v28, v24
	v_div_fixup_f32 v2, v6, v2, v26
	v_pk_mul_f32 v[2:3], v[22:23], v[2:3]
	v_cvt_f16_f32_e32 v0, v0
	v_cvt_f16_f32_e32 v3, v3
	;; [unrolled: 1-line block ×3, first 2 shown]
	v_pack_b32_f16 v3, v2, v3
	v_pack_b32_f16 v2, v0, v1
	;; [unrolled: 1-line block ×4, first 2 shown]
	ds_write_b128 v55, v[0:3]
	; wave barrier
	ds_read_u16 v19, v48 offset:128
	ds_read_u16 v7, v49 offset:256
	;; [unrolled: 1-line block ×7, first 2 shown]
	v_lshl_add_u64 v[0:1], s[66:67], 1, v[16:17]
	s_and_saveexec_b64 s[36:37], s[18:19]
	s_cbranch_execnz .LBB108_160
; %bb.144:                              ;   in Loop: Header=BB108_11 Depth=1
	s_or_b64 exec, exec, s[36:37]
	s_and_saveexec_b64 s[18:19], s[20:21]
	s_cbranch_execnz .LBB108_161
.LBB108_145:                            ;   in Loop: Header=BB108_11 Depth=1
	s_or_b64 exec, exec, s[18:19]
	s_and_saveexec_b64 s[18:19], s[22:23]
	s_cbranch_execnz .LBB108_162
.LBB108_146:                            ;   in Loop: Header=BB108_11 Depth=1
	s_or_b64 exec, exec, s[18:19]
	s_and_saveexec_b64 s[18:19], s[24:25]
	s_cbranch_execnz .LBB108_163
.LBB108_147:                            ;   in Loop: Header=BB108_11 Depth=1
	s_or_b64 exec, exec, s[18:19]
	s_and_saveexec_b64 s[18:19], s[26:27]
	s_cbranch_execnz .LBB108_164
.LBB108_148:                            ;   in Loop: Header=BB108_11 Depth=1
	s_or_b64 exec, exec, s[18:19]
	s_and_saveexec_b64 s[18:19], s[28:29]
	s_cbranch_execnz .LBB108_165
.LBB108_149:                            ;   in Loop: Header=BB108_11 Depth=1
	s_or_b64 exec, exec, s[18:19]
	s_and_saveexec_b64 s[18:19], s[30:31]
	s_cbranch_execnz .LBB108_166
.LBB108_150:                            ;   in Loop: Header=BB108_11 Depth=1
	s_or_b64 exec, exec, s[18:19]
	s_and_saveexec_b64 s[18:19], s[34:35]
	s_cbranch_execz .LBB108_10
	s_branch .LBB108_167
.LBB108_151:                            ;   in Loop: Header=BB108_11 Depth=1
	global_load_ushort v23, v[4:5], off offset:640
	s_or_b64 exec, exec, s[36:37]
	s_and_saveexec_b64 s[36:37], s[30:31]
	s_cbranch_execz .LBB108_39
.LBB108_152:                            ;   in Loop: Header=BB108_11 Depth=1
	global_load_ushort v22, v[4:5], off offset:768
	s_or_b64 exec, exec, s[36:37]
	v_mov_b32_e32 v24, 0
	s_and_saveexec_b64 s[36:37], s[34:35]
	s_cbranch_execnz .LBB108_40
	s_branch .LBB108_41
.LBB108_153:                            ;   in Loop: Header=BB108_11 Depth=1
	ds_read_u16 v28, v47
	s_waitcnt lgkmcnt(0)
	global_store_short v[0:1], v28, off
	s_or_b64 exec, exec, s[36:37]
	s_and_saveexec_b64 s[36:37], s[20:21]
	s_cbranch_execz .LBB108_120
.LBB108_154:                            ;   in Loop: Header=BB108_11 Depth=1
	s_waitcnt lgkmcnt(6)
	global_store_short v[0:1], v19, off offset:128
	s_or_b64 exec, exec, s[36:37]
	s_and_saveexec_b64 s[36:37], s[22:23]
	s_cbranch_execz .LBB108_121
.LBB108_155:                            ;   in Loop: Header=BB108_11 Depth=1
	s_waitcnt lgkmcnt(5)
	global_store_short v[0:1], v7, off offset:256
	s_or_b64 exec, exec, s[36:37]
	s_and_saveexec_b64 s[36:37], s[24:25]
	s_cbranch_execz .LBB108_122
.LBB108_156:                            ;   in Loop: Header=BB108_11 Depth=1
	s_waitcnt lgkmcnt(4)
	global_store_short v[0:1], v6, off offset:384
	s_or_b64 exec, exec, s[36:37]
	s_and_saveexec_b64 s[36:37], s[26:27]
	s_cbranch_execz .LBB108_123
.LBB108_157:                            ;   in Loop: Header=BB108_11 Depth=1
	s_waitcnt lgkmcnt(3)
	global_store_short v[0:1], v5, off offset:512
	s_or_b64 exec, exec, s[36:37]
	s_and_saveexec_b64 s[36:37], s[28:29]
	s_cbranch_execz .LBB108_124
.LBB108_158:                            ;   in Loop: Header=BB108_11 Depth=1
	s_waitcnt lgkmcnt(2)
	global_store_short v[0:1], v4, off offset:640
	s_or_b64 exec, exec, s[36:37]
	s_and_saveexec_b64 s[36:37], s[30:31]
	s_cbranch_execz .LBB108_125
.LBB108_159:                            ;   in Loop: Header=BB108_11 Depth=1
	s_waitcnt lgkmcnt(1)
	global_store_short v[0:1], v3, off offset:768
	s_or_b64 exec, exec, s[36:37]
	s_and_saveexec_b64 s[36:37], s[34:35]
	s_cbranch_execnz .LBB108_126
	s_branch .LBB108_127
.LBB108_160:                            ;   in Loop: Header=BB108_11 Depth=1
	ds_read_u16 v20, v47
	s_waitcnt lgkmcnt(0)
	global_store_short v[0:1], v20, off
	s_or_b64 exec, exec, s[36:37]
	s_and_saveexec_b64 s[18:19], s[20:21]
	s_cbranch_execz .LBB108_145
.LBB108_161:                            ;   in Loop: Header=BB108_11 Depth=1
	s_waitcnt lgkmcnt(6)
	global_store_short v[0:1], v19, off offset:128
	s_or_b64 exec, exec, s[18:19]
	s_and_saveexec_b64 s[18:19], s[22:23]
	s_cbranch_execz .LBB108_146
.LBB108_162:                            ;   in Loop: Header=BB108_11 Depth=1
	s_waitcnt lgkmcnt(5)
	global_store_short v[0:1], v7, off offset:256
	s_or_b64 exec, exec, s[18:19]
	s_and_saveexec_b64 s[18:19], s[24:25]
	s_cbranch_execz .LBB108_147
.LBB108_163:                            ;   in Loop: Header=BB108_11 Depth=1
	s_waitcnt lgkmcnt(4)
	global_store_short v[0:1], v6, off offset:384
	s_or_b64 exec, exec, s[18:19]
	s_and_saveexec_b64 s[18:19], s[26:27]
	s_cbranch_execz .LBB108_148
.LBB108_164:                            ;   in Loop: Header=BB108_11 Depth=1
	s_waitcnt lgkmcnt(3)
	global_store_short v[0:1], v5, off offset:512
	s_or_b64 exec, exec, s[18:19]
	s_and_saveexec_b64 s[18:19], s[28:29]
	s_cbranch_execz .LBB108_149
.LBB108_165:                            ;   in Loop: Header=BB108_11 Depth=1
	s_waitcnt lgkmcnt(2)
	global_store_short v[0:1], v4, off offset:640
	s_or_b64 exec, exec, s[18:19]
	s_and_saveexec_b64 s[18:19], s[30:31]
	s_cbranch_execz .LBB108_150
.LBB108_166:                            ;   in Loop: Header=BB108_11 Depth=1
	s_waitcnt lgkmcnt(1)
	global_store_short v[0:1], v3, off offset:768
	s_or_b64 exec, exec, s[18:19]
	s_and_saveexec_b64 s[18:19], s[34:35]
	s_cbranch_execz .LBB108_10
.LBB108_167:                            ;   in Loop: Header=BB108_11 Depth=1
	s_waitcnt lgkmcnt(0)
	global_store_short v[0:1], v2, off offset:896
	s_branch .LBB108_10
.LBB108_168:
	s_endpgm
.LBB108_169:
	s_mov_b64 s[68:69], 0
	s_load_dwordx2 s[6:7], s[0:1], 0x20
	s_cmp_eq_u64 s[4:5], 0
	s_cbranch_scc0 .LBB108_2
	s_branch .LBB108_3
	.section	.rodata,"a",@progbits
	.p2align	6, 0x0
	.amdhsa_kernel _Z25selective_scan_fwd_kernelI32Selective_Scan_fwd_kernel_traitsILi64ELi8ELi1ELb0ELb1ELb1ELb1ELb1EN3c104HalfEffEEv13SSMParamsBase
		.amdhsa_group_segment_fixed_size 0
		.amdhsa_private_segment_fixed_size 0
		.amdhsa_kernarg_size 248
		.amdhsa_user_sgpr_count 2
		.amdhsa_user_sgpr_dispatch_ptr 0
		.amdhsa_user_sgpr_queue_ptr 0
		.amdhsa_user_sgpr_kernarg_segment_ptr 1
		.amdhsa_user_sgpr_dispatch_id 0
		.amdhsa_user_sgpr_kernarg_preload_length 0
		.amdhsa_user_sgpr_kernarg_preload_offset 0
		.amdhsa_user_sgpr_private_segment_size 0
		.amdhsa_uses_dynamic_stack 0
		.amdhsa_enable_private_segment 0
		.amdhsa_system_sgpr_workgroup_id_x 1
		.amdhsa_system_sgpr_workgroup_id_y 1
		.amdhsa_system_sgpr_workgroup_id_z 0
		.amdhsa_system_sgpr_workgroup_info 0
		.amdhsa_system_vgpr_workitem_id 0
		.amdhsa_next_free_vgpr 96
		.amdhsa_next_free_sgpr 100
		.amdhsa_accum_offset 96
		.amdhsa_reserve_vcc 1
		.amdhsa_float_round_mode_32 0
		.amdhsa_float_round_mode_16_64 0
		.amdhsa_float_denorm_mode_32 3
		.amdhsa_float_denorm_mode_16_64 3
		.amdhsa_dx10_clamp 1
		.amdhsa_ieee_mode 1
		.amdhsa_fp16_overflow 0
		.amdhsa_tg_split 0
		.amdhsa_exception_fp_ieee_invalid_op 0
		.amdhsa_exception_fp_denorm_src 0
		.amdhsa_exception_fp_ieee_div_zero 0
		.amdhsa_exception_fp_ieee_overflow 0
		.amdhsa_exception_fp_ieee_underflow 0
		.amdhsa_exception_fp_ieee_inexact 0
		.amdhsa_exception_int_div_zero 0
	.end_amdhsa_kernel
	.section	.text._Z25selective_scan_fwd_kernelI32Selective_Scan_fwd_kernel_traitsILi64ELi8ELi1ELb0ELb1ELb1ELb1ELb1EN3c104HalfEffEEv13SSMParamsBase,"axG",@progbits,_Z25selective_scan_fwd_kernelI32Selective_Scan_fwd_kernel_traitsILi64ELi8ELi1ELb0ELb1ELb1ELb1ELb1EN3c104HalfEffEEv13SSMParamsBase,comdat
.Lfunc_end108:
	.size	_Z25selective_scan_fwd_kernelI32Selective_Scan_fwd_kernel_traitsILi64ELi8ELi1ELb0ELb1ELb1ELb1ELb1EN3c104HalfEffEEv13SSMParamsBase, .Lfunc_end108-_Z25selective_scan_fwd_kernelI32Selective_Scan_fwd_kernel_traitsILi64ELi8ELi1ELb0ELb1ELb1ELb1ELb1EN3c104HalfEffEEv13SSMParamsBase
                                        ; -- End function
	.section	.AMDGPU.csdata,"",@progbits
; Kernel info:
; codeLenInByte = 12616
; NumSgprs: 106
; NumVgprs: 96
; NumAgprs: 0
; TotalNumVgprs: 96
; ScratchSize: 0
; MemoryBound: 0
; FloatMode: 240
; IeeeMode: 1
; LDSByteSize: 0 bytes/workgroup (compile time only)
; SGPRBlocks: 13
; VGPRBlocks: 11
; NumSGPRsForWavesPerEU: 106
; NumVGPRsForWavesPerEU: 96
; AccumOffset: 96
; Occupancy: 5
; WaveLimiterHint : 1
; COMPUTE_PGM_RSRC2:SCRATCH_EN: 0
; COMPUTE_PGM_RSRC2:USER_SGPR: 2
; COMPUTE_PGM_RSRC2:TRAP_HANDLER: 0
; COMPUTE_PGM_RSRC2:TGID_X_EN: 1
; COMPUTE_PGM_RSRC2:TGID_Y_EN: 1
; COMPUTE_PGM_RSRC2:TGID_Z_EN: 0
; COMPUTE_PGM_RSRC2:TIDIG_COMP_CNT: 0
; COMPUTE_PGM_RSRC3_GFX90A:ACCUM_OFFSET: 23
; COMPUTE_PGM_RSRC3_GFX90A:TG_SPLIT: 0
	.section	.text._Z25selective_scan_fwd_kernelI32Selective_Scan_fwd_kernel_traitsILi64ELi8ELi1ELb0ELb1ELb1ELb1ELb0EN3c104HalfEffEEv13SSMParamsBase,"axG",@progbits,_Z25selective_scan_fwd_kernelI32Selective_Scan_fwd_kernel_traitsILi64ELi8ELi1ELb0ELb1ELb1ELb1ELb0EN3c104HalfEffEEv13SSMParamsBase,comdat
	.protected	_Z25selective_scan_fwd_kernelI32Selective_Scan_fwd_kernel_traitsILi64ELi8ELi1ELb0ELb1ELb1ELb1ELb0EN3c104HalfEffEEv13SSMParamsBase ; -- Begin function _Z25selective_scan_fwd_kernelI32Selective_Scan_fwd_kernel_traitsILi64ELi8ELi1ELb0ELb1ELb1ELb1ELb0EN3c104HalfEffEEv13SSMParamsBase
	.globl	_Z25selective_scan_fwd_kernelI32Selective_Scan_fwd_kernel_traitsILi64ELi8ELi1ELb0ELb1ELb1ELb1ELb0EN3c104HalfEffEEv13SSMParamsBase
	.p2align	8
	.type	_Z25selective_scan_fwd_kernelI32Selective_Scan_fwd_kernel_traitsILi64ELi8ELi1ELb0ELb1ELb1ELb1ELb0EN3c104HalfEffEEv13SSMParamsBase,@function
_Z25selective_scan_fwd_kernelI32Selective_Scan_fwd_kernel_traitsILi64ELi8ELi1ELb0ELb1ELb1ELb1ELb0EN3c104HalfEffEEv13SSMParamsBase: ; @_Z25selective_scan_fwd_kernelI32Selective_Scan_fwd_kernel_traitsILi64ELi8ELi1ELb0ELb1ELb1ELb1ELb0EN3c104HalfEffEEv13SSMParamsBase
; %bb.0:
	s_load_dword s37, s[0:1], 0x18
	s_load_dwordx4 s[4:7], s[0:1], 0xe8
	s_mov_b32 s28, s3
	s_waitcnt lgkmcnt(0)
	s_abs_i32 s36, s37
	v_cvt_f32_u32_e32 v1, s36
	s_cmp_eq_u64 s[6:7], 0
	v_rcp_iflag_f32_e32 v1, v1
	s_nop 0
	v_mul_f32_e32 v1, 0x4f7ffffe, v1
	v_cvt_u32_f32_e32 v1, v1
	s_nop 0
	v_readfirstlane_b32 s24, v1
	s_cbranch_scc1 .LBB109_3
; %bb.1:
	s_ashr_i32 s3, s2, 31
	s_add_u32 s6, s6, s2
	s_addc_u32 s7, s7, s3
	v_mov_b32_e32 v1, 0
	global_load_ubyte v1, v1, s[6:7]
	s_waitcnt vmcnt(0)
	v_and_b32_e32 v1, 1, v1
	v_cmp_eq_u32_e64 s[54:55], 1, v1
	s_load_dwordx2 s[6:7], s[0:1], 0x20
	s_cmp_eq_u64 s[4:5], 0
	s_cbranch_scc1 .LBB109_4
.LBB109_2:
	s_ashr_i32 s3, s2, 31
	s_lshl_b64 s[8:9], s[2:3], 2
	s_add_u32 s4, s4, s8
	s_addc_u32 s5, s5, s9
	s_load_dword s34, s[4:5], 0x0
	s_waitcnt lgkmcnt(0)
	s_ashr_i32 s35, s34, 31
	s_cmp_eq_u64 s[6:7], s[34:35]
	s_cbranch_scc0 .LBB109_5
	s_branch .LBB109_169
.LBB109_3:
	s_mov_b64 s[54:55], 0
	s_load_dwordx2 s[6:7], s[0:1], 0x20
	s_cmp_eq_u64 s[4:5], 0
	s_cbranch_scc0 .LBB109_2
.LBB109_4:
	s_mov_b32 s34, s2
	s_ashr_i32 s35, s34, 31
	s_waitcnt lgkmcnt(0)
	s_cmp_eq_u64 s[6:7], s[34:35]
	s_cbranch_scc1 .LBB109_169
.LBB109_5:
	s_load_dwordx16 s[4:19], s[0:1], 0x88
	s_load_dwordx2 s[38:39], s[0:1], 0x8
	s_mov_b32 s33, 0
	s_mov_b32 s94, 0
	s_waitcnt lgkmcnt(0)
	s_cmp_eq_u64 s[10:11], 0
	s_cbranch_scc1 .LBB109_7
; %bb.6:
	s_ashr_i32 s29, s28, 31
	s_lshl_b64 s[20:21], s[28:29], 2
	s_add_u32 s10, s10, s20
	s_addc_u32 s11, s11, s21
	s_load_dword s94, s[10:11], 0x0
.LBB109_7:
	s_cmp_eq_u64 s[16:17], 0
	s_cbranch_scc1 .LBB109_9
; %bb.8:
	s_ashr_i32 s29, s28, 31
	s_lshl_b64 s[10:11], s[28:29], 2
	s_add_u32 s10, s16, s10
	s_addc_u32 s11, s17, s11
	s_load_dword s33, s[10:11], 0x0
.LBB109_9:
	s_cmp_lt_i32 s38, 1
	s_cbranch_scc1 .LBB109_169
; %bb.10:
	s_sub_i32 s3, 0, s36
	s_mul_i32 s3, s3, s24
	s_mul_hi_u32 s3, s24, s3
	s_abs_i32 s16, s28
	s_add_i32 s3, s24, s3
	s_load_dwordx8 s[56:63], s[0:1], 0x2c
	s_load_dwordx2 s[10:11], s[0:1], 0x7c
	s_load_dwordx4 s[20:23], s[0:1], 0x6c
	s_load_dwordx8 s[64:71], s[0:1], 0x4c
	s_load_dwordx2 s[30:31], s[0:1], 0xd8
	s_load_dwordx4 s[24:27], s[0:1], 0xc8
	s_load_dword s95, s[0:1], 0x84
	s_mul_hi_u32 s3, s16, s3
	s_load_dword s17, s[0:1], 0x28
	s_ashr_i32 s0, s28, 31
	s_ashr_i32 s1, s37, 31
	s_xor_b32 s0, s0, s1
	s_mul_i32 s1, s3, s36
	s_sub_i32 s1, s16, s1
	s_add_i32 s16, s3, 1
	s_sub_i32 s29, s1, s36
	s_cmp_ge_u32 s1, s36
	s_cselect_b32 s3, s16, s3
	s_cselect_b32 s1, s29, s1
	s_add_i32 s16, s3, 1
	s_cmp_ge_u32 s1, s36
	s_cselect_b32 s1, s16, s3
	s_xor_b32 s1, s1, s0
	s_waitcnt lgkmcnt(0)
	s_mul_i32 s74, s66, s2
	s_mov_b32 s75, 0
	s_sub_i32 s3, s1, s0
	s_lshl_b64 s[0:1], s[74:75], 1
	s_add_u32 s12, s12, s0
	s_mul_i32 s74, s67, s28
	s_addc_u32 s13, s13, s1
	s_lshl_b64 s[0:1], s[74:75], 1
	s_add_u32 s66, s12, s0
	s_mul_i32 s74, s68, s2
	s_addc_u32 s67, s13, s1
	;; [unrolled: 4-line block ×10, first 2 shown]
	s_lshl_b64 s[0:1], s[74:75], 2
	s_add_u32 s61, s3, s0
	v_mbcnt_lo_u32_b32 v1, -1, 0
	s_addc_u32 s65, s4, s1
	s_add_i32 s0, s38, 0x7ff
	v_mbcnt_hi_u32_b32 v10, -1, v1
	s_lshr_b32 s3, s0, 11
	v_lshrrev_b32_e32 v1, 5, v10
	v_and_b32_e32 v1, 2, v1
	s_bitcmp1_b32 s17, 0
	v_add_u32_e32 v40, 64, v10
	v_or_b32_e32 v41, 0x80, v10
	v_add_u32_e32 v42, 0xc0, v10
	v_or_b32_e32 v43, 0x100, v10
	v_add_u32_e32 v44, 0x140, v10
	v_or_b32_e32 v45, 0x180, v10
	v_add_u32_e32 v46, 0x1c0, v10
	v_add_u32_e32 v1, v1, v10
	s_cselect_b64 s[76:77], -1, 0
	s_cmp_gt_i32 s39, 0
	v_lshl_add_u32 v47, v1, 1, 0
	v_lshrrev_b32_e32 v1, 5, v40
	v_lshrrev_b32_e32 v2, 5, v41
	;; [unrolled: 1-line block ×7, first 2 shown]
	s_cselect_b64 s[0:1], -1, 0
                                        ; implicit-def: $vgpr95 : SGPR spill to VGPR lane
	v_and_b32_e32 v1, 6, v1
	v_and_b32_e32 v2, 6, v2
	;; [unrolled: 1-line block ×7, first 2 shown]
	v_writelane_b32 v95, s0, 0
	v_add_lshl_u32 v1, v1, v10, 1
	v_add_lshl_u32 v2, v2, v10, 1
	;; [unrolled: 1-line block ×7, first 2 shown]
	v_writelane_b32 v95, s1, 1
	s_add_i32 s0, 0, 0x420
	v_add_u32_e32 v56, s0, v1
	v_add_u32_e32 v57, s0, v2
	;; [unrolled: 1-line block ×7, first 2 shown]
	v_writelane_b32 v95, s38, 2
	s_and_b32 s0, s38, 0x1ff
	s_cmp_eq_u32 s0, 0
	v_writelane_b32 v95, s39, 3
	s_mul_i32 s74, s20, s2
	s_cselect_b64 s[80:81], -1, 0
	v_writelane_b32 v95, s3, 4
	s_add_i32 s3, s3, -1
	s_lshl_b64 s[4:5], s[74:75], 1
	v_lshrrev_b32_e32 v8, 2, v10
	v_writelane_b32 v95, s3, 5
	s_add_u32 s3, s18, s4
	s_mul_i32 s74, s21, s28
	v_and_b32_e32 v8, 30, v8
	s_addc_u32 s19, s19, s5
	s_lshl_b64 s[16:17], s[74:75], 1
	v_lshl_add_u32 v8, v10, 3, v8
	s_add_u32 s18, s3, s16
	v_mov_b32_e32 v9, 0
	v_lshl_add_u32 v55, v8, 1, 0
	s_addc_u32 s19, s19, s17
	v_lshlrev_b32_e32 v8, 1, v10
	s_mul_i32 s74, s70, s2
	v_lshl_add_u64 v[12:13], s[18:19], 0, v[8:9]
	s_lshl_b64 s[18:19], s[74:75], 1
	s_add_u32 s3, s26, s18
	s_mul_i32 s74, s71, s28
	s_addc_u32 s20, s27, s19
	s_lshl_b64 s[18:19], s[74:75], 1
	s_add_u32 s18, s3, s18
	s_mul_i32 s74, s22, s2
	s_addc_u32 s19, s20, s19
	s_lshl_b64 s[2:3], s[74:75], 1
	v_add_u32_e32 v48, 0, v1
	v_and_b32_e32 v1, 15, v10
	s_add_u32 s20, s30, s2
	s_mul_i32 s74, s23, s28
	v_cmp_ne_u32_e64 s[0:1], 0, v1
	v_cmp_lt_u32_e64 s[52:53], 1, v1
	v_cmp_lt_u32_e64 s[4:5], 3, v1
	;; [unrolled: 1-line block ×3, first 2 shown]
	v_and_b32_e32 v1, 16, v10
	s_addc_u32 s21, s31, s3
	s_lshl_b64 s[2:3], s[74:75], 1
	v_add_u32_e32 v49, 0, v2
	v_cmp_ne_u32_e64 s[8:9], 0, v1
	v_add_u32_e32 v1, -1, v10
	v_and_b32_e32 v2, 64, v10
	s_add_u32 s2, s20, s2
	v_cmp_lt_i32_e32 vcc, v1, v2
	s_addc_u32 s3, s21, s3
	v_lshlrev_b32_e32 v11, 3, v0
	v_cndmask_b32_e32 v1, v1, v10, vcc
	v_lshl_add_u64 v[16:17], s[2:3], 0, v[8:9]
	s_add_i32 s2, 0, 0x848
	v_add_u32_e32 v50, 0, v3
	v_add_u32_e32 v51, 0, v4
	;; [unrolled: 1-line block ×5, first 2 shown]
	v_cmp_lt_u32_e64 s[10:11], 31, v10
	v_cmp_eq_u32_e64 s[12:13], 63, v0
	v_lshlrev_b32_e32 v63, 2, v1
	v_cmp_gt_u32_e64 s[14:15], 64, v0
	v_cmp_eq_u32_e64 s[16:17], 0, v0
	v_lshl_add_u64 v[14:15], s[18:19], 0, v[8:9]
	v_or_b32_e32 v70, 7, v11
	v_lshlrev_b32_e32 v8, 1, v10
	s_mov_b32 s38, 0x41a00000
	s_mov_b32 s39, 0x3fb8aa3b
	;; [unrolled: 1-line block ×6, first 2 shown]
	v_mov_b32_e32 v71, 0x3ecc95a3
	s_mov_b32 s44, 0x3f317218
	s_mov_b32 s45, 0x33800000
	v_writelane_b32 v95, s2, 6
	s_mov_b32 s72, 0xc2fc0000
	s_mov_b32 s73, 0xbfb8aa3b
	;; [unrolled: 1-line block ×5, first 2 shown]
	v_mov_b32_e32 v72, 0x7f800000
	v_mov_b32_e32 v18, 0x3f317218
	;; [unrolled: 1-line block ×4, first 2 shown]
	s_mov_b32 s98, 0
                                        ; implicit-def: $vgpr0
	s_branch .LBB109_12
.LBB109_11:                             ;   in Loop: Header=BB109_12 Depth=1
	s_or_b64 exec, exec, s[2:3]
	s_add_u32 s68, s68, 0x400
	s_addc_u32 s69, s69, 0
	s_add_u32 s66, s66, 0x400
	s_addc_u32 s67, s67, 0
	;; [unrolled: 2-line block ×4, first 2 shown]
	s_add_i32 s98, s98, 1
	v_readlane_b32 s2, v95, 4
	s_cmp_lg_u32 s98, s2
	s_cbranch_scc0 .LBB109_169
.LBB109_12:                             ; =>This Loop Header: Depth=1
                                        ;     Child Loop BB109_61 Depth 2
	s_lshl_b32 s70, s98, 9
	v_readlane_b32 s2, v95, 2
	s_sub_i32 s50, s2, s70
	v_readlane_b32 s3, v95, 3
	v_lshl_add_u64 v[0:1], s[66:67], 0, v[8:9]
	v_cmp_gt_u32_e64 s[18:19], s50, v10
	s_waitcnt lgkmcnt(0)
	v_mov_b32_e32 v2, 0
	s_waitcnt lgkmcnt(0)
	; wave barrier
	s_and_saveexec_b64 s[2:3], s[18:19]
	s_cbranch_execz .LBB109_14
; %bb.13:                               ;   in Loop: Header=BB109_12 Depth=1
	global_load_ushort v2, v[0:1], off
.LBB109_14:                             ;   in Loop: Header=BB109_12 Depth=1
	s_or_b64 exec, exec, s[2:3]
	v_cmp_gt_u32_e64 s[20:21], s50, v40
	v_mov_b32_e32 v3, 0
	v_mov_b32_e32 v4, 0
	s_and_saveexec_b64 s[2:3], s[20:21]
	s_cbranch_execz .LBB109_16
; %bb.15:                               ;   in Loop: Header=BB109_12 Depth=1
	global_load_ushort v4, v[0:1], off offset:128
.LBB109_16:                             ;   in Loop: Header=BB109_12 Depth=1
	s_or_b64 exec, exec, s[2:3]
	v_cmp_gt_u32_e64 s[22:23], s50, v41
	s_and_saveexec_b64 s[2:3], s[22:23]
	s_cbranch_execz .LBB109_18
; %bb.17:                               ;   in Loop: Header=BB109_12 Depth=1
	global_load_ushort v3, v[0:1], off offset:256
.LBB109_18:                             ;   in Loop: Header=BB109_12 Depth=1
	s_or_b64 exec, exec, s[2:3]
	v_cmp_gt_u32_e64 s[24:25], s50, v42
	v_mov_b32_e32 v5, 0
	v_mov_b32_e32 v7, 0
	s_and_saveexec_b64 s[2:3], s[24:25]
	s_cbranch_execz .LBB109_20
; %bb.19:                               ;   in Loop: Header=BB109_12 Depth=1
	global_load_ushort v7, v[0:1], off offset:384
.LBB109_20:                             ;   in Loop: Header=BB109_12 Depth=1
	s_or_b64 exec, exec, s[2:3]
	v_cmp_gt_u32_e64 s[26:27], s50, v43
	s_and_saveexec_b64 s[2:3], s[26:27]
	s_cbranch_execz .LBB109_22
; %bb.21:                               ;   in Loop: Header=BB109_12 Depth=1
	global_load_ushort v5, v[0:1], off offset:512
.LBB109_22:                             ;   in Loop: Header=BB109_12 Depth=1
	s_or_b64 exec, exec, s[2:3]
	v_cmp_gt_u32_e64 s[28:29], s50, v44
	v_mov_b32_e32 v19, 0
	v_mov_b32_e32 v20, 0
	s_and_saveexec_b64 s[2:3], s[28:29]
	s_cbranch_execz .LBB109_24
; %bb.23:                               ;   in Loop: Header=BB109_12 Depth=1
	global_load_ushort v20, v[0:1], off offset:640
.LBB109_24:                             ;   in Loop: Header=BB109_12 Depth=1
	s_or_b64 exec, exec, s[2:3]
	v_cmp_gt_u32_e64 s[30:31], s50, v45
	s_and_saveexec_b64 s[2:3], s[30:31]
	s_cbranch_execz .LBB109_26
; %bb.25:                               ;   in Loop: Header=BB109_12 Depth=1
	global_load_ushort v19, v[0:1], off offset:768
.LBB109_26:                             ;   in Loop: Header=BB109_12 Depth=1
	s_or_b64 exec, exec, s[2:3]
	v_cmp_gt_u32_e64 s[34:35], s50, v46
	v_mov_b32_e32 v6, 0
	v_mov_b32_e32 v21, 0
	s_and_saveexec_b64 s[2:3], s[34:35]
	s_cbranch_execz .LBB109_28
; %bb.27:                               ;   in Loop: Header=BB109_12 Depth=1
	global_load_ushort v21, v[0:1], off offset:896
.LBB109_28:                             ;   in Loop: Header=BB109_12 Depth=1
	s_or_b64 exec, exec, s[2:3]
	s_waitcnt vmcnt(0)
	ds_write_b16 v47, v2
	ds_write_b16 v48, v4 offset:128
	ds_write_b16 v49, v3 offset:256
	;; [unrolled: 1-line block ×7, first 2 shown]
	; wave barrier
	ds_read_b128 v[0:3], v55
	v_lshl_add_u64 v[4:5], s[68:69], 0, v[8:9]
	s_waitcnt lgkmcnt(0)
	; wave barrier
	s_waitcnt lgkmcnt(0)
	s_and_saveexec_b64 s[2:3], s[18:19]
	s_cbranch_execz .LBB109_30
; %bb.29:                               ;   in Loop: Header=BB109_12 Depth=1
	global_load_ushort v6, v[4:5], off
.LBB109_30:                             ;   in Loop: Header=BB109_12 Depth=1
	s_or_b64 exec, exec, s[2:3]
	v_mov_b32_e32 v7, 0
	v_mov_b32_e32 v19, 0
	s_and_saveexec_b64 s[2:3], s[20:21]
	s_cbranch_execz .LBB109_32
; %bb.31:                               ;   in Loop: Header=BB109_12 Depth=1
	global_load_ushort v19, v[4:5], off offset:128
.LBB109_32:                             ;   in Loop: Header=BB109_12 Depth=1
	s_or_b64 exec, exec, s[2:3]
	s_and_saveexec_b64 s[2:3], s[22:23]
	s_cbranch_execz .LBB109_34
; %bb.33:                               ;   in Loop: Header=BB109_12 Depth=1
	global_load_ushort v7, v[4:5], off offset:256
.LBB109_34:                             ;   in Loop: Header=BB109_12 Depth=1
	s_or_b64 exec, exec, s[2:3]
	v_mov_b32_e32 v20, 0
	v_mov_b32_e32 v21, 0
	s_and_saveexec_b64 s[2:3], s[24:25]
	s_cbranch_execz .LBB109_36
; %bb.35:                               ;   in Loop: Header=BB109_12 Depth=1
	global_load_ushort v21, v[4:5], off offset:384
.LBB109_36:                             ;   in Loop: Header=BB109_12 Depth=1
	s_or_b64 exec, exec, s[2:3]
	s_and_saveexec_b64 s[2:3], s[26:27]
	s_cbranch_execz .LBB109_38
; %bb.37:                               ;   in Loop: Header=BB109_12 Depth=1
	global_load_ushort v20, v[4:5], off offset:512
.LBB109_38:                             ;   in Loop: Header=BB109_12 Depth=1
	s_or_b64 exec, exec, s[2:3]
	v_mov_b32_e32 v22, 0
	v_mov_b32_e32 v23, 0
	s_and_saveexec_b64 s[2:3], s[28:29]
	s_cbranch_execnz .LBB109_152
; %bb.39:                               ;   in Loop: Header=BB109_12 Depth=1
	s_or_b64 exec, exec, s[2:3]
	s_and_saveexec_b64 s[2:3], s[30:31]
	s_cbranch_execnz .LBB109_153
.LBB109_40:                             ;   in Loop: Header=BB109_12 Depth=1
	s_or_b64 exec, exec, s[2:3]
	v_mov_b32_e32 v24, 0
	s_and_saveexec_b64 s[2:3], s[34:35]
	s_cbranch_execz .LBB109_42
.LBB109_41:                             ;   in Loop: Header=BB109_12 Depth=1
	global_load_ushort v24, v[4:5], off offset:896
.LBB109_42:                             ;   in Loop: Header=BB109_12 Depth=1
	s_or_b64 exec, exec, s[2:3]
	s_waitcnt vmcnt(0)
	ds_write_b16 v47, v6
	ds_write_b16 v48, v19 offset:128
	ds_write_b16 v49, v7 offset:256
	;; [unrolled: 1-line block ×7, first 2 shown]
	; wave barrier
	ds_read_b128 v[4:7], v55
	s_waitcnt lgkmcnt(0)
	v_cvt_f32_f16_e32 v19, v4
	v_add_f32_e32 v75, s33, v19
	v_cmp_ge_f32_e32 vcc, s38, v75
	s_and_b64 s[2:3], s[76:77], vcc
	s_and_saveexec_b64 s[36:37], s[2:3]
	s_cbranch_execz .LBB109_44
; %bb.43:                               ;   in Loop: Header=BB109_12 Depth=1
	v_mul_f32_e32 v19, 0x3fb8aa3b, v75
	v_rndne_f32_e32 v20, v19
	v_sub_f32_e32 v21, v19, v20
	v_fma_f32 v19, v75, s39, -v19
	v_fmac_f32_e32 v19, 0x32a5705f, v75
	v_add_f32_e32 v19, v21, v19
	v_cvt_i32_f32_e32 v20, v20
	v_exp_f32_e32 v19, v19
	v_cmp_ngt_f32_e32 vcc, s40, v75
	v_ldexp_f32 v19, v19, v20
	s_nop 0
	v_cndmask_b32_e32 v19, 0, v19, vcc
	v_cmp_nlt_f32_e32 vcc, s41, v75
	s_nop 1
	v_cndmask_b32_e32 v36, v72, v19, vcc
	v_add_f32_e32 v19, 1.0, v36
	v_add_f32_e32 v20, -1.0, v19
	v_sub_f32_e32 v21, v20, v19
	v_add_f32_e32 v21, 1.0, v21
	v_sub_f32_e32 v20, v36, v20
	v_add_f32_e32 v22, v20, v21
	v_frexp_mant_f32_e32 v23, v19
	v_cvt_f64_f32_e32 v[20:21], v19
	v_frexp_exp_i32_f64_e32 v20, v[20:21]
	v_cmp_gt_f32_e32 vcc, s43, v23
	v_cmp_gt_f32_e64 s[2:3], s45, v36
	s_nop 0
	v_subbrev_co_u32_e32 v28, vcc, 0, v20, vcc
	v_sub_u32_e32 v20, 0, v28
	v_ldexp_f32 v19, v19, v20
	v_ldexp_f32 v20, v22, v20
	v_add_f32_e32 v22, -1.0, v19
	v_add_f32_e32 v21, 1.0, v22
	v_sub_f32_e32 v21, v19, v21
	v_add_f32_e32 v23, v20, v21
	v_add_f32_e32 v21, 1.0, v19
	v_add_f32_e32 v24, -1.0, v21
	v_sub_f32_e32 v19, v19, v24
	v_add_f32_e32 v19, v20, v19
	v_add_f32_e32 v29, v21, v19
	v_rcp_f32_e32 v30, v29
	v_sub_f32_e32 v20, v21, v29
	v_add_f32_e32 v21, v22, v23
	v_add_f32_e32 v19, v19, v20
	v_mul_f32_e32 v32, v21, v30
	v_sub_f32_e32 v20, v22, v21
	v_mul_f32_e32 v22, v29, v32
	v_fma_f32 v24, v32, v29, -v22
	v_fmac_f32_e32 v24, v32, v19
	v_add_f32_e32 v31, v23, v20
	v_add_f32_e32 v20, v22, v24
	v_sub_f32_e32 v23, v21, v20
	v_pk_add_f32 v[26:27], v[20:21], v[22:23] neg_lo:[0,1] neg_hi:[0,1]
	v_mov_b32_e32 v25, v20
	v_pk_add_f32 v[20:21], v[26:27], v[24:25] neg_lo:[0,1] neg_hi:[0,1]
	v_cmp_eq_f32_e32 vcc, s42, v36
	v_add_f32_e32 v21, v31, v21
	v_add_f32_e32 v20, v20, v21
	;; [unrolled: 1-line block ×3, first 2 shown]
	v_mul_f32_e32 v31, v30, v21
	v_mul_f32_e32 v22, v29, v31
	v_fma_f32 v24, v31, v29, -v22
	v_fmac_f32_e32 v24, v31, v19
	v_sub_f32_e32 v19, v23, v21
	v_add_f32_e32 v19, v20, v19
	v_add_f32_e32 v20, v22, v24
	v_sub_f32_e32 v23, v21, v20
	v_pk_add_f32 v[26:27], v[20:21], v[22:23] neg_lo:[0,1] neg_hi:[0,1]
	v_mov_b32_e32 v25, v20
	v_pk_add_f32 v[20:21], v[26:27], v[24:25] neg_lo:[0,1] neg_hi:[0,1]
	s_or_b64 vcc, s[2:3], vcc
	v_add_f32_e32 v19, v19, v21
	v_add_f32_e32 v19, v20, v19
	;; [unrolled: 1-line block ×4, first 2 shown]
	v_sub_f32_e32 v20, v21, v32
	v_mul_f32_e32 v19, v30, v19
	v_sub_f32_e32 v20, v31, v20
	v_add_f32_e32 v22, v20, v19
	v_add_f32_e32 v24, v21, v22
	v_cvt_f32_i32_e32 v20, v28
	v_mul_f32_e32 v25, v24, v24
	v_sub_f32_e32 v21, v24, v21
	v_fmamk_f32 v19, v25, 0x3e9b6dac, v71
	v_sub_f32_e32 v21, v22, v21
	v_fmaak_f32 v19, v25, v19, 0x3f2aaada
	v_ldexp_f32 v26, v21, 1
	v_mul_f32_e32 v21, v24, v25
	v_ldexp_f32 v23, v24, 1
	v_pk_mul_f32 v[24:25], v[20:21], v[18:19]
	s_nop 0
	v_fma_f32 v22, v20, s44, -v24
	v_fmac_f32_e32 v22, 0xb102e308, v20
	v_pk_add_f32 v[20:21], v[24:25], v[22:23]
	s_nop 0
	v_sub_f32_e32 v19, v21, v23
	v_sub_f32_e32 v19, v25, v19
	v_add_f32_e32 v27, v26, v19
	v_mov_b32_e32 v26, v24
	v_pk_add_f32 v[24:25], v[20:21], v[24:25] neg_lo:[0,1] neg_hi:[0,1]
	v_pk_add_f32 v[28:29], v[20:21], v[26:27]
	v_mov_b32_e32 v23, v20
	v_mov_b32_e32 v25, v29
	v_pk_add_f32 v[30:31], v[22:23], v[24:25] neg_lo:[0,1] neg_hi:[0,1]
	v_pk_add_f32 v[22:23], v[22:23], v[24:25]
	v_mov_b32_e32 v26, v27
	v_mov_b32_e32 v24, v23
	v_pk_add_f32 v[32:33], v[24:25], v[20:21] neg_lo:[0,1] neg_hi:[0,1]
	v_mov_b32_e32 v22, v29
	v_mov_b32_e32 v19, v32
	v_pk_add_f32 v[34:35], v[28:29], v[18:19] neg_lo:[0,1] neg_hi:[0,1]
	v_mov_b32_e32 v28, v21
	v_mov_b32_e32 v29, v32
	;; [unrolled: 1-line block ×3, first 2 shown]
	v_pk_add_f32 v[22:23], v[22:23], v[28:29] neg_lo:[0,1] neg_hi:[0,1]
	v_mov_b32_e32 v27, v20
	v_pk_add_f32 v[20:21], v[26:27], v[22:23] neg_lo:[0,1] neg_hi:[0,1]
	v_mov_b32_e32 v34, v30
	v_pk_add_f32 v[22:23], v[34:35], v[20:21]
	s_nop 0
	v_mov_b32_e32 v26, v23
	v_pk_add_f32 v[26:27], v[22:23], v[26:27]
	s_nop 0
	v_pk_add_f32 v[24:25], v[24:25], v[26:27]
	v_mov_b32_e32 v21, v26
	v_mov_b32_e32 v23, v24
	v_pk_add_f32 v[28:29], v[22:23], v[30:31] neg_lo:[0,1] neg_hi:[0,1]
	s_nop 0
	v_sub_f32_e32 v19, v22, v28
	v_pk_add_f32 v[20:21], v[20:21], v[28:29] neg_lo:[0,1] neg_hi:[0,1]
	v_sub_f32_e32 v19, v30, v19
	v_add_f32_e32 v19, v20, v19
	v_add_f32_e32 v19, v19, v21
	;; [unrolled: 1-line block ×3, first 2 shown]
	v_cndmask_b32_e32 v75, v19, v36, vcc
.LBB109_44:                             ;   in Loop: Header=BB109_12 Depth=1
	s_or_b64 exec, exec, s[36:37]
	v_cvt_f32_f16_sdwa v4, v4 dst_sel:DWORD dst_unused:UNUSED_PAD src0_sel:WORD_1
	v_add_f32_e32 v76, s33, v4
	v_cmp_ge_f32_e32 vcc, s38, v76
	s_and_b64 s[2:3], s[76:77], vcc
	s_and_saveexec_b64 s[36:37], s[2:3]
	s_cbranch_execz .LBB109_46
; %bb.45:                               ;   in Loop: Header=BB109_12 Depth=1
	v_mul_f32_e32 v4, 0x3fb8aa3b, v76
	v_rndne_f32_e32 v19, v4
	v_sub_f32_e32 v20, v4, v19
	v_fma_f32 v4, v76, s39, -v4
	v_fmac_f32_e32 v4, 0x32a5705f, v76
	v_add_f32_e32 v4, v20, v4
	v_cvt_i32_f32_e32 v19, v19
	v_exp_f32_e32 v4, v4
	v_cmp_ngt_f32_e32 vcc, s40, v76
	v_ldexp_f32 v4, v4, v19
	s_nop 0
	v_cndmask_b32_e32 v4, 0, v4, vcc
	v_cmp_nlt_f32_e32 vcc, s41, v76
	s_nop 1
	v_cndmask_b32_e32 v34, v72, v4, vcc
	v_add_f32_e32 v4, 1.0, v34
	v_add_f32_e32 v19, -1.0, v4
	v_sub_f32_e32 v20, v19, v4
	v_add_f32_e32 v20, 1.0, v20
	v_sub_f32_e32 v19, v34, v19
	v_add_f32_e32 v19, v19, v20
	v_frexp_mant_f32_e32 v22, v4
	v_cvt_f64_f32_e32 v[20:21], v4
	v_frexp_exp_i32_f64_e32 v20, v[20:21]
	v_cmp_gt_f32_e32 vcc, s43, v22
	v_cmp_gt_f32_e64 s[2:3], s45, v34
	s_nop 0
	v_subbrev_co_u32_e32 v28, vcc, 0, v20, vcc
	v_sub_u32_e32 v20, 0, v28
	v_ldexp_f32 v4, v4, v20
	v_ldexp_f32 v19, v19, v20
	v_add_f32_e32 v20, -1.0, v4
	v_add_f32_e32 v21, 1.0, v20
	v_sub_f32_e32 v21, v4, v21
	v_add_f32_e32 v22, v19, v21
	v_add_f32_e32 v21, 1.0, v4
	v_add_f32_e32 v23, -1.0, v21
	v_sub_f32_e32 v4, v4, v23
	v_add_f32_e32 v4, v19, v4
	v_add_f32_e32 v19, v21, v4
	v_rcp_f32_e32 v29, v19
	v_sub_f32_e32 v21, v21, v19
	v_add_f32_e32 v4, v4, v21
	v_add_f32_e32 v21, v20, v22
	v_sub_f32_e32 v20, v20, v21
	v_mul_f32_e32 v31, v21, v29
	v_add_f32_e32 v30, v22, v20
	v_mul_f32_e32 v22, v19, v31
	v_fma_f32 v24, v31, v19, -v22
	v_fmac_f32_e32 v24, v31, v4
	v_add_f32_e32 v20, v22, v24
	v_sub_f32_e32 v23, v21, v20
	v_pk_add_f32 v[26:27], v[20:21], v[22:23] neg_lo:[0,1] neg_hi:[0,1]
	v_mov_b32_e32 v25, v20
	v_pk_add_f32 v[20:21], v[26:27], v[24:25] neg_lo:[0,1] neg_hi:[0,1]
	v_cmp_eq_f32_e32 vcc, s42, v34
	v_add_f32_e32 v21, v30, v21
	v_add_f32_e32 v20, v20, v21
	;; [unrolled: 1-line block ×3, first 2 shown]
	v_mul_f32_e32 v30, v29, v21
	v_mul_f32_e32 v22, v19, v30
	v_fma_f32 v24, v30, v19, -v22
	v_fmac_f32_e32 v24, v30, v4
	v_sub_f32_e32 v4, v23, v21
	v_add_f32_e32 v4, v20, v4
	v_add_f32_e32 v20, v22, v24
	v_sub_f32_e32 v23, v21, v20
	v_pk_add_f32 v[26:27], v[20:21], v[22:23] neg_lo:[0,1] neg_hi:[0,1]
	v_mov_b32_e32 v25, v20
	v_pk_add_f32 v[20:21], v[26:27], v[24:25] neg_lo:[0,1] neg_hi:[0,1]
	s_or_b64 vcc, s[2:3], vcc
	v_add_f32_e32 v4, v4, v21
	v_add_f32_e32 v4, v20, v4
	;; [unrolled: 1-line block ×4, first 2 shown]
	v_sub_f32_e32 v19, v21, v31
	v_mul_f32_e32 v4, v29, v4
	v_sub_f32_e32 v19, v30, v19
	v_add_f32_e32 v4, v19, v4
	v_add_f32_e32 v22, v21, v4
	v_cvt_f32_i32_e32 v20, v28
	v_mul_f32_e32 v24, v22, v22
	v_fmamk_f32 v19, v24, 0x3e9b6dac, v71
	v_sub_f32_e32 v21, v22, v21
	v_fmaak_f32 v19, v24, v19, 0x3f2aaada
	v_sub_f32_e32 v4, v4, v21
	v_mul_f32_e32 v21, v22, v24
	v_pk_mul_f32 v[24:25], v[20:21], v[18:19]
	v_ldexp_f32 v23, v22, 1
	v_fma_f32 v22, v20, s44, -v24
	v_fmac_f32_e32 v22, 0xb102e308, v20
	v_pk_add_f32 v[20:21], v[24:25], v[22:23]
	v_ldexp_f32 v4, v4, 1
	v_sub_f32_e32 v19, v21, v23
	v_sub_f32_e32 v19, v25, v19
	v_add_f32_e32 v27, v4, v19
	v_mov_b32_e32 v26, v24
	v_pk_add_f32 v[24:25], v[20:21], v[24:25] neg_lo:[0,1] neg_hi:[0,1]
	v_pk_add_f32 v[28:29], v[20:21], v[26:27]
	v_mov_b32_e32 v23, v20
	v_mov_b32_e32 v25, v29
	v_pk_add_f32 v[30:31], v[22:23], v[24:25] neg_lo:[0,1] neg_hi:[0,1]
	v_pk_add_f32 v[22:23], v[22:23], v[24:25]
	s_nop 0
	v_mov_b32_e32 v4, v23
	v_pk_add_f32 v[24:25], v[4:5], v[20:21] neg_lo:[0,1] neg_hi:[0,1]
	v_mov_b32_e32 v22, v29
	v_mov_b32_e32 v19, v24
	v_pk_add_f32 v[32:33], v[28:29], v[18:19] neg_lo:[0,1] neg_hi:[0,1]
	v_mov_b32_e32 v28, v21
	v_mov_b32_e32 v29, v24
	;; [unrolled: 1-line block ×3, first 2 shown]
	v_pk_add_f32 v[22:23], v[22:23], v[28:29] neg_lo:[0,1] neg_hi:[0,1]
	v_mov_b32_e32 v24, v27
	v_mov_b32_e32 v25, v20
	v_pk_add_f32 v[20:21], v[24:25], v[22:23] neg_lo:[0,1] neg_hi:[0,1]
	v_mov_b32_e32 v32, v30
	v_pk_add_f32 v[22:23], v[32:33], v[20:21]
	s_nop 0
	v_mov_b32_e32 v24, v23
	v_pk_add_f32 v[24:25], v[22:23], v[24:25]
	s_nop 0
	v_pk_add_f32 v[26:27], v[4:5], v[24:25]
	v_mov_b32_e32 v21, v24
	v_mov_b32_e32 v23, v26
	v_pk_add_f32 v[28:29], v[22:23], v[30:31] neg_lo:[0,1] neg_hi:[0,1]
	s_nop 0
	v_sub_f32_e32 v4, v22, v28
	v_pk_add_f32 v[20:21], v[20:21], v[28:29] neg_lo:[0,1] neg_hi:[0,1]
	v_sub_f32_e32 v4, v30, v4
	v_add_f32_e32 v4, v20, v4
	v_add_f32_e32 v4, v4, v21
	;; [unrolled: 1-line block ×3, first 2 shown]
	v_cndmask_b32_e32 v76, v4, v34, vcc
.LBB109_46:                             ;   in Loop: Header=BB109_12 Depth=1
	s_or_b64 exec, exec, s[36:37]
	v_cvt_f32_f16_e32 v4, v5
	v_add_f32_e32 v77, s33, v4
	v_cmp_ge_f32_e32 vcc, s38, v77
	s_and_b64 s[2:3], s[76:77], vcc
	s_and_saveexec_b64 s[36:37], s[2:3]
	s_cbranch_execz .LBB109_48
; %bb.47:                               ;   in Loop: Header=BB109_12 Depth=1
	v_mul_f32_e32 v4, 0x3fb8aa3b, v77
	v_rndne_f32_e32 v19, v4
	v_sub_f32_e32 v20, v4, v19
	v_fma_f32 v4, v77, s39, -v4
	v_fmac_f32_e32 v4, 0x32a5705f, v77
	v_add_f32_e32 v4, v20, v4
	v_cvt_i32_f32_e32 v19, v19
	v_exp_f32_e32 v4, v4
	v_cmp_ngt_f32_e32 vcc, s40, v77
	v_ldexp_f32 v4, v4, v19
	s_nop 0
	v_cndmask_b32_e32 v4, 0, v4, vcc
	v_cmp_nlt_f32_e32 vcc, s41, v77
	s_nop 1
	v_cndmask_b32_e32 v34, v72, v4, vcc
	v_add_f32_e32 v4, 1.0, v34
	v_add_f32_e32 v19, -1.0, v4
	v_sub_f32_e32 v20, v19, v4
	v_add_f32_e32 v20, 1.0, v20
	v_sub_f32_e32 v19, v34, v19
	v_add_f32_e32 v19, v19, v20
	v_frexp_mant_f32_e32 v22, v4
	v_cvt_f64_f32_e32 v[20:21], v4
	v_frexp_exp_i32_f64_e32 v20, v[20:21]
	v_cmp_gt_f32_e32 vcc, s43, v22
	v_cmp_gt_f32_e64 s[2:3], s45, v34
	s_nop 0
	v_subbrev_co_u32_e32 v28, vcc, 0, v20, vcc
	v_sub_u32_e32 v20, 0, v28
	v_ldexp_f32 v4, v4, v20
	v_ldexp_f32 v19, v19, v20
	v_add_f32_e32 v20, -1.0, v4
	v_add_f32_e32 v21, 1.0, v20
	v_sub_f32_e32 v21, v4, v21
	v_add_f32_e32 v22, v19, v21
	v_add_f32_e32 v21, 1.0, v4
	v_add_f32_e32 v23, -1.0, v21
	v_sub_f32_e32 v4, v4, v23
	v_add_f32_e32 v4, v19, v4
	v_add_f32_e32 v19, v21, v4
	v_rcp_f32_e32 v29, v19
	v_sub_f32_e32 v21, v21, v19
	v_add_f32_e32 v4, v4, v21
	v_add_f32_e32 v21, v20, v22
	v_sub_f32_e32 v20, v20, v21
	v_mul_f32_e32 v31, v21, v29
	v_add_f32_e32 v30, v22, v20
	v_mul_f32_e32 v22, v19, v31
	v_fma_f32 v24, v31, v19, -v22
	v_fmac_f32_e32 v24, v31, v4
	v_add_f32_e32 v20, v22, v24
	v_sub_f32_e32 v23, v21, v20
	v_pk_add_f32 v[26:27], v[20:21], v[22:23] neg_lo:[0,1] neg_hi:[0,1]
	v_mov_b32_e32 v25, v20
	v_pk_add_f32 v[20:21], v[26:27], v[24:25] neg_lo:[0,1] neg_hi:[0,1]
	v_cmp_eq_f32_e32 vcc, s42, v34
	v_add_f32_e32 v21, v30, v21
	v_add_f32_e32 v20, v20, v21
	v_add_f32_e32 v21, v23, v20
	v_mul_f32_e32 v30, v29, v21
	v_mul_f32_e32 v22, v19, v30
	v_fma_f32 v24, v30, v19, -v22
	v_fmac_f32_e32 v24, v30, v4
	v_sub_f32_e32 v4, v23, v21
	v_add_f32_e32 v4, v20, v4
	v_add_f32_e32 v20, v22, v24
	v_sub_f32_e32 v23, v21, v20
	v_pk_add_f32 v[26:27], v[20:21], v[22:23] neg_lo:[0,1] neg_hi:[0,1]
	v_mov_b32_e32 v25, v20
	v_pk_add_f32 v[20:21], v[26:27], v[24:25] neg_lo:[0,1] neg_hi:[0,1]
	s_or_b64 vcc, s[2:3], vcc
	v_add_f32_e32 v4, v4, v21
	v_add_f32_e32 v4, v20, v4
	;; [unrolled: 1-line block ×4, first 2 shown]
	v_sub_f32_e32 v19, v21, v31
	v_mul_f32_e32 v4, v29, v4
	v_sub_f32_e32 v19, v30, v19
	v_add_f32_e32 v4, v19, v4
	v_add_f32_e32 v22, v21, v4
	v_cvt_f32_i32_e32 v20, v28
	v_mul_f32_e32 v24, v22, v22
	v_fmamk_f32 v19, v24, 0x3e9b6dac, v71
	v_sub_f32_e32 v21, v22, v21
	v_fmaak_f32 v19, v24, v19, 0x3f2aaada
	v_sub_f32_e32 v4, v4, v21
	v_mul_f32_e32 v21, v22, v24
	v_pk_mul_f32 v[24:25], v[20:21], v[18:19]
	v_ldexp_f32 v23, v22, 1
	v_fma_f32 v22, v20, s44, -v24
	v_fmac_f32_e32 v22, 0xb102e308, v20
	v_pk_add_f32 v[20:21], v[24:25], v[22:23]
	v_ldexp_f32 v4, v4, 1
	v_sub_f32_e32 v19, v21, v23
	v_sub_f32_e32 v19, v25, v19
	v_add_f32_e32 v27, v4, v19
	v_mov_b32_e32 v26, v24
	v_pk_add_f32 v[24:25], v[20:21], v[24:25] neg_lo:[0,1] neg_hi:[0,1]
	v_pk_add_f32 v[28:29], v[20:21], v[26:27]
	v_mov_b32_e32 v23, v20
	v_mov_b32_e32 v25, v29
	v_pk_add_f32 v[30:31], v[22:23], v[24:25] neg_lo:[0,1] neg_hi:[0,1]
	v_pk_add_f32 v[22:23], v[22:23], v[24:25]
	s_nop 0
	v_mov_b32_e32 v4, v23
	v_pk_add_f32 v[24:25], v[4:5], v[20:21] neg_lo:[0,1] neg_hi:[0,1]
	v_mov_b32_e32 v22, v29
	v_mov_b32_e32 v19, v24
	v_pk_add_f32 v[32:33], v[28:29], v[18:19] neg_lo:[0,1] neg_hi:[0,1]
	v_mov_b32_e32 v28, v21
	v_mov_b32_e32 v29, v24
	;; [unrolled: 1-line block ×3, first 2 shown]
	v_pk_add_f32 v[22:23], v[22:23], v[28:29] neg_lo:[0,1] neg_hi:[0,1]
	v_mov_b32_e32 v24, v27
	v_mov_b32_e32 v25, v20
	v_pk_add_f32 v[20:21], v[24:25], v[22:23] neg_lo:[0,1] neg_hi:[0,1]
	v_mov_b32_e32 v32, v30
	v_pk_add_f32 v[22:23], v[32:33], v[20:21]
	s_nop 0
	v_mov_b32_e32 v24, v23
	v_pk_add_f32 v[24:25], v[22:23], v[24:25]
	s_nop 0
	v_pk_add_f32 v[26:27], v[4:5], v[24:25]
	v_mov_b32_e32 v21, v24
	v_mov_b32_e32 v23, v26
	v_pk_add_f32 v[28:29], v[22:23], v[30:31] neg_lo:[0,1] neg_hi:[0,1]
	s_nop 0
	v_sub_f32_e32 v4, v22, v28
	v_pk_add_f32 v[20:21], v[20:21], v[28:29] neg_lo:[0,1] neg_hi:[0,1]
	v_sub_f32_e32 v4, v30, v4
	v_add_f32_e32 v4, v20, v4
	v_add_f32_e32 v4, v4, v21
	;; [unrolled: 1-line block ×3, first 2 shown]
	v_cndmask_b32_e32 v77, v4, v34, vcc
.LBB109_48:                             ;   in Loop: Header=BB109_12 Depth=1
	s_or_b64 exec, exec, s[36:37]
	v_cvt_f32_f16_sdwa v4, v5 dst_sel:DWORD dst_unused:UNUSED_PAD src0_sel:WORD_1
	v_add_f32_e32 v78, s33, v4
	v_cmp_ge_f32_e32 vcc, s38, v78
	s_and_b64 s[2:3], s[76:77], vcc
	s_and_saveexec_b64 s[36:37], s[2:3]
	s_cbranch_execz .LBB109_50
; %bb.49:                               ;   in Loop: Header=BB109_12 Depth=1
	v_mul_f32_e32 v4, 0x3fb8aa3b, v78
	v_rndne_f32_e32 v5, v4
	v_sub_f32_e32 v19, v4, v5
	v_fma_f32 v4, v78, s39, -v4
	v_fmac_f32_e32 v4, 0x32a5705f, v78
	v_add_f32_e32 v4, v19, v4
	v_cvt_i32_f32_e32 v5, v5
	v_exp_f32_e32 v4, v4
	v_cmp_ngt_f32_e32 vcc, s40, v78
	v_ldexp_f32 v4, v4, v5
	s_nop 0
	v_cndmask_b32_e32 v4, 0, v4, vcc
	v_cmp_nlt_f32_e32 vcc, s41, v78
	s_nop 1
	v_cndmask_b32_e32 v34, v72, v4, vcc
	v_add_f32_e32 v19, 1.0, v34
	v_add_f32_e32 v4, -1.0, v19
	v_sub_f32_e32 v5, v4, v19
	v_add_f32_e32 v5, 1.0, v5
	v_sub_f32_e32 v4, v34, v4
	v_add_f32_e32 v20, v4, v5
	v_frexp_mant_f32_e32 v21, v19
	v_cvt_f64_f32_e32 v[4:5], v19
	v_frexp_exp_i32_f64_e32 v4, v[4:5]
	v_cmp_gt_f32_e32 vcc, s43, v21
	v_cmp_gt_f32_e64 s[2:3], s45, v34
	s_nop 0
	v_subbrev_co_u32_e32 v26, vcc, 0, v4, vcc
	v_sub_u32_e32 v4, 0, v26
	v_ldexp_f32 v5, v19, v4
	v_add_f32_e32 v19, -1.0, v5
	v_add_f32_e32 v21, 1.0, v5
	v_ldexp_f32 v4, v20, v4
	v_add_f32_e32 v20, 1.0, v19
	v_add_f32_e32 v22, -1.0, v21
	v_sub_f32_e32 v20, v5, v20
	v_sub_f32_e32 v5, v5, v22
	v_add_f32_e32 v20, v4, v20
	v_add_f32_e32 v4, v4, v5
	;; [unrolled: 1-line block ×3, first 2 shown]
	v_rcp_f32_e32 v29, v27
	v_sub_f32_e32 v5, v21, v27
	v_add_f32_e32 v28, v4, v5
	v_add_f32_e32 v5, v19, v20
	v_sub_f32_e32 v4, v19, v5
	v_mul_f32_e32 v30, v5, v29
	v_add_f32_e32 v19, v20, v4
	v_mul_f32_e32 v20, v27, v30
	v_fma_f32 v22, v30, v27, -v20
	v_fmac_f32_e32 v22, v30, v28
	v_add_f32_e32 v4, v20, v22
	v_sub_f32_e32 v21, v5, v4
	v_pk_add_f32 v[24:25], v[4:5], v[20:21] neg_lo:[0,1] neg_hi:[0,1]
	v_mov_b32_e32 v23, v4
	v_pk_add_f32 v[4:5], v[24:25], v[22:23] neg_lo:[0,1] neg_hi:[0,1]
	v_cmp_eq_f32_e32 vcc, s42, v34
	v_add_f32_e32 v5, v19, v5
	v_add_f32_e32 v4, v4, v5
	v_add_f32_e32 v5, v21, v4
	v_mul_f32_e32 v19, v29, v5
	v_mul_f32_e32 v20, v27, v19
	v_fma_f32 v22, v19, v27, -v20
	v_fmac_f32_e32 v22, v19, v28
	v_sub_f32_e32 v21, v21, v5
	v_add_f32_e32 v27, v4, v21
	v_add_f32_e32 v4, v20, v22
	v_sub_f32_e32 v21, v5, v4
	v_pk_add_f32 v[24:25], v[4:5], v[20:21] neg_lo:[0,1] neg_hi:[0,1]
	v_mov_b32_e32 v23, v4
	v_pk_add_f32 v[4:5], v[24:25], v[22:23] neg_lo:[0,1] neg_hi:[0,1]
	s_or_b64 vcc, s[2:3], vcc
	v_add_f32_e32 v5, v27, v5
	v_add_f32_e32 v4, v4, v5
	;; [unrolled: 1-line block ×4, first 2 shown]
	v_sub_f32_e32 v20, v5, v30
	v_mul_f32_e32 v4, v29, v4
	v_sub_f32_e32 v19, v19, v20
	v_add_f32_e32 v20, v19, v4
	v_add_f32_e32 v22, v5, v20
	v_mul_f32_e32 v23, v22, v22
	v_fmamk_f32 v4, v23, 0x3e9b6dac, v71
	v_fmaak_f32 v19, v23, v4, 0x3f2aaada
	v_cvt_f32_i32_e32 v4, v26
	v_sub_f32_e32 v5, v22, v5
	v_sub_f32_e32 v5, v20, v5
	v_ldexp_f32 v24, v5, 1
	v_mul_f32_e32 v5, v22, v23
	v_ldexp_f32 v21, v22, 1
	v_pk_mul_f32 v[22:23], v[4:5], v[18:19]
	s_nop 0
	v_fma_f32 v20, v4, s44, -v22
	v_fmac_f32_e32 v20, 0xb102e308, v4
	v_pk_add_f32 v[4:5], v[22:23], v[20:21]
	s_nop 0
	v_sub_f32_e32 v19, v5, v21
	v_sub_f32_e32 v19, v23, v19
	v_add_f32_e32 v25, v24, v19
	v_mov_b32_e32 v24, v22
	v_pk_add_f32 v[22:23], v[4:5], v[22:23] neg_lo:[0,1] neg_hi:[0,1]
	v_pk_add_f32 v[26:27], v[4:5], v[24:25]
	v_mov_b32_e32 v21, v4
	v_mov_b32_e32 v23, v27
	v_pk_add_f32 v[28:29], v[20:21], v[22:23] neg_lo:[0,1] neg_hi:[0,1]
	v_pk_add_f32 v[20:21], v[20:21], v[22:23]
	v_mov_b32_e32 v24, v25
	v_mov_b32_e32 v22, v21
	v_pk_add_f32 v[30:31], v[22:23], v[4:5] neg_lo:[0,1] neg_hi:[0,1]
	v_mov_b32_e32 v20, v27
	v_mov_b32_e32 v19, v30
	v_pk_add_f32 v[32:33], v[26:27], v[18:19] neg_lo:[0,1] neg_hi:[0,1]
	v_mov_b32_e32 v26, v5
	v_mov_b32_e32 v27, v30
	v_mov_b32_e32 v29, v21
	v_pk_add_f32 v[20:21], v[20:21], v[26:27] neg_lo:[0,1] neg_hi:[0,1]
	v_mov_b32_e32 v25, v4
	v_pk_add_f32 v[4:5], v[24:25], v[20:21] neg_lo:[0,1] neg_hi:[0,1]
	v_mov_b32_e32 v32, v28
	v_pk_add_f32 v[20:21], v[32:33], v[4:5]
	s_nop 0
	v_mov_b32_e32 v24, v21
	v_pk_add_f32 v[24:25], v[20:21], v[24:25]
	s_nop 0
	v_pk_add_f32 v[22:23], v[22:23], v[24:25]
	v_mov_b32_e32 v5, v24
	v_mov_b32_e32 v21, v22
	v_pk_add_f32 v[26:27], v[20:21], v[28:29] neg_lo:[0,1] neg_hi:[0,1]
	s_nop 0
	v_sub_f32_e32 v19, v20, v26
	v_pk_add_f32 v[4:5], v[4:5], v[26:27] neg_lo:[0,1] neg_hi:[0,1]
	v_sub_f32_e32 v19, v28, v19
	v_add_f32_e32 v4, v4, v19
	v_add_f32_e32 v4, v4, v5
	;; [unrolled: 1-line block ×3, first 2 shown]
	v_cndmask_b32_e32 v78, v4, v34, vcc
.LBB109_50:                             ;   in Loop: Header=BB109_12 Depth=1
	s_or_b64 exec, exec, s[36:37]
	v_cvt_f32_f16_e32 v4, v6
	v_add_f32_e32 v79, s33, v4
	v_cmp_ge_f32_e32 vcc, s38, v79
	s_and_b64 s[2:3], s[76:77], vcc
	s_and_saveexec_b64 s[36:37], s[2:3]
	s_cbranch_execz .LBB109_52
; %bb.51:                               ;   in Loop: Header=BB109_12 Depth=1
	v_mul_f32_e32 v4, 0x3fb8aa3b, v79
	v_rndne_f32_e32 v5, v4
	v_sub_f32_e32 v19, v4, v5
	v_fma_f32 v4, v79, s39, -v4
	v_fmac_f32_e32 v4, 0x32a5705f, v79
	v_add_f32_e32 v4, v19, v4
	v_cvt_i32_f32_e32 v5, v5
	v_exp_f32_e32 v4, v4
	v_cmp_ngt_f32_e32 vcc, s40, v79
	v_ldexp_f32 v4, v4, v5
	s_nop 0
	v_cndmask_b32_e32 v4, 0, v4, vcc
	v_cmp_nlt_f32_e32 vcc, s41, v79
	s_nop 1
	v_cndmask_b32_e32 v34, v72, v4, vcc
	v_add_f32_e32 v19, 1.0, v34
	v_add_f32_e32 v4, -1.0, v19
	v_sub_f32_e32 v5, v4, v19
	v_add_f32_e32 v5, 1.0, v5
	v_sub_f32_e32 v4, v34, v4
	v_add_f32_e32 v20, v4, v5
	v_frexp_mant_f32_e32 v21, v19
	v_cvt_f64_f32_e32 v[4:5], v19
	v_frexp_exp_i32_f64_e32 v4, v[4:5]
	v_cmp_gt_f32_e32 vcc, s43, v21
	v_cmp_gt_f32_e64 s[2:3], s45, v34
	s_nop 0
	v_subbrev_co_u32_e32 v26, vcc, 0, v4, vcc
	v_sub_u32_e32 v4, 0, v26
	v_ldexp_f32 v5, v19, v4
	v_add_f32_e32 v19, -1.0, v5
	v_add_f32_e32 v21, 1.0, v5
	v_ldexp_f32 v4, v20, v4
	v_add_f32_e32 v20, 1.0, v19
	v_add_f32_e32 v22, -1.0, v21
	v_sub_f32_e32 v20, v5, v20
	v_sub_f32_e32 v5, v5, v22
	v_add_f32_e32 v20, v4, v20
	v_add_f32_e32 v4, v4, v5
	v_add_f32_e32 v27, v21, v4
	v_rcp_f32_e32 v29, v27
	v_sub_f32_e32 v5, v21, v27
	v_add_f32_e32 v28, v4, v5
	v_add_f32_e32 v5, v19, v20
	v_sub_f32_e32 v4, v19, v5
	v_mul_f32_e32 v30, v5, v29
	v_add_f32_e32 v19, v20, v4
	v_mul_f32_e32 v20, v27, v30
	v_fma_f32 v22, v30, v27, -v20
	v_fmac_f32_e32 v22, v30, v28
	v_add_f32_e32 v4, v20, v22
	v_sub_f32_e32 v21, v5, v4
	v_pk_add_f32 v[24:25], v[4:5], v[20:21] neg_lo:[0,1] neg_hi:[0,1]
	v_mov_b32_e32 v23, v4
	v_pk_add_f32 v[4:5], v[24:25], v[22:23] neg_lo:[0,1] neg_hi:[0,1]
	v_cmp_eq_f32_e32 vcc, s42, v34
	v_add_f32_e32 v5, v19, v5
	v_add_f32_e32 v4, v4, v5
	;; [unrolled: 1-line block ×3, first 2 shown]
	v_mul_f32_e32 v19, v29, v5
	v_mul_f32_e32 v20, v27, v19
	v_fma_f32 v22, v19, v27, -v20
	v_fmac_f32_e32 v22, v19, v28
	v_sub_f32_e32 v21, v21, v5
	v_add_f32_e32 v27, v4, v21
	v_add_f32_e32 v4, v20, v22
	v_sub_f32_e32 v21, v5, v4
	v_pk_add_f32 v[24:25], v[4:5], v[20:21] neg_lo:[0,1] neg_hi:[0,1]
	v_mov_b32_e32 v23, v4
	v_pk_add_f32 v[4:5], v[24:25], v[22:23] neg_lo:[0,1] neg_hi:[0,1]
	s_or_b64 vcc, s[2:3], vcc
	v_add_f32_e32 v5, v27, v5
	v_add_f32_e32 v4, v4, v5
	;; [unrolled: 1-line block ×4, first 2 shown]
	v_sub_f32_e32 v20, v5, v30
	v_mul_f32_e32 v4, v29, v4
	v_sub_f32_e32 v19, v19, v20
	v_add_f32_e32 v20, v19, v4
	v_add_f32_e32 v22, v5, v20
	v_mul_f32_e32 v23, v22, v22
	v_fmamk_f32 v4, v23, 0x3e9b6dac, v71
	v_fmaak_f32 v19, v23, v4, 0x3f2aaada
	v_cvt_f32_i32_e32 v4, v26
	v_sub_f32_e32 v5, v22, v5
	v_sub_f32_e32 v5, v20, v5
	v_ldexp_f32 v24, v5, 1
	v_mul_f32_e32 v5, v22, v23
	v_ldexp_f32 v21, v22, 1
	v_pk_mul_f32 v[22:23], v[4:5], v[18:19]
	s_nop 0
	v_fma_f32 v20, v4, s44, -v22
	v_fmac_f32_e32 v20, 0xb102e308, v4
	v_pk_add_f32 v[4:5], v[22:23], v[20:21]
	s_nop 0
	v_sub_f32_e32 v19, v5, v21
	v_sub_f32_e32 v19, v23, v19
	v_add_f32_e32 v25, v24, v19
	v_mov_b32_e32 v24, v22
	v_pk_add_f32 v[22:23], v[4:5], v[22:23] neg_lo:[0,1] neg_hi:[0,1]
	v_pk_add_f32 v[26:27], v[4:5], v[24:25]
	v_mov_b32_e32 v21, v4
	v_mov_b32_e32 v23, v27
	v_pk_add_f32 v[28:29], v[20:21], v[22:23] neg_lo:[0,1] neg_hi:[0,1]
	v_pk_add_f32 v[20:21], v[20:21], v[22:23]
	v_mov_b32_e32 v24, v25
	v_mov_b32_e32 v22, v21
	v_pk_add_f32 v[30:31], v[22:23], v[4:5] neg_lo:[0,1] neg_hi:[0,1]
	v_mov_b32_e32 v20, v27
	v_mov_b32_e32 v19, v30
	v_pk_add_f32 v[32:33], v[26:27], v[18:19] neg_lo:[0,1] neg_hi:[0,1]
	v_mov_b32_e32 v26, v5
	v_mov_b32_e32 v27, v30
	;; [unrolled: 1-line block ×3, first 2 shown]
	v_pk_add_f32 v[20:21], v[20:21], v[26:27] neg_lo:[0,1] neg_hi:[0,1]
	v_mov_b32_e32 v25, v4
	v_pk_add_f32 v[4:5], v[24:25], v[20:21] neg_lo:[0,1] neg_hi:[0,1]
	v_mov_b32_e32 v32, v28
	v_pk_add_f32 v[20:21], v[32:33], v[4:5]
	s_nop 0
	v_mov_b32_e32 v24, v21
	v_pk_add_f32 v[24:25], v[20:21], v[24:25]
	s_nop 0
	v_pk_add_f32 v[22:23], v[22:23], v[24:25]
	v_mov_b32_e32 v5, v24
	v_mov_b32_e32 v21, v22
	v_pk_add_f32 v[26:27], v[20:21], v[28:29] neg_lo:[0,1] neg_hi:[0,1]
	s_nop 0
	v_sub_f32_e32 v19, v20, v26
	v_pk_add_f32 v[4:5], v[4:5], v[26:27] neg_lo:[0,1] neg_hi:[0,1]
	v_sub_f32_e32 v19, v28, v19
	v_add_f32_e32 v4, v4, v19
	v_add_f32_e32 v4, v4, v5
	;; [unrolled: 1-line block ×3, first 2 shown]
	v_cndmask_b32_e32 v79, v4, v34, vcc
.LBB109_52:                             ;   in Loop: Header=BB109_12 Depth=1
	s_or_b64 exec, exec, s[36:37]
	v_cvt_f32_f16_sdwa v4, v6 dst_sel:DWORD dst_unused:UNUSED_PAD src0_sel:WORD_1
	v_add_f32_e32 v80, s33, v4
	v_cmp_ge_f32_e32 vcc, s38, v80
	s_and_b64 s[2:3], s[76:77], vcc
	s_and_saveexec_b64 s[36:37], s[2:3]
	s_cbranch_execz .LBB109_54
; %bb.53:                               ;   in Loop: Header=BB109_12 Depth=1
	v_mul_f32_e32 v4, 0x3fb8aa3b, v80
	v_rndne_f32_e32 v5, v4
	v_sub_f32_e32 v6, v4, v5
	v_fma_f32 v4, v80, s39, -v4
	v_fmac_f32_e32 v4, 0x32a5705f, v80
	v_add_f32_e32 v4, v6, v4
	v_cvt_i32_f32_e32 v5, v5
	v_exp_f32_e32 v4, v4
	v_cmp_ngt_f32_e32 vcc, s40, v80
	v_ldexp_f32 v4, v4, v5
	s_nop 0
	v_cndmask_b32_e32 v4, 0, v4, vcc
	v_cmp_nlt_f32_e32 vcc, s41, v80
	s_nop 1
	v_cndmask_b32_e32 v32, v72, v4, vcc
	v_add_f32_e32 v6, 1.0, v32
	v_add_f32_e32 v4, -1.0, v6
	v_sub_f32_e32 v5, v4, v6
	v_add_f32_e32 v5, 1.0, v5
	v_sub_f32_e32 v4, v32, v4
	v_add_f32_e32 v19, v4, v5
	v_frexp_mant_f32_e32 v20, v6
	v_cvt_f64_f32_e32 v[4:5], v6
	v_frexp_exp_i32_f64_e32 v4, v[4:5]
	v_cmp_gt_f32_e32 vcc, s43, v20
	v_cmp_gt_f32_e64 s[2:3], s45, v32
	s_nop 0
	v_subbrev_co_u32_e32 v26, vcc, 0, v4, vcc
	v_sub_u32_e32 v4, 0, v26
	v_ldexp_f32 v5, v6, v4
	v_add_f32_e32 v6, -1.0, v5
	v_add_f32_e32 v20, 1.0, v5
	v_ldexp_f32 v4, v19, v4
	v_add_f32_e32 v19, 1.0, v6
	v_add_f32_e32 v21, -1.0, v20
	v_sub_f32_e32 v19, v5, v19
	v_sub_f32_e32 v5, v5, v21
	v_add_f32_e32 v19, v4, v19
	v_add_f32_e32 v4, v4, v5
	;; [unrolled: 1-line block ×3, first 2 shown]
	v_rcp_f32_e32 v29, v27
	v_sub_f32_e32 v5, v20, v27
	v_add_f32_e32 v28, v4, v5
	v_add_f32_e32 v5, v6, v19
	v_sub_f32_e32 v4, v6, v5
	v_add_f32_e32 v6, v19, v4
	v_mul_f32_e32 v19, v5, v29
	v_mul_f32_e32 v20, v27, v19
	v_fma_f32 v22, v19, v27, -v20
	v_fmac_f32_e32 v22, v19, v28
	v_add_f32_e32 v4, v20, v22
	v_sub_f32_e32 v21, v5, v4
	v_pk_add_f32 v[24:25], v[4:5], v[20:21] neg_lo:[0,1] neg_hi:[0,1]
	v_mov_b32_e32 v23, v4
	v_pk_add_f32 v[4:5], v[24:25], v[22:23] neg_lo:[0,1] neg_hi:[0,1]
	v_cmp_eq_f32_e32 vcc, s42, v32
	v_add_f32_e32 v5, v6, v5
	v_add_f32_e32 v4, v4, v5
	;; [unrolled: 1-line block ×3, first 2 shown]
	v_mul_f32_e32 v6, v29, v5
	v_mul_f32_e32 v20, v27, v6
	v_fma_f32 v22, v6, v27, -v20
	v_fmac_f32_e32 v22, v6, v28
	v_sub_f32_e32 v21, v21, v5
	v_add_f32_e32 v27, v4, v21
	v_add_f32_e32 v4, v20, v22
	v_sub_f32_e32 v21, v5, v4
	v_pk_add_f32 v[24:25], v[4:5], v[20:21] neg_lo:[0,1] neg_hi:[0,1]
	v_mov_b32_e32 v23, v4
	v_pk_add_f32 v[4:5], v[24:25], v[22:23] neg_lo:[0,1] neg_hi:[0,1]
	s_or_b64 vcc, s[2:3], vcc
	v_add_f32_e32 v5, v27, v5
	v_add_f32_e32 v4, v4, v5
	v_add_f32_e32 v5, v19, v6
	v_add_f32_e32 v4, v21, v4
	v_sub_f32_e32 v19, v5, v19
	v_mul_f32_e32 v4, v29, v4
	v_sub_f32_e32 v6, v6, v19
	v_add_f32_e32 v6, v6, v4
	v_add_f32_e32 v20, v5, v6
	v_mul_f32_e32 v22, v20, v20
	v_fmamk_f32 v4, v22, 0x3e9b6dac, v71
	v_fmaak_f32 v19, v22, v4, 0x3f2aaada
	v_cvt_f32_i32_e32 v4, v26
	v_sub_f32_e32 v5, v20, v5
	v_sub_f32_e32 v5, v6, v5
	v_ldexp_f32 v6, v5, 1
	v_mul_f32_e32 v5, v20, v22
	v_pk_mul_f32 v[22:23], v[4:5], v[18:19]
	v_ldexp_f32 v21, v20, 1
	v_fma_f32 v20, v4, s44, -v22
	v_fmac_f32_e32 v20, 0xb102e308, v4
	v_pk_add_f32 v[4:5], v[22:23], v[20:21]
	v_mov_b32_e32 v24, v22
	v_sub_f32_e32 v19, v5, v21
	v_sub_f32_e32 v19, v23, v19
	v_add_f32_e32 v25, v6, v19
	v_pk_add_f32 v[22:23], v[4:5], v[22:23] neg_lo:[0,1] neg_hi:[0,1]
	v_pk_add_f32 v[26:27], v[4:5], v[24:25]
	v_mov_b32_e32 v21, v4
	v_mov_b32_e32 v23, v27
	v_pk_add_f32 v[28:29], v[20:21], v[22:23] neg_lo:[0,1] neg_hi:[0,1]
	v_pk_add_f32 v[20:21], v[20:21], v[22:23]
	s_nop 0
	v_mov_b32_e32 v6, v21
	v_pk_add_f32 v[22:23], v[6:7], v[4:5] neg_lo:[0,1] neg_hi:[0,1]
	v_mov_b32_e32 v20, v27
	v_mov_b32_e32 v19, v22
	v_pk_add_f32 v[30:31], v[26:27], v[18:19] neg_lo:[0,1] neg_hi:[0,1]
	v_mov_b32_e32 v26, v5
	v_mov_b32_e32 v27, v22
	;; [unrolled: 1-line block ×3, first 2 shown]
	v_pk_add_f32 v[20:21], v[20:21], v[26:27] neg_lo:[0,1] neg_hi:[0,1]
	v_mov_b32_e32 v22, v25
	v_mov_b32_e32 v23, v4
	v_pk_add_f32 v[4:5], v[22:23], v[20:21] neg_lo:[0,1] neg_hi:[0,1]
	v_mov_b32_e32 v30, v28
	v_pk_add_f32 v[20:21], v[30:31], v[4:5]
	s_nop 0
	v_mov_b32_e32 v22, v21
	v_pk_add_f32 v[22:23], v[20:21], v[22:23]
	s_nop 0
	v_pk_add_f32 v[24:25], v[6:7], v[22:23]
	v_mov_b32_e32 v5, v22
	v_mov_b32_e32 v21, v24
	v_pk_add_f32 v[26:27], v[20:21], v[28:29] neg_lo:[0,1] neg_hi:[0,1]
	s_nop 0
	v_sub_f32_e32 v6, v20, v26
	v_pk_add_f32 v[4:5], v[4:5], v[26:27] neg_lo:[0,1] neg_hi:[0,1]
	v_sub_f32_e32 v6, v28, v6
	v_add_f32_e32 v4, v4, v6
	v_add_f32_e32 v4, v4, v5
	;; [unrolled: 1-line block ×3, first 2 shown]
	v_cndmask_b32_e32 v80, v4, v32, vcc
.LBB109_54:                             ;   in Loop: Header=BB109_12 Depth=1
	s_or_b64 exec, exec, s[36:37]
	v_cvt_f32_f16_e32 v4, v7
	v_add_f32_e32 v81, s33, v4
	v_cmp_ge_f32_e32 vcc, s38, v81
	s_and_b64 s[2:3], s[76:77], vcc
	s_and_saveexec_b64 s[36:37], s[2:3]
	s_cbranch_execz .LBB109_56
; %bb.55:                               ;   in Loop: Header=BB109_12 Depth=1
	v_mul_f32_e32 v4, 0x3fb8aa3b, v81
	v_rndne_f32_e32 v5, v4
	v_sub_f32_e32 v6, v4, v5
	v_fma_f32 v4, v81, s39, -v4
	v_fmac_f32_e32 v4, 0x32a5705f, v81
	v_add_f32_e32 v4, v6, v4
	v_cvt_i32_f32_e32 v5, v5
	v_exp_f32_e32 v4, v4
	v_cmp_ngt_f32_e32 vcc, s40, v81
	v_ldexp_f32 v4, v4, v5
	s_nop 0
	v_cndmask_b32_e32 v4, 0, v4, vcc
	v_cmp_nlt_f32_e32 vcc, s41, v81
	s_nop 1
	v_cndmask_b32_e32 v32, v72, v4, vcc
	v_add_f32_e32 v6, 1.0, v32
	v_add_f32_e32 v4, -1.0, v6
	v_sub_f32_e32 v5, v4, v6
	v_add_f32_e32 v5, 1.0, v5
	v_sub_f32_e32 v4, v32, v4
	v_add_f32_e32 v19, v4, v5
	v_frexp_mant_f32_e32 v20, v6
	v_cvt_f64_f32_e32 v[4:5], v6
	v_frexp_exp_i32_f64_e32 v4, v[4:5]
	v_cmp_gt_f32_e32 vcc, s43, v20
	v_cmp_gt_f32_e64 s[2:3], s45, v32
	s_nop 0
	v_subbrev_co_u32_e32 v26, vcc, 0, v4, vcc
	v_sub_u32_e32 v4, 0, v26
	v_ldexp_f32 v5, v6, v4
	v_add_f32_e32 v6, -1.0, v5
	v_add_f32_e32 v20, 1.0, v5
	v_ldexp_f32 v4, v19, v4
	v_add_f32_e32 v19, 1.0, v6
	v_add_f32_e32 v21, -1.0, v20
	v_sub_f32_e32 v19, v5, v19
	v_sub_f32_e32 v5, v5, v21
	v_add_f32_e32 v19, v4, v19
	v_add_f32_e32 v4, v4, v5
	;; [unrolled: 1-line block ×3, first 2 shown]
	v_rcp_f32_e32 v29, v27
	v_sub_f32_e32 v5, v20, v27
	v_add_f32_e32 v28, v4, v5
	v_add_f32_e32 v5, v6, v19
	v_sub_f32_e32 v4, v6, v5
	v_add_f32_e32 v6, v19, v4
	v_mul_f32_e32 v19, v5, v29
	v_mul_f32_e32 v20, v27, v19
	v_fma_f32 v22, v19, v27, -v20
	v_fmac_f32_e32 v22, v19, v28
	v_add_f32_e32 v4, v20, v22
	v_sub_f32_e32 v21, v5, v4
	v_pk_add_f32 v[24:25], v[4:5], v[20:21] neg_lo:[0,1] neg_hi:[0,1]
	v_mov_b32_e32 v23, v4
	v_pk_add_f32 v[4:5], v[24:25], v[22:23] neg_lo:[0,1] neg_hi:[0,1]
	v_cmp_eq_f32_e32 vcc, s42, v32
	v_add_f32_e32 v5, v6, v5
	v_add_f32_e32 v4, v4, v5
	;; [unrolled: 1-line block ×3, first 2 shown]
	v_mul_f32_e32 v6, v29, v5
	v_mul_f32_e32 v20, v27, v6
	v_fma_f32 v22, v6, v27, -v20
	v_fmac_f32_e32 v22, v6, v28
	v_sub_f32_e32 v21, v21, v5
	v_add_f32_e32 v27, v4, v21
	v_add_f32_e32 v4, v20, v22
	v_sub_f32_e32 v21, v5, v4
	v_pk_add_f32 v[24:25], v[4:5], v[20:21] neg_lo:[0,1] neg_hi:[0,1]
	v_mov_b32_e32 v23, v4
	v_pk_add_f32 v[4:5], v[24:25], v[22:23] neg_lo:[0,1] neg_hi:[0,1]
	s_or_b64 vcc, s[2:3], vcc
	v_add_f32_e32 v5, v27, v5
	v_add_f32_e32 v4, v4, v5
	;; [unrolled: 1-line block ×4, first 2 shown]
	v_sub_f32_e32 v19, v5, v19
	v_mul_f32_e32 v4, v29, v4
	v_sub_f32_e32 v6, v6, v19
	v_add_f32_e32 v6, v6, v4
	v_add_f32_e32 v20, v5, v6
	v_mul_f32_e32 v22, v20, v20
	v_fmamk_f32 v4, v22, 0x3e9b6dac, v71
	v_fmaak_f32 v19, v22, v4, 0x3f2aaada
	v_cvt_f32_i32_e32 v4, v26
	v_sub_f32_e32 v5, v20, v5
	v_sub_f32_e32 v5, v6, v5
	v_ldexp_f32 v6, v5, 1
	v_mul_f32_e32 v5, v20, v22
	v_pk_mul_f32 v[22:23], v[4:5], v[18:19]
	v_ldexp_f32 v21, v20, 1
	v_fma_f32 v20, v4, s44, -v22
	v_fmac_f32_e32 v20, 0xb102e308, v4
	v_pk_add_f32 v[4:5], v[22:23], v[20:21]
	v_mov_b32_e32 v24, v22
	v_sub_f32_e32 v19, v5, v21
	v_sub_f32_e32 v19, v23, v19
	v_add_f32_e32 v25, v6, v19
	v_pk_add_f32 v[22:23], v[4:5], v[22:23] neg_lo:[0,1] neg_hi:[0,1]
	v_pk_add_f32 v[26:27], v[4:5], v[24:25]
	v_mov_b32_e32 v21, v4
	v_mov_b32_e32 v23, v27
	v_pk_add_f32 v[28:29], v[20:21], v[22:23] neg_lo:[0,1] neg_hi:[0,1]
	v_pk_add_f32 v[20:21], v[20:21], v[22:23]
	s_nop 0
	v_mov_b32_e32 v6, v21
	v_pk_add_f32 v[22:23], v[6:7], v[4:5] neg_lo:[0,1] neg_hi:[0,1]
	v_mov_b32_e32 v20, v27
	v_mov_b32_e32 v19, v22
	v_pk_add_f32 v[30:31], v[26:27], v[18:19] neg_lo:[0,1] neg_hi:[0,1]
	v_mov_b32_e32 v26, v5
	v_mov_b32_e32 v27, v22
	;; [unrolled: 1-line block ×3, first 2 shown]
	v_pk_add_f32 v[20:21], v[20:21], v[26:27] neg_lo:[0,1] neg_hi:[0,1]
	v_mov_b32_e32 v22, v25
	v_mov_b32_e32 v23, v4
	v_pk_add_f32 v[4:5], v[22:23], v[20:21] neg_lo:[0,1] neg_hi:[0,1]
	v_mov_b32_e32 v30, v28
	v_pk_add_f32 v[20:21], v[30:31], v[4:5]
	s_nop 0
	v_mov_b32_e32 v22, v21
	v_pk_add_f32 v[22:23], v[20:21], v[22:23]
	s_nop 0
	v_pk_add_f32 v[24:25], v[6:7], v[22:23]
	v_mov_b32_e32 v5, v22
	v_mov_b32_e32 v21, v24
	v_pk_add_f32 v[26:27], v[20:21], v[28:29] neg_lo:[0,1] neg_hi:[0,1]
	s_nop 0
	v_sub_f32_e32 v6, v20, v26
	v_pk_add_f32 v[4:5], v[4:5], v[26:27] neg_lo:[0,1] neg_hi:[0,1]
	v_sub_f32_e32 v6, v28, v6
	v_add_f32_e32 v4, v4, v6
	v_add_f32_e32 v4, v4, v5
	v_add_f32_e32 v4, v24, v4
	v_cndmask_b32_e32 v81, v4, v32, vcc
.LBB109_56:                             ;   in Loop: Header=BB109_12 Depth=1
	s_or_b64 exec, exec, s[36:37]
	v_cvt_f32_f16_sdwa v4, v7 dst_sel:DWORD dst_unused:UNUSED_PAD src0_sel:WORD_1
	v_add_f32_e32 v19, s33, v4
	v_cmp_ge_f32_e32 vcc, s38, v19
	s_and_b64 s[2:3], s[76:77], vcc
	s_and_saveexec_b64 s[36:37], s[2:3]
	s_cbranch_execz .LBB109_58
; %bb.57:                               ;   in Loop: Header=BB109_12 Depth=1
	v_mul_f32_e32 v4, 0x3fb8aa3b, v19
	v_rndne_f32_e32 v5, v4
	v_sub_f32_e32 v6, v4, v5
	v_fma_f32 v4, v19, s39, -v4
	v_fmac_f32_e32 v4, 0x32a5705f, v19
	v_add_f32_e32 v4, v6, v4
	v_cvt_i32_f32_e32 v5, v5
	v_exp_f32_e32 v4, v4
	v_cmp_ngt_f32_e32 vcc, s40, v19
	v_ldexp_f32 v4, v4, v5
	s_nop 0
	v_cndmask_b32_e32 v4, 0, v4, vcc
	v_cmp_nlt_f32_e32 vcc, s41, v19
	s_nop 1
	v_cndmask_b32_e32 v32, v72, v4, vcc
	v_add_f32_e32 v6, 1.0, v32
	v_add_f32_e32 v4, -1.0, v6
	v_sub_f32_e32 v5, v4, v6
	v_add_f32_e32 v5, 1.0, v5
	v_sub_f32_e32 v4, v32, v4
	v_add_f32_e32 v7, v4, v5
	v_frexp_mant_f32_e32 v19, v6
	v_cvt_f64_f32_e32 v[4:5], v6
	v_frexp_exp_i32_f64_e32 v4, v[4:5]
	v_cmp_gt_f32_e32 vcc, s43, v19
	v_cmp_gt_f32_e64 s[2:3], s45, v32
	s_nop 0
	v_subbrev_co_u32_e32 v24, vcc, 0, v4, vcc
	v_sub_u32_e32 v4, 0, v24
	v_ldexp_f32 v5, v6, v4
	v_add_f32_e32 v6, -1.0, v5
	v_add_f32_e32 v19, 1.0, v5
	v_ldexp_f32 v4, v7, v4
	v_add_f32_e32 v7, 1.0, v6
	v_add_f32_e32 v20, -1.0, v19
	v_sub_f32_e32 v7, v5, v7
	v_sub_f32_e32 v5, v5, v20
	v_add_f32_e32 v7, v4, v7
	v_add_f32_e32 v4, v4, v5
	;; [unrolled: 1-line block ×3, first 2 shown]
	v_rcp_f32_e32 v26, v25
	v_sub_f32_e32 v5, v19, v25
	v_add_f32_e32 v19, v4, v5
	v_add_f32_e32 v5, v6, v7
	v_mul_f32_e32 v28, v5, v26
	v_sub_f32_e32 v4, v6, v5
	v_mul_f32_e32 v6, v25, v28
	v_fma_f32 v20, v28, v25, -v6
	v_fmac_f32_e32 v20, v28, v19
	v_add_f32_e32 v27, v7, v4
	v_add_f32_e32 v4, v6, v20
	v_sub_f32_e32 v7, v5, v4
	v_pk_add_f32 v[22:23], v[4:5], v[6:7] neg_lo:[0,1] neg_hi:[0,1]
	v_mov_b32_e32 v21, v4
	v_pk_add_f32 v[4:5], v[22:23], v[20:21] neg_lo:[0,1] neg_hi:[0,1]
	v_cmp_eq_f32_e32 vcc, s42, v32
	v_add_f32_e32 v5, v27, v5
	v_add_f32_e32 v4, v4, v5
	;; [unrolled: 1-line block ×3, first 2 shown]
	v_mul_f32_e32 v27, v26, v5
	v_mul_f32_e32 v6, v25, v27
	v_fma_f32 v20, v27, v25, -v6
	v_fmac_f32_e32 v20, v27, v19
	v_sub_f32_e32 v7, v7, v5
	v_add_f32_e32 v19, v4, v7
	v_add_f32_e32 v4, v6, v20
	v_sub_f32_e32 v7, v5, v4
	v_pk_add_f32 v[22:23], v[4:5], v[6:7] neg_lo:[0,1] neg_hi:[0,1]
	v_mov_b32_e32 v21, v4
	v_pk_add_f32 v[4:5], v[22:23], v[20:21] neg_lo:[0,1] neg_hi:[0,1]
	s_or_b64 vcc, s[2:3], vcc
	v_add_f32_e32 v5, v19, v5
	v_add_f32_e32 v4, v4, v5
	v_add_f32_e32 v5, v28, v27
	v_add_f32_e32 v4, v7, v4
	v_sub_f32_e32 v6, v5, v28
	v_mul_f32_e32 v4, v26, v4
	v_sub_f32_e32 v6, v27, v6
	v_add_f32_e32 v6, v6, v4
	v_add_f32_e32 v20, v5, v6
	v_mul_f32_e32 v21, v20, v20
	v_fmamk_f32 v4, v21, 0x3e9b6dac, v71
	v_fmaak_f32 v19, v21, v4, 0x3f2aaada
	v_cvt_f32_i32_e32 v4, v24
	v_sub_f32_e32 v5, v20, v5
	v_sub_f32_e32 v5, v6, v5
	v_ldexp_f32 v22, v5, 1
	v_mul_f32_e32 v5, v20, v21
	v_ldexp_f32 v7, v20, 1
	v_pk_mul_f32 v[20:21], v[4:5], v[18:19]
	s_nop 0
	v_fma_f32 v6, v4, s44, -v20
	v_fmac_f32_e32 v6, 0xb102e308, v4
	v_pk_add_f32 v[4:5], v[20:21], v[6:7]
	s_nop 0
	v_sub_f32_e32 v7, v5, v7
	v_sub_f32_e32 v7, v21, v7
	v_add_f32_e32 v23, v22, v7
	v_mov_b32_e32 v22, v20
	v_pk_add_f32 v[20:21], v[4:5], v[20:21] neg_lo:[0,1] neg_hi:[0,1]
	v_pk_add_f32 v[24:25], v[4:5], v[22:23]
	v_mov_b32_e32 v7, v4
	v_mov_b32_e32 v21, v25
	v_pk_add_f32 v[26:27], v[6:7], v[20:21] neg_lo:[0,1] neg_hi:[0,1]
	v_pk_add_f32 v[6:7], v[6:7], v[20:21]
	v_mov_b32_e32 v22, v23
	v_mov_b32_e32 v20, v7
	v_pk_add_f32 v[28:29], v[20:21], v[4:5] neg_lo:[0,1] neg_hi:[0,1]
	v_mov_b32_e32 v6, v25
	v_mov_b32_e32 v19, v28
	v_pk_add_f32 v[30:31], v[24:25], v[18:19] neg_lo:[0,1] neg_hi:[0,1]
	v_mov_b32_e32 v24, v5
	v_mov_b32_e32 v25, v28
	;; [unrolled: 1-line block ×3, first 2 shown]
	v_pk_add_f32 v[6:7], v[6:7], v[24:25] neg_lo:[0,1] neg_hi:[0,1]
	v_mov_b32_e32 v23, v4
	v_pk_add_f32 v[4:5], v[22:23], v[6:7] neg_lo:[0,1] neg_hi:[0,1]
	v_mov_b32_e32 v30, v26
	v_pk_add_f32 v[6:7], v[30:31], v[4:5]
	s_nop 0
	v_mov_b32_e32 v22, v7
	v_pk_add_f32 v[22:23], v[6:7], v[22:23]
	s_nop 0
	v_pk_add_f32 v[20:21], v[20:21], v[22:23]
	v_mov_b32_e32 v5, v22
	v_mov_b32_e32 v7, v20
	v_pk_add_f32 v[24:25], v[6:7], v[26:27] neg_lo:[0,1] neg_hi:[0,1]
	s_nop 0
	v_sub_f32_e32 v6, v6, v24
	v_pk_add_f32 v[4:5], v[4:5], v[24:25] neg_lo:[0,1] neg_hi:[0,1]
	v_sub_f32_e32 v6, v26, v6
	v_add_f32_e32 v4, v4, v6
	v_add_f32_e32 v4, v4, v5
	;; [unrolled: 1-line block ×3, first 2 shown]
	v_cndmask_b32_e32 v19, v4, v32, vcc
.LBB109_58:                             ;   in Loop: Header=BB109_12 Depth=1
	s_or_b64 exec, exec, s[36:37]
	v_cvt_f32_f16_e32 v4, v3
	v_cvt_f32_f16_sdwa v5, v2 dst_sel:DWORD dst_unused:UNUSED_PAD src0_sel:WORD_1
	v_cvt_f32_f16_e32 v2, v2
	v_cvt_f32_f16_sdwa v7, v3 dst_sel:DWORD dst_unused:UNUSED_PAD src0_sel:WORD_1
	v_cvt_f32_f16_sdwa v3, v1 dst_sel:DWORD dst_unused:UNUSED_PAD src0_sel:WORD_1
	v_cvt_f32_f16_e32 v1, v1
	v_cvt_f32_f16_sdwa v6, v0 dst_sel:DWORD dst_unused:UNUSED_PAD src0_sel:WORD_1
	v_cvt_f32_f16_e32 v0, v0
	v_readlane_b32 s2, v95, 0
	v_readlane_b32 s3, v95, 1
	v_mul_f32_e32 v22, s94, v4
	v_mul_f32_e32 v21, s94, v5
	;; [unrolled: 1-line block ×8, first 2 shown]
	s_and_b64 vcc, exec, s[2:3]
	s_waitcnt lgkmcnt(0)
	; wave barrier
	s_cbranch_vccz .LBB109_119
; %bb.59:                               ;   in Loop: Header=BB109_12 Depth=1
	s_cmp_lg_u32 s98, 0
	v_readlane_b32 s36, v95, 5
	v_mul_f32_e32 v89, v75, v0
	s_cselect_b64 s[2:3], -1, 0
	s_cmp_eq_u32 s98, s36
	v_cmp_gt_u32_e32 vcc, s50, v11
	v_or_b32_e32 v0, 1, v11
	s_cselect_b64 s[82:83], -1, 0
	s_or_b64 s[36:37], s[80:81], vcc
	v_cmp_gt_u32_e32 vcc, s50, v0
	v_or_b32_e32 v0, 2, v11
	s_or_b64 s[38:39], s[80:81], vcc
	v_cmp_gt_u32_e32 vcc, s50, v0
	v_or_b32_e32 v0, 3, v11
	;; [unrolled: 3-line block ×5, first 2 shown]
	s_or_b64 s[46:47], s[80:81], vcc
	v_cmp_gt_u32_e32 vcc, s50, v0
	v_readlane_b32 s90, v95, 2
	s_mov_b32 s74, 0
	s_or_b64 s[48:49], s[80:81], vcc
	v_cmp_gt_u32_e32 vcc, s50, v70
	v_readlane_b32 s91, v95, 3
	v_mul_f32_e32 v82, v19, v7
	v_lshl_add_u64 v[28:29], s[58:59], 0, v[8:9]
	v_lshl_add_u64 v[30:31], s[62:63], 0, v[8:9]
	v_mul_f32_e32 v83, v81, v4
	v_mul_f32_e32 v84, v80, v5
	;; [unrolled: 1-line block ×6, first 2 shown]
	s_or_b64 s[50:51], s[80:81], vcc
	s_mov_b32 s84, s74
	s_mov_b32 s86, s74
	;; [unrolled: 1-line block ×4, first 2 shown]
	v_readlane_b32 s99, v95, 6
	s_branch .LBB109_61
.LBB109_60:                             ;   in Loop: Header=BB109_61 Depth=2
	s_or_b64 exec, exec, s[90:91]
	v_mul_f32_e32 v32, v90, v67
	v_fma_f32 v33, v90, v68, v4
	v_cndmask_b32_e64 v4, v33, v4, s[16:17]
	v_cndmask_b32_e64 v32, v32, v90, s[16:17]
	s_waitcnt lgkmcnt(0)
	v_fmac_f32_e32 v4, v38, v32
	v_fmac_f32_e32 v5, v4, v91
	;; [unrolled: 1-line block ×7, first 2 shown]
	v_cvt_f32_f16_sdwa v33, v0 dst_sel:DWORD dst_unused:UNUSED_PAD src0_sel:WORD_1
	v_cvt_f32_f16_sdwa v39, v1 dst_sel:DWORD dst_unused:UNUSED_PAD src0_sel:WORD_1
	v_cvt_f32_f16_e32 v32, v0
	v_cvt_f32_f16_e32 v38, v1
	v_cvt_f32_f16_sdwa v1, v2 dst_sel:DWORD dst_unused:UNUSED_PAD src0_sel:WORD_1
	v_cvt_f32_f16_sdwa v65, v3 dst_sel:DWORD dst_unused:UNUSED_PAD src0_sel:WORD_1
	v_cvt_f32_f16_e32 v64, v3
	v_cvt_f32_f16_e32 v0, v2
	v_fmac_f32_e32 v37, v36, v66
	s_add_i32 s99, s99, 8
	s_add_i32 s71, s71, -1
	s_add_i32 s88, s88, s95
	s_add_i32 s86, s86, s64
	;; [unrolled: 1-line block ×4, first 2 shown]
	v_pk_fma_f32 v[26:27], v[34:35], v[38:39], v[26:27]
	v_pk_fma_f32 v[24:25], v[4:5], v[32:33], v[24:25]
	;; [unrolled: 1-line block ×3, first 2 shown]
	s_cmp_eq_u32 s71, 0
	v_pk_fma_f32 v[20:21], v[6:7], v[0:1], v[20:21]
	s_cbranch_scc1 .LBB109_118
.LBB109_61:                             ;   Parent Loop BB109_12 Depth=1
                                        ; =>  This Inner Loop Header: Depth=2
	s_lshl_b64 s[90:91], s[74:75], 2
	s_add_u32 s90, s56, s90
	s_addc_u32 s91, s96, s91
	global_load_dword v34, v9, s[90:91]
	s_mov_b32 s85, s75
	v_lshl_add_u64 v[0:1], s[84:85], 1, v[28:29]
	v_mov_b32_e32 v2, 0
	v_mov_b32_e32 v3, 0
	s_and_saveexec_b64 s[90:91], s[18:19]
	s_cbranch_execnz .LBB109_81
; %bb.62:                               ;   in Loop: Header=BB109_61 Depth=2
	s_or_b64 exec, exec, s[90:91]
	s_and_saveexec_b64 s[90:91], s[20:21]
	s_cbranch_execnz .LBB109_82
.LBB109_63:                             ;   in Loop: Header=BB109_61 Depth=2
	s_or_b64 exec, exec, s[90:91]
	v_mov_b32_e32 v4, 0
	s_and_saveexec_b64 s[90:91], s[22:23]
	s_cbranch_execnz .LBB109_83
.LBB109_64:                             ;   in Loop: Header=BB109_61 Depth=2
	s_or_b64 exec, exec, s[90:91]
	s_and_saveexec_b64 s[90:91], s[24:25]
	s_cbranch_execnz .LBB109_84
.LBB109_65:                             ;   in Loop: Header=BB109_61 Depth=2
	s_or_b64 exec, exec, s[90:91]
	v_mov_b32_e32 v5, 0
	s_and_saveexec_b64 s[90:91], s[26:27]
	s_cbranch_execnz .LBB109_85
.LBB109_66:                             ;   in Loop: Header=BB109_61 Depth=2
	s_or_b64 exec, exec, s[90:91]
	s_and_saveexec_b64 s[90:91], s[28:29]
	s_cbranch_execnz .LBB109_86
.LBB109_67:                             ;   in Loop: Header=BB109_61 Depth=2
	s_or_b64 exec, exec, s[90:91]
	v_mov_b32_e32 v6, 0
	s_and_saveexec_b64 s[90:91], s[30:31]
	s_cbranch_execnz .LBB109_87
.LBB109_68:                             ;   in Loop: Header=BB109_61 Depth=2
	s_or_b64 exec, exec, s[90:91]
	s_and_saveexec_b64 s[90:91], s[34:35]
	s_cbranch_execz .LBB109_70
.LBB109_69:                             ;   in Loop: Header=BB109_61 Depth=2
	global_load_ushort v0, v[0:1], off offset:896
	s_waitcnt vmcnt(0)
	v_lshl_or_b32 v6, v0, 16, v6
.LBB109_70:                             ;   in Loop: Header=BB109_61 Depth=2
	s_or_b64 exec, exec, s[90:91]
	s_waitcnt vmcnt(0)
	ds_write_b16 v47, v3
	ds_write_b16 v48, v2 offset:128
	ds_write_b16 v49, v4 offset:256
	ds_write_b16_d16_hi v50, v4 offset:384
	ds_write_b16 v51, v5 offset:512
	ds_write_b16_d16_hi v52, v5 offset:640
	;; [unrolled: 2-line block ×3, first 2 shown]
	; wave barrier
	ds_read_b128 v[4:7], v55
	s_mov_b32 s87, s75
	v_lshl_add_u64 v[0:1], s[86:87], 1, v[30:31]
	v_mov_b32_e32 v2, 0
	v_mov_b32_e32 v3, 0
	s_and_saveexec_b64 s[90:91], s[18:19]
	s_cbranch_execnz .LBB109_88
; %bb.71:                               ;   in Loop: Header=BB109_61 Depth=2
	s_or_b64 exec, exec, s[90:91]
	s_and_saveexec_b64 s[90:91], s[20:21]
	s_cbranch_execnz .LBB109_89
.LBB109_72:                             ;   in Loop: Header=BB109_61 Depth=2
	s_or_b64 exec, exec, s[90:91]
	v_mov_b32_e32 v32, 0
	s_and_saveexec_b64 s[90:91], s[22:23]
	s_cbranch_execnz .LBB109_90
.LBB109_73:                             ;   in Loop: Header=BB109_61 Depth=2
	s_or_b64 exec, exec, s[90:91]
	s_and_saveexec_b64 s[90:91], s[24:25]
	s_cbranch_execnz .LBB109_91
.LBB109_74:                             ;   in Loop: Header=BB109_61 Depth=2
	s_or_b64 exec, exec, s[90:91]
	v_mov_b32_e32 v33, 0
	s_and_saveexec_b64 s[90:91], s[26:27]
	s_cbranch_execnz .LBB109_92
.LBB109_75:                             ;   in Loop: Header=BB109_61 Depth=2
	s_or_b64 exec, exec, s[90:91]
	s_and_saveexec_b64 s[90:91], s[28:29]
	s_cbranch_execnz .LBB109_93
.LBB109_76:                             ;   in Loop: Header=BB109_61 Depth=2
	s_or_b64 exec, exec, s[90:91]
	v_mov_b32_e32 v35, 0
	s_and_saveexec_b64 s[90:91], s[30:31]
	s_cbranch_execnz .LBB109_94
.LBB109_77:                             ;   in Loop: Header=BB109_61 Depth=2
	s_or_b64 exec, exec, s[90:91]
	s_and_saveexec_b64 s[90:91], s[34:35]
	s_cbranch_execz .LBB109_79
.LBB109_78:                             ;   in Loop: Header=BB109_61 Depth=2
	global_load_ushort v0, v[0:1], off offset:896
	s_waitcnt vmcnt(0)
	v_lshl_or_b32 v35, v0, 16, v35
.LBB109_79:                             ;   in Loop: Header=BB109_61 Depth=2
	s_or_b64 exec, exec, s[90:91]
	s_waitcnt vmcnt(0)
	ds_write_b16 v47, v3 offset:1056
	ds_write_b16 v56, v2 offset:128
	;; [unrolled: 1-line block ×3, first 2 shown]
	ds_write_b16_d16_hi v58, v32 offset:384
	ds_write_b16 v59, v33 offset:512
	ds_write_b16_d16_hi v60, v33 offset:640
	ds_write_b16 v61, v35 offset:768
	ds_write_b16_d16_hi v62, v35 offset:896
	; wave barrier
	ds_read_b128 v[0:3], v55 offset:1056
	s_andn2_b64 vcc, exec, s[2:3]
	s_cbranch_vccnz .LBB109_95
; %bb.80:                               ;   in Loop: Header=BB109_61 Depth=2
	v_mov_b32_e32 v32, s99
	ds_read_b64 v[32:33], v32
	s_cbranch_execz .LBB109_96
	s_branch .LBB109_99
.LBB109_81:                             ;   in Loop: Header=BB109_61 Depth=2
	global_load_ushort v3, v[0:1], off
	s_or_b64 exec, exec, s[90:91]
	s_and_saveexec_b64 s[90:91], s[20:21]
	s_cbranch_execz .LBB109_63
.LBB109_82:                             ;   in Loop: Header=BB109_61 Depth=2
	global_load_ushort v2, v[0:1], off offset:128
	s_or_b64 exec, exec, s[90:91]
	v_mov_b32_e32 v4, 0
	s_and_saveexec_b64 s[90:91], s[22:23]
	s_cbranch_execz .LBB109_64
.LBB109_83:                             ;   in Loop: Header=BB109_61 Depth=2
	global_load_ushort v4, v[0:1], off offset:256
	s_or_b64 exec, exec, s[90:91]
	s_and_saveexec_b64 s[90:91], s[24:25]
	s_cbranch_execz .LBB109_65
.LBB109_84:                             ;   in Loop: Header=BB109_61 Depth=2
	global_load_ushort v5, v[0:1], off offset:384
	s_waitcnt vmcnt(0)
	v_lshl_or_b32 v4, v5, 16, v4
	s_or_b64 exec, exec, s[90:91]
	v_mov_b32_e32 v5, 0
	s_and_saveexec_b64 s[90:91], s[26:27]
	s_cbranch_execz .LBB109_66
.LBB109_85:                             ;   in Loop: Header=BB109_61 Depth=2
	global_load_ushort v5, v[0:1], off offset:512
	s_or_b64 exec, exec, s[90:91]
	s_and_saveexec_b64 s[90:91], s[28:29]
	s_cbranch_execz .LBB109_67
.LBB109_86:                             ;   in Loop: Header=BB109_61 Depth=2
	global_load_ushort v6, v[0:1], off offset:640
	s_waitcnt vmcnt(0)
	v_lshl_or_b32 v5, v6, 16, v5
	s_or_b64 exec, exec, s[90:91]
	v_mov_b32_e32 v6, 0
	s_and_saveexec_b64 s[90:91], s[30:31]
	s_cbranch_execz .LBB109_68
.LBB109_87:                             ;   in Loop: Header=BB109_61 Depth=2
	global_load_ushort v6, v[0:1], off offset:768
	s_or_b64 exec, exec, s[90:91]
	s_and_saveexec_b64 s[90:91], s[34:35]
	s_cbranch_execnz .LBB109_69
	s_branch .LBB109_70
.LBB109_88:                             ;   in Loop: Header=BB109_61 Depth=2
	global_load_ushort v3, v[0:1], off
	s_or_b64 exec, exec, s[90:91]
	s_and_saveexec_b64 s[90:91], s[20:21]
	s_cbranch_execz .LBB109_72
.LBB109_89:                             ;   in Loop: Header=BB109_61 Depth=2
	global_load_ushort v2, v[0:1], off offset:128
	s_or_b64 exec, exec, s[90:91]
	v_mov_b32_e32 v32, 0
	s_and_saveexec_b64 s[90:91], s[22:23]
	s_cbranch_execz .LBB109_73
.LBB109_90:                             ;   in Loop: Header=BB109_61 Depth=2
	global_load_ushort v32, v[0:1], off offset:256
	s_or_b64 exec, exec, s[90:91]
	s_and_saveexec_b64 s[90:91], s[24:25]
	s_cbranch_execz .LBB109_74
.LBB109_91:                             ;   in Loop: Header=BB109_61 Depth=2
	global_load_ushort v33, v[0:1], off offset:384
	s_waitcnt vmcnt(0)
	v_lshl_or_b32 v32, v33, 16, v32
	s_or_b64 exec, exec, s[90:91]
	v_mov_b32_e32 v33, 0
	s_and_saveexec_b64 s[90:91], s[26:27]
	s_cbranch_execz .LBB109_75
.LBB109_92:                             ;   in Loop: Header=BB109_61 Depth=2
	global_load_ushort v33, v[0:1], off offset:512
	s_or_b64 exec, exec, s[90:91]
	s_and_saveexec_b64 s[90:91], s[28:29]
	s_cbranch_execz .LBB109_76
.LBB109_93:                             ;   in Loop: Header=BB109_61 Depth=2
	global_load_ushort v35, v[0:1], off offset:640
	s_waitcnt vmcnt(0)
	v_lshl_or_b32 v33, v35, 16, v33
	s_or_b64 exec, exec, s[90:91]
	v_mov_b32_e32 v35, 0
	s_and_saveexec_b64 s[90:91], s[30:31]
	s_cbranch_execz .LBB109_77
.LBB109_94:                             ;   in Loop: Header=BB109_61 Depth=2
	global_load_ushort v35, v[0:1], off offset:768
	s_or_b64 exec, exec, s[90:91]
	s_and_saveexec_b64 s[90:91], s[34:35]
	s_cbranch_execnz .LBB109_78
	s_branch .LBB109_79
.LBB109_95:                             ;   in Loop: Header=BB109_61 Depth=2
                                        ; implicit-def: $vgpr33
.LBB109_96:                             ;   in Loop: Header=BB109_61 Depth=2
	s_andn2_b64 vcc, exec, s[54:55]
	s_waitcnt lgkmcnt(0)
	v_mov_b32_e32 v33, 0
	s_cbranch_vccnz .LBB109_98
; %bb.97:                               ;   in Loop: Header=BB109_61 Depth=2
	s_mov_b32 s89, s75
	s_lshl_b64 s[90:91], s[88:89], 2
	s_add_u32 s90, s61, s90
	s_addc_u32 s91, s65, s91
	global_load_dword v33, v9, s[90:91]
.LBB109_98:                             ;   in Loop: Header=BB109_61 Depth=2
	v_mov_b32_e32 v32, 1.0
.LBB109_99:                             ;   in Loop: Header=BB109_61 Depth=2
	v_mul_f32_e32 v65, 0x3fb8aa3b, v34
	s_waitcnt lgkmcnt(9)
	v_cvt_f32_f16_e32 v35, v4
	v_cvt_f32_f16_sdwa v36, v4 dst_sel:DWORD dst_unused:UNUSED_PAD src0_sel:WORD_1
	v_mul_f32_e32 v4, v65, v75
	v_cmp_gt_f32_e32 vcc, s72, v4
	v_cvt_f32_f16_e32 v39, v6
	v_cvt_f32_f16_sdwa v64, v6 dst_sel:DWORD dst_unused:UNUSED_PAD src0_sel:WORD_1
	v_cndmask_b32_e32 v4, 0, v73, vcc
	v_mul_f32_e32 v6, v65, v76
	v_cvt_f32_f16_e32 v37, v5
	v_cvt_f32_f16_sdwa v38, v5 dst_sel:DWORD dst_unused:UNUSED_PAD src0_sel:WORD_1
	v_fmac_f32_e32 v4, v65, v75
	v_cndmask_b32_e32 v5, 1.0, v74, vcc
	v_cmp_gt_f32_e32 vcc, s72, v6
	v_exp_f32_e32 v4, v4
	v_cvt_f32_f16_e32 v66, v7
	v_cndmask_b32_e32 v6, 0, v73, vcc
	v_fmac_f32_e32 v6, v65, v76
	v_exp_f32_e32 v6, v6
	v_cvt_f32_f16_sdwa v67, v7 dst_sel:DWORD dst_unused:UNUSED_PAD src0_sel:WORD_1
	v_mul_f32_e32 v5, v4, v5
	v_mul_f32_e32 v7, v65, v77
	v_cndmask_b32_e64 v90, 1.0, v5, s[36:37]
	v_cndmask_b32_e32 v5, 1.0, v74, vcc
	v_cmp_gt_f32_e32 vcc, s72, v7
	v_mul_f32_e32 v6, v6, v5
	v_mul_f32_e32 v34, v65, v78
	v_cndmask_b32_e32 v7, 0, v73, vcc
	v_fmac_f32_e32 v7, v65, v77
	v_cndmask_b32_e64 v91, 1.0, v6, s[38:39]
	v_cndmask_b32_e32 v6, 1.0, v74, vcc
	v_cmp_gt_f32_e32 vcc, s72, v34
	v_exp_f32_e32 v7, v7
	v_mul_f32_e32 v4, v89, v35
	v_cndmask_b32_e32 v34, 0, v73, vcc
	v_fmac_f32_e32 v34, v65, v78
	v_exp_f32_e32 v35, v34
	v_mul_f32_e32 v6, v7, v6
	v_cndmask_b32_e64 v92, 1.0, v6, s[40:41]
	v_cndmask_b32_e32 v6, 1.0, v74, vcc
	v_mul_f32_e32 v6, v35, v6
	v_mul_f32_e32 v35, v65, v79
	v_cmp_gt_f32_e32 vcc, s72, v35
	v_mul_f32_e32 v5, v88, v36
	v_mul_f32_e32 v7, v87, v37
	v_cndmask_b32_e32 v35, 0, v73, vcc
	v_fmac_f32_e32 v35, v65, v79
	v_exp_f32_e32 v36, v35
	v_cndmask_b32_e64 v34, 0, v7, s[40:41]
	v_mul_f32_e32 v7, v86, v38
	v_cndmask_b32_e64 v93, 1.0, v6, s[42:43]
	v_cndmask_b32_e32 v6, 1.0, v74, vcc
	v_cndmask_b32_e64 v35, 0, v7, s[42:43]
	v_mul_f32_e32 v7, v36, v6
	v_mul_f32_e32 v36, v65, v80
	v_cmp_gt_f32_e32 vcc, s72, v36
	v_mul_f32_e32 v37, v65, v81
	v_cndmask_b32_e64 v94, 1.0, v7, s[44:45]
	v_cndmask_b32_e32 v36, 0, v73, vcc
	v_fmac_f32_e32 v36, v65, v80
	v_exp_f32_e32 v36, v36
	v_cndmask_b32_e32 v7, 1.0, v74, vcc
	v_cmp_gt_f32_e32 vcc, s72, v37
	v_mul_f32_e32 v38, v65, v19
	v_mul_f32_e32 v36, v36, v7
	v_cndmask_b32_e32 v37, 0, v73, vcc
	v_mul_f32_e32 v7, v84, v64
	v_fmac_f32_e32 v37, v65, v81
	v_cndmask_b32_e64 v64, 1.0, v36, s[46:47]
	v_cndmask_b32_e32 v36, 1.0, v74, vcc
	v_cmp_gt_f32_e32 vcc, s72, v38
	v_exp_f32_e32 v37, v37
	v_cndmask_b32_e64 v4, 0, v4, s[36:37]
	v_cndmask_b32_e32 v38, 0, v73, vcc
	v_fmac_f32_e32 v38, v65, v19
	v_exp_f32_e32 v38, v38
	v_mul_f32_e32 v37, v37, v36
	v_cndmask_b32_e64 v65, 1.0, v37, s[48:49]
	v_cndmask_b32_e32 v37, 1.0, v74, vcc
	v_cndmask_b32_e64 v5, 0, v5, s[38:39]
	v_mul_f32_e32 v38, v38, v37
	v_mul_f32_e32 v6, v85, v39
	;; [unrolled: 1-line block ×3, first 2 shown]
	v_cndmask_b32_e64 v66, 1.0, v38, s[50:51]
	v_mul_f32_e32 v38, v91, v90
	v_fma_f32 v39, v91, v4, v5
	v_mul_f32_e32 v38, v38, v92
	v_fma_f32 v39, v39, v92, v34
	v_cndmask_b32_e64 v6, 0, v6, s[44:45]
	v_mul_f32_e32 v38, v38, v93
	v_fma_f32 v39, v39, v93, v35
	v_cndmask_b32_e64 v7, 0, v7, s[46:47]
	;; [unrolled: 3-line block ×3, first 2 shown]
	v_mul_f32_e32 v37, v82, v67
	v_mul_f32_e32 v38, v38, v64
	v_fma_f32 v39, v39, v64, v7
	v_cndmask_b32_e64 v37, 0, v37, s[50:51]
	v_mul_f32_e32 v38, v38, v65
	v_fma_f32 v39, v39, v65, v36
	v_mul_f32_e32 v38, v38, v66
	v_fma_f32 v69, v39, v66, v37
	s_nop 0
	v_mov_b32_dpp v68, v38 row_shr:1 row_mask:0xf bank_mask:0xf
	v_mov_b32_dpp v67, v69 row_shr:1 row_mask:0xf bank_mask:0xf
	s_and_saveexec_b64 s[90:91], s[0:1]
; %bb.100:                              ;   in Loop: Header=BB109_61 Depth=2
	v_mul_f32_e32 v68, v38, v68
	v_fmac_f32_e32 v69, v38, v67
	v_mov_b32_e32 v38, v68
; %bb.101:                              ;   in Loop: Header=BB109_61 Depth=2
	s_or_b64 exec, exec, s[90:91]
	s_nop 0
	v_mov_b32_dpp v67, v38 row_shr:2 row_mask:0xf bank_mask:0xf
	v_mov_b32_dpp v68, v69 row_shr:2 row_mask:0xf bank_mask:0xf
	s_and_saveexec_b64 s[90:91], s[52:53]
; %bb.102:                              ;   in Loop: Header=BB109_61 Depth=2
	v_fmac_f32_e32 v69, v38, v68
	v_mul_f32_e32 v38, v38, v67
; %bb.103:                              ;   in Loop: Header=BB109_61 Depth=2
	s_or_b64 exec, exec, s[90:91]
	s_nop 0
	v_mov_b32_dpp v67, v38 row_shr:4 row_mask:0xf bank_mask:0xf
	v_mov_b32_dpp v68, v69 row_shr:4 row_mask:0xf bank_mask:0xf
	s_and_saveexec_b64 s[90:91], s[4:5]
; %bb.104:                              ;   in Loop: Header=BB109_61 Depth=2
	v_fmac_f32_e32 v69, v38, v68
	v_mul_f32_e32 v38, v38, v67
	;; [unrolled: 9-line block ×3, first 2 shown]
; %bb.107:                              ;   in Loop: Header=BB109_61 Depth=2
	s_or_b64 exec, exec, s[90:91]
	s_nop 0
	v_mov_b32_dpp v67, v38 row_bcast:15 row_mask:0xf bank_mask:0xf
	v_mov_b32_dpp v68, v69 row_bcast:15 row_mask:0xf bank_mask:0xf
	s_and_saveexec_b64 s[90:91], s[8:9]
; %bb.108:                              ;   in Loop: Header=BB109_61 Depth=2
	v_fmac_f32_e32 v69, v38, v68
	v_mul_f32_e32 v38, v38, v67
; %bb.109:                              ;   in Loop: Header=BB109_61 Depth=2
	s_or_b64 exec, exec, s[90:91]
	s_nop 0
	v_mov_b32_dpp v67, v38 row_bcast:31 row_mask:0xf bank_mask:0xf
	v_mov_b32_dpp v68, v69 row_bcast:31 row_mask:0xf bank_mask:0xf
	v_mov_b32_e32 v39, v69
	v_mul_f32_e32 v67, v38, v67
	v_fmac_f32_e32 v39, v38, v68
	v_cndmask_b32_e64 v38, v38, v67, s[10:11]
	v_cndmask_b32_e64 v39, v69, v39, s[10:11]
	s_and_saveexec_b64 s[90:91], s[12:13]
	s_cbranch_execz .LBB109_111
; %bb.110:                              ;   in Loop: Header=BB109_61 Depth=2
	ds_write_b64 v9, v[38:39] offset:2112
.LBB109_111:                            ;   in Loop: Header=BB109_61 Depth=2
	s_or_b64 exec, exec, s[90:91]
	ds_bpermute_b32 v67, v63, v38
	ds_bpermute_b32 v68, v63, v39
	s_waitcnt vmcnt(0) lgkmcnt(2)
	v_mov_b32_e32 v39, v33
	s_waitcnt lgkmcnt(0)
	; wave barrier
	s_waitcnt lgkmcnt(0)
	s_and_saveexec_b64 s[90:91], s[14:15]
	s_cbranch_execz .LBB109_115
; %bb.112:                              ;   in Loop: Header=BB109_61 Depth=2
	ds_read_b64 v[38:39], v9 offset:2112
	s_and_saveexec_b64 s[92:93], s[16:17]
	s_cbranch_execz .LBB109_114
; %bb.113:                              ;   in Loop: Header=BB109_61 Depth=2
	ds_write_b64 v9, v[32:33] offset:2112
.LBB109_114:                            ;   in Loop: Header=BB109_61 Depth=2
	s_or_b64 exec, exec, s[92:93]
	s_waitcnt lgkmcnt(0)
	v_fmac_f32_e32 v39, v33, v38
	v_mul_f32_e32 v32, v32, v38
	v_mov_b32_e32 v33, v39
.LBB109_115:                            ;   in Loop: Header=BB109_61 Depth=2
	s_or_b64 exec, exec, s[90:91]
	s_waitcnt lgkmcnt(0)
	; wave barrier
	ds_read_b32 v38, v9 offset:2116
	s_and_saveexec_b64 s[90:91], s[16:17]
	s_cbranch_execz .LBB109_60
; %bb.116:                              ;   in Loop: Header=BB109_61 Depth=2
	v_mov_b32_e32 v69, s99
	s_andn2_b64 vcc, exec, s[82:83]
	ds_write_b64 v69, v[32:33]
	s_cbranch_vccnz .LBB109_60
; %bb.117:                              ;   in Loop: Header=BB109_61 Depth=2
	s_mov_b32 s89, s75
	s_lshl_b64 s[92:93], s[88:89], 2
	s_add_u32 s92, s61, s92
	s_addc_u32 s93, s65, s93
	global_store_dword v9, v39, s[92:93]
	s_branch .LBB109_60
.LBB109_118:                            ;   in Loop: Header=BB109_12 Depth=1
	s_mov_b32 s38, 0x41a00000
	s_mov_b32 s39, 0x3fb8aa3b
	;; [unrolled: 1-line block ×8, first 2 shown]
.LBB109_119:                            ;   in Loop: Header=BB109_12 Depth=1
	v_cvt_f16_f32_e32 v0, v24
	v_cvt_f16_f32_e32 v1, v26
	;; [unrolled: 1-line block ×8, first 2 shown]
	v_pack_b32_f16 v3, v3, v4
	v_pack_b32_f16 v2, v2, v5
	;; [unrolled: 1-line block ×4, first 2 shown]
	s_waitcnt lgkmcnt(0)
	; wave barrier
	ds_write_b128 v55, v[0:3]
	; wave barrier
	ds_read_u16 v19, v48 offset:128
	ds_read_u16 v7, v49 offset:256
	;; [unrolled: 1-line block ×7, first 2 shown]
	s_mov_b32 s71, s75
	v_lshl_add_u64 v[0:1], s[70:71], 1, v[12:13]
	s_and_saveexec_b64 s[2:3], s[18:19]
	s_cbranch_execnz .LBB109_154
; %bb.120:                              ;   in Loop: Header=BB109_12 Depth=1
	s_or_b64 exec, exec, s[2:3]
	s_and_saveexec_b64 s[2:3], s[20:21]
	s_cbranch_execnz .LBB109_155
.LBB109_121:                            ;   in Loop: Header=BB109_12 Depth=1
	s_or_b64 exec, exec, s[2:3]
	s_and_saveexec_b64 s[2:3], s[22:23]
	s_cbranch_execnz .LBB109_156
.LBB109_122:                            ;   in Loop: Header=BB109_12 Depth=1
	s_or_b64 exec, exec, s[2:3]
	s_and_saveexec_b64 s[2:3], s[24:25]
	s_cbranch_execnz .LBB109_157
.LBB109_123:                            ;   in Loop: Header=BB109_12 Depth=1
	s_or_b64 exec, exec, s[2:3]
	s_and_saveexec_b64 s[2:3], s[26:27]
	s_cbranch_execnz .LBB109_158
.LBB109_124:                            ;   in Loop: Header=BB109_12 Depth=1
	s_or_b64 exec, exec, s[2:3]
	s_and_saveexec_b64 s[2:3], s[28:29]
	s_cbranch_execnz .LBB109_159
.LBB109_125:                            ;   in Loop: Header=BB109_12 Depth=1
	s_or_b64 exec, exec, s[2:3]
	s_and_saveexec_b64 s[2:3], s[30:31]
	s_cbranch_execnz .LBB109_160
.LBB109_126:                            ;   in Loop: Header=BB109_12 Depth=1
	s_or_b64 exec, exec, s[2:3]
	s_and_saveexec_b64 s[2:3], s[34:35]
	s_cbranch_execz .LBB109_128
.LBB109_127:                            ;   in Loop: Header=BB109_12 Depth=1
	s_waitcnt lgkmcnt(0)
	global_store_short v[0:1], v2, off offset:896
.LBB109_128:                            ;   in Loop: Header=BB109_12 Depth=1
	s_or_b64 exec, exec, s[2:3]
	v_lshl_add_u64 v[0:1], s[70:71], 1, v[14:15]
	s_waitcnt lgkmcnt(0)
	v_mov_b32_e32 v2, 0
	v_mov_b32_e32 v3, 0
	s_waitcnt lgkmcnt(0)
	; wave barrier
	s_and_saveexec_b64 s[2:3], s[18:19]
	s_cbranch_execz .LBB109_130
; %bb.129:                              ;   in Loop: Header=BB109_12 Depth=1
	global_load_ushort v3, v[0:1], off
.LBB109_130:                            ;   in Loop: Header=BB109_12 Depth=1
	s_or_b64 exec, exec, s[2:3]
	s_and_saveexec_b64 s[2:3], s[20:21]
	s_cbranch_execz .LBB109_132
; %bb.131:                              ;   in Loop: Header=BB109_12 Depth=1
	global_load_ushort v2, v[0:1], off offset:128
.LBB109_132:                            ;   in Loop: Header=BB109_12 Depth=1
	s_or_b64 exec, exec, s[2:3]
	v_mov_b32_e32 v4, 0
	v_mov_b32_e32 v5, 0
	s_and_saveexec_b64 s[2:3], s[22:23]
	s_cbranch_execz .LBB109_134
; %bb.133:                              ;   in Loop: Header=BB109_12 Depth=1
	global_load_ushort v5, v[0:1], off offset:256
.LBB109_134:                            ;   in Loop: Header=BB109_12 Depth=1
	s_or_b64 exec, exec, s[2:3]
	s_and_saveexec_b64 s[2:3], s[24:25]
	s_cbranch_execz .LBB109_136
; %bb.135:                              ;   in Loop: Header=BB109_12 Depth=1
	global_load_ushort v4, v[0:1], off offset:384
.LBB109_136:                            ;   in Loop: Header=BB109_12 Depth=1
	s_or_b64 exec, exec, s[2:3]
	v_mov_b32_e32 v6, 0
	v_mov_b32_e32 v7, 0
	s_and_saveexec_b64 s[2:3], s[26:27]
	s_cbranch_execz .LBB109_138
; %bb.137:                              ;   in Loop: Header=BB109_12 Depth=1
	global_load_ushort v7, v[0:1], off offset:512
.LBB109_138:                            ;   in Loop: Header=BB109_12 Depth=1
	;; [unrolled: 14-line block ×3, first 2 shown]
	s_or_b64 exec, exec, s[2:3]
	s_and_saveexec_b64 s[2:3], s[34:35]
	s_cbranch_execz .LBB109_144
; %bb.143:                              ;   in Loop: Header=BB109_12 Depth=1
	global_load_ushort v19, v[0:1], off offset:896
.LBB109_144:                            ;   in Loop: Header=BB109_12 Depth=1
	s_or_b64 exec, exec, s[2:3]
	s_waitcnt vmcnt(0)
	ds_write_b16 v47, v3
	ds_write_b16 v48, v2 offset:128
	ds_write_b16 v49, v5 offset:256
	;; [unrolled: 1-line block ×7, first 2 shown]
	; wave barrier
	ds_read_b128 v[0:3], v55
	s_waitcnt lgkmcnt(0)
	; wave barrier
	s_waitcnt lgkmcnt(0)
	v_cvt_f32_f16_e32 v6, v0
	v_cvt_f32_f16_e32 v28, v1
	v_cvt_f32_f16_sdwa v19, v1 dst_sel:DWORD dst_unused:UNUSED_PAD src0_sel:WORD_1
	v_mul_f32_e32 v4, 0xbfb8aa3b, v6
	v_rndne_f32_e32 v5, v4
	v_sub_f32_e32 v7, v4, v5
	v_fma_mix_f32 v4, v0, s73, -v4 op_sel_hi:[1,0,0]
	v_cvt_i32_f32_e32 v5, v5
	v_fma_mix_f32 v4, v0, s78, v4 op_sel_hi:[1,0,0]
	v_cmp_nlt_f32_e32 vcc, s79, v6
	v_add_f32_e32 v4, v7, v4
	v_exp_f32_e32 v4, v4
	v_cvt_f32_f16_sdwa v7, v0 dst_sel:DWORD dst_unused:UNUSED_PAD src0_sel:WORD_1
	v_ldexp_f32 v4, v4, v5
	v_mul_f32_e32 v5, 0xbfb8aa3b, v7
	v_rndne_f32_e32 v29, v5
	v_sub_f32_e32 v30, v5, v29
	v_fma_mix_f32 v5, v0, s73, -v5 op_sel:[1,0,0] op_sel_hi:[1,0,0]
	v_cndmask_b32_e32 v4, 0, v4, vcc
	v_fma_mix_f32 v0, v0, s78, v5 op_sel:[1,0,0] op_sel_hi:[1,0,0]
	v_cvt_i32_f32_e32 v5, v29
	v_add_f32_e32 v0, v30, v0
	v_exp_f32_e32 v0, v0
	v_cmp_ngt_f32_e32 vcc, s97, v6
	v_ldexp_f32 v0, v0, v5
	v_mul_f32_e32 v5, 0xbfb8aa3b, v28
	v_rndne_f32_e32 v29, v5
	v_sub_f32_e32 v30, v5, v29
	v_fma_mix_f32 v5, v1, s73, -v5 op_sel_hi:[1,0,0]
	v_cvt_i32_f32_e32 v29, v29
	v_fma_mix_f32 v5, v1, s78, v5 op_sel_hi:[1,0,0]
	v_cndmask_b32_e32 v4, v72, v4, vcc
	v_add_f32_e32 v5, v30, v5
	v_exp_f32_e32 v30, v5
	v_cmp_nlt_f32_e32 vcc, s79, v7
	s_nop 1
	v_cndmask_b32_e32 v0, 0, v0, vcc
	v_cmp_ngt_f32_e32 vcc, s97, v7
	s_nop 1
	v_cndmask_b32_e32 v5, v72, v0, vcc
	v_ldexp_f32 v0, v30, v29
	v_mul_f32_e32 v29, 0xbfb8aa3b, v19
	v_rndne_f32_e32 v30, v29
	v_sub_f32_e32 v31, v29, v30
	v_fma_mix_f32 v29, v1, s73, -v29 op_sel:[1,0,0] op_sel_hi:[1,0,0]
	v_pk_add_f32 v[4:5], v[4:5], 1.0 op_sel_hi:[1,0]
	v_fma_mix_f32 v1, v1, s78, v29 op_sel:[1,0,0] op_sel_hi:[1,0,0]
	v_cvt_i32_f32_e32 v29, v30
	v_add_f32_e32 v1, v31, v1
	v_exp_f32_e32 v1, v1
	v_cmp_nlt_f32_e32 vcc, s79, v28
	v_ldexp_f32 v1, v1, v29
	v_div_scale_f32 v29, s[2:3], v5, v5, v7
	v_rcp_f32_e32 v30, v29
	v_cndmask_b32_e32 v0, 0, v0, vcc
	v_cmp_ngt_f32_e32 vcc, s97, v28
	v_fma_f32 v31, -v29, v30, 1.0
	s_nop 0
	v_cndmask_b32_e32 v0, v72, v0, vcc
	v_cmp_nlt_f32_e32 vcc, s79, v19
	v_fmac_f32_e32 v30, v31, v30
	s_nop 0
	v_cndmask_b32_e32 v1, 0, v1, vcc
	v_cmp_ngt_f32_e32 vcc, s97, v19
	s_nop 1
	v_cndmask_b32_e32 v1, v72, v1, vcc
	v_div_scale_f32 v31, vcc, v7, v5, v7
	v_mul_f32_e32 v32, v31, v30
	v_fma_f32 v33, -v29, v32, v31
	v_fmac_f32_e32 v32, v33, v30
	v_fma_f32 v29, -v29, v32, v31
	v_div_scale_f32 v31, s[2:3], v4, v4, v6
	v_rcp_f32_e32 v33, v31
	v_div_fmas_f32 v29, v29, v30, v32
	v_div_fixup_f32 v5, v29, v5, v7
	v_pk_add_f32 v[0:1], v[0:1], 1.0 op_sel_hi:[1,0]
	v_fma_f32 v7, -v31, v33, 1.0
	v_fmac_f32_e32 v33, v7, v33
	v_div_scale_f32 v7, vcc, v6, v4, v6
	v_mul_f32_e32 v29, v7, v33
	v_fma_f32 v30, -v31, v29, v7
	v_fmac_f32_e32 v29, v30, v33
	v_div_scale_f32 v30, s[2:3], v1, v1, v19
	v_fma_f32 v7, -v31, v29, v7
	v_rcp_f32_e32 v31, v30
	v_div_fmas_f32 v7, v7, v33, v29
	v_div_fixup_f32 v4, v7, v4, v6
	v_pk_mul_f32 v[4:5], v[24:25], v[4:5]
	v_fma_f32 v6, -v30, v31, 1.0
	v_fmac_f32_e32 v31, v6, v31
	v_div_scale_f32 v6, vcc, v19, v1, v19
	v_mul_f32_e32 v7, v6, v31
	v_fma_f32 v29, -v30, v7, v6
	v_fmac_f32_e32 v7, v29, v31
	v_div_scale_f32 v29, s[2:3], v0, v0, v28
	v_fma_f32 v6, -v30, v7, v6
	v_rcp_f32_e32 v30, v29
	v_div_fmas_f32 v6, v6, v31, v7
	v_div_fixup_f32 v1, v6, v1, v19
	v_cvt_f32_f16_sdwa v25, v3 dst_sel:DWORD dst_unused:UNUSED_PAD src0_sel:WORD_1
	v_fma_f32 v6, -v29, v30, 1.0
	v_fmac_f32_e32 v30, v6, v30
	v_div_scale_f32 v6, vcc, v28, v0, v28
	v_mul_f32_e32 v7, v6, v30
	v_fma_f32 v19, -v29, v7, v6
	v_fmac_f32_e32 v7, v19, v30
	v_fma_f32 v6, -v29, v7, v6
	v_div_fmas_f32 v6, v6, v30, v7
	v_div_fixup_f32 v0, v6, v0, v28
	v_cvt_f32_f16_e32 v6, v2
	v_pk_mul_f32 v[0:1], v[26:27], v[0:1]
	v_cvt_f32_f16_e32 v26, v3
	v_cvt_f16_f32_e32 v19, v0
	v_mul_f32_e32 v0, 0xbfb8aa3b, v6
	v_cvt_f16_f32_e32 v7, v1
	v_rndne_f32_e32 v1, v0
	v_sub_f32_e32 v24, v0, v1
	v_fma_mix_f32 v0, v2, s73, -v0 op_sel_hi:[1,0,0]
	v_cvt_i32_f32_e32 v1, v1
	v_fma_mix_f32 v0, v2, s78, v0 op_sel_hi:[1,0,0]
	v_cmp_nlt_f32_e32 vcc, s79, v6
	v_add_f32_e32 v0, v24, v0
	v_exp_f32_e32 v0, v0
	v_cvt_f32_f16_sdwa v24, v2 dst_sel:DWORD dst_unused:UNUSED_PAD src0_sel:WORD_1
	v_cvt_f16_f32_e32 v5, v5
	v_cvt_f16_f32_e32 v4, v4
	v_ldexp_f32 v0, v0, v1
	v_mul_f32_e32 v1, 0xbfb8aa3b, v24
	v_rndne_f32_e32 v27, v1
	v_sub_f32_e32 v28, v1, v27
	v_fma_mix_f32 v1, v2, s73, -v1 op_sel:[1,0,0] op_sel_hi:[1,0,0]
	v_cndmask_b32_e32 v0, 0, v0, vcc
	v_fma_mix_f32 v1, v2, s78, v1 op_sel:[1,0,0] op_sel_hi:[1,0,0]
	v_cvt_i32_f32_e32 v2, v27
	v_add_f32_e32 v1, v28, v1
	v_exp_f32_e32 v1, v1
	v_cmp_ngt_f32_e32 vcc, s97, v6
	v_ldexp_f32 v1, v1, v2
	v_mul_f32_e32 v2, 0xbfb8aa3b, v26
	v_rndne_f32_e32 v27, v2
	v_sub_f32_e32 v28, v2, v27
	v_fma_mix_f32 v2, v3, s73, -v2 op_sel_hi:[1,0,0]
	v_cvt_i32_f32_e32 v27, v27
	v_fma_mix_f32 v2, v3, s78, v2 op_sel_hi:[1,0,0]
	v_cndmask_b32_e32 v0, v72, v0, vcc
	v_add_f32_e32 v2, v28, v2
	v_exp_f32_e32 v2, v2
	v_cmp_nlt_f32_e32 vcc, s79, v24
	v_ldexp_f32 v2, v2, v27
	v_mul_f32_e32 v27, 0xbfb8aa3b, v25
	v_rndne_f32_e32 v28, v27
	v_sub_f32_e32 v29, v27, v28
	v_fma_mix_f32 v27, v3, s73, -v27 op_sel:[1,0,0] op_sel_hi:[1,0,0]
	v_cndmask_b32_e32 v1, 0, v1, vcc
	v_fma_mix_f32 v3, v3, s78, v27 op_sel:[1,0,0] op_sel_hi:[1,0,0]
	v_cvt_i32_f32_e32 v27, v28
	v_add_f32_e32 v3, v29, v3
	v_exp_f32_e32 v3, v3
	v_cmp_ngt_f32_e32 vcc, s97, v24
	v_ldexp_f32 v3, v3, v27
	s_nop 0
	v_cndmask_b32_e32 v1, v72, v1, vcc
	v_pk_add_f32 v[0:1], v[0:1], 1.0 op_sel_hi:[1,0]
	v_cmp_nlt_f32_e32 vcc, s79, v26
	v_div_scale_f32 v27, s[2:3], v1, v1, v24
	v_rcp_f32_e32 v28, v27
	v_cndmask_b32_e32 v2, 0, v2, vcc
	v_cmp_ngt_f32_e32 vcc, s97, v26
	v_fma_f32 v29, -v27, v28, 1.0
	s_nop 0
	v_cndmask_b32_e32 v2, v72, v2, vcc
	v_cmp_nlt_f32_e32 vcc, s79, v25
	v_fmac_f32_e32 v28, v29, v28
	s_nop 0
	v_cndmask_b32_e32 v3, 0, v3, vcc
	v_cmp_ngt_f32_e32 vcc, s97, v25
	s_nop 1
	v_cndmask_b32_e32 v3, v72, v3, vcc
	v_div_scale_f32 v29, vcc, v24, v1, v24
	v_mul_f32_e32 v30, v29, v28
	v_fma_f32 v31, -v27, v30, v29
	v_fmac_f32_e32 v30, v31, v28
	v_fma_f32 v27, -v27, v30, v29
	v_div_scale_f32 v29, s[2:3], v0, v0, v6
	v_rcp_f32_e32 v31, v29
	v_div_fmas_f32 v27, v27, v28, v30
	v_div_fixup_f32 v1, v27, v1, v24
	v_pk_add_f32 v[2:3], v[2:3], 1.0 op_sel_hi:[1,0]
	v_fma_f32 v24, -v29, v31, 1.0
	v_fmac_f32_e32 v31, v24, v31
	v_div_scale_f32 v24, vcc, v6, v0, v6
	v_mul_f32_e32 v27, v24, v31
	v_fma_f32 v28, -v29, v27, v24
	v_fmac_f32_e32 v27, v28, v31
	v_div_scale_f32 v28, s[2:3], v3, v3, v25
	v_fma_f32 v24, -v29, v27, v24
	v_rcp_f32_e32 v29, v28
	v_div_fmas_f32 v24, v24, v31, v27
	v_div_fixup_f32 v0, v24, v0, v6
	v_pk_mul_f32 v[0:1], v[20:21], v[0:1]
	v_fma_f32 v6, -v28, v29, 1.0
	v_fmac_f32_e32 v29, v6, v29
	v_div_scale_f32 v6, vcc, v25, v3, v25
	v_mul_f32_e32 v24, v6, v29
	v_fma_f32 v27, -v28, v24, v6
	v_fmac_f32_e32 v24, v27, v29
	v_div_scale_f32 v27, s[2:3], v2, v2, v26
	v_fma_f32 v6, -v28, v24, v6
	v_rcp_f32_e32 v28, v27
	v_div_fmas_f32 v6, v6, v29, v24
	v_div_fixup_f32 v3, v6, v3, v25
	v_cvt_f16_f32_e32 v1, v1
	v_fma_f32 v6, -v27, v28, 1.0
	v_fmac_f32_e32 v28, v6, v28
	v_div_scale_f32 v6, vcc, v26, v2, v26
	v_mul_f32_e32 v24, v6, v28
	v_fma_f32 v25, -v27, v24, v6
	v_fmac_f32_e32 v24, v25, v28
	v_fma_f32 v6, -v27, v24, v6
	v_div_fmas_f32 v6, v6, v28, v24
	v_div_fixup_f32 v2, v6, v2, v26
	v_pk_mul_f32 v[2:3], v[22:23], v[2:3]
	v_cvt_f16_f32_e32 v0, v0
	v_cvt_f16_f32_e32 v3, v3
	;; [unrolled: 1-line block ×3, first 2 shown]
	v_pack_b32_f16 v3, v2, v3
	v_pack_b32_f16 v2, v0, v1
	;; [unrolled: 1-line block ×4, first 2 shown]
	ds_write_b128 v55, v[0:3]
	; wave barrier
	ds_read_u16 v19, v48 offset:128
	ds_read_u16 v7, v49 offset:256
	;; [unrolled: 1-line block ×7, first 2 shown]
	v_lshl_add_u64 v[0:1], s[70:71], 1, v[16:17]
	s_and_saveexec_b64 s[2:3], s[18:19]
	s_cbranch_execnz .LBB109_161
; %bb.145:                              ;   in Loop: Header=BB109_12 Depth=1
	s_or_b64 exec, exec, s[2:3]
	s_and_saveexec_b64 s[2:3], s[20:21]
	s_cbranch_execnz .LBB109_162
.LBB109_146:                            ;   in Loop: Header=BB109_12 Depth=1
	s_or_b64 exec, exec, s[2:3]
	s_and_saveexec_b64 s[2:3], s[22:23]
	s_cbranch_execnz .LBB109_163
.LBB109_147:                            ;   in Loop: Header=BB109_12 Depth=1
	s_or_b64 exec, exec, s[2:3]
	s_and_saveexec_b64 s[2:3], s[24:25]
	s_cbranch_execnz .LBB109_164
.LBB109_148:                            ;   in Loop: Header=BB109_12 Depth=1
	s_or_b64 exec, exec, s[2:3]
	s_and_saveexec_b64 s[2:3], s[26:27]
	s_cbranch_execnz .LBB109_165
.LBB109_149:                            ;   in Loop: Header=BB109_12 Depth=1
	s_or_b64 exec, exec, s[2:3]
	s_and_saveexec_b64 s[2:3], s[28:29]
	s_cbranch_execnz .LBB109_166
.LBB109_150:                            ;   in Loop: Header=BB109_12 Depth=1
	s_or_b64 exec, exec, s[2:3]
	s_and_saveexec_b64 s[2:3], s[30:31]
	s_cbranch_execnz .LBB109_167
.LBB109_151:                            ;   in Loop: Header=BB109_12 Depth=1
	s_or_b64 exec, exec, s[2:3]
	s_and_saveexec_b64 s[2:3], s[34:35]
	s_cbranch_execz .LBB109_11
	s_branch .LBB109_168
.LBB109_152:                            ;   in Loop: Header=BB109_12 Depth=1
	global_load_ushort v23, v[4:5], off offset:640
	s_or_b64 exec, exec, s[2:3]
	s_and_saveexec_b64 s[2:3], s[30:31]
	s_cbranch_execz .LBB109_40
.LBB109_153:                            ;   in Loop: Header=BB109_12 Depth=1
	global_load_ushort v22, v[4:5], off offset:768
	s_or_b64 exec, exec, s[2:3]
	v_mov_b32_e32 v24, 0
	s_and_saveexec_b64 s[2:3], s[34:35]
	s_cbranch_execnz .LBB109_41
	s_branch .LBB109_42
.LBB109_154:                            ;   in Loop: Header=BB109_12 Depth=1
	ds_read_u16 v28, v47
	s_waitcnt lgkmcnt(0)
	global_store_short v[0:1], v28, off
	s_or_b64 exec, exec, s[2:3]
	s_and_saveexec_b64 s[2:3], s[20:21]
	s_cbranch_execz .LBB109_121
.LBB109_155:                            ;   in Loop: Header=BB109_12 Depth=1
	s_waitcnt lgkmcnt(6)
	global_store_short v[0:1], v19, off offset:128
	s_or_b64 exec, exec, s[2:3]
	s_and_saveexec_b64 s[2:3], s[22:23]
	s_cbranch_execz .LBB109_122
.LBB109_156:                            ;   in Loop: Header=BB109_12 Depth=1
	s_waitcnt lgkmcnt(5)
	global_store_short v[0:1], v7, off offset:256
	s_or_b64 exec, exec, s[2:3]
	s_and_saveexec_b64 s[2:3], s[24:25]
	s_cbranch_execz .LBB109_123
.LBB109_157:                            ;   in Loop: Header=BB109_12 Depth=1
	s_waitcnt lgkmcnt(4)
	global_store_short v[0:1], v6, off offset:384
	s_or_b64 exec, exec, s[2:3]
	s_and_saveexec_b64 s[2:3], s[26:27]
	s_cbranch_execz .LBB109_124
.LBB109_158:                            ;   in Loop: Header=BB109_12 Depth=1
	s_waitcnt lgkmcnt(3)
	global_store_short v[0:1], v5, off offset:512
	s_or_b64 exec, exec, s[2:3]
	s_and_saveexec_b64 s[2:3], s[28:29]
	s_cbranch_execz .LBB109_125
.LBB109_159:                            ;   in Loop: Header=BB109_12 Depth=1
	s_waitcnt lgkmcnt(2)
	global_store_short v[0:1], v4, off offset:640
	s_or_b64 exec, exec, s[2:3]
	s_and_saveexec_b64 s[2:3], s[30:31]
	s_cbranch_execz .LBB109_126
.LBB109_160:                            ;   in Loop: Header=BB109_12 Depth=1
	s_waitcnt lgkmcnt(1)
	global_store_short v[0:1], v3, off offset:768
	s_or_b64 exec, exec, s[2:3]
	s_and_saveexec_b64 s[2:3], s[34:35]
	s_cbranch_execnz .LBB109_127
	s_branch .LBB109_128
.LBB109_161:                            ;   in Loop: Header=BB109_12 Depth=1
	ds_read_u16 v20, v47
	s_waitcnt lgkmcnt(0)
	global_store_short v[0:1], v20, off
	s_or_b64 exec, exec, s[2:3]
	s_and_saveexec_b64 s[2:3], s[20:21]
	s_cbranch_execz .LBB109_146
.LBB109_162:                            ;   in Loop: Header=BB109_12 Depth=1
	s_waitcnt lgkmcnt(6)
	global_store_short v[0:1], v19, off offset:128
	s_or_b64 exec, exec, s[2:3]
	s_and_saveexec_b64 s[2:3], s[22:23]
	s_cbranch_execz .LBB109_147
.LBB109_163:                            ;   in Loop: Header=BB109_12 Depth=1
	s_waitcnt lgkmcnt(5)
	global_store_short v[0:1], v7, off offset:256
	s_or_b64 exec, exec, s[2:3]
	s_and_saveexec_b64 s[2:3], s[24:25]
	s_cbranch_execz .LBB109_148
.LBB109_164:                            ;   in Loop: Header=BB109_12 Depth=1
	s_waitcnt lgkmcnt(4)
	global_store_short v[0:1], v6, off offset:384
	s_or_b64 exec, exec, s[2:3]
	s_and_saveexec_b64 s[2:3], s[26:27]
	s_cbranch_execz .LBB109_149
.LBB109_165:                            ;   in Loop: Header=BB109_12 Depth=1
	s_waitcnt lgkmcnt(3)
	global_store_short v[0:1], v5, off offset:512
	s_or_b64 exec, exec, s[2:3]
	s_and_saveexec_b64 s[2:3], s[28:29]
	s_cbranch_execz .LBB109_150
.LBB109_166:                            ;   in Loop: Header=BB109_12 Depth=1
	s_waitcnt lgkmcnt(2)
	global_store_short v[0:1], v4, off offset:640
	s_or_b64 exec, exec, s[2:3]
	s_and_saveexec_b64 s[2:3], s[30:31]
	s_cbranch_execz .LBB109_151
.LBB109_167:                            ;   in Loop: Header=BB109_12 Depth=1
	s_waitcnt lgkmcnt(1)
	global_store_short v[0:1], v3, off offset:768
	s_or_b64 exec, exec, s[2:3]
	s_and_saveexec_b64 s[2:3], s[34:35]
	s_cbranch_execz .LBB109_11
.LBB109_168:                            ;   in Loop: Header=BB109_12 Depth=1
	s_waitcnt lgkmcnt(0)
	global_store_short v[0:1], v2, off offset:896
	s_branch .LBB109_11
.LBB109_169:
	s_endpgm
	.section	.rodata,"a",@progbits
	.p2align	6, 0x0
	.amdhsa_kernel _Z25selective_scan_fwd_kernelI32Selective_Scan_fwd_kernel_traitsILi64ELi8ELi1ELb0ELb1ELb1ELb1ELb0EN3c104HalfEffEEv13SSMParamsBase
		.amdhsa_group_segment_fixed_size 0
		.amdhsa_private_segment_fixed_size 0
		.amdhsa_kernarg_size 248
		.amdhsa_user_sgpr_count 2
		.amdhsa_user_sgpr_dispatch_ptr 0
		.amdhsa_user_sgpr_queue_ptr 0
		.amdhsa_user_sgpr_kernarg_segment_ptr 1
		.amdhsa_user_sgpr_dispatch_id 0
		.amdhsa_user_sgpr_kernarg_preload_length 0
		.amdhsa_user_sgpr_kernarg_preload_offset 0
		.amdhsa_user_sgpr_private_segment_size 0
		.amdhsa_uses_dynamic_stack 0
		.amdhsa_enable_private_segment 0
		.amdhsa_system_sgpr_workgroup_id_x 1
		.amdhsa_system_sgpr_workgroup_id_y 1
		.amdhsa_system_sgpr_workgroup_id_z 0
		.amdhsa_system_sgpr_workgroup_info 0
		.amdhsa_system_vgpr_workitem_id 0
		.amdhsa_next_free_vgpr 96
		.amdhsa_next_free_sgpr 100
		.amdhsa_accum_offset 96
		.amdhsa_reserve_vcc 1
		.amdhsa_float_round_mode_32 0
		.amdhsa_float_round_mode_16_64 0
		.amdhsa_float_denorm_mode_32 3
		.amdhsa_float_denorm_mode_16_64 3
		.amdhsa_dx10_clamp 1
		.amdhsa_ieee_mode 1
		.amdhsa_fp16_overflow 0
		.amdhsa_tg_split 0
		.amdhsa_exception_fp_ieee_invalid_op 0
		.amdhsa_exception_fp_denorm_src 0
		.amdhsa_exception_fp_ieee_div_zero 0
		.amdhsa_exception_fp_ieee_overflow 0
		.amdhsa_exception_fp_ieee_underflow 0
		.amdhsa_exception_fp_ieee_inexact 0
		.amdhsa_exception_int_div_zero 0
	.end_amdhsa_kernel
	.section	.text._Z25selective_scan_fwd_kernelI32Selective_Scan_fwd_kernel_traitsILi64ELi8ELi1ELb0ELb1ELb1ELb1ELb0EN3c104HalfEffEEv13SSMParamsBase,"axG",@progbits,_Z25selective_scan_fwd_kernelI32Selective_Scan_fwd_kernel_traitsILi64ELi8ELi1ELb0ELb1ELb1ELb1ELb0EN3c104HalfEffEEv13SSMParamsBase,comdat
.Lfunc_end109:
	.size	_Z25selective_scan_fwd_kernelI32Selective_Scan_fwd_kernel_traitsILi64ELi8ELi1ELb0ELb1ELb1ELb1ELb0EN3c104HalfEffEEv13SSMParamsBase, .Lfunc_end109-_Z25selective_scan_fwd_kernelI32Selective_Scan_fwd_kernel_traitsILi64ELi8ELi1ELb0ELb1ELb1ELb1ELb0EN3c104HalfEffEEv13SSMParamsBase
                                        ; -- End function
	.section	.AMDGPU.csdata,"",@progbits
; Kernel info:
; codeLenInByte = 12644
; NumSgprs: 106
; NumVgprs: 96
; NumAgprs: 0
; TotalNumVgprs: 96
; ScratchSize: 0
; MemoryBound: 0
; FloatMode: 240
; IeeeMode: 1
; LDSByteSize: 0 bytes/workgroup (compile time only)
; SGPRBlocks: 13
; VGPRBlocks: 11
; NumSGPRsForWavesPerEU: 106
; NumVGPRsForWavesPerEU: 96
; AccumOffset: 96
; Occupancy: 5
; WaveLimiterHint : 0
; COMPUTE_PGM_RSRC2:SCRATCH_EN: 0
; COMPUTE_PGM_RSRC2:USER_SGPR: 2
; COMPUTE_PGM_RSRC2:TRAP_HANDLER: 0
; COMPUTE_PGM_RSRC2:TGID_X_EN: 1
; COMPUTE_PGM_RSRC2:TGID_Y_EN: 1
; COMPUTE_PGM_RSRC2:TGID_Z_EN: 0
; COMPUTE_PGM_RSRC2:TIDIG_COMP_CNT: 0
; COMPUTE_PGM_RSRC3_GFX90A:ACCUM_OFFSET: 23
; COMPUTE_PGM_RSRC3_GFX90A:TG_SPLIT: 0
	.section	.text._Z25selective_scan_fwd_kernelI32Selective_Scan_fwd_kernel_traitsILi64ELi8ELi1ELb0ELb1ELb1ELb0ELb1EN3c104HalfEffEEv13SSMParamsBase,"axG",@progbits,_Z25selective_scan_fwd_kernelI32Selective_Scan_fwd_kernel_traitsILi64ELi8ELi1ELb0ELb1ELb1ELb0ELb1EN3c104HalfEffEEv13SSMParamsBase,comdat
	.protected	_Z25selective_scan_fwd_kernelI32Selective_Scan_fwd_kernel_traitsILi64ELi8ELi1ELb0ELb1ELb1ELb0ELb1EN3c104HalfEffEEv13SSMParamsBase ; -- Begin function _Z25selective_scan_fwd_kernelI32Selective_Scan_fwd_kernel_traitsILi64ELi8ELi1ELb0ELb1ELb1ELb0ELb1EN3c104HalfEffEEv13SSMParamsBase
	.globl	_Z25selective_scan_fwd_kernelI32Selective_Scan_fwd_kernel_traitsILi64ELi8ELi1ELb0ELb1ELb1ELb0ELb1EN3c104HalfEffEEv13SSMParamsBase
	.p2align	8
	.type	_Z25selective_scan_fwd_kernelI32Selective_Scan_fwd_kernel_traitsILi64ELi8ELi1ELb0ELb1ELb1ELb0ELb1EN3c104HalfEffEEv13SSMParamsBase,@function
_Z25selective_scan_fwd_kernelI32Selective_Scan_fwd_kernel_traitsILi64ELi8ELi1ELb0ELb1ELb1ELb0ELb1EN3c104HalfEffEEv13SSMParamsBase: ; @_Z25selective_scan_fwd_kernelI32Selective_Scan_fwd_kernel_traitsILi64ELi8ELi1ELb0ELb1ELb1ELb0ELb1EN3c104HalfEffEEv13SSMParamsBase
; %bb.0:
	s_load_dword s27, s[0:1], 0x18
	s_load_dwordx4 s[4:7], s[0:1], 0xe0
	s_load_dwordx2 s[10:11], s[0:1], 0xf0
	s_mov_b32 s20, s3
	s_ashr_i32 s3, s2, 31
	s_waitcnt lgkmcnt(0)
	s_abs_i32 s26, s27
	v_cvt_f32_u32_e32 v1, s26
	s_lshl_b64 s[8:9], s[2:3], 2
	s_add_u32 s24, s4, s8
	s_addc_u32 s25, s5, s9
	v_rcp_iflag_f32_e32 v1, v1
	s_cmp_eq_u64 s[10:11], 0
	v_mul_f32_e32 v1, 0x4f7ffffe, v1
	v_cvt_u32_f32_e32 v1, v1
	s_nop 0
	v_readfirstlane_b32 s28, v1
	s_cbranch_scc1 .LBB110_137
; %bb.1:
	s_add_u32 s4, s10, s2
	s_addc_u32 s5, s11, s3
	v_mov_b32_e32 v1, 0
	global_load_ubyte v1, v1, s[4:5]
	s_waitcnt vmcnt(0)
	v_and_b32_e32 v1, 1, v1
	v_cmp_eq_u32_e64 s[68:69], 1, v1
	s_load_dwordx2 s[4:5], s[0:1], 0x20
	s_cmp_eq_u64 s[6:7], 0
	s_cbranch_scc1 .LBB110_3
.LBB110_2:
	s_add_u32 s2, s6, s8
	s_addc_u32 s3, s7, s9
	s_load_dword s2, s[2:3], 0x0
	s_waitcnt lgkmcnt(0)
	s_ashr_i32 s3, s2, 31
.LBB110_3:
	s_waitcnt lgkmcnt(0)
	s_cmp_eq_u64 s[4:5], s[2:3]
	s_cbranch_scc1 .LBB110_136
; %bb.4:
	s_load_dwordx16 s[4:19], s[0:1], 0x88
	s_load_dwordx2 s[22:23], s[24:25], 0x0
	s_mov_b32 s33, 0
	s_mov_b32 s94, 0
	s_waitcnt lgkmcnt(0)
	s_cmp_eq_u64 s[10:11], 0
	s_cbranch_scc1 .LBB110_6
; %bb.5:
	s_ashr_i32 s21, s20, 31
	s_lshl_b64 s[24:25], s[20:21], 2
	s_add_u32 s10, s10, s24
	s_addc_u32 s11, s11, s25
	s_load_dword s94, s[10:11], 0x0
.LBB110_6:
	s_cmp_eq_u64 s[16:17], 0
	s_cbranch_scc1 .LBB110_8
; %bb.7:
	s_ashr_i32 s21, s20, 31
	s_lshl_b64 s[10:11], s[20:21], 2
	s_add_u32 s10, s16, s10
	s_addc_u32 s11, s17, s11
	s_load_dword s33, s[10:11], 0x0
.LBB110_8:
	s_sub_i32 s29, s23, s22
	s_cmp_lt_i32 s29, 1
	s_cbranch_scc1 .LBB110_136
; %bb.9:
	s_sub_i32 s3, 0, s26
	s_mul_i32 s3, s3, s28
	s_mul_hi_u32 s3, s28, s3
	s_abs_i32 s21, s20
	s_add_i32 s28, s28, s3
	s_load_dwordx8 s[52:59], s[0:1], 0x2c
	s_load_dwordx2 s[10:11], s[0:1], 0x5c
	s_load_dwordx4 s[60:63], s[0:1], 0x4c
	s_load_dwordx4 s[64:67], s[0:1], 0x7c
	s_load_dwordx2 s[24:25], s[0:1], 0x6c
	s_load_dwordx2 s[16:17], s[0:1], 0xc8
	s_mul_hi_u32 s3, s21, s28
	s_load_dword s28, s[0:1], 0xc
	s_load_dword s23, s[0:1], 0x28
	s_ashr_i32 s0, s20, 31
	s_ashr_i32 s1, s27, 31
	s_xor_b32 s0, s0, s1
	s_mul_i32 s1, s3, s26
	s_sub_i32 s1, s21, s1
	s_add_i32 s21, s3, 1
	s_sub_i32 s27, s1, s26
	s_cmp_ge_u32 s1, s26
	s_cselect_b32 s3, s21, s3
	s_cselect_b32 s1, s27, s1
	s_add_i32 s21, s3, 1
	s_cmp_ge_u32 s1, s26
	s_cselect_b32 s1, s21, s3
	s_xor_b32 s1, s1, s0
	s_waitcnt lgkmcnt(0)
	s_mul_i32 s70, s22, s62
	s_mov_b32 s71, 0
	s_sub_i32 s3, s1, s0
	s_lshl_b64 s[0:1], s[70:71], 1
	s_add_u32 s12, s12, s0
	s_mul_i32 s70, s63, s20
	s_addc_u32 s13, s13, s1
	s_lshl_b64 s[0:1], s[70:71], 1
	s_add_u32 s62, s12, s0
	s_mul_i32 s70, s22, s10
	s_addc_u32 s63, s13, s1
	s_lshl_b64 s[0:1], s[70:71], 1
	s_add_u32 s10, s14, s0
	s_mul_i32 s70, s11, s20
	s_addc_u32 s12, s15, s1
	s_lshl_b64 s[0:1], s[70:71], 1
	s_add_u32 s72, s10, s0
	s_mul_i32 s70, s52, s20
	s_addc_u32 s73, s12, s1
	s_lshl_b64 s[0:1], s[70:71], 2
	s_add_u32 s52, s4, s0
	s_mul_i32 s70, s22, s54
	s_addc_u32 s96, s5, s1
	s_lshl_b64 s[0:1], s[70:71], 1
	s_add_u32 s4, s6, s0
	s_mul_i32 s70, s3, s57
	s_addc_u32 s5, s7, s1
	s_lshl_b64 s[0:1], s[70:71], 1
	s_add_u32 s54, s4, s0
	s_mul_i32 s70, s22, s58
	s_addc_u32 s55, s5, s1
	s_lshl_b64 s[0:1], s[70:71], 1
	s_add_u32 s4, s8, s0
	s_mul_i32 s70, s3, s61
	s_addc_u32 s5, s9, s1
	s_lshl_b64 s[0:1], s[70:71], 1
	s_add_u32 s58, s4, s0
	s_mul_i32 s70, s2, s64
	s_addc_u32 s59, s5, s1
	s_lshl_b64 s[0:1], s[70:71], 2
	s_add_u32 s2, s16, s0
	s_mul_i32 s70, s65, s20
	s_addc_u32 s3, s17, s1
	s_lshl_b64 s[0:1], s[70:71], 2
	s_add_u32 s57, s2, s0
	v_mbcnt_lo_u32_b32 v1, -1, 0
	s_addc_u32 s61, s3, s1
	s_add_i32 s0, s29, 0x7ff
	v_mbcnt_hi_u32_b32 v10, -1, v1
	s_lshr_b32 s12, s0, 11
	v_lshrrev_b32_e32 v1, 5, v10
	v_and_b32_e32 v1, 2, v1
	s_bitcmp1_b32 s23, 0
	v_add_u32_e32 v36, 64, v10
	v_or_b32_e32 v37, 0x80, v10
	v_add_u32_e32 v38, 0xc0, v10
	v_or_b32_e32 v39, 0x100, v10
	;; [unrolled: 2-line block ×3, first 2 shown]
	v_add_u32_e32 v42, 0x1c0, v10
	v_add_u32_e32 v1, v1, v10
	s_cselect_b64 s[64:65], -1, 0
                                        ; implicit-def: $vgpr95 : SGPR spill to VGPR lane
	s_cmp_gt_i32 s28, 0
	v_lshl_add_u32 v43, v1, 1, 0
	v_lshrrev_b32_e32 v1, 5, v36
	v_lshrrev_b32_e32 v2, 5, v37
	;; [unrolled: 1-line block ×7, first 2 shown]
	v_writelane_b32 v95, s28, 0
	s_cselect_b64 s[0:1], -1, 0
	v_and_b32_e32 v1, 6, v1
	v_and_b32_e32 v2, 6, v2
	;; [unrolled: 1-line block ×7, first 2 shown]
	v_writelane_b32 v95, s0, 1
	v_add_lshl_u32 v1, v1, v10, 1
	v_add_lshl_u32 v2, v2, v10, 1
	;; [unrolled: 1-line block ×7, first 2 shown]
	v_writelane_b32 v95, s1, 2
	s_add_i32 s0, 0, 0x420
	v_add_u32_e32 v52, s0, v1
	v_add_u32_e32 v53, s0, v2
	;; [unrolled: 1-line block ×7, first 2 shown]
	s_and_b32 s0, s29, 0x1ff
	v_writelane_b32 v95, s29, 3
	s_cmp_eq_u32 s0, 0
	s_cselect_b64 s[76:77], -1, 0
	v_writelane_b32 v95, s12, 4
	s_add_i32 s12, s12, -1
	s_mul_i32 s70, s22, s24
	v_writelane_b32 v95, s12, 5
	s_lshl_b64 s[12:13], s[70:71], 1
	v_add_u32_e32 v44, 0, v1
	v_lshrrev_b32_e32 v8, 2, v10
	v_and_b32_e32 v1, 15, v10
	s_add_u32 s21, s18, s12
	s_mul_i32 s70, s25, s20
	v_and_b32_e32 v8, 30, v8
	v_cmp_ne_u32_e64 s[0:1], 0, v1
	v_cmp_lt_u32_e64 s[2:3], 1, v1
	v_cmp_lt_u32_e64 s[4:5], 3, v1
	;; [unrolled: 1-line block ×3, first 2 shown]
	v_and_b32_e32 v1, 16, v10
	s_addc_u32 s22, s19, s13
	s_lshl_b64 s[18:19], s[70:71], 1
	v_add_u32_e32 v45, 0, v2
	v_lshl_add_u32 v8, v10, 3, v8
	v_cmp_ne_u32_e64 s[8:9], 0, v1
	v_add_u32_e32 v1, -1, v10
	v_and_b32_e32 v2, 64, v10
	s_add_u32 s18, s21, s18
	v_mov_b32_e32 v9, 0
	v_lshl_add_u32 v51, v8, 1, 0
	v_cmp_lt_i32_e32 vcc, v1, v2
	s_addc_u32 s19, s22, s19
	v_lshlrev_b32_e32 v8, 1, v10
	v_lshlrev_b32_e32 v11, 3, v0
	v_cndmask_b32_e32 v1, v1, v10, vcc
	v_lshl_add_u64 v[12:13], s[18:19], 0, v[8:9]
	s_add_i32 s18, 0, 0x848
	v_add_u32_e32 v46, 0, v3
	v_add_u32_e32 v47, 0, v4
	;; [unrolled: 1-line block ×5, first 2 shown]
	v_cmp_lt_u32_e64 s[10:11], 31, v10
	v_cmp_eq_u32_e64 s[12:13], 63, v0
	v_lshlrev_b32_e32 v59, 2, v1
	v_cmp_gt_u32_e64 s[14:15], 64, v0
	v_cmp_eq_u32_e64 s[16:17], 0, v0
	v_or_b32_e32 v62, 3, v11
	v_or_b32_e32 v63, 4, v11
	;; [unrolled: 1-line block ×5, first 2 shown]
	v_lshlrev_b32_e32 v8, 1, v10
	s_mov_b32 s99, 0x41a00000
	s_mov_b32 s40, 0x3fb8aa3b
	;; [unrolled: 1-line block ×6, first 2 shown]
	v_mov_b32_e32 v67, 0x3ecc95a3
	s_mov_b32 s95, 0x3f317218
	s_mov_b32 s67, 0x33800000
	v_writelane_b32 v95, s18, 6
	s_mov_b32 s98, 0xc2fc0000
	v_mov_b32_e32 v68, 0x7f800000
	v_mov_b32_e32 v14, 0x3f317218
	;; [unrolled: 1-line block ×4, first 2 shown]
	s_mov_b32 s74, 0
                                        ; implicit-def: $vgpr0
	s_branch .LBB110_11
.LBB110_10:                             ;   in Loop: Header=BB110_11 Depth=1
	s_or_b64 exec, exec, s[18:19]
	s_add_u32 s72, s72, 0x400
	s_addc_u32 s73, s73, 0
	s_add_u32 s62, s62, 0x400
	s_addc_u32 s63, s63, 0
	;; [unrolled: 2-line block ×4, first 2 shown]
	s_add_i32 s74, s74, 1
	v_readlane_b32 s18, v95, 4
	s_cmp_eq_u32 s74, s18
	s_cbranch_scc1 .LBB110_136
.LBB110_11:                             ; =>This Loop Header: Depth=1
                                        ;     Child Loop BB110_60 Depth 2
	s_lshl_b32 s78, s74, 9
	v_readlane_b32 s18, v95, 3
	s_sub_i32 s50, s18, s78
	v_lshl_add_u64 v[0:1], s[62:63], 0, v[8:9]
	v_cmp_gt_u32_e64 s[18:19], s50, v10
	s_waitcnt lgkmcnt(0)
	v_mov_b32_e32 v2, 0
	s_waitcnt lgkmcnt(0)
	; wave barrier
	s_and_saveexec_b64 s[20:21], s[18:19]
	s_cbranch_execz .LBB110_13
; %bb.12:                               ;   in Loop: Header=BB110_11 Depth=1
	global_load_ushort v2, v[0:1], off
.LBB110_13:                             ;   in Loop: Header=BB110_11 Depth=1
	s_or_b64 exec, exec, s[20:21]
	v_cmp_gt_u32_e64 s[20:21], s50, v36
	v_mov_b32_e32 v3, 0
	v_mov_b32_e32 v4, 0
	s_and_saveexec_b64 s[22:23], s[20:21]
	s_cbranch_execz .LBB110_15
; %bb.14:                               ;   in Loop: Header=BB110_11 Depth=1
	global_load_ushort v4, v[0:1], off offset:128
.LBB110_15:                             ;   in Loop: Header=BB110_11 Depth=1
	s_or_b64 exec, exec, s[22:23]
	v_cmp_gt_u32_e64 s[22:23], s50, v37
	s_and_saveexec_b64 s[24:25], s[22:23]
	s_cbranch_execz .LBB110_17
; %bb.16:                               ;   in Loop: Header=BB110_11 Depth=1
	global_load_ushort v3, v[0:1], off offset:256
.LBB110_17:                             ;   in Loop: Header=BB110_11 Depth=1
	s_or_b64 exec, exec, s[24:25]
	v_cmp_gt_u32_e64 s[24:25], s50, v38
	v_mov_b32_e32 v5, 0
	v_mov_b32_e32 v7, 0
	s_and_saveexec_b64 s[26:27], s[24:25]
	s_cbranch_execz .LBB110_19
; %bb.18:                               ;   in Loop: Header=BB110_11 Depth=1
	global_load_ushort v7, v[0:1], off offset:384
.LBB110_19:                             ;   in Loop: Header=BB110_11 Depth=1
	s_or_b64 exec, exec, s[26:27]
	v_cmp_gt_u32_e64 s[26:27], s50, v39
	s_and_saveexec_b64 s[28:29], s[26:27]
	s_cbranch_execz .LBB110_21
; %bb.20:                               ;   in Loop: Header=BB110_11 Depth=1
	global_load_ushort v5, v[0:1], off offset:512
.LBB110_21:                             ;   in Loop: Header=BB110_11 Depth=1
	;; [unrolled: 16-line block ×3, first 2 shown]
	s_or_b64 exec, exec, s[34:35]
	v_cmp_gt_u32_e64 s[34:35], s50, v42
	v_mov_b32_e32 v6, 0
	v_mov_b32_e32 v17, 0
	s_and_saveexec_b64 s[36:37], s[34:35]
	s_cbranch_execz .LBB110_27
; %bb.26:                               ;   in Loop: Header=BB110_11 Depth=1
	global_load_ushort v17, v[0:1], off offset:896
.LBB110_27:                             ;   in Loop: Header=BB110_11 Depth=1
	s_or_b64 exec, exec, s[36:37]
	s_waitcnt vmcnt(0)
	ds_write_b16 v43, v2
	ds_write_b16 v44, v4 offset:128
	ds_write_b16 v45, v3 offset:256
	;; [unrolled: 1-line block ×7, first 2 shown]
	; wave barrier
	ds_read_b128 v[0:3], v51
	v_lshl_add_u64 v[4:5], s[72:73], 0, v[8:9]
	s_waitcnt lgkmcnt(0)
	; wave barrier
	s_waitcnt lgkmcnt(0)
	s_and_saveexec_b64 s[36:37], s[18:19]
	s_cbranch_execz .LBB110_29
; %bb.28:                               ;   in Loop: Header=BB110_11 Depth=1
	global_load_ushort v6, v[4:5], off
.LBB110_29:                             ;   in Loop: Header=BB110_11 Depth=1
	s_or_b64 exec, exec, s[36:37]
	v_mov_b32_e32 v7, 0
	v_mov_b32_e32 v15, 0
	s_and_saveexec_b64 s[36:37], s[20:21]
	s_cbranch_execz .LBB110_31
; %bb.30:                               ;   in Loop: Header=BB110_11 Depth=1
	global_load_ushort v15, v[4:5], off offset:128
.LBB110_31:                             ;   in Loop: Header=BB110_11 Depth=1
	s_or_b64 exec, exec, s[36:37]
	s_and_saveexec_b64 s[36:37], s[22:23]
	s_cbranch_execz .LBB110_33
; %bb.32:                               ;   in Loop: Header=BB110_11 Depth=1
	global_load_ushort v7, v[4:5], off offset:256
.LBB110_33:                             ;   in Loop: Header=BB110_11 Depth=1
	s_or_b64 exec, exec, s[36:37]
	v_mov_b32_e32 v16, 0
	v_mov_b32_e32 v17, 0
	s_and_saveexec_b64 s[36:37], s[24:25]
	s_cbranch_execz .LBB110_35
; %bb.34:                               ;   in Loop: Header=BB110_11 Depth=1
	global_load_ushort v17, v[4:5], off offset:384
.LBB110_35:                             ;   in Loop: Header=BB110_11 Depth=1
	s_or_b64 exec, exec, s[36:37]
	s_and_saveexec_b64 s[36:37], s[26:27]
	s_cbranch_execz .LBB110_37
; %bb.36:                               ;   in Loop: Header=BB110_11 Depth=1
	global_load_ushort v16, v[4:5], off offset:512
.LBB110_37:                             ;   in Loop: Header=BB110_11 Depth=1
	s_or_b64 exec, exec, s[36:37]
	v_mov_b32_e32 v18, 0
	v_mov_b32_e32 v19, 0
	s_and_saveexec_b64 s[36:37], s[28:29]
	s_cbranch_execnz .LBB110_126
; %bb.38:                               ;   in Loop: Header=BB110_11 Depth=1
	s_or_b64 exec, exec, s[36:37]
	s_and_saveexec_b64 s[36:37], s[30:31]
	s_cbranch_execnz .LBB110_127
.LBB110_39:                             ;   in Loop: Header=BB110_11 Depth=1
	s_or_b64 exec, exec, s[36:37]
	v_mov_b32_e32 v20, 0
	s_and_saveexec_b64 s[36:37], s[34:35]
	s_cbranch_execz .LBB110_41
.LBB110_40:                             ;   in Loop: Header=BB110_11 Depth=1
	global_load_ushort v20, v[4:5], off offset:896
.LBB110_41:                             ;   in Loop: Header=BB110_11 Depth=1
	s_or_b64 exec, exec, s[36:37]
	s_waitcnt vmcnt(0)
	ds_write_b16 v43, v6
	ds_write_b16 v44, v15 offset:128
	ds_write_b16 v45, v7 offset:256
	;; [unrolled: 1-line block ×7, first 2 shown]
	; wave barrier
	ds_read_b128 v[4:7], v51
	s_waitcnt lgkmcnt(0)
	v_cvt_f32_f16_e32 v15, v4
	v_add_f32_e32 v71, s33, v15
	v_cmp_ge_f32_e32 vcc, s99, v71
	s_and_b64 s[36:37], s[64:65], vcc
	s_and_saveexec_b64 s[38:39], s[36:37]
	s_cbranch_execz .LBB110_43
; %bb.42:                               ;   in Loop: Header=BB110_11 Depth=1
	v_mul_f32_e32 v15, 0x3fb8aa3b, v71
	v_rndne_f32_e32 v16, v15
	v_sub_f32_e32 v17, v15, v16
	v_fma_f32 v15, v71, s40, -v15
	v_fmac_f32_e32 v15, 0x32a5705f, v71
	v_add_f32_e32 v15, v17, v15
	v_cvt_i32_f32_e32 v16, v16
	v_exp_f32_e32 v15, v15
	v_cmp_ngt_f32_e32 vcc, s41, v71
	v_ldexp_f32 v15, v15, v16
	s_nop 0
	v_cndmask_b32_e32 v15, 0, v15, vcc
	v_cmp_nlt_f32_e32 vcc, s42, v71
	s_nop 1
	v_cndmask_b32_e32 v32, v68, v15, vcc
	v_add_f32_e32 v15, 1.0, v32
	v_add_f32_e32 v16, -1.0, v15
	v_sub_f32_e32 v17, v16, v15
	v_add_f32_e32 v17, 1.0, v17
	v_sub_f32_e32 v16, v32, v16
	v_add_f32_e32 v18, v16, v17
	v_frexp_mant_f32_e32 v19, v15
	v_cvt_f64_f32_e32 v[16:17], v15
	v_frexp_exp_i32_f64_e32 v16, v[16:17]
	v_cmp_gt_f32_e32 vcc, s97, v19
	v_cmp_gt_f32_e64 s[36:37], s67, v32
	s_nop 0
	v_subbrev_co_u32_e32 v24, vcc, 0, v16, vcc
	v_sub_u32_e32 v16, 0, v24
	v_ldexp_f32 v15, v15, v16
	v_ldexp_f32 v16, v18, v16
	v_add_f32_e32 v18, -1.0, v15
	v_add_f32_e32 v17, 1.0, v18
	v_sub_f32_e32 v17, v15, v17
	v_add_f32_e32 v19, v16, v17
	v_add_f32_e32 v17, 1.0, v15
	v_add_f32_e32 v20, -1.0, v17
	v_sub_f32_e32 v15, v15, v20
	v_add_f32_e32 v15, v16, v15
	v_add_f32_e32 v25, v17, v15
	v_rcp_f32_e32 v26, v25
	v_sub_f32_e32 v16, v17, v25
	v_add_f32_e32 v17, v18, v19
	v_add_f32_e32 v15, v15, v16
	v_mul_f32_e32 v28, v17, v26
	v_sub_f32_e32 v16, v18, v17
	v_mul_f32_e32 v18, v25, v28
	v_fma_f32 v20, v28, v25, -v18
	v_fmac_f32_e32 v20, v28, v15
	v_add_f32_e32 v27, v19, v16
	v_add_f32_e32 v16, v18, v20
	v_sub_f32_e32 v19, v17, v16
	v_pk_add_f32 v[22:23], v[16:17], v[18:19] neg_lo:[0,1] neg_hi:[0,1]
	v_mov_b32_e32 v21, v16
	v_pk_add_f32 v[16:17], v[22:23], v[20:21] neg_lo:[0,1] neg_hi:[0,1]
	v_cmp_eq_f32_e32 vcc, s43, v32
	v_add_f32_e32 v17, v27, v17
	v_add_f32_e32 v16, v16, v17
	;; [unrolled: 1-line block ×3, first 2 shown]
	v_mul_f32_e32 v27, v26, v17
	v_mul_f32_e32 v18, v25, v27
	v_fma_f32 v20, v27, v25, -v18
	v_fmac_f32_e32 v20, v27, v15
	v_sub_f32_e32 v15, v19, v17
	v_add_f32_e32 v15, v16, v15
	v_add_f32_e32 v16, v18, v20
	v_sub_f32_e32 v19, v17, v16
	v_pk_add_f32 v[22:23], v[16:17], v[18:19] neg_lo:[0,1] neg_hi:[0,1]
	v_mov_b32_e32 v21, v16
	v_pk_add_f32 v[16:17], v[22:23], v[20:21] neg_lo:[0,1] neg_hi:[0,1]
	s_or_b64 vcc, s[36:37], vcc
	v_add_f32_e32 v15, v15, v17
	v_add_f32_e32 v15, v16, v15
	;; [unrolled: 1-line block ×4, first 2 shown]
	v_sub_f32_e32 v16, v17, v28
	v_mul_f32_e32 v15, v26, v15
	v_sub_f32_e32 v16, v27, v16
	v_add_f32_e32 v18, v16, v15
	v_add_f32_e32 v20, v17, v18
	v_cvt_f32_i32_e32 v16, v24
	v_mul_f32_e32 v21, v20, v20
	v_sub_f32_e32 v17, v20, v17
	v_fmamk_f32 v15, v21, 0x3e9b6dac, v67
	v_sub_f32_e32 v17, v18, v17
	v_fmaak_f32 v15, v21, v15, 0x3f2aaada
	v_ldexp_f32 v22, v17, 1
	v_mul_f32_e32 v17, v20, v21
	v_ldexp_f32 v19, v20, 1
	v_pk_mul_f32 v[20:21], v[16:17], v[14:15]
	s_nop 0
	v_fma_f32 v18, v16, s95, -v20
	v_fmac_f32_e32 v18, 0xb102e308, v16
	v_pk_add_f32 v[16:17], v[20:21], v[18:19]
	s_nop 0
	v_sub_f32_e32 v15, v17, v19
	v_sub_f32_e32 v15, v21, v15
	v_add_f32_e32 v23, v22, v15
	v_mov_b32_e32 v22, v20
	v_pk_add_f32 v[20:21], v[16:17], v[20:21] neg_lo:[0,1] neg_hi:[0,1]
	v_pk_add_f32 v[24:25], v[16:17], v[22:23]
	v_mov_b32_e32 v19, v16
	v_mov_b32_e32 v21, v25
	v_pk_add_f32 v[26:27], v[18:19], v[20:21] neg_lo:[0,1] neg_hi:[0,1]
	v_pk_add_f32 v[18:19], v[18:19], v[20:21]
	v_mov_b32_e32 v22, v23
	v_mov_b32_e32 v20, v19
	v_pk_add_f32 v[28:29], v[20:21], v[16:17] neg_lo:[0,1] neg_hi:[0,1]
	v_mov_b32_e32 v18, v25
	v_mov_b32_e32 v15, v28
	v_pk_add_f32 v[30:31], v[24:25], v[14:15] neg_lo:[0,1] neg_hi:[0,1]
	v_mov_b32_e32 v24, v17
	v_mov_b32_e32 v25, v28
	;; [unrolled: 1-line block ×3, first 2 shown]
	v_pk_add_f32 v[18:19], v[18:19], v[24:25] neg_lo:[0,1] neg_hi:[0,1]
	v_mov_b32_e32 v23, v16
	v_pk_add_f32 v[16:17], v[22:23], v[18:19] neg_lo:[0,1] neg_hi:[0,1]
	v_mov_b32_e32 v30, v26
	v_pk_add_f32 v[18:19], v[30:31], v[16:17]
	s_nop 0
	v_mov_b32_e32 v22, v19
	v_pk_add_f32 v[22:23], v[18:19], v[22:23]
	s_nop 0
	v_pk_add_f32 v[20:21], v[20:21], v[22:23]
	v_mov_b32_e32 v17, v22
	v_mov_b32_e32 v19, v20
	v_pk_add_f32 v[24:25], v[18:19], v[26:27] neg_lo:[0,1] neg_hi:[0,1]
	s_nop 0
	v_sub_f32_e32 v15, v18, v24
	v_pk_add_f32 v[16:17], v[16:17], v[24:25] neg_lo:[0,1] neg_hi:[0,1]
	v_sub_f32_e32 v15, v26, v15
	v_add_f32_e32 v15, v16, v15
	v_add_f32_e32 v15, v15, v17
	;; [unrolled: 1-line block ×3, first 2 shown]
	v_cndmask_b32_e32 v71, v15, v32, vcc
.LBB110_43:                             ;   in Loop: Header=BB110_11 Depth=1
	s_or_b64 exec, exec, s[38:39]
	v_cvt_f32_f16_sdwa v4, v4 dst_sel:DWORD dst_unused:UNUSED_PAD src0_sel:WORD_1
	v_add_f32_e32 v72, s33, v4
	v_cmp_ge_f32_e32 vcc, s99, v72
	s_and_b64 s[36:37], s[64:65], vcc
	s_and_saveexec_b64 s[38:39], s[36:37]
	s_cbranch_execz .LBB110_45
; %bb.44:                               ;   in Loop: Header=BB110_11 Depth=1
	v_mul_f32_e32 v4, 0x3fb8aa3b, v72
	v_rndne_f32_e32 v15, v4
	v_sub_f32_e32 v16, v4, v15
	v_fma_f32 v4, v72, s40, -v4
	v_fmac_f32_e32 v4, 0x32a5705f, v72
	v_add_f32_e32 v4, v16, v4
	v_cvt_i32_f32_e32 v15, v15
	v_exp_f32_e32 v4, v4
	v_cmp_ngt_f32_e32 vcc, s41, v72
	v_ldexp_f32 v4, v4, v15
	s_nop 0
	v_cndmask_b32_e32 v4, 0, v4, vcc
	v_cmp_nlt_f32_e32 vcc, s42, v72
	s_nop 1
	v_cndmask_b32_e32 v30, v68, v4, vcc
	v_add_f32_e32 v4, 1.0, v30
	v_add_f32_e32 v15, -1.0, v4
	v_sub_f32_e32 v16, v15, v4
	v_add_f32_e32 v16, 1.0, v16
	v_sub_f32_e32 v15, v30, v15
	v_add_f32_e32 v15, v15, v16
	v_frexp_mant_f32_e32 v18, v4
	v_cvt_f64_f32_e32 v[16:17], v4
	v_frexp_exp_i32_f64_e32 v16, v[16:17]
	v_cmp_gt_f32_e32 vcc, s97, v18
	v_cmp_gt_f32_e64 s[36:37], s67, v30
	s_nop 0
	v_subbrev_co_u32_e32 v24, vcc, 0, v16, vcc
	v_sub_u32_e32 v16, 0, v24
	v_ldexp_f32 v4, v4, v16
	v_ldexp_f32 v15, v15, v16
	v_add_f32_e32 v16, -1.0, v4
	v_add_f32_e32 v17, 1.0, v16
	v_sub_f32_e32 v17, v4, v17
	v_add_f32_e32 v18, v15, v17
	v_add_f32_e32 v17, 1.0, v4
	v_add_f32_e32 v19, -1.0, v17
	v_sub_f32_e32 v4, v4, v19
	v_add_f32_e32 v4, v15, v4
	v_add_f32_e32 v15, v17, v4
	v_rcp_f32_e32 v25, v15
	v_sub_f32_e32 v17, v17, v15
	v_add_f32_e32 v4, v4, v17
	v_add_f32_e32 v17, v16, v18
	v_sub_f32_e32 v16, v16, v17
	v_mul_f32_e32 v27, v17, v25
	v_add_f32_e32 v26, v18, v16
	v_mul_f32_e32 v18, v15, v27
	v_fma_f32 v20, v27, v15, -v18
	v_fmac_f32_e32 v20, v27, v4
	v_add_f32_e32 v16, v18, v20
	v_sub_f32_e32 v19, v17, v16
	v_pk_add_f32 v[22:23], v[16:17], v[18:19] neg_lo:[0,1] neg_hi:[0,1]
	v_mov_b32_e32 v21, v16
	v_pk_add_f32 v[16:17], v[22:23], v[20:21] neg_lo:[0,1] neg_hi:[0,1]
	v_cmp_eq_f32_e32 vcc, s43, v30
	v_add_f32_e32 v17, v26, v17
	v_add_f32_e32 v16, v16, v17
	;; [unrolled: 1-line block ×3, first 2 shown]
	v_mul_f32_e32 v26, v25, v17
	v_mul_f32_e32 v18, v15, v26
	v_fma_f32 v20, v26, v15, -v18
	v_fmac_f32_e32 v20, v26, v4
	v_sub_f32_e32 v4, v19, v17
	v_add_f32_e32 v4, v16, v4
	v_add_f32_e32 v16, v18, v20
	v_sub_f32_e32 v19, v17, v16
	v_pk_add_f32 v[22:23], v[16:17], v[18:19] neg_lo:[0,1] neg_hi:[0,1]
	v_mov_b32_e32 v21, v16
	v_pk_add_f32 v[16:17], v[22:23], v[20:21] neg_lo:[0,1] neg_hi:[0,1]
	s_or_b64 vcc, s[36:37], vcc
	v_add_f32_e32 v4, v4, v17
	v_add_f32_e32 v4, v16, v4
	;; [unrolled: 1-line block ×4, first 2 shown]
	v_sub_f32_e32 v15, v17, v27
	v_mul_f32_e32 v4, v25, v4
	v_sub_f32_e32 v15, v26, v15
	v_add_f32_e32 v4, v15, v4
	v_add_f32_e32 v18, v17, v4
	v_cvt_f32_i32_e32 v16, v24
	v_mul_f32_e32 v20, v18, v18
	v_fmamk_f32 v15, v20, 0x3e9b6dac, v67
	v_sub_f32_e32 v17, v18, v17
	v_fmaak_f32 v15, v20, v15, 0x3f2aaada
	v_sub_f32_e32 v4, v4, v17
	v_mul_f32_e32 v17, v18, v20
	v_pk_mul_f32 v[20:21], v[16:17], v[14:15]
	v_ldexp_f32 v19, v18, 1
	v_fma_f32 v18, v16, s95, -v20
	v_fmac_f32_e32 v18, 0xb102e308, v16
	v_pk_add_f32 v[16:17], v[20:21], v[18:19]
	v_ldexp_f32 v4, v4, 1
	v_sub_f32_e32 v15, v17, v19
	v_sub_f32_e32 v15, v21, v15
	v_add_f32_e32 v23, v4, v15
	v_mov_b32_e32 v22, v20
	v_pk_add_f32 v[20:21], v[16:17], v[20:21] neg_lo:[0,1] neg_hi:[0,1]
	v_pk_add_f32 v[24:25], v[16:17], v[22:23]
	v_mov_b32_e32 v19, v16
	v_mov_b32_e32 v21, v25
	v_pk_add_f32 v[26:27], v[18:19], v[20:21] neg_lo:[0,1] neg_hi:[0,1]
	v_pk_add_f32 v[18:19], v[18:19], v[20:21]
	s_nop 0
	v_mov_b32_e32 v4, v19
	v_pk_add_f32 v[20:21], v[4:5], v[16:17] neg_lo:[0,1] neg_hi:[0,1]
	v_mov_b32_e32 v18, v25
	v_mov_b32_e32 v15, v20
	v_pk_add_f32 v[28:29], v[24:25], v[14:15] neg_lo:[0,1] neg_hi:[0,1]
	v_mov_b32_e32 v24, v17
	v_mov_b32_e32 v25, v20
	;; [unrolled: 1-line block ×3, first 2 shown]
	v_pk_add_f32 v[18:19], v[18:19], v[24:25] neg_lo:[0,1] neg_hi:[0,1]
	v_mov_b32_e32 v20, v23
	v_mov_b32_e32 v21, v16
	v_pk_add_f32 v[16:17], v[20:21], v[18:19] neg_lo:[0,1] neg_hi:[0,1]
	v_mov_b32_e32 v28, v26
	v_pk_add_f32 v[18:19], v[28:29], v[16:17]
	s_nop 0
	v_mov_b32_e32 v20, v19
	v_pk_add_f32 v[20:21], v[18:19], v[20:21]
	s_nop 0
	v_pk_add_f32 v[22:23], v[4:5], v[20:21]
	v_mov_b32_e32 v17, v20
	v_mov_b32_e32 v19, v22
	v_pk_add_f32 v[24:25], v[18:19], v[26:27] neg_lo:[0,1] neg_hi:[0,1]
	s_nop 0
	v_sub_f32_e32 v4, v18, v24
	v_pk_add_f32 v[16:17], v[16:17], v[24:25] neg_lo:[0,1] neg_hi:[0,1]
	v_sub_f32_e32 v4, v26, v4
	v_add_f32_e32 v4, v16, v4
	v_add_f32_e32 v4, v4, v17
	;; [unrolled: 1-line block ×3, first 2 shown]
	v_cndmask_b32_e32 v72, v4, v30, vcc
.LBB110_45:                             ;   in Loop: Header=BB110_11 Depth=1
	s_or_b64 exec, exec, s[38:39]
	v_cvt_f32_f16_e32 v4, v5
	v_add_f32_e32 v73, s33, v4
	v_cmp_ge_f32_e32 vcc, s99, v73
	s_and_b64 s[36:37], s[64:65], vcc
	s_and_saveexec_b64 s[38:39], s[36:37]
	s_cbranch_execz .LBB110_47
; %bb.46:                               ;   in Loop: Header=BB110_11 Depth=1
	v_mul_f32_e32 v4, 0x3fb8aa3b, v73
	v_rndne_f32_e32 v15, v4
	v_sub_f32_e32 v16, v4, v15
	v_fma_f32 v4, v73, s40, -v4
	v_fmac_f32_e32 v4, 0x32a5705f, v73
	v_add_f32_e32 v4, v16, v4
	v_cvt_i32_f32_e32 v15, v15
	v_exp_f32_e32 v4, v4
	v_cmp_ngt_f32_e32 vcc, s41, v73
	v_ldexp_f32 v4, v4, v15
	s_nop 0
	v_cndmask_b32_e32 v4, 0, v4, vcc
	v_cmp_nlt_f32_e32 vcc, s42, v73
	s_nop 1
	v_cndmask_b32_e32 v30, v68, v4, vcc
	v_add_f32_e32 v4, 1.0, v30
	v_add_f32_e32 v15, -1.0, v4
	v_sub_f32_e32 v16, v15, v4
	v_add_f32_e32 v16, 1.0, v16
	v_sub_f32_e32 v15, v30, v15
	v_add_f32_e32 v15, v15, v16
	v_frexp_mant_f32_e32 v18, v4
	v_cvt_f64_f32_e32 v[16:17], v4
	v_frexp_exp_i32_f64_e32 v16, v[16:17]
	v_cmp_gt_f32_e32 vcc, s97, v18
	v_cmp_gt_f32_e64 s[36:37], s67, v30
	s_nop 0
	v_subbrev_co_u32_e32 v24, vcc, 0, v16, vcc
	v_sub_u32_e32 v16, 0, v24
	v_ldexp_f32 v4, v4, v16
	v_ldexp_f32 v15, v15, v16
	v_add_f32_e32 v16, -1.0, v4
	v_add_f32_e32 v17, 1.0, v16
	v_sub_f32_e32 v17, v4, v17
	v_add_f32_e32 v18, v15, v17
	v_add_f32_e32 v17, 1.0, v4
	v_add_f32_e32 v19, -1.0, v17
	v_sub_f32_e32 v4, v4, v19
	v_add_f32_e32 v4, v15, v4
	v_add_f32_e32 v15, v17, v4
	v_rcp_f32_e32 v25, v15
	v_sub_f32_e32 v17, v17, v15
	v_add_f32_e32 v4, v4, v17
	v_add_f32_e32 v17, v16, v18
	v_sub_f32_e32 v16, v16, v17
	v_mul_f32_e32 v27, v17, v25
	v_add_f32_e32 v26, v18, v16
	v_mul_f32_e32 v18, v15, v27
	v_fma_f32 v20, v27, v15, -v18
	v_fmac_f32_e32 v20, v27, v4
	v_add_f32_e32 v16, v18, v20
	v_sub_f32_e32 v19, v17, v16
	v_pk_add_f32 v[22:23], v[16:17], v[18:19] neg_lo:[0,1] neg_hi:[0,1]
	v_mov_b32_e32 v21, v16
	v_pk_add_f32 v[16:17], v[22:23], v[20:21] neg_lo:[0,1] neg_hi:[0,1]
	v_cmp_eq_f32_e32 vcc, s43, v30
	v_add_f32_e32 v17, v26, v17
	v_add_f32_e32 v16, v16, v17
	;; [unrolled: 1-line block ×3, first 2 shown]
	v_mul_f32_e32 v26, v25, v17
	v_mul_f32_e32 v18, v15, v26
	v_fma_f32 v20, v26, v15, -v18
	v_fmac_f32_e32 v20, v26, v4
	v_sub_f32_e32 v4, v19, v17
	v_add_f32_e32 v4, v16, v4
	v_add_f32_e32 v16, v18, v20
	v_sub_f32_e32 v19, v17, v16
	v_pk_add_f32 v[22:23], v[16:17], v[18:19] neg_lo:[0,1] neg_hi:[0,1]
	v_mov_b32_e32 v21, v16
	v_pk_add_f32 v[16:17], v[22:23], v[20:21] neg_lo:[0,1] neg_hi:[0,1]
	s_or_b64 vcc, s[36:37], vcc
	v_add_f32_e32 v4, v4, v17
	v_add_f32_e32 v4, v16, v4
	;; [unrolled: 1-line block ×4, first 2 shown]
	v_sub_f32_e32 v15, v17, v27
	v_mul_f32_e32 v4, v25, v4
	v_sub_f32_e32 v15, v26, v15
	v_add_f32_e32 v4, v15, v4
	v_add_f32_e32 v18, v17, v4
	v_cvt_f32_i32_e32 v16, v24
	v_mul_f32_e32 v20, v18, v18
	v_fmamk_f32 v15, v20, 0x3e9b6dac, v67
	v_sub_f32_e32 v17, v18, v17
	v_fmaak_f32 v15, v20, v15, 0x3f2aaada
	v_sub_f32_e32 v4, v4, v17
	v_mul_f32_e32 v17, v18, v20
	v_pk_mul_f32 v[20:21], v[16:17], v[14:15]
	v_ldexp_f32 v19, v18, 1
	v_fma_f32 v18, v16, s95, -v20
	v_fmac_f32_e32 v18, 0xb102e308, v16
	v_pk_add_f32 v[16:17], v[20:21], v[18:19]
	v_ldexp_f32 v4, v4, 1
	v_sub_f32_e32 v15, v17, v19
	v_sub_f32_e32 v15, v21, v15
	v_add_f32_e32 v23, v4, v15
	v_mov_b32_e32 v22, v20
	v_pk_add_f32 v[20:21], v[16:17], v[20:21] neg_lo:[0,1] neg_hi:[0,1]
	v_pk_add_f32 v[24:25], v[16:17], v[22:23]
	v_mov_b32_e32 v19, v16
	v_mov_b32_e32 v21, v25
	v_pk_add_f32 v[26:27], v[18:19], v[20:21] neg_lo:[0,1] neg_hi:[0,1]
	v_pk_add_f32 v[18:19], v[18:19], v[20:21]
	s_nop 0
	v_mov_b32_e32 v4, v19
	v_pk_add_f32 v[20:21], v[4:5], v[16:17] neg_lo:[0,1] neg_hi:[0,1]
	v_mov_b32_e32 v18, v25
	v_mov_b32_e32 v15, v20
	v_pk_add_f32 v[28:29], v[24:25], v[14:15] neg_lo:[0,1] neg_hi:[0,1]
	v_mov_b32_e32 v24, v17
	v_mov_b32_e32 v25, v20
	;; [unrolled: 1-line block ×3, first 2 shown]
	v_pk_add_f32 v[18:19], v[18:19], v[24:25] neg_lo:[0,1] neg_hi:[0,1]
	v_mov_b32_e32 v20, v23
	v_mov_b32_e32 v21, v16
	v_pk_add_f32 v[16:17], v[20:21], v[18:19] neg_lo:[0,1] neg_hi:[0,1]
	v_mov_b32_e32 v28, v26
	v_pk_add_f32 v[18:19], v[28:29], v[16:17]
	s_nop 0
	v_mov_b32_e32 v20, v19
	v_pk_add_f32 v[20:21], v[18:19], v[20:21]
	s_nop 0
	v_pk_add_f32 v[22:23], v[4:5], v[20:21]
	v_mov_b32_e32 v17, v20
	v_mov_b32_e32 v19, v22
	v_pk_add_f32 v[24:25], v[18:19], v[26:27] neg_lo:[0,1] neg_hi:[0,1]
	s_nop 0
	v_sub_f32_e32 v4, v18, v24
	v_pk_add_f32 v[16:17], v[16:17], v[24:25] neg_lo:[0,1] neg_hi:[0,1]
	v_sub_f32_e32 v4, v26, v4
	v_add_f32_e32 v4, v16, v4
	v_add_f32_e32 v4, v4, v17
	v_add_f32_e32 v4, v22, v4
	v_cndmask_b32_e32 v73, v4, v30, vcc
.LBB110_47:                             ;   in Loop: Header=BB110_11 Depth=1
	s_or_b64 exec, exec, s[38:39]
	v_cvt_f32_f16_sdwa v4, v5 dst_sel:DWORD dst_unused:UNUSED_PAD src0_sel:WORD_1
	v_add_f32_e32 v74, s33, v4
	v_cmp_ge_f32_e32 vcc, s99, v74
	s_and_b64 s[36:37], s[64:65], vcc
	s_and_saveexec_b64 s[38:39], s[36:37]
	s_cbranch_execz .LBB110_49
; %bb.48:                               ;   in Loop: Header=BB110_11 Depth=1
	v_mul_f32_e32 v4, 0x3fb8aa3b, v74
	v_rndne_f32_e32 v5, v4
	v_sub_f32_e32 v15, v4, v5
	v_fma_f32 v4, v74, s40, -v4
	v_fmac_f32_e32 v4, 0x32a5705f, v74
	v_add_f32_e32 v4, v15, v4
	v_cvt_i32_f32_e32 v5, v5
	v_exp_f32_e32 v4, v4
	v_cmp_ngt_f32_e32 vcc, s41, v74
	v_ldexp_f32 v4, v4, v5
	s_nop 0
	v_cndmask_b32_e32 v4, 0, v4, vcc
	v_cmp_nlt_f32_e32 vcc, s42, v74
	s_nop 1
	v_cndmask_b32_e32 v30, v68, v4, vcc
	v_add_f32_e32 v15, 1.0, v30
	v_add_f32_e32 v4, -1.0, v15
	v_sub_f32_e32 v5, v4, v15
	v_add_f32_e32 v5, 1.0, v5
	v_sub_f32_e32 v4, v30, v4
	v_add_f32_e32 v16, v4, v5
	v_frexp_mant_f32_e32 v17, v15
	v_cvt_f64_f32_e32 v[4:5], v15
	v_frexp_exp_i32_f64_e32 v4, v[4:5]
	v_cmp_gt_f32_e32 vcc, s97, v17
	v_cmp_gt_f32_e64 s[36:37], s67, v30
	s_nop 0
	v_subbrev_co_u32_e32 v22, vcc, 0, v4, vcc
	v_sub_u32_e32 v4, 0, v22
	v_ldexp_f32 v5, v15, v4
	v_add_f32_e32 v15, -1.0, v5
	v_add_f32_e32 v17, 1.0, v5
	v_ldexp_f32 v4, v16, v4
	v_add_f32_e32 v16, 1.0, v15
	v_add_f32_e32 v18, -1.0, v17
	v_sub_f32_e32 v16, v5, v16
	v_sub_f32_e32 v5, v5, v18
	v_add_f32_e32 v16, v4, v16
	v_add_f32_e32 v4, v4, v5
	;; [unrolled: 1-line block ×3, first 2 shown]
	v_rcp_f32_e32 v25, v23
	v_sub_f32_e32 v5, v17, v23
	v_add_f32_e32 v24, v4, v5
	v_add_f32_e32 v5, v15, v16
	v_sub_f32_e32 v4, v15, v5
	v_mul_f32_e32 v26, v5, v25
	v_add_f32_e32 v15, v16, v4
	v_mul_f32_e32 v16, v23, v26
	v_fma_f32 v18, v26, v23, -v16
	v_fmac_f32_e32 v18, v26, v24
	v_add_f32_e32 v4, v16, v18
	v_sub_f32_e32 v17, v5, v4
	v_pk_add_f32 v[20:21], v[4:5], v[16:17] neg_lo:[0,1] neg_hi:[0,1]
	v_mov_b32_e32 v19, v4
	v_pk_add_f32 v[4:5], v[20:21], v[18:19] neg_lo:[0,1] neg_hi:[0,1]
	v_cmp_eq_f32_e32 vcc, s43, v30
	v_add_f32_e32 v5, v15, v5
	v_add_f32_e32 v4, v4, v5
	;; [unrolled: 1-line block ×3, first 2 shown]
	v_mul_f32_e32 v15, v25, v5
	v_mul_f32_e32 v16, v23, v15
	v_fma_f32 v18, v15, v23, -v16
	v_fmac_f32_e32 v18, v15, v24
	v_sub_f32_e32 v17, v17, v5
	v_add_f32_e32 v23, v4, v17
	v_add_f32_e32 v4, v16, v18
	v_sub_f32_e32 v17, v5, v4
	v_pk_add_f32 v[20:21], v[4:5], v[16:17] neg_lo:[0,1] neg_hi:[0,1]
	v_mov_b32_e32 v19, v4
	v_pk_add_f32 v[4:5], v[20:21], v[18:19] neg_lo:[0,1] neg_hi:[0,1]
	s_or_b64 vcc, s[36:37], vcc
	v_add_f32_e32 v5, v23, v5
	v_add_f32_e32 v4, v4, v5
	;; [unrolled: 1-line block ×4, first 2 shown]
	v_sub_f32_e32 v16, v5, v26
	v_mul_f32_e32 v4, v25, v4
	v_sub_f32_e32 v15, v15, v16
	v_add_f32_e32 v16, v15, v4
	v_add_f32_e32 v18, v5, v16
	v_mul_f32_e32 v19, v18, v18
	v_fmamk_f32 v4, v19, 0x3e9b6dac, v67
	v_fmaak_f32 v15, v19, v4, 0x3f2aaada
	v_cvt_f32_i32_e32 v4, v22
	v_sub_f32_e32 v5, v18, v5
	v_sub_f32_e32 v5, v16, v5
	v_ldexp_f32 v20, v5, 1
	v_mul_f32_e32 v5, v18, v19
	v_ldexp_f32 v17, v18, 1
	v_pk_mul_f32 v[18:19], v[4:5], v[14:15]
	s_nop 0
	v_fma_f32 v16, v4, s95, -v18
	v_fmac_f32_e32 v16, 0xb102e308, v4
	v_pk_add_f32 v[4:5], v[18:19], v[16:17]
	s_nop 0
	v_sub_f32_e32 v15, v5, v17
	v_sub_f32_e32 v15, v19, v15
	v_add_f32_e32 v21, v20, v15
	v_mov_b32_e32 v20, v18
	v_pk_add_f32 v[18:19], v[4:5], v[18:19] neg_lo:[0,1] neg_hi:[0,1]
	v_pk_add_f32 v[22:23], v[4:5], v[20:21]
	v_mov_b32_e32 v17, v4
	v_mov_b32_e32 v19, v23
	v_pk_add_f32 v[24:25], v[16:17], v[18:19] neg_lo:[0,1] neg_hi:[0,1]
	v_pk_add_f32 v[16:17], v[16:17], v[18:19]
	v_mov_b32_e32 v20, v21
	v_mov_b32_e32 v18, v17
	v_pk_add_f32 v[26:27], v[18:19], v[4:5] neg_lo:[0,1] neg_hi:[0,1]
	v_mov_b32_e32 v16, v23
	v_mov_b32_e32 v15, v26
	v_pk_add_f32 v[28:29], v[22:23], v[14:15] neg_lo:[0,1] neg_hi:[0,1]
	v_mov_b32_e32 v22, v5
	v_mov_b32_e32 v23, v26
	;; [unrolled: 1-line block ×3, first 2 shown]
	v_pk_add_f32 v[16:17], v[16:17], v[22:23] neg_lo:[0,1] neg_hi:[0,1]
	v_mov_b32_e32 v21, v4
	v_pk_add_f32 v[4:5], v[20:21], v[16:17] neg_lo:[0,1] neg_hi:[0,1]
	v_mov_b32_e32 v28, v24
	v_pk_add_f32 v[16:17], v[28:29], v[4:5]
	s_nop 0
	v_mov_b32_e32 v20, v17
	v_pk_add_f32 v[20:21], v[16:17], v[20:21]
	s_nop 0
	v_pk_add_f32 v[18:19], v[18:19], v[20:21]
	v_mov_b32_e32 v5, v20
	v_mov_b32_e32 v17, v18
	v_pk_add_f32 v[22:23], v[16:17], v[24:25] neg_lo:[0,1] neg_hi:[0,1]
	s_nop 0
	v_sub_f32_e32 v15, v16, v22
	v_pk_add_f32 v[4:5], v[4:5], v[22:23] neg_lo:[0,1] neg_hi:[0,1]
	v_sub_f32_e32 v15, v24, v15
	v_add_f32_e32 v4, v4, v15
	v_add_f32_e32 v4, v4, v5
	;; [unrolled: 1-line block ×3, first 2 shown]
	v_cndmask_b32_e32 v74, v4, v30, vcc
.LBB110_49:                             ;   in Loop: Header=BB110_11 Depth=1
	s_or_b64 exec, exec, s[38:39]
	v_cvt_f32_f16_e32 v4, v6
	v_add_f32_e32 v75, s33, v4
	v_cmp_ge_f32_e32 vcc, s99, v75
	s_and_b64 s[36:37], s[64:65], vcc
	s_and_saveexec_b64 s[38:39], s[36:37]
	s_cbranch_execz .LBB110_51
; %bb.50:                               ;   in Loop: Header=BB110_11 Depth=1
	v_mul_f32_e32 v4, 0x3fb8aa3b, v75
	v_rndne_f32_e32 v5, v4
	v_sub_f32_e32 v15, v4, v5
	v_fma_f32 v4, v75, s40, -v4
	v_fmac_f32_e32 v4, 0x32a5705f, v75
	v_add_f32_e32 v4, v15, v4
	v_cvt_i32_f32_e32 v5, v5
	v_exp_f32_e32 v4, v4
	v_cmp_ngt_f32_e32 vcc, s41, v75
	v_ldexp_f32 v4, v4, v5
	s_nop 0
	v_cndmask_b32_e32 v4, 0, v4, vcc
	v_cmp_nlt_f32_e32 vcc, s42, v75
	s_nop 1
	v_cndmask_b32_e32 v30, v68, v4, vcc
	v_add_f32_e32 v15, 1.0, v30
	v_add_f32_e32 v4, -1.0, v15
	v_sub_f32_e32 v5, v4, v15
	v_add_f32_e32 v5, 1.0, v5
	v_sub_f32_e32 v4, v30, v4
	v_add_f32_e32 v16, v4, v5
	v_frexp_mant_f32_e32 v17, v15
	v_cvt_f64_f32_e32 v[4:5], v15
	v_frexp_exp_i32_f64_e32 v4, v[4:5]
	v_cmp_gt_f32_e32 vcc, s97, v17
	v_cmp_gt_f32_e64 s[36:37], s67, v30
	s_nop 0
	v_subbrev_co_u32_e32 v22, vcc, 0, v4, vcc
	v_sub_u32_e32 v4, 0, v22
	v_ldexp_f32 v5, v15, v4
	v_add_f32_e32 v15, -1.0, v5
	v_add_f32_e32 v17, 1.0, v5
	v_ldexp_f32 v4, v16, v4
	v_add_f32_e32 v16, 1.0, v15
	v_add_f32_e32 v18, -1.0, v17
	v_sub_f32_e32 v16, v5, v16
	v_sub_f32_e32 v5, v5, v18
	v_add_f32_e32 v16, v4, v16
	v_add_f32_e32 v4, v4, v5
	;; [unrolled: 1-line block ×3, first 2 shown]
	v_rcp_f32_e32 v25, v23
	v_sub_f32_e32 v5, v17, v23
	v_add_f32_e32 v24, v4, v5
	v_add_f32_e32 v5, v15, v16
	v_sub_f32_e32 v4, v15, v5
	v_mul_f32_e32 v26, v5, v25
	v_add_f32_e32 v15, v16, v4
	v_mul_f32_e32 v16, v23, v26
	v_fma_f32 v18, v26, v23, -v16
	v_fmac_f32_e32 v18, v26, v24
	v_add_f32_e32 v4, v16, v18
	v_sub_f32_e32 v17, v5, v4
	v_pk_add_f32 v[20:21], v[4:5], v[16:17] neg_lo:[0,1] neg_hi:[0,1]
	v_mov_b32_e32 v19, v4
	v_pk_add_f32 v[4:5], v[20:21], v[18:19] neg_lo:[0,1] neg_hi:[0,1]
	v_cmp_eq_f32_e32 vcc, s43, v30
	v_add_f32_e32 v5, v15, v5
	v_add_f32_e32 v4, v4, v5
	v_add_f32_e32 v5, v17, v4
	v_mul_f32_e32 v15, v25, v5
	v_mul_f32_e32 v16, v23, v15
	v_fma_f32 v18, v15, v23, -v16
	v_fmac_f32_e32 v18, v15, v24
	v_sub_f32_e32 v17, v17, v5
	v_add_f32_e32 v23, v4, v17
	v_add_f32_e32 v4, v16, v18
	v_sub_f32_e32 v17, v5, v4
	v_pk_add_f32 v[20:21], v[4:5], v[16:17] neg_lo:[0,1] neg_hi:[0,1]
	v_mov_b32_e32 v19, v4
	v_pk_add_f32 v[4:5], v[20:21], v[18:19] neg_lo:[0,1] neg_hi:[0,1]
	s_or_b64 vcc, s[36:37], vcc
	v_add_f32_e32 v5, v23, v5
	v_add_f32_e32 v4, v4, v5
	v_add_f32_e32 v5, v26, v15
	v_add_f32_e32 v4, v17, v4
	v_sub_f32_e32 v16, v5, v26
	v_mul_f32_e32 v4, v25, v4
	v_sub_f32_e32 v15, v15, v16
	v_add_f32_e32 v16, v15, v4
	v_add_f32_e32 v18, v5, v16
	v_mul_f32_e32 v19, v18, v18
	v_fmamk_f32 v4, v19, 0x3e9b6dac, v67
	v_fmaak_f32 v15, v19, v4, 0x3f2aaada
	v_cvt_f32_i32_e32 v4, v22
	v_sub_f32_e32 v5, v18, v5
	v_sub_f32_e32 v5, v16, v5
	v_ldexp_f32 v20, v5, 1
	v_mul_f32_e32 v5, v18, v19
	v_ldexp_f32 v17, v18, 1
	v_pk_mul_f32 v[18:19], v[4:5], v[14:15]
	s_nop 0
	v_fma_f32 v16, v4, s95, -v18
	v_fmac_f32_e32 v16, 0xb102e308, v4
	v_pk_add_f32 v[4:5], v[18:19], v[16:17]
	s_nop 0
	v_sub_f32_e32 v15, v5, v17
	v_sub_f32_e32 v15, v19, v15
	v_add_f32_e32 v21, v20, v15
	v_mov_b32_e32 v20, v18
	v_pk_add_f32 v[18:19], v[4:5], v[18:19] neg_lo:[0,1] neg_hi:[0,1]
	v_pk_add_f32 v[22:23], v[4:5], v[20:21]
	v_mov_b32_e32 v17, v4
	v_mov_b32_e32 v19, v23
	v_pk_add_f32 v[24:25], v[16:17], v[18:19] neg_lo:[0,1] neg_hi:[0,1]
	v_pk_add_f32 v[16:17], v[16:17], v[18:19]
	v_mov_b32_e32 v20, v21
	v_mov_b32_e32 v18, v17
	v_pk_add_f32 v[26:27], v[18:19], v[4:5] neg_lo:[0,1] neg_hi:[0,1]
	v_mov_b32_e32 v16, v23
	v_mov_b32_e32 v15, v26
	v_pk_add_f32 v[28:29], v[22:23], v[14:15] neg_lo:[0,1] neg_hi:[0,1]
	v_mov_b32_e32 v22, v5
	v_mov_b32_e32 v23, v26
	;; [unrolled: 1-line block ×3, first 2 shown]
	v_pk_add_f32 v[16:17], v[16:17], v[22:23] neg_lo:[0,1] neg_hi:[0,1]
	v_mov_b32_e32 v21, v4
	v_pk_add_f32 v[4:5], v[20:21], v[16:17] neg_lo:[0,1] neg_hi:[0,1]
	v_mov_b32_e32 v28, v24
	v_pk_add_f32 v[16:17], v[28:29], v[4:5]
	s_nop 0
	v_mov_b32_e32 v20, v17
	v_pk_add_f32 v[20:21], v[16:17], v[20:21]
	s_nop 0
	v_pk_add_f32 v[18:19], v[18:19], v[20:21]
	v_mov_b32_e32 v5, v20
	v_mov_b32_e32 v17, v18
	v_pk_add_f32 v[22:23], v[16:17], v[24:25] neg_lo:[0,1] neg_hi:[0,1]
	s_nop 0
	v_sub_f32_e32 v15, v16, v22
	v_pk_add_f32 v[4:5], v[4:5], v[22:23] neg_lo:[0,1] neg_hi:[0,1]
	v_sub_f32_e32 v15, v24, v15
	v_add_f32_e32 v4, v4, v15
	v_add_f32_e32 v4, v4, v5
	;; [unrolled: 1-line block ×3, first 2 shown]
	v_cndmask_b32_e32 v75, v4, v30, vcc
.LBB110_51:                             ;   in Loop: Header=BB110_11 Depth=1
	s_or_b64 exec, exec, s[38:39]
	v_cvt_f32_f16_sdwa v4, v6 dst_sel:DWORD dst_unused:UNUSED_PAD src0_sel:WORD_1
	v_add_f32_e32 v76, s33, v4
	v_cmp_ge_f32_e32 vcc, s99, v76
	s_and_b64 s[36:37], s[64:65], vcc
	s_and_saveexec_b64 s[38:39], s[36:37]
	s_cbranch_execz .LBB110_53
; %bb.52:                               ;   in Loop: Header=BB110_11 Depth=1
	v_mul_f32_e32 v4, 0x3fb8aa3b, v76
	v_rndne_f32_e32 v5, v4
	v_sub_f32_e32 v6, v4, v5
	v_fma_f32 v4, v76, s40, -v4
	v_fmac_f32_e32 v4, 0x32a5705f, v76
	v_add_f32_e32 v4, v6, v4
	v_cvt_i32_f32_e32 v5, v5
	v_exp_f32_e32 v4, v4
	v_cmp_ngt_f32_e32 vcc, s41, v76
	v_ldexp_f32 v4, v4, v5
	s_nop 0
	v_cndmask_b32_e32 v4, 0, v4, vcc
	v_cmp_nlt_f32_e32 vcc, s42, v76
	s_nop 1
	v_cndmask_b32_e32 v28, v68, v4, vcc
	v_add_f32_e32 v6, 1.0, v28
	v_add_f32_e32 v4, -1.0, v6
	v_sub_f32_e32 v5, v4, v6
	v_add_f32_e32 v5, 1.0, v5
	v_sub_f32_e32 v4, v28, v4
	v_add_f32_e32 v15, v4, v5
	v_frexp_mant_f32_e32 v16, v6
	v_cvt_f64_f32_e32 v[4:5], v6
	v_frexp_exp_i32_f64_e32 v4, v[4:5]
	v_cmp_gt_f32_e32 vcc, s97, v16
	v_cmp_gt_f32_e64 s[36:37], s67, v28
	s_nop 0
	v_subbrev_co_u32_e32 v22, vcc, 0, v4, vcc
	v_sub_u32_e32 v4, 0, v22
	v_ldexp_f32 v5, v6, v4
	v_add_f32_e32 v6, -1.0, v5
	v_add_f32_e32 v16, 1.0, v5
	v_ldexp_f32 v4, v15, v4
	v_add_f32_e32 v15, 1.0, v6
	v_add_f32_e32 v17, -1.0, v16
	v_sub_f32_e32 v15, v5, v15
	v_sub_f32_e32 v5, v5, v17
	v_add_f32_e32 v15, v4, v15
	v_add_f32_e32 v4, v4, v5
	;; [unrolled: 1-line block ×3, first 2 shown]
	v_rcp_f32_e32 v25, v23
	v_sub_f32_e32 v5, v16, v23
	v_add_f32_e32 v24, v4, v5
	v_add_f32_e32 v5, v6, v15
	v_sub_f32_e32 v4, v6, v5
	v_add_f32_e32 v6, v15, v4
	v_mul_f32_e32 v15, v5, v25
	v_mul_f32_e32 v16, v23, v15
	v_fma_f32 v18, v15, v23, -v16
	v_fmac_f32_e32 v18, v15, v24
	v_add_f32_e32 v4, v16, v18
	v_sub_f32_e32 v17, v5, v4
	v_pk_add_f32 v[20:21], v[4:5], v[16:17] neg_lo:[0,1] neg_hi:[0,1]
	v_mov_b32_e32 v19, v4
	v_pk_add_f32 v[4:5], v[20:21], v[18:19] neg_lo:[0,1] neg_hi:[0,1]
	v_cmp_eq_f32_e32 vcc, s43, v28
	v_add_f32_e32 v5, v6, v5
	v_add_f32_e32 v4, v4, v5
	;; [unrolled: 1-line block ×3, first 2 shown]
	v_mul_f32_e32 v6, v25, v5
	v_mul_f32_e32 v16, v23, v6
	v_fma_f32 v18, v6, v23, -v16
	v_fmac_f32_e32 v18, v6, v24
	v_sub_f32_e32 v17, v17, v5
	v_add_f32_e32 v23, v4, v17
	v_add_f32_e32 v4, v16, v18
	v_sub_f32_e32 v17, v5, v4
	v_pk_add_f32 v[20:21], v[4:5], v[16:17] neg_lo:[0,1] neg_hi:[0,1]
	v_mov_b32_e32 v19, v4
	v_pk_add_f32 v[4:5], v[20:21], v[18:19] neg_lo:[0,1] neg_hi:[0,1]
	s_or_b64 vcc, s[36:37], vcc
	v_add_f32_e32 v5, v23, v5
	v_add_f32_e32 v4, v4, v5
	;; [unrolled: 1-line block ×4, first 2 shown]
	v_sub_f32_e32 v15, v5, v15
	v_mul_f32_e32 v4, v25, v4
	v_sub_f32_e32 v6, v6, v15
	v_add_f32_e32 v6, v6, v4
	v_add_f32_e32 v16, v5, v6
	v_mul_f32_e32 v18, v16, v16
	v_fmamk_f32 v4, v18, 0x3e9b6dac, v67
	v_fmaak_f32 v15, v18, v4, 0x3f2aaada
	v_cvt_f32_i32_e32 v4, v22
	v_sub_f32_e32 v5, v16, v5
	v_sub_f32_e32 v5, v6, v5
	v_ldexp_f32 v6, v5, 1
	v_mul_f32_e32 v5, v16, v18
	v_pk_mul_f32 v[18:19], v[4:5], v[14:15]
	v_ldexp_f32 v17, v16, 1
	v_fma_f32 v16, v4, s95, -v18
	v_fmac_f32_e32 v16, 0xb102e308, v4
	v_pk_add_f32 v[4:5], v[18:19], v[16:17]
	v_mov_b32_e32 v20, v18
	v_sub_f32_e32 v15, v5, v17
	v_sub_f32_e32 v15, v19, v15
	v_add_f32_e32 v21, v6, v15
	v_pk_add_f32 v[18:19], v[4:5], v[18:19] neg_lo:[0,1] neg_hi:[0,1]
	v_pk_add_f32 v[22:23], v[4:5], v[20:21]
	v_mov_b32_e32 v17, v4
	v_mov_b32_e32 v19, v23
	v_pk_add_f32 v[24:25], v[16:17], v[18:19] neg_lo:[0,1] neg_hi:[0,1]
	v_pk_add_f32 v[16:17], v[16:17], v[18:19]
	s_nop 0
	v_mov_b32_e32 v6, v17
	v_pk_add_f32 v[18:19], v[6:7], v[4:5] neg_lo:[0,1] neg_hi:[0,1]
	v_mov_b32_e32 v16, v23
	v_mov_b32_e32 v15, v18
	v_pk_add_f32 v[26:27], v[22:23], v[14:15] neg_lo:[0,1] neg_hi:[0,1]
	v_mov_b32_e32 v22, v5
	v_mov_b32_e32 v23, v18
	;; [unrolled: 1-line block ×3, first 2 shown]
	v_pk_add_f32 v[16:17], v[16:17], v[22:23] neg_lo:[0,1] neg_hi:[0,1]
	v_mov_b32_e32 v18, v21
	v_mov_b32_e32 v19, v4
	v_pk_add_f32 v[4:5], v[18:19], v[16:17] neg_lo:[0,1] neg_hi:[0,1]
	v_mov_b32_e32 v26, v24
	v_pk_add_f32 v[16:17], v[26:27], v[4:5]
	s_nop 0
	v_mov_b32_e32 v18, v17
	v_pk_add_f32 v[18:19], v[16:17], v[18:19]
	s_nop 0
	v_pk_add_f32 v[20:21], v[6:7], v[18:19]
	v_mov_b32_e32 v5, v18
	v_mov_b32_e32 v17, v20
	v_pk_add_f32 v[22:23], v[16:17], v[24:25] neg_lo:[0,1] neg_hi:[0,1]
	s_nop 0
	v_sub_f32_e32 v6, v16, v22
	v_pk_add_f32 v[4:5], v[4:5], v[22:23] neg_lo:[0,1] neg_hi:[0,1]
	v_sub_f32_e32 v6, v24, v6
	v_add_f32_e32 v4, v4, v6
	v_add_f32_e32 v4, v4, v5
	;; [unrolled: 1-line block ×3, first 2 shown]
	v_cndmask_b32_e32 v76, v4, v28, vcc
.LBB110_53:                             ;   in Loop: Header=BB110_11 Depth=1
	s_or_b64 exec, exec, s[38:39]
	v_cvt_f32_f16_e32 v4, v7
	v_add_f32_e32 v77, s33, v4
	v_cmp_ge_f32_e32 vcc, s99, v77
	s_and_b64 s[36:37], s[64:65], vcc
	s_and_saveexec_b64 s[38:39], s[36:37]
	s_cbranch_execz .LBB110_55
; %bb.54:                               ;   in Loop: Header=BB110_11 Depth=1
	v_mul_f32_e32 v4, 0x3fb8aa3b, v77
	v_rndne_f32_e32 v5, v4
	v_sub_f32_e32 v6, v4, v5
	v_fma_f32 v4, v77, s40, -v4
	v_fmac_f32_e32 v4, 0x32a5705f, v77
	v_add_f32_e32 v4, v6, v4
	v_cvt_i32_f32_e32 v5, v5
	v_exp_f32_e32 v4, v4
	v_cmp_ngt_f32_e32 vcc, s41, v77
	v_ldexp_f32 v4, v4, v5
	s_nop 0
	v_cndmask_b32_e32 v4, 0, v4, vcc
	v_cmp_nlt_f32_e32 vcc, s42, v77
	s_nop 1
	v_cndmask_b32_e32 v28, v68, v4, vcc
	v_add_f32_e32 v6, 1.0, v28
	v_add_f32_e32 v4, -1.0, v6
	v_sub_f32_e32 v5, v4, v6
	v_add_f32_e32 v5, 1.0, v5
	v_sub_f32_e32 v4, v28, v4
	v_add_f32_e32 v15, v4, v5
	v_frexp_mant_f32_e32 v16, v6
	v_cvt_f64_f32_e32 v[4:5], v6
	v_frexp_exp_i32_f64_e32 v4, v[4:5]
	v_cmp_gt_f32_e32 vcc, s97, v16
	v_cmp_gt_f32_e64 s[36:37], s67, v28
	s_nop 0
	v_subbrev_co_u32_e32 v22, vcc, 0, v4, vcc
	v_sub_u32_e32 v4, 0, v22
	v_ldexp_f32 v5, v6, v4
	v_add_f32_e32 v6, -1.0, v5
	v_add_f32_e32 v16, 1.0, v5
	v_ldexp_f32 v4, v15, v4
	v_add_f32_e32 v15, 1.0, v6
	v_add_f32_e32 v17, -1.0, v16
	v_sub_f32_e32 v15, v5, v15
	v_sub_f32_e32 v5, v5, v17
	v_add_f32_e32 v15, v4, v15
	v_add_f32_e32 v4, v4, v5
	;; [unrolled: 1-line block ×3, first 2 shown]
	v_rcp_f32_e32 v25, v23
	v_sub_f32_e32 v5, v16, v23
	v_add_f32_e32 v24, v4, v5
	v_add_f32_e32 v5, v6, v15
	v_sub_f32_e32 v4, v6, v5
	v_add_f32_e32 v6, v15, v4
	v_mul_f32_e32 v15, v5, v25
	v_mul_f32_e32 v16, v23, v15
	v_fma_f32 v18, v15, v23, -v16
	v_fmac_f32_e32 v18, v15, v24
	v_add_f32_e32 v4, v16, v18
	v_sub_f32_e32 v17, v5, v4
	v_pk_add_f32 v[20:21], v[4:5], v[16:17] neg_lo:[0,1] neg_hi:[0,1]
	v_mov_b32_e32 v19, v4
	v_pk_add_f32 v[4:5], v[20:21], v[18:19] neg_lo:[0,1] neg_hi:[0,1]
	v_cmp_eq_f32_e32 vcc, s43, v28
	v_add_f32_e32 v5, v6, v5
	v_add_f32_e32 v4, v4, v5
	;; [unrolled: 1-line block ×3, first 2 shown]
	v_mul_f32_e32 v6, v25, v5
	v_mul_f32_e32 v16, v23, v6
	v_fma_f32 v18, v6, v23, -v16
	v_fmac_f32_e32 v18, v6, v24
	v_sub_f32_e32 v17, v17, v5
	v_add_f32_e32 v23, v4, v17
	v_add_f32_e32 v4, v16, v18
	v_sub_f32_e32 v17, v5, v4
	v_pk_add_f32 v[20:21], v[4:5], v[16:17] neg_lo:[0,1] neg_hi:[0,1]
	v_mov_b32_e32 v19, v4
	v_pk_add_f32 v[4:5], v[20:21], v[18:19] neg_lo:[0,1] neg_hi:[0,1]
	s_or_b64 vcc, s[36:37], vcc
	v_add_f32_e32 v5, v23, v5
	v_add_f32_e32 v4, v4, v5
	;; [unrolled: 1-line block ×4, first 2 shown]
	v_sub_f32_e32 v15, v5, v15
	v_mul_f32_e32 v4, v25, v4
	v_sub_f32_e32 v6, v6, v15
	v_add_f32_e32 v6, v6, v4
	v_add_f32_e32 v16, v5, v6
	v_mul_f32_e32 v18, v16, v16
	v_fmamk_f32 v4, v18, 0x3e9b6dac, v67
	v_fmaak_f32 v15, v18, v4, 0x3f2aaada
	v_cvt_f32_i32_e32 v4, v22
	v_sub_f32_e32 v5, v16, v5
	v_sub_f32_e32 v5, v6, v5
	v_ldexp_f32 v6, v5, 1
	v_mul_f32_e32 v5, v16, v18
	v_pk_mul_f32 v[18:19], v[4:5], v[14:15]
	v_ldexp_f32 v17, v16, 1
	v_fma_f32 v16, v4, s95, -v18
	v_fmac_f32_e32 v16, 0xb102e308, v4
	v_pk_add_f32 v[4:5], v[18:19], v[16:17]
	v_mov_b32_e32 v20, v18
	v_sub_f32_e32 v15, v5, v17
	v_sub_f32_e32 v15, v19, v15
	v_add_f32_e32 v21, v6, v15
	v_pk_add_f32 v[18:19], v[4:5], v[18:19] neg_lo:[0,1] neg_hi:[0,1]
	v_pk_add_f32 v[22:23], v[4:5], v[20:21]
	v_mov_b32_e32 v17, v4
	v_mov_b32_e32 v19, v23
	v_pk_add_f32 v[24:25], v[16:17], v[18:19] neg_lo:[0,1] neg_hi:[0,1]
	v_pk_add_f32 v[16:17], v[16:17], v[18:19]
	s_nop 0
	v_mov_b32_e32 v6, v17
	v_pk_add_f32 v[18:19], v[6:7], v[4:5] neg_lo:[0,1] neg_hi:[0,1]
	v_mov_b32_e32 v16, v23
	v_mov_b32_e32 v15, v18
	v_pk_add_f32 v[26:27], v[22:23], v[14:15] neg_lo:[0,1] neg_hi:[0,1]
	v_mov_b32_e32 v22, v5
	v_mov_b32_e32 v23, v18
	;; [unrolled: 1-line block ×3, first 2 shown]
	v_pk_add_f32 v[16:17], v[16:17], v[22:23] neg_lo:[0,1] neg_hi:[0,1]
	v_mov_b32_e32 v18, v21
	v_mov_b32_e32 v19, v4
	v_pk_add_f32 v[4:5], v[18:19], v[16:17] neg_lo:[0,1] neg_hi:[0,1]
	v_mov_b32_e32 v26, v24
	v_pk_add_f32 v[16:17], v[26:27], v[4:5]
	s_nop 0
	v_mov_b32_e32 v18, v17
	v_pk_add_f32 v[18:19], v[16:17], v[18:19]
	s_nop 0
	v_pk_add_f32 v[20:21], v[6:7], v[18:19]
	v_mov_b32_e32 v5, v18
	v_mov_b32_e32 v17, v20
	v_pk_add_f32 v[22:23], v[16:17], v[24:25] neg_lo:[0,1] neg_hi:[0,1]
	s_nop 0
	v_sub_f32_e32 v6, v16, v22
	v_pk_add_f32 v[4:5], v[4:5], v[22:23] neg_lo:[0,1] neg_hi:[0,1]
	v_sub_f32_e32 v6, v24, v6
	v_add_f32_e32 v4, v4, v6
	v_add_f32_e32 v4, v4, v5
	;; [unrolled: 1-line block ×3, first 2 shown]
	v_cndmask_b32_e32 v77, v4, v28, vcc
.LBB110_55:                             ;   in Loop: Header=BB110_11 Depth=1
	s_or_b64 exec, exec, s[38:39]
	v_cvt_f32_f16_sdwa v4, v7 dst_sel:DWORD dst_unused:UNUSED_PAD src0_sel:WORD_1
	v_add_f32_e32 v15, s33, v4
	v_cmp_ge_f32_e32 vcc, s99, v15
	s_and_b64 s[36:37], s[64:65], vcc
	s_and_saveexec_b64 s[38:39], s[36:37]
	s_cbranch_execz .LBB110_57
; %bb.56:                               ;   in Loop: Header=BB110_11 Depth=1
	v_mul_f32_e32 v4, 0x3fb8aa3b, v15
	v_rndne_f32_e32 v5, v4
	v_sub_f32_e32 v6, v4, v5
	v_fma_f32 v4, v15, s40, -v4
	v_fmac_f32_e32 v4, 0x32a5705f, v15
	v_add_f32_e32 v4, v6, v4
	v_cvt_i32_f32_e32 v5, v5
	v_exp_f32_e32 v4, v4
	v_cmp_ngt_f32_e32 vcc, s41, v15
	v_ldexp_f32 v4, v4, v5
	s_nop 0
	v_cndmask_b32_e32 v4, 0, v4, vcc
	v_cmp_nlt_f32_e32 vcc, s42, v15
	s_nop 1
	v_cndmask_b32_e32 v28, v68, v4, vcc
	v_add_f32_e32 v6, 1.0, v28
	v_add_f32_e32 v4, -1.0, v6
	v_sub_f32_e32 v5, v4, v6
	v_add_f32_e32 v5, 1.0, v5
	v_sub_f32_e32 v4, v28, v4
	v_add_f32_e32 v7, v4, v5
	v_frexp_mant_f32_e32 v15, v6
	v_cvt_f64_f32_e32 v[4:5], v6
	v_frexp_exp_i32_f64_e32 v4, v[4:5]
	v_cmp_gt_f32_e32 vcc, s97, v15
	v_cmp_gt_f32_e64 s[36:37], s67, v28
	s_nop 0
	v_subbrev_co_u32_e32 v20, vcc, 0, v4, vcc
	v_sub_u32_e32 v4, 0, v20
	v_ldexp_f32 v5, v6, v4
	v_add_f32_e32 v6, -1.0, v5
	v_add_f32_e32 v15, 1.0, v5
	v_ldexp_f32 v4, v7, v4
	v_add_f32_e32 v7, 1.0, v6
	v_add_f32_e32 v16, -1.0, v15
	v_sub_f32_e32 v7, v5, v7
	v_sub_f32_e32 v5, v5, v16
	v_add_f32_e32 v7, v4, v7
	v_add_f32_e32 v4, v4, v5
	;; [unrolled: 1-line block ×3, first 2 shown]
	v_rcp_f32_e32 v22, v21
	v_sub_f32_e32 v5, v15, v21
	v_add_f32_e32 v15, v4, v5
	v_add_f32_e32 v5, v6, v7
	v_mul_f32_e32 v24, v5, v22
	v_sub_f32_e32 v4, v6, v5
	v_mul_f32_e32 v6, v21, v24
	v_fma_f32 v16, v24, v21, -v6
	v_fmac_f32_e32 v16, v24, v15
	v_add_f32_e32 v23, v7, v4
	v_add_f32_e32 v4, v6, v16
	v_sub_f32_e32 v7, v5, v4
	v_pk_add_f32 v[18:19], v[4:5], v[6:7] neg_lo:[0,1] neg_hi:[0,1]
	v_mov_b32_e32 v17, v4
	v_pk_add_f32 v[4:5], v[18:19], v[16:17] neg_lo:[0,1] neg_hi:[0,1]
	v_cmp_eq_f32_e32 vcc, s43, v28
	v_add_f32_e32 v5, v23, v5
	v_add_f32_e32 v4, v4, v5
	;; [unrolled: 1-line block ×3, first 2 shown]
	v_mul_f32_e32 v23, v22, v5
	v_mul_f32_e32 v6, v21, v23
	v_fma_f32 v16, v23, v21, -v6
	v_fmac_f32_e32 v16, v23, v15
	v_sub_f32_e32 v7, v7, v5
	v_add_f32_e32 v15, v4, v7
	v_add_f32_e32 v4, v6, v16
	v_sub_f32_e32 v7, v5, v4
	v_pk_add_f32 v[18:19], v[4:5], v[6:7] neg_lo:[0,1] neg_hi:[0,1]
	v_mov_b32_e32 v17, v4
	v_pk_add_f32 v[4:5], v[18:19], v[16:17] neg_lo:[0,1] neg_hi:[0,1]
	s_or_b64 vcc, s[36:37], vcc
	v_add_f32_e32 v5, v15, v5
	v_add_f32_e32 v4, v4, v5
	;; [unrolled: 1-line block ×4, first 2 shown]
	v_sub_f32_e32 v6, v5, v24
	v_mul_f32_e32 v4, v22, v4
	v_sub_f32_e32 v6, v23, v6
	v_add_f32_e32 v6, v6, v4
	v_add_f32_e32 v16, v5, v6
	v_mul_f32_e32 v17, v16, v16
	v_fmamk_f32 v4, v17, 0x3e9b6dac, v67
	v_fmaak_f32 v15, v17, v4, 0x3f2aaada
	v_cvt_f32_i32_e32 v4, v20
	v_sub_f32_e32 v5, v16, v5
	v_sub_f32_e32 v5, v6, v5
	v_ldexp_f32 v18, v5, 1
	v_mul_f32_e32 v5, v16, v17
	v_ldexp_f32 v7, v16, 1
	v_pk_mul_f32 v[16:17], v[4:5], v[14:15]
	s_nop 0
	v_fma_f32 v6, v4, s95, -v16
	v_fmac_f32_e32 v6, 0xb102e308, v4
	v_pk_add_f32 v[4:5], v[16:17], v[6:7]
	s_nop 0
	v_sub_f32_e32 v7, v5, v7
	v_sub_f32_e32 v7, v17, v7
	v_add_f32_e32 v19, v18, v7
	v_mov_b32_e32 v18, v16
	v_pk_add_f32 v[16:17], v[4:5], v[16:17] neg_lo:[0,1] neg_hi:[0,1]
	v_pk_add_f32 v[20:21], v[4:5], v[18:19]
	v_mov_b32_e32 v7, v4
	v_mov_b32_e32 v17, v21
	v_pk_add_f32 v[22:23], v[6:7], v[16:17] neg_lo:[0,1] neg_hi:[0,1]
	v_pk_add_f32 v[6:7], v[6:7], v[16:17]
	v_mov_b32_e32 v18, v19
	v_mov_b32_e32 v16, v7
	v_pk_add_f32 v[24:25], v[16:17], v[4:5] neg_lo:[0,1] neg_hi:[0,1]
	v_mov_b32_e32 v6, v21
	v_mov_b32_e32 v15, v24
	v_pk_add_f32 v[26:27], v[20:21], v[14:15] neg_lo:[0,1] neg_hi:[0,1]
	v_mov_b32_e32 v20, v5
	v_mov_b32_e32 v21, v24
	;; [unrolled: 1-line block ×3, first 2 shown]
	v_pk_add_f32 v[6:7], v[6:7], v[20:21] neg_lo:[0,1] neg_hi:[0,1]
	v_mov_b32_e32 v19, v4
	v_pk_add_f32 v[4:5], v[18:19], v[6:7] neg_lo:[0,1] neg_hi:[0,1]
	v_mov_b32_e32 v26, v22
	v_pk_add_f32 v[6:7], v[26:27], v[4:5]
	s_nop 0
	v_mov_b32_e32 v18, v7
	v_pk_add_f32 v[18:19], v[6:7], v[18:19]
	s_nop 0
	v_pk_add_f32 v[16:17], v[16:17], v[18:19]
	v_mov_b32_e32 v5, v18
	v_mov_b32_e32 v7, v16
	v_pk_add_f32 v[20:21], v[6:7], v[22:23] neg_lo:[0,1] neg_hi:[0,1]
	s_nop 0
	v_sub_f32_e32 v6, v6, v20
	v_pk_add_f32 v[4:5], v[4:5], v[20:21] neg_lo:[0,1] neg_hi:[0,1]
	v_sub_f32_e32 v6, v22, v6
	v_add_f32_e32 v4, v4, v6
	v_add_f32_e32 v4, v4, v5
	;; [unrolled: 1-line block ×3, first 2 shown]
	v_cndmask_b32_e32 v15, v4, v28, vcc
.LBB110_57:                             ;   in Loop: Header=BB110_11 Depth=1
	s_or_b64 exec, exec, s[38:39]
	v_cvt_f32_f16_e32 v4, v3
	v_cvt_f32_f16_sdwa v5, v2 dst_sel:DWORD dst_unused:UNUSED_PAD src0_sel:WORD_1
	v_cvt_f32_f16_e32 v2, v2
	v_cvt_f32_f16_sdwa v7, v3 dst_sel:DWORD dst_unused:UNUSED_PAD src0_sel:WORD_1
	v_cvt_f32_f16_sdwa v3, v1 dst_sel:DWORD dst_unused:UNUSED_PAD src0_sel:WORD_1
	v_cvt_f32_f16_e32 v1, v1
	v_cvt_f32_f16_sdwa v6, v0 dst_sel:DWORD dst_unused:UNUSED_PAD src0_sel:WORD_1
	v_cvt_f32_f16_e32 v0, v0
	v_readlane_b32 s36, v95, 1
	v_readlane_b32 s37, v95, 2
	v_mul_f32_e32 v18, s94, v4
	v_mul_f32_e32 v17, s94, v5
	v_mul_f32_e32 v16, s94, v2
	v_mul_f32_e32 v21, s94, v3
	v_mul_f32_e32 v20, s94, v1
	v_mul_f32_e32 v23, s94, v6
	v_mul_f32_e32 v22, s94, v0
	v_mul_f32_e32 v19, s94, v7
	s_and_b64 vcc, exec, s[36:37]
	s_waitcnt lgkmcnt(0)
	; wave barrier
	s_cbranch_vccz .LBB110_118
; %bb.58:                               ;   in Loop: Header=BB110_11 Depth=1
	s_cmp_lg_u32 s74, 0
	v_readlane_b32 s36, v95, 5
	v_mul_f32_e32 v85, v71, v0
	s_cselect_b64 s[80:81], -1, 0
	s_cmp_eq_u32 s74, s36
	v_cmp_gt_u32_e32 vcc, s50, v11
	v_or_b32_e32 v0, 1, v11
	s_cselect_b64 s[82:83], -1, 0
	s_or_b64 s[36:37], s[76:77], vcc
	v_cmp_gt_u32_e32 vcc, s50, v0
	v_or_b32_e32 v0, 2, v11
	s_or_b64 s[38:39], s[76:77], vcc
	v_cmp_gt_u32_e32 vcc, s50, v0
	s_or_b64 s[40:41], s[76:77], vcc
	v_cmp_gt_u32_e32 vcc, s50, v62
	;; [unrolled: 2-line block ×5, first 2 shown]
	s_mov_b32 s70, 0
	s_or_b64 s[48:49], s[76:77], vcc
	v_cmp_gt_u32_e32 vcc, s50, v66
	v_mul_f32_e32 v78, v15, v7
	v_lshl_add_u64 v[24:25], s[54:55], 0, v[8:9]
	v_lshl_add_u64 v[26:27], s[58:59], 0, v[8:9]
	v_mul_f32_e32 v79, v77, v4
	v_mul_f32_e32 v80, v76, v5
	;; [unrolled: 1-line block ×6, first 2 shown]
	s_or_b64 s[50:51], s[76:77], vcc
	s_mov_b32 s84, s70
	s_mov_b32 s86, s70
	;; [unrolled: 1-line block ×3, first 2 shown]
	v_readlane_b32 s79, v95, 0
	v_readlane_b32 s75, v95, 6
	s_branch .LBB110_60
.LBB110_59:                             ;   in Loop: Header=BB110_60 Depth=2
	s_or_b64 exec, exec, s[90:91]
	v_mul_f32_e32 v28, v86, v94
	v_fma_f32 v29, v86, v60, v4
	v_cndmask_b32_e64 v4, v29, v4, s[16:17]
	v_cndmask_b32_e64 v28, v28, v86, s[16:17]
	s_waitcnt lgkmcnt(0)
	v_fmac_f32_e32 v4, v34, v28
	v_fmac_f32_e32 v5, v4, v87
	v_fmac_f32_e32 v30, v5, v88
	v_fmac_f32_e32 v31, v30, v89
	v_fmac_f32_e32 v6, v31, v90
	v_cvt_f32_f16_sdwa v29, v0 dst_sel:DWORD dst_unused:UNUSED_PAD src0_sel:WORD_1
	v_cvt_f32_f16_sdwa v35, v1 dst_sel:DWORD dst_unused:UNUSED_PAD src0_sel:WORD_1
	v_cvt_f32_f16_e32 v28, v0
	v_cvt_f32_f16_e32 v34, v1
	v_cvt_f32_f16_sdwa v1, v2 dst_sel:DWORD dst_unused:UNUSED_PAD src0_sel:WORD_1
	v_cvt_f32_f16_sdwa v87, v3 dst_sel:DWORD dst_unused:UNUSED_PAD src0_sel:WORD_1
	v_cvt_f32_f16_e32 v86, v3
	v_cvt_f32_f16_e32 v0, v2
	v_fmac_f32_e32 v7, v6, v91
	v_fmac_f32_e32 v32, v7, v92
	;; [unrolled: 1-line block ×3, first 2 shown]
	s_add_i32 s75, s75, 8
	s_add_i32 s79, s79, -1
	s_add_i32 s88, s88, s66
	s_add_i32 s86, s86, s60
	;; [unrolled: 1-line block ×4, first 2 shown]
	v_pk_fma_f32 v[20:21], v[30:31], v[34:35], v[20:21]
	v_pk_fma_f32 v[22:23], v[4:5], v[28:29], v[22:23]
	;; [unrolled: 1-line block ×3, first 2 shown]
	s_cmp_eq_u32 s79, 0
	v_pk_fma_f32 v[16:17], v[6:7], v[0:1], v[16:17]
	s_cbranch_scc1 .LBB110_117
.LBB110_60:                             ;   Parent Loop BB110_11 Depth=1
                                        ; =>  This Inner Loop Header: Depth=2
	s_lshl_b64 s[90:91], s[70:71], 2
	s_add_u32 s90, s52, s90
	s_addc_u32 s91, s96, s91
	global_load_dword v30, v9, s[90:91]
	s_mov_b32 s85, s71
	v_lshl_add_u64 v[0:1], s[84:85], 1, v[24:25]
	v_mov_b32_e32 v2, 0
	v_mov_b32_e32 v3, 0
	s_and_saveexec_b64 s[90:91], s[18:19]
	s_cbranch_execnz .LBB110_80
; %bb.61:                               ;   in Loop: Header=BB110_60 Depth=2
	s_or_b64 exec, exec, s[90:91]
	s_and_saveexec_b64 s[90:91], s[20:21]
	s_cbranch_execnz .LBB110_81
.LBB110_62:                             ;   in Loop: Header=BB110_60 Depth=2
	s_or_b64 exec, exec, s[90:91]
	v_mov_b32_e32 v4, 0
	s_and_saveexec_b64 s[90:91], s[22:23]
	s_cbranch_execnz .LBB110_82
.LBB110_63:                             ;   in Loop: Header=BB110_60 Depth=2
	s_or_b64 exec, exec, s[90:91]
	s_and_saveexec_b64 s[90:91], s[24:25]
	s_cbranch_execnz .LBB110_83
.LBB110_64:                             ;   in Loop: Header=BB110_60 Depth=2
	s_or_b64 exec, exec, s[90:91]
	v_mov_b32_e32 v5, 0
	s_and_saveexec_b64 s[90:91], s[26:27]
	s_cbranch_execnz .LBB110_84
.LBB110_65:                             ;   in Loop: Header=BB110_60 Depth=2
	s_or_b64 exec, exec, s[90:91]
	s_and_saveexec_b64 s[90:91], s[28:29]
	s_cbranch_execnz .LBB110_85
.LBB110_66:                             ;   in Loop: Header=BB110_60 Depth=2
	s_or_b64 exec, exec, s[90:91]
	v_mov_b32_e32 v6, 0
	s_and_saveexec_b64 s[90:91], s[30:31]
	s_cbranch_execnz .LBB110_86
.LBB110_67:                             ;   in Loop: Header=BB110_60 Depth=2
	s_or_b64 exec, exec, s[90:91]
	s_and_saveexec_b64 s[90:91], s[34:35]
	s_cbranch_execz .LBB110_69
.LBB110_68:                             ;   in Loop: Header=BB110_60 Depth=2
	global_load_ushort v0, v[0:1], off offset:896
	s_waitcnt vmcnt(0)
	v_lshl_or_b32 v6, v0, 16, v6
.LBB110_69:                             ;   in Loop: Header=BB110_60 Depth=2
	s_or_b64 exec, exec, s[90:91]
	s_waitcnt vmcnt(0)
	ds_write_b16 v43, v3
	ds_write_b16 v44, v2 offset:128
	ds_write_b16 v45, v4 offset:256
	ds_write_b16_d16_hi v46, v4 offset:384
	ds_write_b16 v47, v5 offset:512
	ds_write_b16_d16_hi v48, v5 offset:640
	;; [unrolled: 2-line block ×3, first 2 shown]
	; wave barrier
	ds_read_b128 v[4:7], v51
	s_mov_b32 s87, s71
	v_lshl_add_u64 v[0:1], s[86:87], 1, v[26:27]
	v_mov_b32_e32 v2, 0
	v_mov_b32_e32 v3, 0
	s_and_saveexec_b64 s[90:91], s[18:19]
	s_cbranch_execnz .LBB110_87
; %bb.70:                               ;   in Loop: Header=BB110_60 Depth=2
	s_or_b64 exec, exec, s[90:91]
	s_and_saveexec_b64 s[90:91], s[20:21]
	s_cbranch_execnz .LBB110_88
.LBB110_71:                             ;   in Loop: Header=BB110_60 Depth=2
	s_or_b64 exec, exec, s[90:91]
	v_mov_b32_e32 v28, 0
	s_and_saveexec_b64 s[90:91], s[22:23]
	s_cbranch_execnz .LBB110_89
.LBB110_72:                             ;   in Loop: Header=BB110_60 Depth=2
	s_or_b64 exec, exec, s[90:91]
	s_and_saveexec_b64 s[90:91], s[24:25]
	s_cbranch_execnz .LBB110_90
.LBB110_73:                             ;   in Loop: Header=BB110_60 Depth=2
	s_or_b64 exec, exec, s[90:91]
	v_mov_b32_e32 v29, 0
	s_and_saveexec_b64 s[90:91], s[26:27]
	s_cbranch_execnz .LBB110_91
.LBB110_74:                             ;   in Loop: Header=BB110_60 Depth=2
	s_or_b64 exec, exec, s[90:91]
	s_and_saveexec_b64 s[90:91], s[28:29]
	s_cbranch_execnz .LBB110_92
.LBB110_75:                             ;   in Loop: Header=BB110_60 Depth=2
	s_or_b64 exec, exec, s[90:91]
	v_mov_b32_e32 v31, 0
	s_and_saveexec_b64 s[90:91], s[30:31]
	s_cbranch_execnz .LBB110_93
.LBB110_76:                             ;   in Loop: Header=BB110_60 Depth=2
	s_or_b64 exec, exec, s[90:91]
	s_and_saveexec_b64 s[90:91], s[34:35]
	s_cbranch_execz .LBB110_78
.LBB110_77:                             ;   in Loop: Header=BB110_60 Depth=2
	global_load_ushort v0, v[0:1], off offset:896
	s_waitcnt vmcnt(0)
	v_lshl_or_b32 v31, v0, 16, v31
.LBB110_78:                             ;   in Loop: Header=BB110_60 Depth=2
	s_or_b64 exec, exec, s[90:91]
	s_waitcnt vmcnt(0)
	ds_write_b16 v43, v3 offset:1056
	ds_write_b16 v52, v2 offset:128
	;; [unrolled: 1-line block ×3, first 2 shown]
	ds_write_b16_d16_hi v54, v28 offset:384
	ds_write_b16 v55, v29 offset:512
	ds_write_b16_d16_hi v56, v29 offset:640
	ds_write_b16 v57, v31 offset:768
	ds_write_b16_d16_hi v58, v31 offset:896
	; wave barrier
	ds_read_b128 v[0:3], v51 offset:1056
	s_andn2_b64 vcc, exec, s[80:81]
	s_cbranch_vccnz .LBB110_94
; %bb.79:                               ;   in Loop: Header=BB110_60 Depth=2
	v_mov_b32_e32 v28, s75
	ds_read_b64 v[28:29], v28
	s_cbranch_execz .LBB110_95
	s_branch .LBB110_98
.LBB110_80:                             ;   in Loop: Header=BB110_60 Depth=2
	global_load_ushort v3, v[0:1], off
	s_or_b64 exec, exec, s[90:91]
	s_and_saveexec_b64 s[90:91], s[20:21]
	s_cbranch_execz .LBB110_62
.LBB110_81:                             ;   in Loop: Header=BB110_60 Depth=2
	global_load_ushort v2, v[0:1], off offset:128
	s_or_b64 exec, exec, s[90:91]
	v_mov_b32_e32 v4, 0
	s_and_saveexec_b64 s[90:91], s[22:23]
	s_cbranch_execz .LBB110_63
.LBB110_82:                             ;   in Loop: Header=BB110_60 Depth=2
	global_load_ushort v4, v[0:1], off offset:256
	s_or_b64 exec, exec, s[90:91]
	s_and_saveexec_b64 s[90:91], s[24:25]
	s_cbranch_execz .LBB110_64
.LBB110_83:                             ;   in Loop: Header=BB110_60 Depth=2
	global_load_ushort v5, v[0:1], off offset:384
	s_waitcnt vmcnt(0)
	v_lshl_or_b32 v4, v5, 16, v4
	s_or_b64 exec, exec, s[90:91]
	v_mov_b32_e32 v5, 0
	s_and_saveexec_b64 s[90:91], s[26:27]
	s_cbranch_execz .LBB110_65
.LBB110_84:                             ;   in Loop: Header=BB110_60 Depth=2
	global_load_ushort v5, v[0:1], off offset:512
	s_or_b64 exec, exec, s[90:91]
	s_and_saveexec_b64 s[90:91], s[28:29]
	s_cbranch_execz .LBB110_66
.LBB110_85:                             ;   in Loop: Header=BB110_60 Depth=2
	global_load_ushort v6, v[0:1], off offset:640
	s_waitcnt vmcnt(0)
	v_lshl_or_b32 v5, v6, 16, v5
	s_or_b64 exec, exec, s[90:91]
	v_mov_b32_e32 v6, 0
	s_and_saveexec_b64 s[90:91], s[30:31]
	s_cbranch_execz .LBB110_67
.LBB110_86:                             ;   in Loop: Header=BB110_60 Depth=2
	global_load_ushort v6, v[0:1], off offset:768
	s_or_b64 exec, exec, s[90:91]
	s_and_saveexec_b64 s[90:91], s[34:35]
	s_cbranch_execnz .LBB110_68
	s_branch .LBB110_69
.LBB110_87:                             ;   in Loop: Header=BB110_60 Depth=2
	global_load_ushort v3, v[0:1], off
	s_or_b64 exec, exec, s[90:91]
	s_and_saveexec_b64 s[90:91], s[20:21]
	s_cbranch_execz .LBB110_71
.LBB110_88:                             ;   in Loop: Header=BB110_60 Depth=2
	global_load_ushort v2, v[0:1], off offset:128
	s_or_b64 exec, exec, s[90:91]
	v_mov_b32_e32 v28, 0
	s_and_saveexec_b64 s[90:91], s[22:23]
	s_cbranch_execz .LBB110_72
.LBB110_89:                             ;   in Loop: Header=BB110_60 Depth=2
	global_load_ushort v28, v[0:1], off offset:256
	s_or_b64 exec, exec, s[90:91]
	s_and_saveexec_b64 s[90:91], s[24:25]
	s_cbranch_execz .LBB110_73
.LBB110_90:                             ;   in Loop: Header=BB110_60 Depth=2
	global_load_ushort v29, v[0:1], off offset:384
	s_waitcnt vmcnt(0)
	v_lshl_or_b32 v28, v29, 16, v28
	s_or_b64 exec, exec, s[90:91]
	v_mov_b32_e32 v29, 0
	s_and_saveexec_b64 s[90:91], s[26:27]
	s_cbranch_execz .LBB110_74
.LBB110_91:                             ;   in Loop: Header=BB110_60 Depth=2
	global_load_ushort v29, v[0:1], off offset:512
	s_or_b64 exec, exec, s[90:91]
	s_and_saveexec_b64 s[90:91], s[28:29]
	s_cbranch_execz .LBB110_75
.LBB110_92:                             ;   in Loop: Header=BB110_60 Depth=2
	global_load_ushort v31, v[0:1], off offset:640
	s_waitcnt vmcnt(0)
	v_lshl_or_b32 v29, v31, 16, v29
	s_or_b64 exec, exec, s[90:91]
	v_mov_b32_e32 v31, 0
	s_and_saveexec_b64 s[90:91], s[30:31]
	s_cbranch_execz .LBB110_76
.LBB110_93:                             ;   in Loop: Header=BB110_60 Depth=2
	global_load_ushort v31, v[0:1], off offset:768
	s_or_b64 exec, exec, s[90:91]
	s_and_saveexec_b64 s[90:91], s[34:35]
	s_cbranch_execnz .LBB110_77
	s_branch .LBB110_78
.LBB110_94:                             ;   in Loop: Header=BB110_60 Depth=2
                                        ; implicit-def: $vgpr29
.LBB110_95:                             ;   in Loop: Header=BB110_60 Depth=2
	s_andn2_b64 vcc, exec, s[68:69]
	s_waitcnt lgkmcnt(0)
	v_mov_b32_e32 v29, 0
	s_cbranch_vccnz .LBB110_97
; %bb.96:                               ;   in Loop: Header=BB110_60 Depth=2
	s_mov_b32 s89, s71
	s_lshl_b64 s[90:91], s[88:89], 2
	s_add_u32 s90, s57, s90
	s_addc_u32 s91, s61, s91
	global_load_dword v29, v9, s[90:91]
.LBB110_97:                             ;   in Loop: Header=BB110_60 Depth=2
	v_mov_b32_e32 v28, 1.0
.LBB110_98:                             ;   in Loop: Header=BB110_60 Depth=2
	v_mul_f32_e32 v92, 0x3fb8aa3b, v30
	s_waitcnt lgkmcnt(9)
	v_cvt_f32_f16_e32 v31, v4
	v_cvt_f32_f16_sdwa v32, v4 dst_sel:DWORD dst_unused:UNUSED_PAD src0_sel:WORD_1
	v_mul_f32_e32 v4, v92, v71
	v_cmp_gt_f32_e32 vcc, s98, v4
	v_cvt_f32_f16_e32 v35, v6
	v_cvt_f32_f16_sdwa v60, v6 dst_sel:DWORD dst_unused:UNUSED_PAD src0_sel:WORD_1
	v_cndmask_b32_e32 v4, 0, v69, vcc
	v_mul_f32_e32 v6, v92, v72
	v_cvt_f32_f16_e32 v33, v5
	v_cvt_f32_f16_sdwa v34, v5 dst_sel:DWORD dst_unused:UNUSED_PAD src0_sel:WORD_1
	v_fmac_f32_e32 v4, v92, v71
	v_cndmask_b32_e32 v5, 1.0, v70, vcc
	v_cmp_gt_f32_e32 vcc, s98, v6
	v_exp_f32_e32 v4, v4
	v_cvt_f32_f16_e32 v93, v7
	v_cndmask_b32_e32 v6, 0, v69, vcc
	v_fmac_f32_e32 v6, v92, v72
	v_exp_f32_e32 v6, v6
	v_cvt_f32_f16_sdwa v94, v7 dst_sel:DWORD dst_unused:UNUSED_PAD src0_sel:WORD_1
	v_mul_f32_e32 v5, v4, v5
	v_mul_f32_e32 v7, v92, v73
	v_cndmask_b32_e64 v86, 1.0, v5, s[36:37]
	v_cndmask_b32_e32 v5, 1.0, v70, vcc
	v_cmp_gt_f32_e32 vcc, s98, v7
	v_mul_f32_e32 v6, v6, v5
	v_mul_f32_e32 v30, v92, v74
	v_cndmask_b32_e32 v7, 0, v69, vcc
	v_fmac_f32_e32 v7, v92, v73
	v_cndmask_b32_e64 v87, 1.0, v6, s[38:39]
	v_cndmask_b32_e32 v6, 1.0, v70, vcc
	v_cmp_gt_f32_e32 vcc, s98, v30
	v_exp_f32_e32 v7, v7
	v_mul_f32_e32 v4, v85, v31
	v_cndmask_b32_e32 v30, 0, v69, vcc
	v_fmac_f32_e32 v30, v92, v74
	v_exp_f32_e32 v31, v30
	v_mul_f32_e32 v6, v7, v6
	v_cndmask_b32_e64 v88, 1.0, v6, s[40:41]
	v_cndmask_b32_e32 v6, 1.0, v70, vcc
	v_mul_f32_e32 v6, v31, v6
	v_mul_f32_e32 v31, v92, v75
	v_cmp_gt_f32_e32 vcc, s98, v31
	v_mul_f32_e32 v5, v84, v32
	v_mul_f32_e32 v7, v83, v33
	v_cndmask_b32_e32 v31, 0, v69, vcc
	v_fmac_f32_e32 v31, v92, v75
	v_exp_f32_e32 v32, v31
	v_cndmask_b32_e64 v30, 0, v7, s[40:41]
	v_mul_f32_e32 v7, v82, v34
	v_cndmask_b32_e64 v89, 1.0, v6, s[42:43]
	v_cndmask_b32_e32 v6, 1.0, v70, vcc
	v_cndmask_b32_e64 v31, 0, v7, s[42:43]
	v_mul_f32_e32 v7, v32, v6
	v_mul_f32_e32 v32, v92, v76
	v_cmp_gt_f32_e32 vcc, s98, v32
	v_mul_f32_e32 v33, v92, v77
	v_cndmask_b32_e64 v90, 1.0, v7, s[44:45]
	v_cndmask_b32_e32 v32, 0, v69, vcc
	v_fmac_f32_e32 v32, v92, v76
	v_exp_f32_e32 v32, v32
	v_cndmask_b32_e32 v7, 1.0, v70, vcc
	v_cmp_gt_f32_e32 vcc, s98, v33
	v_mul_f32_e32 v34, v92, v15
	v_mul_f32_e32 v32, v32, v7
	v_cndmask_b32_e32 v33, 0, v69, vcc
	v_fmac_f32_e32 v33, v92, v77
	v_cndmask_b32_e64 v91, 1.0, v32, s[46:47]
	v_cndmask_b32_e32 v32, 1.0, v70, vcc
	v_cmp_gt_f32_e32 vcc, s98, v34
	v_exp_f32_e32 v33, v33
	v_cndmask_b32_e64 v4, 0, v4, s[36:37]
	v_cndmask_b32_e32 v34, 0, v69, vcc
	v_fmac_f32_e32 v34, v92, v15
	v_exp_f32_e32 v34, v34
	v_mul_f32_e32 v33, v33, v32
	v_cndmask_b32_e64 v92, 1.0, v33, s[48:49]
	v_cndmask_b32_e32 v33, 1.0, v70, vcc
	v_cndmask_b32_e64 v5, 0, v5, s[38:39]
	v_mul_f32_e32 v34, v34, v33
	v_mul_f32_e32 v6, v81, v35
	;; [unrolled: 1-line block ×3, first 2 shown]
	v_cndmask_b32_e64 v93, 1.0, v34, s[50:51]
	v_mul_f32_e32 v34, v87, v86
	v_fma_f32 v35, v87, v4, v5
	v_mul_f32_e32 v34, v34, v88
	v_fma_f32 v35, v35, v88, v30
	v_cndmask_b32_e64 v6, 0, v6, s[44:45]
	v_mul_f32_e32 v7, v80, v60
	v_mul_f32_e32 v34, v34, v89
	v_fma_f32 v35, v35, v89, v31
	v_cndmask_b32_e64 v7, 0, v7, s[46:47]
	v_mul_f32_e32 v34, v34, v90
	v_fma_f32 v35, v35, v90, v6
	v_cndmask_b32_e64 v32, 0, v32, s[48:49]
	v_mul_f32_e32 v33, v78, v94
	v_mul_f32_e32 v34, v34, v91
	v_fma_f32 v35, v35, v91, v7
	v_cndmask_b32_e64 v33, 0, v33, s[50:51]
	v_mul_f32_e32 v34, v34, v92
	v_fma_f32 v35, v35, v92, v32
	v_mul_f32_e32 v34, v34, v93
	v_fma_f32 v61, v35, v93, v33
	s_nop 0
	v_mov_b32_dpp v94, v34 row_shr:1 row_mask:0xf bank_mask:0xf
	v_mov_b32_dpp v60, v61 row_shr:1 row_mask:0xf bank_mask:0xf
	s_and_saveexec_b64 s[90:91], s[0:1]
; %bb.99:                               ;   in Loop: Header=BB110_60 Depth=2
	v_mul_f32_e32 v94, v34, v94
	v_fmac_f32_e32 v61, v34, v60
	v_mov_b32_e32 v34, v94
; %bb.100:                              ;   in Loop: Header=BB110_60 Depth=2
	s_or_b64 exec, exec, s[90:91]
	s_nop 0
	v_mov_b32_dpp v60, v34 row_shr:2 row_mask:0xf bank_mask:0xf
	v_mov_b32_dpp v94, v61 row_shr:2 row_mask:0xf bank_mask:0xf
	s_and_saveexec_b64 s[90:91], s[2:3]
; %bb.101:                              ;   in Loop: Header=BB110_60 Depth=2
	v_fmac_f32_e32 v61, v34, v94
	v_mul_f32_e32 v34, v34, v60
; %bb.102:                              ;   in Loop: Header=BB110_60 Depth=2
	s_or_b64 exec, exec, s[90:91]
	s_nop 0
	v_mov_b32_dpp v60, v34 row_shr:4 row_mask:0xf bank_mask:0xf
	v_mov_b32_dpp v94, v61 row_shr:4 row_mask:0xf bank_mask:0xf
	s_and_saveexec_b64 s[90:91], s[4:5]
; %bb.103:                              ;   in Loop: Header=BB110_60 Depth=2
	v_fmac_f32_e32 v61, v34, v94
	v_mul_f32_e32 v34, v34, v60
; %bb.104:                              ;   in Loop: Header=BB110_60 Depth=2
	s_or_b64 exec, exec, s[90:91]
	s_nop 0
	v_mov_b32_dpp v60, v34 row_shr:8 row_mask:0xf bank_mask:0xf
	v_mov_b32_dpp v94, v61 row_shr:8 row_mask:0xf bank_mask:0xf
	s_and_saveexec_b64 s[90:91], s[6:7]
; %bb.105:                              ;   in Loop: Header=BB110_60 Depth=2
	v_fmac_f32_e32 v61, v34, v94
	v_mul_f32_e32 v34, v34, v60
; %bb.106:                              ;   in Loop: Header=BB110_60 Depth=2
	s_or_b64 exec, exec, s[90:91]
	s_nop 0
	v_mov_b32_dpp v60, v34 row_bcast:15 row_mask:0xf bank_mask:0xf
	v_mov_b32_dpp v94, v61 row_bcast:15 row_mask:0xf bank_mask:0xf
	s_and_saveexec_b64 s[90:91], s[8:9]
; %bb.107:                              ;   in Loop: Header=BB110_60 Depth=2
	v_fmac_f32_e32 v61, v34, v94
	v_mul_f32_e32 v34, v34, v60
; %bb.108:                              ;   in Loop: Header=BB110_60 Depth=2
	s_or_b64 exec, exec, s[90:91]
	s_nop 0
	v_mov_b32_dpp v60, v34 row_bcast:31 row_mask:0xf bank_mask:0xf
	v_mov_b32_dpp v94, v61 row_bcast:31 row_mask:0xf bank_mask:0xf
	v_mov_b32_e32 v35, v61
	v_mul_f32_e32 v60, v34, v60
	v_fmac_f32_e32 v35, v34, v94
	v_cndmask_b32_e64 v34, v34, v60, s[10:11]
	v_cndmask_b32_e64 v35, v61, v35, s[10:11]
	s_and_saveexec_b64 s[90:91], s[12:13]
	s_cbranch_execz .LBB110_110
; %bb.109:                              ;   in Loop: Header=BB110_60 Depth=2
	ds_write_b64 v9, v[34:35] offset:2112
.LBB110_110:                            ;   in Loop: Header=BB110_60 Depth=2
	s_or_b64 exec, exec, s[90:91]
	ds_bpermute_b32 v94, v59, v34
	ds_bpermute_b32 v60, v59, v35
	s_waitcnt vmcnt(0) lgkmcnt(2)
	v_mov_b32_e32 v35, v29
	s_waitcnt lgkmcnt(0)
	; wave barrier
	s_waitcnt lgkmcnt(0)
	s_and_saveexec_b64 s[90:91], s[14:15]
	s_cbranch_execz .LBB110_114
; %bb.111:                              ;   in Loop: Header=BB110_60 Depth=2
	ds_read_b64 v[34:35], v9 offset:2112
	s_and_saveexec_b64 s[92:93], s[16:17]
	s_cbranch_execz .LBB110_113
; %bb.112:                              ;   in Loop: Header=BB110_60 Depth=2
	ds_write_b64 v9, v[28:29] offset:2112
.LBB110_113:                            ;   in Loop: Header=BB110_60 Depth=2
	s_or_b64 exec, exec, s[92:93]
	s_waitcnt lgkmcnt(0)
	v_fmac_f32_e32 v35, v29, v34
	v_mul_f32_e32 v28, v28, v34
	v_mov_b32_e32 v29, v35
.LBB110_114:                            ;   in Loop: Header=BB110_60 Depth=2
	s_or_b64 exec, exec, s[90:91]
	s_waitcnt lgkmcnt(0)
	; wave barrier
	ds_read_b32 v34, v9 offset:2116
	s_and_saveexec_b64 s[90:91], s[16:17]
	s_cbranch_execz .LBB110_59
; %bb.115:                              ;   in Loop: Header=BB110_60 Depth=2
	v_mov_b32_e32 v61, s75
	s_andn2_b64 vcc, exec, s[82:83]
	ds_write_b64 v61, v[28:29]
	s_cbranch_vccnz .LBB110_59
; %bb.116:                              ;   in Loop: Header=BB110_60 Depth=2
	s_mov_b32 s89, s71
	s_lshl_b64 s[92:93], s[88:89], 2
	s_add_u32 s92, s57, s92
	s_addc_u32 s93, s61, s93
	global_store_dword v9, v35, s[92:93]
	s_branch .LBB110_59
.LBB110_117:                            ;   in Loop: Header=BB110_11 Depth=1
	s_mov_b32 s40, 0x3fb8aa3b
	s_mov_b32 s41, 0xc2ce8ed0
	s_mov_b32 s42, 0x42b17218
	s_mov_b32 s43, 0x7f800000
.LBB110_118:                            ;   in Loop: Header=BB110_11 Depth=1
	v_cvt_f16_f32_e32 v0, v23
	v_cvt_f16_f32_e32 v1, v21
	;; [unrolled: 1-line block ×8, first 2 shown]
	v_pack_b32_f16 v3, v4, v3
	v_pack_b32_f16 v2, v5, v2
	;; [unrolled: 1-line block ×4, first 2 shown]
	s_waitcnt lgkmcnt(0)
	; wave barrier
	ds_write_b128 v51, v[0:3]
	; wave barrier
	ds_read_u16 v15, v44 offset:128
	ds_read_u16 v7, v45 offset:256
	;; [unrolled: 1-line block ×7, first 2 shown]
	s_mov_b32 s79, s71
	v_lshl_add_u64 v[0:1], s[78:79], 1, v[12:13]
	s_and_saveexec_b64 s[36:37], s[18:19]
	s_cbranch_execnz .LBB110_128
; %bb.119:                              ;   in Loop: Header=BB110_11 Depth=1
	s_or_b64 exec, exec, s[36:37]
	s_and_saveexec_b64 s[18:19], s[20:21]
	s_cbranch_execnz .LBB110_129
.LBB110_120:                            ;   in Loop: Header=BB110_11 Depth=1
	s_or_b64 exec, exec, s[18:19]
	s_and_saveexec_b64 s[18:19], s[22:23]
	s_cbranch_execnz .LBB110_130
.LBB110_121:                            ;   in Loop: Header=BB110_11 Depth=1
	s_or_b64 exec, exec, s[18:19]
	s_and_saveexec_b64 s[18:19], s[24:25]
	s_cbranch_execnz .LBB110_131
.LBB110_122:                            ;   in Loop: Header=BB110_11 Depth=1
	s_or_b64 exec, exec, s[18:19]
	s_and_saveexec_b64 s[18:19], s[26:27]
	s_cbranch_execnz .LBB110_132
.LBB110_123:                            ;   in Loop: Header=BB110_11 Depth=1
	s_or_b64 exec, exec, s[18:19]
	s_and_saveexec_b64 s[18:19], s[28:29]
	s_cbranch_execnz .LBB110_133
.LBB110_124:                            ;   in Loop: Header=BB110_11 Depth=1
	s_or_b64 exec, exec, s[18:19]
	s_and_saveexec_b64 s[18:19], s[30:31]
	s_cbranch_execnz .LBB110_134
.LBB110_125:                            ;   in Loop: Header=BB110_11 Depth=1
	s_or_b64 exec, exec, s[18:19]
	s_and_saveexec_b64 s[18:19], s[34:35]
	s_cbranch_execz .LBB110_10
	s_branch .LBB110_135
.LBB110_126:                            ;   in Loop: Header=BB110_11 Depth=1
	global_load_ushort v19, v[4:5], off offset:640
	s_or_b64 exec, exec, s[36:37]
	s_and_saveexec_b64 s[36:37], s[30:31]
	s_cbranch_execz .LBB110_39
.LBB110_127:                            ;   in Loop: Header=BB110_11 Depth=1
	global_load_ushort v18, v[4:5], off offset:768
	s_or_b64 exec, exec, s[36:37]
	v_mov_b32_e32 v20, 0
	s_and_saveexec_b64 s[36:37], s[34:35]
	s_cbranch_execnz .LBB110_40
	s_branch .LBB110_41
.LBB110_128:                            ;   in Loop: Header=BB110_11 Depth=1
	ds_read_u16 v16, v43
	s_waitcnt lgkmcnt(0)
	global_store_short v[0:1], v16, off
	s_or_b64 exec, exec, s[36:37]
	s_and_saveexec_b64 s[18:19], s[20:21]
	s_cbranch_execz .LBB110_120
.LBB110_129:                            ;   in Loop: Header=BB110_11 Depth=1
	s_waitcnt lgkmcnt(6)
	global_store_short v[0:1], v15, off offset:128
	s_or_b64 exec, exec, s[18:19]
	s_and_saveexec_b64 s[18:19], s[22:23]
	s_cbranch_execz .LBB110_121
.LBB110_130:                            ;   in Loop: Header=BB110_11 Depth=1
	s_waitcnt lgkmcnt(5)
	global_store_short v[0:1], v7, off offset:256
	s_or_b64 exec, exec, s[18:19]
	s_and_saveexec_b64 s[18:19], s[24:25]
	s_cbranch_execz .LBB110_122
.LBB110_131:                            ;   in Loop: Header=BB110_11 Depth=1
	s_waitcnt lgkmcnt(4)
	global_store_short v[0:1], v6, off offset:384
	s_or_b64 exec, exec, s[18:19]
	s_and_saveexec_b64 s[18:19], s[26:27]
	s_cbranch_execz .LBB110_123
.LBB110_132:                            ;   in Loop: Header=BB110_11 Depth=1
	s_waitcnt lgkmcnt(3)
	global_store_short v[0:1], v5, off offset:512
	s_or_b64 exec, exec, s[18:19]
	s_and_saveexec_b64 s[18:19], s[28:29]
	s_cbranch_execz .LBB110_124
.LBB110_133:                            ;   in Loop: Header=BB110_11 Depth=1
	s_waitcnt lgkmcnt(2)
	global_store_short v[0:1], v4, off offset:640
	s_or_b64 exec, exec, s[18:19]
	s_and_saveexec_b64 s[18:19], s[30:31]
	s_cbranch_execz .LBB110_125
.LBB110_134:                            ;   in Loop: Header=BB110_11 Depth=1
	s_waitcnt lgkmcnt(1)
	global_store_short v[0:1], v3, off offset:768
	s_or_b64 exec, exec, s[18:19]
	s_and_saveexec_b64 s[18:19], s[34:35]
	s_cbranch_execz .LBB110_10
.LBB110_135:                            ;   in Loop: Header=BB110_11 Depth=1
	s_waitcnt lgkmcnt(0)
	global_store_short v[0:1], v2, off offset:896
	s_branch .LBB110_10
.LBB110_136:
	s_endpgm
.LBB110_137:
	s_mov_b64 s[68:69], 0
	s_load_dwordx2 s[4:5], s[0:1], 0x20
	s_cmp_eq_u64 s[6:7], 0
	s_cbranch_scc0 .LBB110_2
	s_branch .LBB110_3
	.section	.rodata,"a",@progbits
	.p2align	6, 0x0
	.amdhsa_kernel _Z25selective_scan_fwd_kernelI32Selective_Scan_fwd_kernel_traitsILi64ELi8ELi1ELb0ELb1ELb1ELb0ELb1EN3c104HalfEffEEv13SSMParamsBase
		.amdhsa_group_segment_fixed_size 0
		.amdhsa_private_segment_fixed_size 0
		.amdhsa_kernarg_size 248
		.amdhsa_user_sgpr_count 2
		.amdhsa_user_sgpr_dispatch_ptr 0
		.amdhsa_user_sgpr_queue_ptr 0
		.amdhsa_user_sgpr_kernarg_segment_ptr 1
		.amdhsa_user_sgpr_dispatch_id 0
		.amdhsa_user_sgpr_kernarg_preload_length 0
		.amdhsa_user_sgpr_kernarg_preload_offset 0
		.amdhsa_user_sgpr_private_segment_size 0
		.amdhsa_uses_dynamic_stack 0
		.amdhsa_enable_private_segment 0
		.amdhsa_system_sgpr_workgroup_id_x 1
		.amdhsa_system_sgpr_workgroup_id_y 1
		.amdhsa_system_sgpr_workgroup_id_z 0
		.amdhsa_system_sgpr_workgroup_info 0
		.amdhsa_system_vgpr_workitem_id 0
		.amdhsa_next_free_vgpr 96
		.amdhsa_next_free_sgpr 100
		.amdhsa_accum_offset 96
		.amdhsa_reserve_vcc 1
		.amdhsa_float_round_mode_32 0
		.amdhsa_float_round_mode_16_64 0
		.amdhsa_float_denorm_mode_32 3
		.amdhsa_float_denorm_mode_16_64 3
		.amdhsa_dx10_clamp 1
		.amdhsa_ieee_mode 1
		.amdhsa_fp16_overflow 0
		.amdhsa_tg_split 0
		.amdhsa_exception_fp_ieee_invalid_op 0
		.amdhsa_exception_fp_denorm_src 0
		.amdhsa_exception_fp_ieee_div_zero 0
		.amdhsa_exception_fp_ieee_overflow 0
		.amdhsa_exception_fp_ieee_underflow 0
		.amdhsa_exception_fp_ieee_inexact 0
		.amdhsa_exception_int_div_zero 0
	.end_amdhsa_kernel
	.section	.text._Z25selective_scan_fwd_kernelI32Selective_Scan_fwd_kernel_traitsILi64ELi8ELi1ELb0ELb1ELb1ELb0ELb1EN3c104HalfEffEEv13SSMParamsBase,"axG",@progbits,_Z25selective_scan_fwd_kernelI32Selective_Scan_fwd_kernel_traitsILi64ELi8ELi1ELb0ELb1ELb1ELb0ELb1EN3c104HalfEffEEv13SSMParamsBase,comdat
.Lfunc_end110:
	.size	_Z25selective_scan_fwd_kernelI32Selective_Scan_fwd_kernel_traitsILi64ELi8ELi1ELb0ELb1ELb1ELb0ELb1EN3c104HalfEffEEv13SSMParamsBase, .Lfunc_end110-_Z25selective_scan_fwd_kernelI32Selective_Scan_fwd_kernel_traitsILi64ELi8ELi1ELb0ELb1ELb1ELb0ELb1EN3c104HalfEffEEv13SSMParamsBase
                                        ; -- End function
	.section	.AMDGPU.csdata,"",@progbits
; Kernel info:
; codeLenInByte = 10492
; NumSgprs: 106
; NumVgprs: 96
; NumAgprs: 0
; TotalNumVgprs: 96
; ScratchSize: 0
; MemoryBound: 0
; FloatMode: 240
; IeeeMode: 1
; LDSByteSize: 0 bytes/workgroup (compile time only)
; SGPRBlocks: 13
; VGPRBlocks: 11
; NumSGPRsForWavesPerEU: 106
; NumVGPRsForWavesPerEU: 96
; AccumOffset: 96
; Occupancy: 5
; WaveLimiterHint : 1
; COMPUTE_PGM_RSRC2:SCRATCH_EN: 0
; COMPUTE_PGM_RSRC2:USER_SGPR: 2
; COMPUTE_PGM_RSRC2:TRAP_HANDLER: 0
; COMPUTE_PGM_RSRC2:TGID_X_EN: 1
; COMPUTE_PGM_RSRC2:TGID_Y_EN: 1
; COMPUTE_PGM_RSRC2:TGID_Z_EN: 0
; COMPUTE_PGM_RSRC2:TIDIG_COMP_CNT: 0
; COMPUTE_PGM_RSRC3_GFX90A:ACCUM_OFFSET: 23
; COMPUTE_PGM_RSRC3_GFX90A:TG_SPLIT: 0
	.section	.text._Z25selective_scan_fwd_kernelI32Selective_Scan_fwd_kernel_traitsILi64ELi8ELi1ELb0ELb1ELb1ELb0ELb0EN3c104HalfEffEEv13SSMParamsBase,"axG",@progbits,_Z25selective_scan_fwd_kernelI32Selective_Scan_fwd_kernel_traitsILi64ELi8ELi1ELb0ELb1ELb1ELb0ELb0EN3c104HalfEffEEv13SSMParamsBase,comdat
	.protected	_Z25selective_scan_fwd_kernelI32Selective_Scan_fwd_kernel_traitsILi64ELi8ELi1ELb0ELb1ELb1ELb0ELb0EN3c104HalfEffEEv13SSMParamsBase ; -- Begin function _Z25selective_scan_fwd_kernelI32Selective_Scan_fwd_kernel_traitsILi64ELi8ELi1ELb0ELb1ELb1ELb0ELb0EN3c104HalfEffEEv13SSMParamsBase
	.globl	_Z25selective_scan_fwd_kernelI32Selective_Scan_fwd_kernel_traitsILi64ELi8ELi1ELb0ELb1ELb1ELb0ELb0EN3c104HalfEffEEv13SSMParamsBase
	.p2align	8
	.type	_Z25selective_scan_fwd_kernelI32Selective_Scan_fwd_kernel_traitsILi64ELi8ELi1ELb0ELb1ELb1ELb0ELb0EN3c104HalfEffEEv13SSMParamsBase,@function
_Z25selective_scan_fwd_kernelI32Selective_Scan_fwd_kernel_traitsILi64ELi8ELi1ELb0ELb1ELb1ELb0ELb0EN3c104HalfEffEEv13SSMParamsBase: ; @_Z25selective_scan_fwd_kernelI32Selective_Scan_fwd_kernel_traitsILi64ELi8ELi1ELb0ELb1ELb1ELb0ELb0EN3c104HalfEffEEv13SSMParamsBase
; %bb.0:
	s_load_dword s27, s[0:1], 0x18
	s_load_dwordx4 s[4:7], s[0:1], 0xe8
	s_mov_b32 s20, s3
	s_waitcnt lgkmcnt(0)
	s_abs_i32 s26, s27
	v_cvt_f32_u32_e32 v1, s26
	s_cmp_eq_u64 s[6:7], 0
	v_rcp_iflag_f32_e32 v1, v1
	s_nop 0
	v_mul_f32_e32 v1, 0x4f7ffffe, v1
	v_cvt_u32_f32_e32 v1, v1
	s_nop 0
	v_readfirstlane_b32 s22, v1
	s_cbranch_scc1 .LBB111_3
; %bb.1:
	s_ashr_i32 s3, s2, 31
	s_add_u32 s6, s6, s2
	s_addc_u32 s7, s7, s3
	v_mov_b32_e32 v1, 0
	global_load_ubyte v1, v1, s[6:7]
	s_waitcnt vmcnt(0)
	v_and_b32_e32 v1, 1, v1
	v_cmp_eq_u32_e64 s[68:69], 1, v1
	s_load_dwordx2 s[6:7], s[0:1], 0x20
	s_cmp_eq_u64 s[4:5], 0
	s_cbranch_scc1 .LBB111_4
.LBB111_2:
	s_ashr_i32 s3, s2, 31
	s_lshl_b64 s[8:9], s[2:3], 2
	s_add_u32 s4, s4, s8
	s_addc_u32 s5, s5, s9
	s_load_dword s24, s[4:5], 0x0
	s_waitcnt lgkmcnt(0)
	s_ashr_i32 s25, s24, 31
	s_cmp_eq_u64 s[6:7], s[24:25]
	s_cbranch_scc0 .LBB111_5
	s_branch .LBB111_137
.LBB111_3:
	s_mov_b64 s[68:69], 0
	s_load_dwordx2 s[6:7], s[0:1], 0x20
	s_cmp_eq_u64 s[4:5], 0
	s_cbranch_scc0 .LBB111_2
.LBB111_4:
	s_mov_b32 s24, s2
	s_ashr_i32 s25, s24, 31
	s_waitcnt lgkmcnt(0)
	s_cmp_eq_u64 s[6:7], s[24:25]
	s_cbranch_scc1 .LBB111_137
.LBB111_5:
	s_load_dwordx16 s[4:19], s[0:1], 0x88
	s_load_dwordx2 s[30:31], s[0:1], 0x8
	s_mov_b32 s33, 0
	s_mov_b32 s96, 0
	s_waitcnt lgkmcnt(0)
	s_cmp_eq_u64 s[10:11], 0
	s_cbranch_scc1 .LBB111_7
; %bb.6:
	s_ashr_i32 s21, s20, 31
	s_lshl_b64 s[28:29], s[20:21], 2
	s_add_u32 s10, s10, s28
	s_addc_u32 s11, s11, s29
	s_load_dword s96, s[10:11], 0x0
.LBB111_7:
	s_cmp_eq_u64 s[16:17], 0
	s_cbranch_scc1 .LBB111_9
; %bb.8:
	s_ashr_i32 s21, s20, 31
	s_lshl_b64 s[10:11], s[20:21], 2
	s_add_u32 s10, s16, s10
	s_addc_u32 s11, s17, s11
	s_load_dword s33, s[10:11], 0x0
.LBB111_9:
	s_cmp_lt_i32 s30, 1
	s_cbranch_scc1 .LBB111_137
; %bb.10:
	s_sub_i32 s3, 0, s26
	s_mul_i32 s3, s3, s22
	s_mul_hi_u32 s3, s22, s3
	s_abs_i32 s21, s20
	s_add_i32 s3, s22, s3
	s_load_dwordx8 s[56:63], s[0:1], 0x2c
	s_load_dwordx2 s[10:11], s[0:1], 0x5c
	s_load_dwordx4 s[64:67], s[0:1], 0x4c
	s_load_dwordx4 s[52:55], s[0:1], 0x7c
	s_load_dwordx2 s[22:23], s[0:1], 0x6c
	s_load_dwordx2 s[16:17], s[0:1], 0xc8
	s_mul_hi_u32 s3, s21, s3
	s_load_dword s25, s[0:1], 0x28
	s_ashr_i32 s0, s20, 31
	s_ashr_i32 s1, s27, 31
	s_xor_b32 s0, s0, s1
	s_mul_i32 s1, s3, s26
	s_sub_i32 s1, s21, s1
	s_add_i32 s21, s3, 1
	s_sub_i32 s27, s1, s26
	s_cmp_ge_u32 s1, s26
	s_cselect_b32 s3, s21, s3
	s_cselect_b32 s1, s27, s1
	s_add_i32 s21, s3, 1
	s_cmp_ge_u32 s1, s26
	s_cselect_b32 s1, s21, s3
	s_xor_b32 s1, s1, s0
	s_waitcnt lgkmcnt(0)
	s_mul_i32 s72, s66, s2
	s_mov_b32 s73, 0
	s_sub_i32 s3, s1, s0
	s_lshl_b64 s[0:1], s[72:73], 1
	s_add_u32 s12, s12, s0
	s_mul_i32 s72, s67, s20
	s_addc_u32 s13, s13, s1
	s_lshl_b64 s[0:1], s[72:73], 1
	s_add_u32 s66, s12, s0
	s_mul_i32 s72, s10, s2
	s_addc_u32 s67, s13, s1
	;; [unrolled: 4-line block ×10, first 2 shown]
	s_lshl_b64 s[0:1], s[72:73], 2
	s_add_u32 s61, s3, s0
	v_mbcnt_lo_u32_b32 v1, -1, 0
	s_addc_u32 s65, s4, s1
	s_add_i32 s0, s30, 0x7ff
	v_mbcnt_hi_u32_b32 v10, -1, v1
	s_lshr_b32 s3, s0, 11
	v_lshrrev_b32_e32 v1, 5, v10
	v_and_b32_e32 v1, 2, v1
	s_bitcmp1_b32 s25, 0
	v_add_u32_e32 v36, 64, v10
	v_or_b32_e32 v37, 0x80, v10
	v_add_u32_e32 v38, 0xc0, v10
	v_or_b32_e32 v39, 0x100, v10
	;; [unrolled: 2-line block ×3, first 2 shown]
	v_add_u32_e32 v42, 0x1c0, v10
	v_add_u32_e32 v1, v1, v10
	s_cselect_b64 s[76:77], -1, 0
	s_cmp_gt_i32 s31, 0
	v_lshl_add_u32 v43, v1, 1, 0
	v_lshrrev_b32_e32 v1, 5, v36
	v_lshrrev_b32_e32 v2, 5, v37
	;; [unrolled: 1-line block ×7, first 2 shown]
	s_cselect_b64 s[0:1], -1, 0
                                        ; implicit-def: $vgpr95 : SGPR spill to VGPR lane
	v_and_b32_e32 v1, 6, v1
	v_and_b32_e32 v2, 6, v2
	;; [unrolled: 1-line block ×7, first 2 shown]
	v_writelane_b32 v95, s0, 0
	v_add_lshl_u32 v1, v1, v10, 1
	v_add_lshl_u32 v2, v2, v10, 1
	;; [unrolled: 1-line block ×7, first 2 shown]
	v_writelane_b32 v95, s1, 1
	s_add_i32 s0, 0, 0x420
	v_add_u32_e32 v52, s0, v1
	v_add_u32_e32 v53, s0, v2
	;; [unrolled: 1-line block ×7, first 2 shown]
	v_writelane_b32 v95, s30, 2
	s_and_b32 s0, s30, 0x1ff
	s_cmp_eq_u32 s0, 0
	v_writelane_b32 v95, s31, 3
	s_cselect_b64 s[80:81], -1, 0
	v_writelane_b32 v95, s3, 4
	s_add_i32 s3, s3, -1
	s_mul_i32 s72, s22, s2
	v_writelane_b32 v95, s3, 5
	s_lshl_b64 s[2:3], s[72:73], 1
	v_add_u32_e32 v44, 0, v1
	v_lshrrev_b32_e32 v8, 2, v10
	v_and_b32_e32 v1, 15, v10
	s_add_u32 s18, s18, s2
	s_mul_i32 s72, s23, s20
	v_and_b32_e32 v8, 30, v8
	v_cmp_ne_u32_e64 s[0:1], 0, v1
	v_cmp_lt_u32_e64 s[52:53], 1, v1
	v_cmp_lt_u32_e64 s[4:5], 3, v1
	;; [unrolled: 1-line block ×3, first 2 shown]
	v_and_b32_e32 v1, 16, v10
	s_addc_u32 s19, s19, s3
	s_lshl_b64 s[2:3], s[72:73], 1
	v_add_u32_e32 v45, 0, v2
	v_lshl_add_u32 v8, v10, 3, v8
	v_cmp_ne_u32_e64 s[8:9], 0, v1
	v_add_u32_e32 v1, -1, v10
	v_and_b32_e32 v2, 64, v10
	s_add_u32 s2, s18, s2
	v_mov_b32_e32 v9, 0
	v_lshl_add_u32 v51, v8, 1, 0
	v_cmp_lt_i32_e32 vcc, v1, v2
	s_addc_u32 s3, s19, s3
	v_lshlrev_b32_e32 v8, 1, v10
	v_lshlrev_b32_e32 v11, 3, v0
	v_cndmask_b32_e32 v1, v1, v10, vcc
	v_lshl_add_u64 v[12:13], s[2:3], 0, v[8:9]
	s_add_i32 s2, 0, 0x848
	v_add_u32_e32 v46, 0, v3
	v_add_u32_e32 v47, 0, v4
	;; [unrolled: 1-line block ×5, first 2 shown]
	v_cmp_lt_u32_e64 s[10:11], 31, v10
	v_cmp_eq_u32_e64 s[12:13], 63, v0
	v_lshlrev_b32_e32 v59, 2, v1
	v_cmp_gt_u32_e64 s[14:15], 64, v0
	v_cmp_eq_u32_e64 s[16:17], 0, v0
	v_or_b32_e32 v62, 3, v11
	v_or_b32_e32 v63, 4, v11
	v_or_b32_e32 v64, 5, v11
	v_or_b32_e32 v65, 6, v11
	v_or_b32_e32 v66, 7, v11
	v_lshlrev_b32_e32 v8, 1, v10
	s_mov_b32 s99, 0x41a00000
	s_mov_b32 s38, 0x3fb8aa3b
	s_mov_b32 s39, 0xc2ce8ed0
	s_mov_b32 s40, 0x42b17218
	s_mov_b32 s41, 0x7f800000
	s_mov_b32 s79, 0x3f2aaaab
	v_mov_b32_e32 v67, 0x3ecc95a3
	s_mov_b32 s97, 0x3f317218
	s_mov_b32 s98, 0x33800000
	v_writelane_b32 v95, s2, 6
	s_mov_b32 s70, 0xc2fc0000
	v_mov_b32_e32 v68, 0x7f800000
	v_mov_b32_e32 v14, 0x3f317218
	;; [unrolled: 1-line block ×4, first 2 shown]
	s_mov_b32 s71, 0
                                        ; implicit-def: $vgpr0
	s_branch .LBB111_12
.LBB111_11:                             ;   in Loop: Header=BB111_12 Depth=1
	s_or_b64 exec, exec, s[2:3]
	s_add_u32 s74, s74, 0x400
	s_addc_u32 s75, s75, 0
	s_add_u32 s66, s66, 0x400
	s_addc_u32 s67, s67, 0
	;; [unrolled: 2-line block ×4, first 2 shown]
	s_add_i32 s71, s71, 1
	v_readlane_b32 s2, v95, 4
	s_cmp_eq_u32 s71, s2
	s_cbranch_scc1 .LBB111_137
.LBB111_12:                             ; =>This Loop Header: Depth=1
                                        ;     Child Loop BB111_61 Depth 2
	s_lshl_b32 s82, s71, 9
	v_readlane_b32 s2, v95, 2
	s_sub_i32 s50, s2, s82
	v_readlane_b32 s3, v95, 3
	v_lshl_add_u64 v[0:1], s[66:67], 0, v[8:9]
	v_cmp_gt_u32_e64 s[18:19], s50, v10
	s_waitcnt lgkmcnt(0)
	v_mov_b32_e32 v2, 0
	s_waitcnt lgkmcnt(0)
	; wave barrier
	s_and_saveexec_b64 s[2:3], s[18:19]
	s_cbranch_execz .LBB111_14
; %bb.13:                               ;   in Loop: Header=BB111_12 Depth=1
	global_load_ushort v2, v[0:1], off
.LBB111_14:                             ;   in Loop: Header=BB111_12 Depth=1
	s_or_b64 exec, exec, s[2:3]
	v_cmp_gt_u32_e64 s[20:21], s50, v36
	v_mov_b32_e32 v3, 0
	v_mov_b32_e32 v4, 0
	s_and_saveexec_b64 s[2:3], s[20:21]
	s_cbranch_execz .LBB111_16
; %bb.15:                               ;   in Loop: Header=BB111_12 Depth=1
	global_load_ushort v4, v[0:1], off offset:128
.LBB111_16:                             ;   in Loop: Header=BB111_12 Depth=1
	s_or_b64 exec, exec, s[2:3]
	v_cmp_gt_u32_e64 s[22:23], s50, v37
	s_and_saveexec_b64 s[2:3], s[22:23]
	s_cbranch_execz .LBB111_18
; %bb.17:                               ;   in Loop: Header=BB111_12 Depth=1
	global_load_ushort v3, v[0:1], off offset:256
.LBB111_18:                             ;   in Loop: Header=BB111_12 Depth=1
	s_or_b64 exec, exec, s[2:3]
	v_cmp_gt_u32_e64 s[24:25], s50, v38
	v_mov_b32_e32 v5, 0
	v_mov_b32_e32 v7, 0
	s_and_saveexec_b64 s[2:3], s[24:25]
	s_cbranch_execz .LBB111_20
; %bb.19:                               ;   in Loop: Header=BB111_12 Depth=1
	global_load_ushort v7, v[0:1], off offset:384
.LBB111_20:                             ;   in Loop: Header=BB111_12 Depth=1
	s_or_b64 exec, exec, s[2:3]
	v_cmp_gt_u32_e64 s[26:27], s50, v39
	s_and_saveexec_b64 s[2:3], s[26:27]
	s_cbranch_execz .LBB111_22
; %bb.21:                               ;   in Loop: Header=BB111_12 Depth=1
	global_load_ushort v5, v[0:1], off offset:512
.LBB111_22:                             ;   in Loop: Header=BB111_12 Depth=1
	;; [unrolled: 16-line block ×3, first 2 shown]
	s_or_b64 exec, exec, s[2:3]
	v_cmp_gt_u32_e64 s[34:35], s50, v42
	v_mov_b32_e32 v6, 0
	v_mov_b32_e32 v17, 0
	s_and_saveexec_b64 s[2:3], s[34:35]
	s_cbranch_execz .LBB111_28
; %bb.27:                               ;   in Loop: Header=BB111_12 Depth=1
	global_load_ushort v17, v[0:1], off offset:896
.LBB111_28:                             ;   in Loop: Header=BB111_12 Depth=1
	s_or_b64 exec, exec, s[2:3]
	s_waitcnt vmcnt(0)
	ds_write_b16 v43, v2
	ds_write_b16 v44, v4 offset:128
	ds_write_b16 v45, v3 offset:256
	;; [unrolled: 1-line block ×7, first 2 shown]
	; wave barrier
	ds_read_b128 v[0:3], v51
	v_lshl_add_u64 v[4:5], s[74:75], 0, v[8:9]
	s_waitcnt lgkmcnt(0)
	; wave barrier
	s_waitcnt lgkmcnt(0)
	s_and_saveexec_b64 s[2:3], s[18:19]
	s_cbranch_execz .LBB111_30
; %bb.29:                               ;   in Loop: Header=BB111_12 Depth=1
	global_load_ushort v6, v[4:5], off
.LBB111_30:                             ;   in Loop: Header=BB111_12 Depth=1
	s_or_b64 exec, exec, s[2:3]
	v_mov_b32_e32 v7, 0
	v_mov_b32_e32 v15, 0
	s_and_saveexec_b64 s[2:3], s[20:21]
	s_cbranch_execz .LBB111_32
; %bb.31:                               ;   in Loop: Header=BB111_12 Depth=1
	global_load_ushort v15, v[4:5], off offset:128
.LBB111_32:                             ;   in Loop: Header=BB111_12 Depth=1
	s_or_b64 exec, exec, s[2:3]
	s_and_saveexec_b64 s[2:3], s[22:23]
	s_cbranch_execz .LBB111_34
; %bb.33:                               ;   in Loop: Header=BB111_12 Depth=1
	global_load_ushort v7, v[4:5], off offset:256
.LBB111_34:                             ;   in Loop: Header=BB111_12 Depth=1
	s_or_b64 exec, exec, s[2:3]
	v_mov_b32_e32 v16, 0
	v_mov_b32_e32 v17, 0
	s_and_saveexec_b64 s[2:3], s[24:25]
	s_cbranch_execz .LBB111_36
; %bb.35:                               ;   in Loop: Header=BB111_12 Depth=1
	global_load_ushort v17, v[4:5], off offset:384
.LBB111_36:                             ;   in Loop: Header=BB111_12 Depth=1
	s_or_b64 exec, exec, s[2:3]
	s_and_saveexec_b64 s[2:3], s[26:27]
	s_cbranch_execz .LBB111_38
; %bb.37:                               ;   in Loop: Header=BB111_12 Depth=1
	global_load_ushort v16, v[4:5], off offset:512
.LBB111_38:                             ;   in Loop: Header=BB111_12 Depth=1
	s_or_b64 exec, exec, s[2:3]
	v_mov_b32_e32 v18, 0
	v_mov_b32_e32 v19, 0
	s_and_saveexec_b64 s[2:3], s[28:29]
	s_cbranch_execnz .LBB111_127
; %bb.39:                               ;   in Loop: Header=BB111_12 Depth=1
	s_or_b64 exec, exec, s[2:3]
	s_and_saveexec_b64 s[2:3], s[30:31]
	s_cbranch_execnz .LBB111_128
.LBB111_40:                             ;   in Loop: Header=BB111_12 Depth=1
	s_or_b64 exec, exec, s[2:3]
	v_mov_b32_e32 v20, 0
	s_and_saveexec_b64 s[2:3], s[34:35]
	s_cbranch_execz .LBB111_42
.LBB111_41:                             ;   in Loop: Header=BB111_12 Depth=1
	global_load_ushort v20, v[4:5], off offset:896
.LBB111_42:                             ;   in Loop: Header=BB111_12 Depth=1
	s_or_b64 exec, exec, s[2:3]
	s_waitcnt vmcnt(0)
	ds_write_b16 v43, v6
	ds_write_b16 v44, v15 offset:128
	ds_write_b16 v45, v7 offset:256
	;; [unrolled: 1-line block ×7, first 2 shown]
	; wave barrier
	ds_read_b128 v[4:7], v51
	s_waitcnt lgkmcnt(0)
	v_cvt_f32_f16_e32 v15, v4
	v_add_f32_e32 v71, s33, v15
	v_cmp_ge_f32_e32 vcc, s99, v71
	s_and_b64 s[2:3], s[76:77], vcc
	s_and_saveexec_b64 s[36:37], s[2:3]
	s_cbranch_execz .LBB111_44
; %bb.43:                               ;   in Loop: Header=BB111_12 Depth=1
	v_mul_f32_e32 v15, 0x3fb8aa3b, v71
	v_rndne_f32_e32 v16, v15
	v_sub_f32_e32 v17, v15, v16
	v_fma_f32 v15, v71, s38, -v15
	v_fmac_f32_e32 v15, 0x32a5705f, v71
	v_add_f32_e32 v15, v17, v15
	v_cvt_i32_f32_e32 v16, v16
	v_exp_f32_e32 v15, v15
	v_cmp_ngt_f32_e32 vcc, s39, v71
	v_ldexp_f32 v15, v15, v16
	s_nop 0
	v_cndmask_b32_e32 v15, 0, v15, vcc
	v_cmp_nlt_f32_e32 vcc, s40, v71
	s_nop 1
	v_cndmask_b32_e32 v32, v68, v15, vcc
	v_add_f32_e32 v15, 1.0, v32
	v_add_f32_e32 v16, -1.0, v15
	v_sub_f32_e32 v17, v16, v15
	v_add_f32_e32 v17, 1.0, v17
	v_sub_f32_e32 v16, v32, v16
	v_add_f32_e32 v18, v16, v17
	v_frexp_mant_f32_e32 v19, v15
	v_cvt_f64_f32_e32 v[16:17], v15
	v_frexp_exp_i32_f64_e32 v16, v[16:17]
	v_cmp_gt_f32_e32 vcc, s79, v19
	v_cmp_gt_f32_e64 s[2:3], s98, v32
	s_nop 0
	v_subbrev_co_u32_e32 v24, vcc, 0, v16, vcc
	v_sub_u32_e32 v16, 0, v24
	v_ldexp_f32 v15, v15, v16
	v_ldexp_f32 v16, v18, v16
	v_add_f32_e32 v18, -1.0, v15
	v_add_f32_e32 v17, 1.0, v18
	v_sub_f32_e32 v17, v15, v17
	v_add_f32_e32 v19, v16, v17
	v_add_f32_e32 v17, 1.0, v15
	v_add_f32_e32 v20, -1.0, v17
	v_sub_f32_e32 v15, v15, v20
	v_add_f32_e32 v15, v16, v15
	v_add_f32_e32 v25, v17, v15
	v_rcp_f32_e32 v26, v25
	v_sub_f32_e32 v16, v17, v25
	v_add_f32_e32 v17, v18, v19
	v_add_f32_e32 v15, v15, v16
	v_mul_f32_e32 v28, v17, v26
	v_sub_f32_e32 v16, v18, v17
	v_mul_f32_e32 v18, v25, v28
	v_fma_f32 v20, v28, v25, -v18
	v_fmac_f32_e32 v20, v28, v15
	v_add_f32_e32 v27, v19, v16
	v_add_f32_e32 v16, v18, v20
	v_sub_f32_e32 v19, v17, v16
	v_pk_add_f32 v[22:23], v[16:17], v[18:19] neg_lo:[0,1] neg_hi:[0,1]
	v_mov_b32_e32 v21, v16
	v_pk_add_f32 v[16:17], v[22:23], v[20:21] neg_lo:[0,1] neg_hi:[0,1]
	v_cmp_eq_f32_e32 vcc, s41, v32
	v_add_f32_e32 v17, v27, v17
	v_add_f32_e32 v16, v16, v17
	;; [unrolled: 1-line block ×3, first 2 shown]
	v_mul_f32_e32 v27, v26, v17
	v_mul_f32_e32 v18, v25, v27
	v_fma_f32 v20, v27, v25, -v18
	v_fmac_f32_e32 v20, v27, v15
	v_sub_f32_e32 v15, v19, v17
	v_add_f32_e32 v15, v16, v15
	v_add_f32_e32 v16, v18, v20
	v_sub_f32_e32 v19, v17, v16
	v_pk_add_f32 v[22:23], v[16:17], v[18:19] neg_lo:[0,1] neg_hi:[0,1]
	v_mov_b32_e32 v21, v16
	v_pk_add_f32 v[16:17], v[22:23], v[20:21] neg_lo:[0,1] neg_hi:[0,1]
	s_or_b64 vcc, s[2:3], vcc
	v_add_f32_e32 v15, v15, v17
	v_add_f32_e32 v15, v16, v15
	;; [unrolled: 1-line block ×4, first 2 shown]
	v_sub_f32_e32 v16, v17, v28
	v_mul_f32_e32 v15, v26, v15
	v_sub_f32_e32 v16, v27, v16
	v_add_f32_e32 v18, v16, v15
	v_add_f32_e32 v20, v17, v18
	v_cvt_f32_i32_e32 v16, v24
	v_mul_f32_e32 v21, v20, v20
	v_sub_f32_e32 v17, v20, v17
	v_fmamk_f32 v15, v21, 0x3e9b6dac, v67
	v_sub_f32_e32 v17, v18, v17
	v_fmaak_f32 v15, v21, v15, 0x3f2aaada
	v_ldexp_f32 v22, v17, 1
	v_mul_f32_e32 v17, v20, v21
	v_ldexp_f32 v19, v20, 1
	v_pk_mul_f32 v[20:21], v[16:17], v[14:15]
	s_nop 0
	v_fma_f32 v18, v16, s97, -v20
	v_fmac_f32_e32 v18, 0xb102e308, v16
	v_pk_add_f32 v[16:17], v[20:21], v[18:19]
	s_nop 0
	v_sub_f32_e32 v15, v17, v19
	v_sub_f32_e32 v15, v21, v15
	v_add_f32_e32 v23, v22, v15
	v_mov_b32_e32 v22, v20
	v_pk_add_f32 v[20:21], v[16:17], v[20:21] neg_lo:[0,1] neg_hi:[0,1]
	v_pk_add_f32 v[24:25], v[16:17], v[22:23]
	v_mov_b32_e32 v19, v16
	v_mov_b32_e32 v21, v25
	v_pk_add_f32 v[26:27], v[18:19], v[20:21] neg_lo:[0,1] neg_hi:[0,1]
	v_pk_add_f32 v[18:19], v[18:19], v[20:21]
	v_mov_b32_e32 v22, v23
	v_mov_b32_e32 v20, v19
	v_pk_add_f32 v[28:29], v[20:21], v[16:17] neg_lo:[0,1] neg_hi:[0,1]
	v_mov_b32_e32 v18, v25
	v_mov_b32_e32 v15, v28
	v_pk_add_f32 v[30:31], v[24:25], v[14:15] neg_lo:[0,1] neg_hi:[0,1]
	v_mov_b32_e32 v24, v17
	v_mov_b32_e32 v25, v28
	;; [unrolled: 1-line block ×3, first 2 shown]
	v_pk_add_f32 v[18:19], v[18:19], v[24:25] neg_lo:[0,1] neg_hi:[0,1]
	v_mov_b32_e32 v23, v16
	v_pk_add_f32 v[16:17], v[22:23], v[18:19] neg_lo:[0,1] neg_hi:[0,1]
	v_mov_b32_e32 v30, v26
	v_pk_add_f32 v[18:19], v[30:31], v[16:17]
	s_nop 0
	v_mov_b32_e32 v22, v19
	v_pk_add_f32 v[22:23], v[18:19], v[22:23]
	s_nop 0
	v_pk_add_f32 v[20:21], v[20:21], v[22:23]
	v_mov_b32_e32 v17, v22
	v_mov_b32_e32 v19, v20
	v_pk_add_f32 v[24:25], v[18:19], v[26:27] neg_lo:[0,1] neg_hi:[0,1]
	s_nop 0
	v_sub_f32_e32 v15, v18, v24
	v_pk_add_f32 v[16:17], v[16:17], v[24:25] neg_lo:[0,1] neg_hi:[0,1]
	v_sub_f32_e32 v15, v26, v15
	v_add_f32_e32 v15, v16, v15
	v_add_f32_e32 v15, v15, v17
	;; [unrolled: 1-line block ×3, first 2 shown]
	v_cndmask_b32_e32 v71, v15, v32, vcc
.LBB111_44:                             ;   in Loop: Header=BB111_12 Depth=1
	s_or_b64 exec, exec, s[36:37]
	v_cvt_f32_f16_sdwa v4, v4 dst_sel:DWORD dst_unused:UNUSED_PAD src0_sel:WORD_1
	v_add_f32_e32 v72, s33, v4
	v_cmp_ge_f32_e32 vcc, s99, v72
	s_and_b64 s[2:3], s[76:77], vcc
	s_and_saveexec_b64 s[36:37], s[2:3]
	s_cbranch_execz .LBB111_46
; %bb.45:                               ;   in Loop: Header=BB111_12 Depth=1
	v_mul_f32_e32 v4, 0x3fb8aa3b, v72
	v_rndne_f32_e32 v15, v4
	v_sub_f32_e32 v16, v4, v15
	v_fma_f32 v4, v72, s38, -v4
	v_fmac_f32_e32 v4, 0x32a5705f, v72
	v_add_f32_e32 v4, v16, v4
	v_cvt_i32_f32_e32 v15, v15
	v_exp_f32_e32 v4, v4
	v_cmp_ngt_f32_e32 vcc, s39, v72
	v_ldexp_f32 v4, v4, v15
	s_nop 0
	v_cndmask_b32_e32 v4, 0, v4, vcc
	v_cmp_nlt_f32_e32 vcc, s40, v72
	s_nop 1
	v_cndmask_b32_e32 v30, v68, v4, vcc
	v_add_f32_e32 v4, 1.0, v30
	v_add_f32_e32 v15, -1.0, v4
	v_sub_f32_e32 v16, v15, v4
	v_add_f32_e32 v16, 1.0, v16
	v_sub_f32_e32 v15, v30, v15
	v_add_f32_e32 v15, v15, v16
	v_frexp_mant_f32_e32 v18, v4
	v_cvt_f64_f32_e32 v[16:17], v4
	v_frexp_exp_i32_f64_e32 v16, v[16:17]
	v_cmp_gt_f32_e32 vcc, s79, v18
	v_cmp_gt_f32_e64 s[2:3], s98, v30
	s_nop 0
	v_subbrev_co_u32_e32 v24, vcc, 0, v16, vcc
	v_sub_u32_e32 v16, 0, v24
	v_ldexp_f32 v4, v4, v16
	v_ldexp_f32 v15, v15, v16
	v_add_f32_e32 v16, -1.0, v4
	v_add_f32_e32 v17, 1.0, v16
	v_sub_f32_e32 v17, v4, v17
	v_add_f32_e32 v18, v15, v17
	v_add_f32_e32 v17, 1.0, v4
	v_add_f32_e32 v19, -1.0, v17
	v_sub_f32_e32 v4, v4, v19
	v_add_f32_e32 v4, v15, v4
	v_add_f32_e32 v15, v17, v4
	v_rcp_f32_e32 v25, v15
	v_sub_f32_e32 v17, v17, v15
	v_add_f32_e32 v4, v4, v17
	v_add_f32_e32 v17, v16, v18
	v_sub_f32_e32 v16, v16, v17
	v_mul_f32_e32 v27, v17, v25
	v_add_f32_e32 v26, v18, v16
	v_mul_f32_e32 v18, v15, v27
	v_fma_f32 v20, v27, v15, -v18
	v_fmac_f32_e32 v20, v27, v4
	v_add_f32_e32 v16, v18, v20
	v_sub_f32_e32 v19, v17, v16
	v_pk_add_f32 v[22:23], v[16:17], v[18:19] neg_lo:[0,1] neg_hi:[0,1]
	v_mov_b32_e32 v21, v16
	v_pk_add_f32 v[16:17], v[22:23], v[20:21] neg_lo:[0,1] neg_hi:[0,1]
	v_cmp_eq_f32_e32 vcc, s41, v30
	v_add_f32_e32 v17, v26, v17
	v_add_f32_e32 v16, v16, v17
	;; [unrolled: 1-line block ×3, first 2 shown]
	v_mul_f32_e32 v26, v25, v17
	v_mul_f32_e32 v18, v15, v26
	v_fma_f32 v20, v26, v15, -v18
	v_fmac_f32_e32 v20, v26, v4
	v_sub_f32_e32 v4, v19, v17
	v_add_f32_e32 v4, v16, v4
	v_add_f32_e32 v16, v18, v20
	v_sub_f32_e32 v19, v17, v16
	v_pk_add_f32 v[22:23], v[16:17], v[18:19] neg_lo:[0,1] neg_hi:[0,1]
	v_mov_b32_e32 v21, v16
	v_pk_add_f32 v[16:17], v[22:23], v[20:21] neg_lo:[0,1] neg_hi:[0,1]
	s_or_b64 vcc, s[2:3], vcc
	v_add_f32_e32 v4, v4, v17
	v_add_f32_e32 v4, v16, v4
	v_add_f32_e32 v17, v27, v26
	v_add_f32_e32 v4, v19, v4
	v_sub_f32_e32 v15, v17, v27
	v_mul_f32_e32 v4, v25, v4
	v_sub_f32_e32 v15, v26, v15
	v_add_f32_e32 v4, v15, v4
	v_add_f32_e32 v18, v17, v4
	v_cvt_f32_i32_e32 v16, v24
	v_mul_f32_e32 v20, v18, v18
	v_fmamk_f32 v15, v20, 0x3e9b6dac, v67
	v_sub_f32_e32 v17, v18, v17
	v_fmaak_f32 v15, v20, v15, 0x3f2aaada
	v_sub_f32_e32 v4, v4, v17
	v_mul_f32_e32 v17, v18, v20
	v_pk_mul_f32 v[20:21], v[16:17], v[14:15]
	v_ldexp_f32 v19, v18, 1
	v_fma_f32 v18, v16, s97, -v20
	v_fmac_f32_e32 v18, 0xb102e308, v16
	v_pk_add_f32 v[16:17], v[20:21], v[18:19]
	v_ldexp_f32 v4, v4, 1
	v_sub_f32_e32 v15, v17, v19
	v_sub_f32_e32 v15, v21, v15
	v_add_f32_e32 v23, v4, v15
	v_mov_b32_e32 v22, v20
	v_pk_add_f32 v[20:21], v[16:17], v[20:21] neg_lo:[0,1] neg_hi:[0,1]
	v_pk_add_f32 v[24:25], v[16:17], v[22:23]
	v_mov_b32_e32 v19, v16
	v_mov_b32_e32 v21, v25
	v_pk_add_f32 v[26:27], v[18:19], v[20:21] neg_lo:[0,1] neg_hi:[0,1]
	v_pk_add_f32 v[18:19], v[18:19], v[20:21]
	s_nop 0
	v_mov_b32_e32 v4, v19
	v_pk_add_f32 v[20:21], v[4:5], v[16:17] neg_lo:[0,1] neg_hi:[0,1]
	v_mov_b32_e32 v18, v25
	v_mov_b32_e32 v15, v20
	v_pk_add_f32 v[28:29], v[24:25], v[14:15] neg_lo:[0,1] neg_hi:[0,1]
	v_mov_b32_e32 v24, v17
	v_mov_b32_e32 v25, v20
	;; [unrolled: 1-line block ×3, first 2 shown]
	v_pk_add_f32 v[18:19], v[18:19], v[24:25] neg_lo:[0,1] neg_hi:[0,1]
	v_mov_b32_e32 v20, v23
	v_mov_b32_e32 v21, v16
	v_pk_add_f32 v[16:17], v[20:21], v[18:19] neg_lo:[0,1] neg_hi:[0,1]
	v_mov_b32_e32 v28, v26
	v_pk_add_f32 v[18:19], v[28:29], v[16:17]
	s_nop 0
	v_mov_b32_e32 v20, v19
	v_pk_add_f32 v[20:21], v[18:19], v[20:21]
	s_nop 0
	v_pk_add_f32 v[22:23], v[4:5], v[20:21]
	v_mov_b32_e32 v17, v20
	v_mov_b32_e32 v19, v22
	v_pk_add_f32 v[24:25], v[18:19], v[26:27] neg_lo:[0,1] neg_hi:[0,1]
	s_nop 0
	v_sub_f32_e32 v4, v18, v24
	v_pk_add_f32 v[16:17], v[16:17], v[24:25] neg_lo:[0,1] neg_hi:[0,1]
	v_sub_f32_e32 v4, v26, v4
	v_add_f32_e32 v4, v16, v4
	v_add_f32_e32 v4, v4, v17
	;; [unrolled: 1-line block ×3, first 2 shown]
	v_cndmask_b32_e32 v72, v4, v30, vcc
.LBB111_46:                             ;   in Loop: Header=BB111_12 Depth=1
	s_or_b64 exec, exec, s[36:37]
	v_cvt_f32_f16_e32 v4, v5
	v_add_f32_e32 v73, s33, v4
	v_cmp_ge_f32_e32 vcc, s99, v73
	s_and_b64 s[2:3], s[76:77], vcc
	s_and_saveexec_b64 s[36:37], s[2:3]
	s_cbranch_execz .LBB111_48
; %bb.47:                               ;   in Loop: Header=BB111_12 Depth=1
	v_mul_f32_e32 v4, 0x3fb8aa3b, v73
	v_rndne_f32_e32 v15, v4
	v_sub_f32_e32 v16, v4, v15
	v_fma_f32 v4, v73, s38, -v4
	v_fmac_f32_e32 v4, 0x32a5705f, v73
	v_add_f32_e32 v4, v16, v4
	v_cvt_i32_f32_e32 v15, v15
	v_exp_f32_e32 v4, v4
	v_cmp_ngt_f32_e32 vcc, s39, v73
	v_ldexp_f32 v4, v4, v15
	s_nop 0
	v_cndmask_b32_e32 v4, 0, v4, vcc
	v_cmp_nlt_f32_e32 vcc, s40, v73
	s_nop 1
	v_cndmask_b32_e32 v30, v68, v4, vcc
	v_add_f32_e32 v4, 1.0, v30
	v_add_f32_e32 v15, -1.0, v4
	v_sub_f32_e32 v16, v15, v4
	v_add_f32_e32 v16, 1.0, v16
	v_sub_f32_e32 v15, v30, v15
	v_add_f32_e32 v15, v15, v16
	v_frexp_mant_f32_e32 v18, v4
	v_cvt_f64_f32_e32 v[16:17], v4
	v_frexp_exp_i32_f64_e32 v16, v[16:17]
	v_cmp_gt_f32_e32 vcc, s79, v18
	v_cmp_gt_f32_e64 s[2:3], s98, v30
	s_nop 0
	v_subbrev_co_u32_e32 v24, vcc, 0, v16, vcc
	v_sub_u32_e32 v16, 0, v24
	v_ldexp_f32 v4, v4, v16
	v_ldexp_f32 v15, v15, v16
	v_add_f32_e32 v16, -1.0, v4
	v_add_f32_e32 v17, 1.0, v16
	v_sub_f32_e32 v17, v4, v17
	v_add_f32_e32 v18, v15, v17
	v_add_f32_e32 v17, 1.0, v4
	v_add_f32_e32 v19, -1.0, v17
	v_sub_f32_e32 v4, v4, v19
	v_add_f32_e32 v4, v15, v4
	v_add_f32_e32 v15, v17, v4
	v_rcp_f32_e32 v25, v15
	v_sub_f32_e32 v17, v17, v15
	v_add_f32_e32 v4, v4, v17
	v_add_f32_e32 v17, v16, v18
	v_sub_f32_e32 v16, v16, v17
	v_mul_f32_e32 v27, v17, v25
	v_add_f32_e32 v26, v18, v16
	v_mul_f32_e32 v18, v15, v27
	v_fma_f32 v20, v27, v15, -v18
	v_fmac_f32_e32 v20, v27, v4
	v_add_f32_e32 v16, v18, v20
	v_sub_f32_e32 v19, v17, v16
	v_pk_add_f32 v[22:23], v[16:17], v[18:19] neg_lo:[0,1] neg_hi:[0,1]
	v_mov_b32_e32 v21, v16
	v_pk_add_f32 v[16:17], v[22:23], v[20:21] neg_lo:[0,1] neg_hi:[0,1]
	v_cmp_eq_f32_e32 vcc, s41, v30
	v_add_f32_e32 v17, v26, v17
	v_add_f32_e32 v16, v16, v17
	;; [unrolled: 1-line block ×3, first 2 shown]
	v_mul_f32_e32 v26, v25, v17
	v_mul_f32_e32 v18, v15, v26
	v_fma_f32 v20, v26, v15, -v18
	v_fmac_f32_e32 v20, v26, v4
	v_sub_f32_e32 v4, v19, v17
	v_add_f32_e32 v4, v16, v4
	v_add_f32_e32 v16, v18, v20
	v_sub_f32_e32 v19, v17, v16
	v_pk_add_f32 v[22:23], v[16:17], v[18:19] neg_lo:[0,1] neg_hi:[0,1]
	v_mov_b32_e32 v21, v16
	v_pk_add_f32 v[16:17], v[22:23], v[20:21] neg_lo:[0,1] neg_hi:[0,1]
	s_or_b64 vcc, s[2:3], vcc
	v_add_f32_e32 v4, v4, v17
	v_add_f32_e32 v4, v16, v4
	;; [unrolled: 1-line block ×4, first 2 shown]
	v_sub_f32_e32 v15, v17, v27
	v_mul_f32_e32 v4, v25, v4
	v_sub_f32_e32 v15, v26, v15
	v_add_f32_e32 v4, v15, v4
	v_add_f32_e32 v18, v17, v4
	v_cvt_f32_i32_e32 v16, v24
	v_mul_f32_e32 v20, v18, v18
	v_fmamk_f32 v15, v20, 0x3e9b6dac, v67
	v_sub_f32_e32 v17, v18, v17
	v_fmaak_f32 v15, v20, v15, 0x3f2aaada
	v_sub_f32_e32 v4, v4, v17
	v_mul_f32_e32 v17, v18, v20
	v_pk_mul_f32 v[20:21], v[16:17], v[14:15]
	v_ldexp_f32 v19, v18, 1
	v_fma_f32 v18, v16, s97, -v20
	v_fmac_f32_e32 v18, 0xb102e308, v16
	v_pk_add_f32 v[16:17], v[20:21], v[18:19]
	v_ldexp_f32 v4, v4, 1
	v_sub_f32_e32 v15, v17, v19
	v_sub_f32_e32 v15, v21, v15
	v_add_f32_e32 v23, v4, v15
	v_mov_b32_e32 v22, v20
	v_pk_add_f32 v[20:21], v[16:17], v[20:21] neg_lo:[0,1] neg_hi:[0,1]
	v_pk_add_f32 v[24:25], v[16:17], v[22:23]
	v_mov_b32_e32 v19, v16
	v_mov_b32_e32 v21, v25
	v_pk_add_f32 v[26:27], v[18:19], v[20:21] neg_lo:[0,1] neg_hi:[0,1]
	v_pk_add_f32 v[18:19], v[18:19], v[20:21]
	s_nop 0
	v_mov_b32_e32 v4, v19
	v_pk_add_f32 v[20:21], v[4:5], v[16:17] neg_lo:[0,1] neg_hi:[0,1]
	v_mov_b32_e32 v18, v25
	v_mov_b32_e32 v15, v20
	v_pk_add_f32 v[28:29], v[24:25], v[14:15] neg_lo:[0,1] neg_hi:[0,1]
	v_mov_b32_e32 v24, v17
	v_mov_b32_e32 v25, v20
	;; [unrolled: 1-line block ×3, first 2 shown]
	v_pk_add_f32 v[18:19], v[18:19], v[24:25] neg_lo:[0,1] neg_hi:[0,1]
	v_mov_b32_e32 v20, v23
	v_mov_b32_e32 v21, v16
	v_pk_add_f32 v[16:17], v[20:21], v[18:19] neg_lo:[0,1] neg_hi:[0,1]
	v_mov_b32_e32 v28, v26
	v_pk_add_f32 v[18:19], v[28:29], v[16:17]
	s_nop 0
	v_mov_b32_e32 v20, v19
	v_pk_add_f32 v[20:21], v[18:19], v[20:21]
	s_nop 0
	v_pk_add_f32 v[22:23], v[4:5], v[20:21]
	v_mov_b32_e32 v17, v20
	v_mov_b32_e32 v19, v22
	v_pk_add_f32 v[24:25], v[18:19], v[26:27] neg_lo:[0,1] neg_hi:[0,1]
	s_nop 0
	v_sub_f32_e32 v4, v18, v24
	v_pk_add_f32 v[16:17], v[16:17], v[24:25] neg_lo:[0,1] neg_hi:[0,1]
	v_sub_f32_e32 v4, v26, v4
	v_add_f32_e32 v4, v16, v4
	v_add_f32_e32 v4, v4, v17
	;; [unrolled: 1-line block ×3, first 2 shown]
	v_cndmask_b32_e32 v73, v4, v30, vcc
.LBB111_48:                             ;   in Loop: Header=BB111_12 Depth=1
	s_or_b64 exec, exec, s[36:37]
	v_cvt_f32_f16_sdwa v4, v5 dst_sel:DWORD dst_unused:UNUSED_PAD src0_sel:WORD_1
	v_add_f32_e32 v74, s33, v4
	v_cmp_ge_f32_e32 vcc, s99, v74
	s_and_b64 s[2:3], s[76:77], vcc
	s_and_saveexec_b64 s[36:37], s[2:3]
	s_cbranch_execz .LBB111_50
; %bb.49:                               ;   in Loop: Header=BB111_12 Depth=1
	v_mul_f32_e32 v4, 0x3fb8aa3b, v74
	v_rndne_f32_e32 v5, v4
	v_sub_f32_e32 v15, v4, v5
	v_fma_f32 v4, v74, s38, -v4
	v_fmac_f32_e32 v4, 0x32a5705f, v74
	v_add_f32_e32 v4, v15, v4
	v_cvt_i32_f32_e32 v5, v5
	v_exp_f32_e32 v4, v4
	v_cmp_ngt_f32_e32 vcc, s39, v74
	v_ldexp_f32 v4, v4, v5
	s_nop 0
	v_cndmask_b32_e32 v4, 0, v4, vcc
	v_cmp_nlt_f32_e32 vcc, s40, v74
	s_nop 1
	v_cndmask_b32_e32 v30, v68, v4, vcc
	v_add_f32_e32 v15, 1.0, v30
	v_add_f32_e32 v4, -1.0, v15
	v_sub_f32_e32 v5, v4, v15
	v_add_f32_e32 v5, 1.0, v5
	v_sub_f32_e32 v4, v30, v4
	v_add_f32_e32 v16, v4, v5
	v_frexp_mant_f32_e32 v17, v15
	v_cvt_f64_f32_e32 v[4:5], v15
	v_frexp_exp_i32_f64_e32 v4, v[4:5]
	v_cmp_gt_f32_e32 vcc, s79, v17
	v_cmp_gt_f32_e64 s[2:3], s98, v30
	s_nop 0
	v_subbrev_co_u32_e32 v22, vcc, 0, v4, vcc
	v_sub_u32_e32 v4, 0, v22
	v_ldexp_f32 v5, v15, v4
	v_add_f32_e32 v15, -1.0, v5
	v_add_f32_e32 v17, 1.0, v5
	v_ldexp_f32 v4, v16, v4
	v_add_f32_e32 v16, 1.0, v15
	v_add_f32_e32 v18, -1.0, v17
	v_sub_f32_e32 v16, v5, v16
	v_sub_f32_e32 v5, v5, v18
	v_add_f32_e32 v16, v4, v16
	v_add_f32_e32 v4, v4, v5
	;; [unrolled: 1-line block ×3, first 2 shown]
	v_rcp_f32_e32 v25, v23
	v_sub_f32_e32 v5, v17, v23
	v_add_f32_e32 v24, v4, v5
	v_add_f32_e32 v5, v15, v16
	v_sub_f32_e32 v4, v15, v5
	v_mul_f32_e32 v26, v5, v25
	v_add_f32_e32 v15, v16, v4
	v_mul_f32_e32 v16, v23, v26
	v_fma_f32 v18, v26, v23, -v16
	v_fmac_f32_e32 v18, v26, v24
	v_add_f32_e32 v4, v16, v18
	v_sub_f32_e32 v17, v5, v4
	v_pk_add_f32 v[20:21], v[4:5], v[16:17] neg_lo:[0,1] neg_hi:[0,1]
	v_mov_b32_e32 v19, v4
	v_pk_add_f32 v[4:5], v[20:21], v[18:19] neg_lo:[0,1] neg_hi:[0,1]
	v_cmp_eq_f32_e32 vcc, s41, v30
	v_add_f32_e32 v5, v15, v5
	v_add_f32_e32 v4, v4, v5
	;; [unrolled: 1-line block ×3, first 2 shown]
	v_mul_f32_e32 v15, v25, v5
	v_mul_f32_e32 v16, v23, v15
	v_fma_f32 v18, v15, v23, -v16
	v_fmac_f32_e32 v18, v15, v24
	v_sub_f32_e32 v17, v17, v5
	v_add_f32_e32 v23, v4, v17
	v_add_f32_e32 v4, v16, v18
	v_sub_f32_e32 v17, v5, v4
	v_pk_add_f32 v[20:21], v[4:5], v[16:17] neg_lo:[0,1] neg_hi:[0,1]
	v_mov_b32_e32 v19, v4
	v_pk_add_f32 v[4:5], v[20:21], v[18:19] neg_lo:[0,1] neg_hi:[0,1]
	s_or_b64 vcc, s[2:3], vcc
	v_add_f32_e32 v5, v23, v5
	v_add_f32_e32 v4, v4, v5
	;; [unrolled: 1-line block ×4, first 2 shown]
	v_sub_f32_e32 v16, v5, v26
	v_mul_f32_e32 v4, v25, v4
	v_sub_f32_e32 v15, v15, v16
	v_add_f32_e32 v16, v15, v4
	v_add_f32_e32 v18, v5, v16
	v_mul_f32_e32 v19, v18, v18
	v_fmamk_f32 v4, v19, 0x3e9b6dac, v67
	v_fmaak_f32 v15, v19, v4, 0x3f2aaada
	v_cvt_f32_i32_e32 v4, v22
	v_sub_f32_e32 v5, v18, v5
	v_sub_f32_e32 v5, v16, v5
	v_ldexp_f32 v20, v5, 1
	v_mul_f32_e32 v5, v18, v19
	v_ldexp_f32 v17, v18, 1
	v_pk_mul_f32 v[18:19], v[4:5], v[14:15]
	s_nop 0
	v_fma_f32 v16, v4, s97, -v18
	v_fmac_f32_e32 v16, 0xb102e308, v4
	v_pk_add_f32 v[4:5], v[18:19], v[16:17]
	s_nop 0
	v_sub_f32_e32 v15, v5, v17
	v_sub_f32_e32 v15, v19, v15
	v_add_f32_e32 v21, v20, v15
	v_mov_b32_e32 v20, v18
	v_pk_add_f32 v[18:19], v[4:5], v[18:19] neg_lo:[0,1] neg_hi:[0,1]
	v_pk_add_f32 v[22:23], v[4:5], v[20:21]
	v_mov_b32_e32 v17, v4
	v_mov_b32_e32 v19, v23
	v_pk_add_f32 v[24:25], v[16:17], v[18:19] neg_lo:[0,1] neg_hi:[0,1]
	v_pk_add_f32 v[16:17], v[16:17], v[18:19]
	v_mov_b32_e32 v20, v21
	v_mov_b32_e32 v18, v17
	v_pk_add_f32 v[26:27], v[18:19], v[4:5] neg_lo:[0,1] neg_hi:[0,1]
	v_mov_b32_e32 v16, v23
	v_mov_b32_e32 v15, v26
	v_pk_add_f32 v[28:29], v[22:23], v[14:15] neg_lo:[0,1] neg_hi:[0,1]
	v_mov_b32_e32 v22, v5
	v_mov_b32_e32 v23, v26
	v_mov_b32_e32 v25, v17
	v_pk_add_f32 v[16:17], v[16:17], v[22:23] neg_lo:[0,1] neg_hi:[0,1]
	v_mov_b32_e32 v21, v4
	v_pk_add_f32 v[4:5], v[20:21], v[16:17] neg_lo:[0,1] neg_hi:[0,1]
	v_mov_b32_e32 v28, v24
	v_pk_add_f32 v[16:17], v[28:29], v[4:5]
	s_nop 0
	v_mov_b32_e32 v20, v17
	v_pk_add_f32 v[20:21], v[16:17], v[20:21]
	s_nop 0
	v_pk_add_f32 v[18:19], v[18:19], v[20:21]
	v_mov_b32_e32 v5, v20
	v_mov_b32_e32 v17, v18
	v_pk_add_f32 v[22:23], v[16:17], v[24:25] neg_lo:[0,1] neg_hi:[0,1]
	s_nop 0
	v_sub_f32_e32 v15, v16, v22
	v_pk_add_f32 v[4:5], v[4:5], v[22:23] neg_lo:[0,1] neg_hi:[0,1]
	v_sub_f32_e32 v15, v24, v15
	v_add_f32_e32 v4, v4, v15
	v_add_f32_e32 v4, v4, v5
	;; [unrolled: 1-line block ×3, first 2 shown]
	v_cndmask_b32_e32 v74, v4, v30, vcc
.LBB111_50:                             ;   in Loop: Header=BB111_12 Depth=1
	s_or_b64 exec, exec, s[36:37]
	v_cvt_f32_f16_e32 v4, v6
	v_add_f32_e32 v75, s33, v4
	v_cmp_ge_f32_e32 vcc, s99, v75
	s_and_b64 s[2:3], s[76:77], vcc
	s_and_saveexec_b64 s[36:37], s[2:3]
	s_cbranch_execz .LBB111_52
; %bb.51:                               ;   in Loop: Header=BB111_12 Depth=1
	v_mul_f32_e32 v4, 0x3fb8aa3b, v75
	v_rndne_f32_e32 v5, v4
	v_sub_f32_e32 v15, v4, v5
	v_fma_f32 v4, v75, s38, -v4
	v_fmac_f32_e32 v4, 0x32a5705f, v75
	v_add_f32_e32 v4, v15, v4
	v_cvt_i32_f32_e32 v5, v5
	v_exp_f32_e32 v4, v4
	v_cmp_ngt_f32_e32 vcc, s39, v75
	v_ldexp_f32 v4, v4, v5
	s_nop 0
	v_cndmask_b32_e32 v4, 0, v4, vcc
	v_cmp_nlt_f32_e32 vcc, s40, v75
	s_nop 1
	v_cndmask_b32_e32 v30, v68, v4, vcc
	v_add_f32_e32 v15, 1.0, v30
	v_add_f32_e32 v4, -1.0, v15
	v_sub_f32_e32 v5, v4, v15
	v_add_f32_e32 v5, 1.0, v5
	v_sub_f32_e32 v4, v30, v4
	v_add_f32_e32 v16, v4, v5
	v_frexp_mant_f32_e32 v17, v15
	v_cvt_f64_f32_e32 v[4:5], v15
	v_frexp_exp_i32_f64_e32 v4, v[4:5]
	v_cmp_gt_f32_e32 vcc, s79, v17
	v_cmp_gt_f32_e64 s[2:3], s98, v30
	s_nop 0
	v_subbrev_co_u32_e32 v22, vcc, 0, v4, vcc
	v_sub_u32_e32 v4, 0, v22
	v_ldexp_f32 v5, v15, v4
	v_add_f32_e32 v15, -1.0, v5
	v_add_f32_e32 v17, 1.0, v5
	v_ldexp_f32 v4, v16, v4
	v_add_f32_e32 v16, 1.0, v15
	v_add_f32_e32 v18, -1.0, v17
	v_sub_f32_e32 v16, v5, v16
	v_sub_f32_e32 v5, v5, v18
	v_add_f32_e32 v16, v4, v16
	v_add_f32_e32 v4, v4, v5
	;; [unrolled: 1-line block ×3, first 2 shown]
	v_rcp_f32_e32 v25, v23
	v_sub_f32_e32 v5, v17, v23
	v_add_f32_e32 v24, v4, v5
	v_add_f32_e32 v5, v15, v16
	v_sub_f32_e32 v4, v15, v5
	v_mul_f32_e32 v26, v5, v25
	v_add_f32_e32 v15, v16, v4
	v_mul_f32_e32 v16, v23, v26
	v_fma_f32 v18, v26, v23, -v16
	v_fmac_f32_e32 v18, v26, v24
	v_add_f32_e32 v4, v16, v18
	v_sub_f32_e32 v17, v5, v4
	v_pk_add_f32 v[20:21], v[4:5], v[16:17] neg_lo:[0,1] neg_hi:[0,1]
	v_mov_b32_e32 v19, v4
	v_pk_add_f32 v[4:5], v[20:21], v[18:19] neg_lo:[0,1] neg_hi:[0,1]
	v_cmp_eq_f32_e32 vcc, s41, v30
	v_add_f32_e32 v5, v15, v5
	v_add_f32_e32 v4, v4, v5
	;; [unrolled: 1-line block ×3, first 2 shown]
	v_mul_f32_e32 v15, v25, v5
	v_mul_f32_e32 v16, v23, v15
	v_fma_f32 v18, v15, v23, -v16
	v_fmac_f32_e32 v18, v15, v24
	v_sub_f32_e32 v17, v17, v5
	v_add_f32_e32 v23, v4, v17
	v_add_f32_e32 v4, v16, v18
	v_sub_f32_e32 v17, v5, v4
	v_pk_add_f32 v[20:21], v[4:5], v[16:17] neg_lo:[0,1] neg_hi:[0,1]
	v_mov_b32_e32 v19, v4
	v_pk_add_f32 v[4:5], v[20:21], v[18:19] neg_lo:[0,1] neg_hi:[0,1]
	s_or_b64 vcc, s[2:3], vcc
	v_add_f32_e32 v5, v23, v5
	v_add_f32_e32 v4, v4, v5
	;; [unrolled: 1-line block ×4, first 2 shown]
	v_sub_f32_e32 v16, v5, v26
	v_mul_f32_e32 v4, v25, v4
	v_sub_f32_e32 v15, v15, v16
	v_add_f32_e32 v16, v15, v4
	v_add_f32_e32 v18, v5, v16
	v_mul_f32_e32 v19, v18, v18
	v_fmamk_f32 v4, v19, 0x3e9b6dac, v67
	v_fmaak_f32 v15, v19, v4, 0x3f2aaada
	v_cvt_f32_i32_e32 v4, v22
	v_sub_f32_e32 v5, v18, v5
	v_sub_f32_e32 v5, v16, v5
	v_ldexp_f32 v20, v5, 1
	v_mul_f32_e32 v5, v18, v19
	v_ldexp_f32 v17, v18, 1
	v_pk_mul_f32 v[18:19], v[4:5], v[14:15]
	s_nop 0
	v_fma_f32 v16, v4, s97, -v18
	v_fmac_f32_e32 v16, 0xb102e308, v4
	v_pk_add_f32 v[4:5], v[18:19], v[16:17]
	s_nop 0
	v_sub_f32_e32 v15, v5, v17
	v_sub_f32_e32 v15, v19, v15
	v_add_f32_e32 v21, v20, v15
	v_mov_b32_e32 v20, v18
	v_pk_add_f32 v[18:19], v[4:5], v[18:19] neg_lo:[0,1] neg_hi:[0,1]
	v_pk_add_f32 v[22:23], v[4:5], v[20:21]
	v_mov_b32_e32 v17, v4
	v_mov_b32_e32 v19, v23
	v_pk_add_f32 v[24:25], v[16:17], v[18:19] neg_lo:[0,1] neg_hi:[0,1]
	v_pk_add_f32 v[16:17], v[16:17], v[18:19]
	v_mov_b32_e32 v20, v21
	v_mov_b32_e32 v18, v17
	v_pk_add_f32 v[26:27], v[18:19], v[4:5] neg_lo:[0,1] neg_hi:[0,1]
	v_mov_b32_e32 v16, v23
	v_mov_b32_e32 v15, v26
	v_pk_add_f32 v[28:29], v[22:23], v[14:15] neg_lo:[0,1] neg_hi:[0,1]
	v_mov_b32_e32 v22, v5
	v_mov_b32_e32 v23, v26
	;; [unrolled: 1-line block ×3, first 2 shown]
	v_pk_add_f32 v[16:17], v[16:17], v[22:23] neg_lo:[0,1] neg_hi:[0,1]
	v_mov_b32_e32 v21, v4
	v_pk_add_f32 v[4:5], v[20:21], v[16:17] neg_lo:[0,1] neg_hi:[0,1]
	v_mov_b32_e32 v28, v24
	v_pk_add_f32 v[16:17], v[28:29], v[4:5]
	s_nop 0
	v_mov_b32_e32 v20, v17
	v_pk_add_f32 v[20:21], v[16:17], v[20:21]
	s_nop 0
	v_pk_add_f32 v[18:19], v[18:19], v[20:21]
	v_mov_b32_e32 v5, v20
	v_mov_b32_e32 v17, v18
	v_pk_add_f32 v[22:23], v[16:17], v[24:25] neg_lo:[0,1] neg_hi:[0,1]
	s_nop 0
	v_sub_f32_e32 v15, v16, v22
	v_pk_add_f32 v[4:5], v[4:5], v[22:23] neg_lo:[0,1] neg_hi:[0,1]
	v_sub_f32_e32 v15, v24, v15
	v_add_f32_e32 v4, v4, v15
	v_add_f32_e32 v4, v4, v5
	;; [unrolled: 1-line block ×3, first 2 shown]
	v_cndmask_b32_e32 v75, v4, v30, vcc
.LBB111_52:                             ;   in Loop: Header=BB111_12 Depth=1
	s_or_b64 exec, exec, s[36:37]
	v_cvt_f32_f16_sdwa v4, v6 dst_sel:DWORD dst_unused:UNUSED_PAD src0_sel:WORD_1
	v_add_f32_e32 v76, s33, v4
	v_cmp_ge_f32_e32 vcc, s99, v76
	s_and_b64 s[2:3], s[76:77], vcc
	s_and_saveexec_b64 s[36:37], s[2:3]
	s_cbranch_execz .LBB111_54
; %bb.53:                               ;   in Loop: Header=BB111_12 Depth=1
	v_mul_f32_e32 v4, 0x3fb8aa3b, v76
	v_rndne_f32_e32 v5, v4
	v_sub_f32_e32 v6, v4, v5
	v_fma_f32 v4, v76, s38, -v4
	v_fmac_f32_e32 v4, 0x32a5705f, v76
	v_add_f32_e32 v4, v6, v4
	v_cvt_i32_f32_e32 v5, v5
	v_exp_f32_e32 v4, v4
	v_cmp_ngt_f32_e32 vcc, s39, v76
	v_ldexp_f32 v4, v4, v5
	s_nop 0
	v_cndmask_b32_e32 v4, 0, v4, vcc
	v_cmp_nlt_f32_e32 vcc, s40, v76
	s_nop 1
	v_cndmask_b32_e32 v28, v68, v4, vcc
	v_add_f32_e32 v6, 1.0, v28
	v_add_f32_e32 v4, -1.0, v6
	v_sub_f32_e32 v5, v4, v6
	v_add_f32_e32 v5, 1.0, v5
	v_sub_f32_e32 v4, v28, v4
	v_add_f32_e32 v15, v4, v5
	v_frexp_mant_f32_e32 v16, v6
	v_cvt_f64_f32_e32 v[4:5], v6
	v_frexp_exp_i32_f64_e32 v4, v[4:5]
	v_cmp_gt_f32_e32 vcc, s79, v16
	v_cmp_gt_f32_e64 s[2:3], s98, v28
	s_nop 0
	v_subbrev_co_u32_e32 v22, vcc, 0, v4, vcc
	v_sub_u32_e32 v4, 0, v22
	v_ldexp_f32 v5, v6, v4
	v_add_f32_e32 v6, -1.0, v5
	v_add_f32_e32 v16, 1.0, v5
	v_ldexp_f32 v4, v15, v4
	v_add_f32_e32 v15, 1.0, v6
	v_add_f32_e32 v17, -1.0, v16
	v_sub_f32_e32 v15, v5, v15
	v_sub_f32_e32 v5, v5, v17
	v_add_f32_e32 v15, v4, v15
	v_add_f32_e32 v4, v4, v5
	;; [unrolled: 1-line block ×3, first 2 shown]
	v_rcp_f32_e32 v25, v23
	v_sub_f32_e32 v5, v16, v23
	v_add_f32_e32 v24, v4, v5
	v_add_f32_e32 v5, v6, v15
	v_sub_f32_e32 v4, v6, v5
	v_add_f32_e32 v6, v15, v4
	v_mul_f32_e32 v15, v5, v25
	v_mul_f32_e32 v16, v23, v15
	v_fma_f32 v18, v15, v23, -v16
	v_fmac_f32_e32 v18, v15, v24
	v_add_f32_e32 v4, v16, v18
	v_sub_f32_e32 v17, v5, v4
	v_pk_add_f32 v[20:21], v[4:5], v[16:17] neg_lo:[0,1] neg_hi:[0,1]
	v_mov_b32_e32 v19, v4
	v_pk_add_f32 v[4:5], v[20:21], v[18:19] neg_lo:[0,1] neg_hi:[0,1]
	v_cmp_eq_f32_e32 vcc, s41, v28
	v_add_f32_e32 v5, v6, v5
	v_add_f32_e32 v4, v4, v5
	;; [unrolled: 1-line block ×3, first 2 shown]
	v_mul_f32_e32 v6, v25, v5
	v_mul_f32_e32 v16, v23, v6
	v_fma_f32 v18, v6, v23, -v16
	v_fmac_f32_e32 v18, v6, v24
	v_sub_f32_e32 v17, v17, v5
	v_add_f32_e32 v23, v4, v17
	v_add_f32_e32 v4, v16, v18
	v_sub_f32_e32 v17, v5, v4
	v_pk_add_f32 v[20:21], v[4:5], v[16:17] neg_lo:[0,1] neg_hi:[0,1]
	v_mov_b32_e32 v19, v4
	v_pk_add_f32 v[4:5], v[20:21], v[18:19] neg_lo:[0,1] neg_hi:[0,1]
	s_or_b64 vcc, s[2:3], vcc
	v_add_f32_e32 v5, v23, v5
	v_add_f32_e32 v4, v4, v5
	;; [unrolled: 1-line block ×4, first 2 shown]
	v_sub_f32_e32 v15, v5, v15
	v_mul_f32_e32 v4, v25, v4
	v_sub_f32_e32 v6, v6, v15
	v_add_f32_e32 v6, v6, v4
	v_add_f32_e32 v16, v5, v6
	v_mul_f32_e32 v18, v16, v16
	v_fmamk_f32 v4, v18, 0x3e9b6dac, v67
	v_fmaak_f32 v15, v18, v4, 0x3f2aaada
	v_cvt_f32_i32_e32 v4, v22
	v_sub_f32_e32 v5, v16, v5
	v_sub_f32_e32 v5, v6, v5
	v_ldexp_f32 v6, v5, 1
	v_mul_f32_e32 v5, v16, v18
	v_pk_mul_f32 v[18:19], v[4:5], v[14:15]
	v_ldexp_f32 v17, v16, 1
	v_fma_f32 v16, v4, s97, -v18
	v_fmac_f32_e32 v16, 0xb102e308, v4
	v_pk_add_f32 v[4:5], v[18:19], v[16:17]
	v_mov_b32_e32 v20, v18
	v_sub_f32_e32 v15, v5, v17
	v_sub_f32_e32 v15, v19, v15
	v_add_f32_e32 v21, v6, v15
	v_pk_add_f32 v[18:19], v[4:5], v[18:19] neg_lo:[0,1] neg_hi:[0,1]
	v_pk_add_f32 v[22:23], v[4:5], v[20:21]
	v_mov_b32_e32 v17, v4
	v_mov_b32_e32 v19, v23
	v_pk_add_f32 v[24:25], v[16:17], v[18:19] neg_lo:[0,1] neg_hi:[0,1]
	v_pk_add_f32 v[16:17], v[16:17], v[18:19]
	s_nop 0
	v_mov_b32_e32 v6, v17
	v_pk_add_f32 v[18:19], v[6:7], v[4:5] neg_lo:[0,1] neg_hi:[0,1]
	v_mov_b32_e32 v16, v23
	v_mov_b32_e32 v15, v18
	v_pk_add_f32 v[26:27], v[22:23], v[14:15] neg_lo:[0,1] neg_hi:[0,1]
	v_mov_b32_e32 v22, v5
	v_mov_b32_e32 v23, v18
	v_mov_b32_e32 v25, v17
	v_pk_add_f32 v[16:17], v[16:17], v[22:23] neg_lo:[0,1] neg_hi:[0,1]
	v_mov_b32_e32 v18, v21
	v_mov_b32_e32 v19, v4
	v_pk_add_f32 v[4:5], v[18:19], v[16:17] neg_lo:[0,1] neg_hi:[0,1]
	v_mov_b32_e32 v26, v24
	v_pk_add_f32 v[16:17], v[26:27], v[4:5]
	s_nop 0
	v_mov_b32_e32 v18, v17
	v_pk_add_f32 v[18:19], v[16:17], v[18:19]
	s_nop 0
	v_pk_add_f32 v[20:21], v[6:7], v[18:19]
	v_mov_b32_e32 v5, v18
	v_mov_b32_e32 v17, v20
	v_pk_add_f32 v[22:23], v[16:17], v[24:25] neg_lo:[0,1] neg_hi:[0,1]
	s_nop 0
	v_sub_f32_e32 v6, v16, v22
	v_pk_add_f32 v[4:5], v[4:5], v[22:23] neg_lo:[0,1] neg_hi:[0,1]
	v_sub_f32_e32 v6, v24, v6
	v_add_f32_e32 v4, v4, v6
	v_add_f32_e32 v4, v4, v5
	;; [unrolled: 1-line block ×3, first 2 shown]
	v_cndmask_b32_e32 v76, v4, v28, vcc
.LBB111_54:                             ;   in Loop: Header=BB111_12 Depth=1
	s_or_b64 exec, exec, s[36:37]
	v_cvt_f32_f16_e32 v4, v7
	v_add_f32_e32 v77, s33, v4
	v_cmp_ge_f32_e32 vcc, s99, v77
	s_and_b64 s[2:3], s[76:77], vcc
	s_and_saveexec_b64 s[36:37], s[2:3]
	s_cbranch_execz .LBB111_56
; %bb.55:                               ;   in Loop: Header=BB111_12 Depth=1
	v_mul_f32_e32 v4, 0x3fb8aa3b, v77
	v_rndne_f32_e32 v5, v4
	v_sub_f32_e32 v6, v4, v5
	v_fma_f32 v4, v77, s38, -v4
	v_fmac_f32_e32 v4, 0x32a5705f, v77
	v_add_f32_e32 v4, v6, v4
	v_cvt_i32_f32_e32 v5, v5
	v_exp_f32_e32 v4, v4
	v_cmp_ngt_f32_e32 vcc, s39, v77
	v_ldexp_f32 v4, v4, v5
	s_nop 0
	v_cndmask_b32_e32 v4, 0, v4, vcc
	v_cmp_nlt_f32_e32 vcc, s40, v77
	s_nop 1
	v_cndmask_b32_e32 v28, v68, v4, vcc
	v_add_f32_e32 v6, 1.0, v28
	v_add_f32_e32 v4, -1.0, v6
	v_sub_f32_e32 v5, v4, v6
	v_add_f32_e32 v5, 1.0, v5
	v_sub_f32_e32 v4, v28, v4
	v_add_f32_e32 v15, v4, v5
	v_frexp_mant_f32_e32 v16, v6
	v_cvt_f64_f32_e32 v[4:5], v6
	v_frexp_exp_i32_f64_e32 v4, v[4:5]
	v_cmp_gt_f32_e32 vcc, s79, v16
	v_cmp_gt_f32_e64 s[2:3], s98, v28
	s_nop 0
	v_subbrev_co_u32_e32 v22, vcc, 0, v4, vcc
	v_sub_u32_e32 v4, 0, v22
	v_ldexp_f32 v5, v6, v4
	v_add_f32_e32 v6, -1.0, v5
	v_add_f32_e32 v16, 1.0, v5
	v_ldexp_f32 v4, v15, v4
	v_add_f32_e32 v15, 1.0, v6
	v_add_f32_e32 v17, -1.0, v16
	v_sub_f32_e32 v15, v5, v15
	v_sub_f32_e32 v5, v5, v17
	v_add_f32_e32 v15, v4, v15
	v_add_f32_e32 v4, v4, v5
	;; [unrolled: 1-line block ×3, first 2 shown]
	v_rcp_f32_e32 v25, v23
	v_sub_f32_e32 v5, v16, v23
	v_add_f32_e32 v24, v4, v5
	v_add_f32_e32 v5, v6, v15
	v_sub_f32_e32 v4, v6, v5
	v_add_f32_e32 v6, v15, v4
	v_mul_f32_e32 v15, v5, v25
	v_mul_f32_e32 v16, v23, v15
	v_fma_f32 v18, v15, v23, -v16
	v_fmac_f32_e32 v18, v15, v24
	v_add_f32_e32 v4, v16, v18
	v_sub_f32_e32 v17, v5, v4
	v_pk_add_f32 v[20:21], v[4:5], v[16:17] neg_lo:[0,1] neg_hi:[0,1]
	v_mov_b32_e32 v19, v4
	v_pk_add_f32 v[4:5], v[20:21], v[18:19] neg_lo:[0,1] neg_hi:[0,1]
	v_cmp_eq_f32_e32 vcc, s41, v28
	v_add_f32_e32 v5, v6, v5
	v_add_f32_e32 v4, v4, v5
	;; [unrolled: 1-line block ×3, first 2 shown]
	v_mul_f32_e32 v6, v25, v5
	v_mul_f32_e32 v16, v23, v6
	v_fma_f32 v18, v6, v23, -v16
	v_fmac_f32_e32 v18, v6, v24
	v_sub_f32_e32 v17, v17, v5
	v_add_f32_e32 v23, v4, v17
	v_add_f32_e32 v4, v16, v18
	v_sub_f32_e32 v17, v5, v4
	v_pk_add_f32 v[20:21], v[4:5], v[16:17] neg_lo:[0,1] neg_hi:[0,1]
	v_mov_b32_e32 v19, v4
	v_pk_add_f32 v[4:5], v[20:21], v[18:19] neg_lo:[0,1] neg_hi:[0,1]
	s_or_b64 vcc, s[2:3], vcc
	v_add_f32_e32 v5, v23, v5
	v_add_f32_e32 v4, v4, v5
	v_add_f32_e32 v5, v15, v6
	v_add_f32_e32 v4, v17, v4
	v_sub_f32_e32 v15, v5, v15
	v_mul_f32_e32 v4, v25, v4
	v_sub_f32_e32 v6, v6, v15
	v_add_f32_e32 v6, v6, v4
	v_add_f32_e32 v16, v5, v6
	v_mul_f32_e32 v18, v16, v16
	v_fmamk_f32 v4, v18, 0x3e9b6dac, v67
	v_fmaak_f32 v15, v18, v4, 0x3f2aaada
	v_cvt_f32_i32_e32 v4, v22
	v_sub_f32_e32 v5, v16, v5
	v_sub_f32_e32 v5, v6, v5
	v_ldexp_f32 v6, v5, 1
	v_mul_f32_e32 v5, v16, v18
	v_pk_mul_f32 v[18:19], v[4:5], v[14:15]
	v_ldexp_f32 v17, v16, 1
	v_fma_f32 v16, v4, s97, -v18
	v_fmac_f32_e32 v16, 0xb102e308, v4
	v_pk_add_f32 v[4:5], v[18:19], v[16:17]
	v_mov_b32_e32 v20, v18
	v_sub_f32_e32 v15, v5, v17
	v_sub_f32_e32 v15, v19, v15
	v_add_f32_e32 v21, v6, v15
	v_pk_add_f32 v[18:19], v[4:5], v[18:19] neg_lo:[0,1] neg_hi:[0,1]
	v_pk_add_f32 v[22:23], v[4:5], v[20:21]
	v_mov_b32_e32 v17, v4
	v_mov_b32_e32 v19, v23
	v_pk_add_f32 v[24:25], v[16:17], v[18:19] neg_lo:[0,1] neg_hi:[0,1]
	v_pk_add_f32 v[16:17], v[16:17], v[18:19]
	s_nop 0
	v_mov_b32_e32 v6, v17
	v_pk_add_f32 v[18:19], v[6:7], v[4:5] neg_lo:[0,1] neg_hi:[0,1]
	v_mov_b32_e32 v16, v23
	v_mov_b32_e32 v15, v18
	v_pk_add_f32 v[26:27], v[22:23], v[14:15] neg_lo:[0,1] neg_hi:[0,1]
	v_mov_b32_e32 v22, v5
	v_mov_b32_e32 v23, v18
	;; [unrolled: 1-line block ×3, first 2 shown]
	v_pk_add_f32 v[16:17], v[16:17], v[22:23] neg_lo:[0,1] neg_hi:[0,1]
	v_mov_b32_e32 v18, v21
	v_mov_b32_e32 v19, v4
	v_pk_add_f32 v[4:5], v[18:19], v[16:17] neg_lo:[0,1] neg_hi:[0,1]
	v_mov_b32_e32 v26, v24
	v_pk_add_f32 v[16:17], v[26:27], v[4:5]
	s_nop 0
	v_mov_b32_e32 v18, v17
	v_pk_add_f32 v[18:19], v[16:17], v[18:19]
	s_nop 0
	v_pk_add_f32 v[20:21], v[6:7], v[18:19]
	v_mov_b32_e32 v5, v18
	v_mov_b32_e32 v17, v20
	v_pk_add_f32 v[22:23], v[16:17], v[24:25] neg_lo:[0,1] neg_hi:[0,1]
	s_nop 0
	v_sub_f32_e32 v6, v16, v22
	v_pk_add_f32 v[4:5], v[4:5], v[22:23] neg_lo:[0,1] neg_hi:[0,1]
	v_sub_f32_e32 v6, v24, v6
	v_add_f32_e32 v4, v4, v6
	v_add_f32_e32 v4, v4, v5
	;; [unrolled: 1-line block ×3, first 2 shown]
	v_cndmask_b32_e32 v77, v4, v28, vcc
.LBB111_56:                             ;   in Loop: Header=BB111_12 Depth=1
	s_or_b64 exec, exec, s[36:37]
	v_cvt_f32_f16_sdwa v4, v7 dst_sel:DWORD dst_unused:UNUSED_PAD src0_sel:WORD_1
	v_add_f32_e32 v15, s33, v4
	v_cmp_ge_f32_e32 vcc, s99, v15
	s_and_b64 s[2:3], s[76:77], vcc
	s_and_saveexec_b64 s[36:37], s[2:3]
	s_cbranch_execz .LBB111_58
; %bb.57:                               ;   in Loop: Header=BB111_12 Depth=1
	v_mul_f32_e32 v4, 0x3fb8aa3b, v15
	v_rndne_f32_e32 v5, v4
	v_sub_f32_e32 v6, v4, v5
	v_fma_f32 v4, v15, s38, -v4
	v_fmac_f32_e32 v4, 0x32a5705f, v15
	v_add_f32_e32 v4, v6, v4
	v_cvt_i32_f32_e32 v5, v5
	v_exp_f32_e32 v4, v4
	v_cmp_ngt_f32_e32 vcc, s39, v15
	v_ldexp_f32 v4, v4, v5
	s_nop 0
	v_cndmask_b32_e32 v4, 0, v4, vcc
	v_cmp_nlt_f32_e32 vcc, s40, v15
	s_nop 1
	v_cndmask_b32_e32 v28, v68, v4, vcc
	v_add_f32_e32 v6, 1.0, v28
	v_add_f32_e32 v4, -1.0, v6
	v_sub_f32_e32 v5, v4, v6
	v_add_f32_e32 v5, 1.0, v5
	v_sub_f32_e32 v4, v28, v4
	v_add_f32_e32 v7, v4, v5
	v_frexp_mant_f32_e32 v15, v6
	v_cvt_f64_f32_e32 v[4:5], v6
	v_frexp_exp_i32_f64_e32 v4, v[4:5]
	v_cmp_gt_f32_e32 vcc, s79, v15
	v_cmp_gt_f32_e64 s[2:3], s98, v28
	s_nop 0
	v_subbrev_co_u32_e32 v20, vcc, 0, v4, vcc
	v_sub_u32_e32 v4, 0, v20
	v_ldexp_f32 v5, v6, v4
	v_add_f32_e32 v6, -1.0, v5
	v_add_f32_e32 v15, 1.0, v5
	v_ldexp_f32 v4, v7, v4
	v_add_f32_e32 v7, 1.0, v6
	v_add_f32_e32 v16, -1.0, v15
	v_sub_f32_e32 v7, v5, v7
	v_sub_f32_e32 v5, v5, v16
	v_add_f32_e32 v7, v4, v7
	v_add_f32_e32 v4, v4, v5
	;; [unrolled: 1-line block ×3, first 2 shown]
	v_rcp_f32_e32 v22, v21
	v_sub_f32_e32 v5, v15, v21
	v_add_f32_e32 v15, v4, v5
	v_add_f32_e32 v5, v6, v7
	v_mul_f32_e32 v24, v5, v22
	v_sub_f32_e32 v4, v6, v5
	v_mul_f32_e32 v6, v21, v24
	v_fma_f32 v16, v24, v21, -v6
	v_fmac_f32_e32 v16, v24, v15
	v_add_f32_e32 v23, v7, v4
	v_add_f32_e32 v4, v6, v16
	v_sub_f32_e32 v7, v5, v4
	v_pk_add_f32 v[18:19], v[4:5], v[6:7] neg_lo:[0,1] neg_hi:[0,1]
	v_mov_b32_e32 v17, v4
	v_pk_add_f32 v[4:5], v[18:19], v[16:17] neg_lo:[0,1] neg_hi:[0,1]
	v_cmp_eq_f32_e32 vcc, s41, v28
	v_add_f32_e32 v5, v23, v5
	v_add_f32_e32 v4, v4, v5
	v_add_f32_e32 v5, v7, v4
	v_mul_f32_e32 v23, v22, v5
	v_mul_f32_e32 v6, v21, v23
	v_fma_f32 v16, v23, v21, -v6
	v_fmac_f32_e32 v16, v23, v15
	v_sub_f32_e32 v7, v7, v5
	v_add_f32_e32 v15, v4, v7
	v_add_f32_e32 v4, v6, v16
	v_sub_f32_e32 v7, v5, v4
	v_pk_add_f32 v[18:19], v[4:5], v[6:7] neg_lo:[0,1] neg_hi:[0,1]
	v_mov_b32_e32 v17, v4
	v_pk_add_f32 v[4:5], v[18:19], v[16:17] neg_lo:[0,1] neg_hi:[0,1]
	s_or_b64 vcc, s[2:3], vcc
	v_add_f32_e32 v5, v15, v5
	v_add_f32_e32 v4, v4, v5
	;; [unrolled: 1-line block ×4, first 2 shown]
	v_sub_f32_e32 v6, v5, v24
	v_mul_f32_e32 v4, v22, v4
	v_sub_f32_e32 v6, v23, v6
	v_add_f32_e32 v6, v6, v4
	v_add_f32_e32 v16, v5, v6
	v_mul_f32_e32 v17, v16, v16
	v_fmamk_f32 v4, v17, 0x3e9b6dac, v67
	v_fmaak_f32 v15, v17, v4, 0x3f2aaada
	v_cvt_f32_i32_e32 v4, v20
	v_sub_f32_e32 v5, v16, v5
	v_sub_f32_e32 v5, v6, v5
	v_ldexp_f32 v18, v5, 1
	v_mul_f32_e32 v5, v16, v17
	v_ldexp_f32 v7, v16, 1
	v_pk_mul_f32 v[16:17], v[4:5], v[14:15]
	s_nop 0
	v_fma_f32 v6, v4, s97, -v16
	v_fmac_f32_e32 v6, 0xb102e308, v4
	v_pk_add_f32 v[4:5], v[16:17], v[6:7]
	s_nop 0
	v_sub_f32_e32 v7, v5, v7
	v_sub_f32_e32 v7, v17, v7
	v_add_f32_e32 v19, v18, v7
	v_mov_b32_e32 v18, v16
	v_pk_add_f32 v[16:17], v[4:5], v[16:17] neg_lo:[0,1] neg_hi:[0,1]
	v_pk_add_f32 v[20:21], v[4:5], v[18:19]
	v_mov_b32_e32 v7, v4
	v_mov_b32_e32 v17, v21
	v_pk_add_f32 v[22:23], v[6:7], v[16:17] neg_lo:[0,1] neg_hi:[0,1]
	v_pk_add_f32 v[6:7], v[6:7], v[16:17]
	v_mov_b32_e32 v18, v19
	v_mov_b32_e32 v16, v7
	v_pk_add_f32 v[24:25], v[16:17], v[4:5] neg_lo:[0,1] neg_hi:[0,1]
	v_mov_b32_e32 v6, v21
	v_mov_b32_e32 v15, v24
	v_pk_add_f32 v[26:27], v[20:21], v[14:15] neg_lo:[0,1] neg_hi:[0,1]
	v_mov_b32_e32 v20, v5
	v_mov_b32_e32 v21, v24
	;; [unrolled: 1-line block ×3, first 2 shown]
	v_pk_add_f32 v[6:7], v[6:7], v[20:21] neg_lo:[0,1] neg_hi:[0,1]
	v_mov_b32_e32 v19, v4
	v_pk_add_f32 v[4:5], v[18:19], v[6:7] neg_lo:[0,1] neg_hi:[0,1]
	v_mov_b32_e32 v26, v22
	v_pk_add_f32 v[6:7], v[26:27], v[4:5]
	s_nop 0
	v_mov_b32_e32 v18, v7
	v_pk_add_f32 v[18:19], v[6:7], v[18:19]
	s_nop 0
	v_pk_add_f32 v[16:17], v[16:17], v[18:19]
	v_mov_b32_e32 v5, v18
	v_mov_b32_e32 v7, v16
	v_pk_add_f32 v[20:21], v[6:7], v[22:23] neg_lo:[0,1] neg_hi:[0,1]
	s_nop 0
	v_sub_f32_e32 v6, v6, v20
	v_pk_add_f32 v[4:5], v[4:5], v[20:21] neg_lo:[0,1] neg_hi:[0,1]
	v_sub_f32_e32 v6, v22, v6
	v_add_f32_e32 v4, v4, v6
	v_add_f32_e32 v4, v4, v5
	;; [unrolled: 1-line block ×3, first 2 shown]
	v_cndmask_b32_e32 v15, v4, v28, vcc
.LBB111_58:                             ;   in Loop: Header=BB111_12 Depth=1
	s_or_b64 exec, exec, s[36:37]
	v_cvt_f32_f16_e32 v4, v3
	v_cvt_f32_f16_sdwa v5, v2 dst_sel:DWORD dst_unused:UNUSED_PAD src0_sel:WORD_1
	v_cvt_f32_f16_e32 v2, v2
	v_cvt_f32_f16_sdwa v7, v3 dst_sel:DWORD dst_unused:UNUSED_PAD src0_sel:WORD_1
	v_cvt_f32_f16_sdwa v3, v1 dst_sel:DWORD dst_unused:UNUSED_PAD src0_sel:WORD_1
	v_cvt_f32_f16_e32 v1, v1
	v_cvt_f32_f16_sdwa v6, v0 dst_sel:DWORD dst_unused:UNUSED_PAD src0_sel:WORD_1
	v_cvt_f32_f16_e32 v0, v0
	v_readlane_b32 s2, v95, 0
	v_readlane_b32 s3, v95, 1
	v_mul_f32_e32 v18, s96, v4
	v_mul_f32_e32 v17, s96, v5
	;; [unrolled: 1-line block ×8, first 2 shown]
	s_and_b64 vcc, exec, s[2:3]
	s_waitcnt lgkmcnt(0)
	; wave barrier
	s_cbranch_vccz .LBB111_119
; %bb.59:                               ;   in Loop: Header=BB111_12 Depth=1
	s_cmp_lg_u32 s71, 0
	v_readlane_b32 s36, v95, 5
	v_mul_f32_e32 v85, v71, v0
	s_cselect_b64 s[2:3], -1, 0
	s_cmp_eq_u32 s71, s36
	v_cmp_gt_u32_e32 vcc, s50, v11
	v_or_b32_e32 v0, 1, v11
	s_cselect_b64 s[84:85], -1, 0
	s_or_b64 s[36:37], s[80:81], vcc
	v_cmp_gt_u32_e32 vcc, s50, v0
	v_or_b32_e32 v0, 2, v11
	s_or_b64 s[38:39], s[80:81], vcc
	v_cmp_gt_u32_e32 vcc, s50, v0
	s_or_b64 s[40:41], s[80:81], vcc
	v_cmp_gt_u32_e32 vcc, s50, v62
	;; [unrolled: 2-line block ×5, first 2 shown]
	v_readlane_b32 s92, v95, 2
	s_mov_b32 s72, 0
	s_or_b64 s[48:49], s[80:81], vcc
	v_cmp_gt_u32_e32 vcc, s50, v66
	v_readlane_b32 s93, v95, 3
	v_mul_f32_e32 v78, v15, v7
	v_lshl_add_u64 v[24:25], s[58:59], 0, v[8:9]
	v_lshl_add_u64 v[26:27], s[62:63], 0, v[8:9]
	v_mul_f32_e32 v79, v77, v4
	v_mul_f32_e32 v80, v76, v5
	;; [unrolled: 1-line block ×6, first 2 shown]
	s_or_b64 s[50:51], s[80:81], vcc
	s_mov_b32 s86, s72
	s_mov_b32 s88, s72
	;; [unrolled: 1-line block ×4, first 2 shown]
	v_readlane_b32 s78, v95, 6
	s_branch .LBB111_61
.LBB111_60:                             ;   in Loop: Header=BB111_61 Depth=2
	s_or_b64 exec, exec, s[92:93]
	v_mul_f32_e32 v28, v86, v94
	v_fma_f32 v29, v86, v60, v4
	v_cndmask_b32_e64 v4, v29, v4, s[16:17]
	v_cndmask_b32_e64 v28, v28, v86, s[16:17]
	s_waitcnt lgkmcnt(0)
	v_fmac_f32_e32 v4, v34, v28
	v_fmac_f32_e32 v5, v4, v87
	;; [unrolled: 1-line block ×5, first 2 shown]
	v_cvt_f32_f16_sdwa v29, v0 dst_sel:DWORD dst_unused:UNUSED_PAD src0_sel:WORD_1
	v_cvt_f32_f16_sdwa v35, v1 dst_sel:DWORD dst_unused:UNUSED_PAD src0_sel:WORD_1
	v_cvt_f32_f16_e32 v28, v0
	v_cvt_f32_f16_e32 v34, v1
	v_cvt_f32_f16_sdwa v1, v2 dst_sel:DWORD dst_unused:UNUSED_PAD src0_sel:WORD_1
	v_cvt_f32_f16_sdwa v87, v3 dst_sel:DWORD dst_unused:UNUSED_PAD src0_sel:WORD_1
	v_cvt_f32_f16_e32 v86, v3
	v_cvt_f32_f16_e32 v0, v2
	v_fmac_f32_e32 v7, v6, v91
	v_fmac_f32_e32 v32, v7, v92
	;; [unrolled: 1-line block ×3, first 2 shown]
	s_add_i32 s78, s78, 8
	s_add_i32 s83, s83, -1
	s_add_i32 s90, s90, s54
	s_add_i32 s88, s88, s64
	;; [unrolled: 1-line block ×4, first 2 shown]
	v_pk_fma_f32 v[20:21], v[30:31], v[34:35], v[20:21]
	v_pk_fma_f32 v[22:23], v[4:5], v[28:29], v[22:23]
	v_pk_fma_f32 v[18:19], v[32:33], v[86:87], v[18:19]
	s_cmp_eq_u32 s83, 0
	v_pk_fma_f32 v[16:17], v[6:7], v[0:1], v[16:17]
	s_cbranch_scc1 .LBB111_118
.LBB111_61:                             ;   Parent Loop BB111_12 Depth=1
                                        ; =>  This Inner Loop Header: Depth=2
	s_lshl_b64 s[92:93], s[72:73], 2
	s_add_u32 s92, s55, s92
	s_addc_u32 s93, s56, s93
	global_load_dword v30, v9, s[92:93]
	s_mov_b32 s87, s73
	v_lshl_add_u64 v[0:1], s[86:87], 1, v[24:25]
	v_mov_b32_e32 v2, 0
	v_mov_b32_e32 v3, 0
	s_and_saveexec_b64 s[92:93], s[18:19]
	s_cbranch_execnz .LBB111_81
; %bb.62:                               ;   in Loop: Header=BB111_61 Depth=2
	s_or_b64 exec, exec, s[92:93]
	s_and_saveexec_b64 s[92:93], s[20:21]
	s_cbranch_execnz .LBB111_82
.LBB111_63:                             ;   in Loop: Header=BB111_61 Depth=2
	s_or_b64 exec, exec, s[92:93]
	v_mov_b32_e32 v4, 0
	s_and_saveexec_b64 s[92:93], s[22:23]
	s_cbranch_execnz .LBB111_83
.LBB111_64:                             ;   in Loop: Header=BB111_61 Depth=2
	s_or_b64 exec, exec, s[92:93]
	s_and_saveexec_b64 s[92:93], s[24:25]
	s_cbranch_execnz .LBB111_84
.LBB111_65:                             ;   in Loop: Header=BB111_61 Depth=2
	s_or_b64 exec, exec, s[92:93]
	v_mov_b32_e32 v5, 0
	s_and_saveexec_b64 s[92:93], s[26:27]
	s_cbranch_execnz .LBB111_85
.LBB111_66:                             ;   in Loop: Header=BB111_61 Depth=2
	s_or_b64 exec, exec, s[92:93]
	s_and_saveexec_b64 s[92:93], s[28:29]
	s_cbranch_execnz .LBB111_86
.LBB111_67:                             ;   in Loop: Header=BB111_61 Depth=2
	s_or_b64 exec, exec, s[92:93]
	v_mov_b32_e32 v6, 0
	s_and_saveexec_b64 s[92:93], s[30:31]
	s_cbranch_execnz .LBB111_87
.LBB111_68:                             ;   in Loop: Header=BB111_61 Depth=2
	s_or_b64 exec, exec, s[92:93]
	s_and_saveexec_b64 s[92:93], s[34:35]
	s_cbranch_execz .LBB111_70
.LBB111_69:                             ;   in Loop: Header=BB111_61 Depth=2
	global_load_ushort v0, v[0:1], off offset:896
	s_waitcnt vmcnt(0)
	v_lshl_or_b32 v6, v0, 16, v6
.LBB111_70:                             ;   in Loop: Header=BB111_61 Depth=2
	s_or_b64 exec, exec, s[92:93]
	s_waitcnt vmcnt(0)
	ds_write_b16 v43, v3
	ds_write_b16 v44, v2 offset:128
	ds_write_b16 v45, v4 offset:256
	ds_write_b16_d16_hi v46, v4 offset:384
	ds_write_b16 v47, v5 offset:512
	ds_write_b16_d16_hi v48, v5 offset:640
	;; [unrolled: 2-line block ×3, first 2 shown]
	; wave barrier
	ds_read_b128 v[4:7], v51
	s_mov_b32 s89, s73
	v_lshl_add_u64 v[0:1], s[88:89], 1, v[26:27]
	v_mov_b32_e32 v2, 0
	v_mov_b32_e32 v3, 0
	s_and_saveexec_b64 s[92:93], s[18:19]
	s_cbranch_execnz .LBB111_88
; %bb.71:                               ;   in Loop: Header=BB111_61 Depth=2
	s_or_b64 exec, exec, s[92:93]
	s_and_saveexec_b64 s[92:93], s[20:21]
	s_cbranch_execnz .LBB111_89
.LBB111_72:                             ;   in Loop: Header=BB111_61 Depth=2
	s_or_b64 exec, exec, s[92:93]
	v_mov_b32_e32 v28, 0
	s_and_saveexec_b64 s[92:93], s[22:23]
	s_cbranch_execnz .LBB111_90
.LBB111_73:                             ;   in Loop: Header=BB111_61 Depth=2
	s_or_b64 exec, exec, s[92:93]
	s_and_saveexec_b64 s[92:93], s[24:25]
	s_cbranch_execnz .LBB111_91
.LBB111_74:                             ;   in Loop: Header=BB111_61 Depth=2
	s_or_b64 exec, exec, s[92:93]
	v_mov_b32_e32 v29, 0
	s_and_saveexec_b64 s[92:93], s[26:27]
	s_cbranch_execnz .LBB111_92
.LBB111_75:                             ;   in Loop: Header=BB111_61 Depth=2
	s_or_b64 exec, exec, s[92:93]
	s_and_saveexec_b64 s[92:93], s[28:29]
	s_cbranch_execnz .LBB111_93
.LBB111_76:                             ;   in Loop: Header=BB111_61 Depth=2
	s_or_b64 exec, exec, s[92:93]
	v_mov_b32_e32 v31, 0
	s_and_saveexec_b64 s[92:93], s[30:31]
	s_cbranch_execnz .LBB111_94
.LBB111_77:                             ;   in Loop: Header=BB111_61 Depth=2
	s_or_b64 exec, exec, s[92:93]
	s_and_saveexec_b64 s[92:93], s[34:35]
	s_cbranch_execz .LBB111_79
.LBB111_78:                             ;   in Loop: Header=BB111_61 Depth=2
	global_load_ushort v0, v[0:1], off offset:896
	s_waitcnt vmcnt(0)
	v_lshl_or_b32 v31, v0, 16, v31
.LBB111_79:                             ;   in Loop: Header=BB111_61 Depth=2
	s_or_b64 exec, exec, s[92:93]
	s_waitcnt vmcnt(0)
	ds_write_b16 v43, v3 offset:1056
	ds_write_b16 v52, v2 offset:128
	;; [unrolled: 1-line block ×3, first 2 shown]
	ds_write_b16_d16_hi v54, v28 offset:384
	ds_write_b16 v55, v29 offset:512
	ds_write_b16_d16_hi v56, v29 offset:640
	ds_write_b16 v57, v31 offset:768
	ds_write_b16_d16_hi v58, v31 offset:896
	; wave barrier
	ds_read_b128 v[0:3], v51 offset:1056
	s_andn2_b64 vcc, exec, s[2:3]
	s_cbranch_vccnz .LBB111_95
; %bb.80:                               ;   in Loop: Header=BB111_61 Depth=2
	v_mov_b32_e32 v28, s78
	ds_read_b64 v[28:29], v28
	s_cbranch_execz .LBB111_96
	s_branch .LBB111_99
.LBB111_81:                             ;   in Loop: Header=BB111_61 Depth=2
	global_load_ushort v3, v[0:1], off
	s_or_b64 exec, exec, s[92:93]
	s_and_saveexec_b64 s[92:93], s[20:21]
	s_cbranch_execz .LBB111_63
.LBB111_82:                             ;   in Loop: Header=BB111_61 Depth=2
	global_load_ushort v2, v[0:1], off offset:128
	s_or_b64 exec, exec, s[92:93]
	v_mov_b32_e32 v4, 0
	s_and_saveexec_b64 s[92:93], s[22:23]
	s_cbranch_execz .LBB111_64
.LBB111_83:                             ;   in Loop: Header=BB111_61 Depth=2
	global_load_ushort v4, v[0:1], off offset:256
	s_or_b64 exec, exec, s[92:93]
	s_and_saveexec_b64 s[92:93], s[24:25]
	s_cbranch_execz .LBB111_65
.LBB111_84:                             ;   in Loop: Header=BB111_61 Depth=2
	global_load_ushort v5, v[0:1], off offset:384
	s_waitcnt vmcnt(0)
	v_lshl_or_b32 v4, v5, 16, v4
	s_or_b64 exec, exec, s[92:93]
	v_mov_b32_e32 v5, 0
	s_and_saveexec_b64 s[92:93], s[26:27]
	s_cbranch_execz .LBB111_66
.LBB111_85:                             ;   in Loop: Header=BB111_61 Depth=2
	global_load_ushort v5, v[0:1], off offset:512
	s_or_b64 exec, exec, s[92:93]
	s_and_saveexec_b64 s[92:93], s[28:29]
	s_cbranch_execz .LBB111_67
.LBB111_86:                             ;   in Loop: Header=BB111_61 Depth=2
	global_load_ushort v6, v[0:1], off offset:640
	s_waitcnt vmcnt(0)
	v_lshl_or_b32 v5, v6, 16, v5
	s_or_b64 exec, exec, s[92:93]
	v_mov_b32_e32 v6, 0
	s_and_saveexec_b64 s[92:93], s[30:31]
	s_cbranch_execz .LBB111_68
.LBB111_87:                             ;   in Loop: Header=BB111_61 Depth=2
	global_load_ushort v6, v[0:1], off offset:768
	s_or_b64 exec, exec, s[92:93]
	s_and_saveexec_b64 s[92:93], s[34:35]
	s_cbranch_execnz .LBB111_69
	s_branch .LBB111_70
.LBB111_88:                             ;   in Loop: Header=BB111_61 Depth=2
	global_load_ushort v3, v[0:1], off
	s_or_b64 exec, exec, s[92:93]
	s_and_saveexec_b64 s[92:93], s[20:21]
	s_cbranch_execz .LBB111_72
.LBB111_89:                             ;   in Loop: Header=BB111_61 Depth=2
	global_load_ushort v2, v[0:1], off offset:128
	s_or_b64 exec, exec, s[92:93]
	v_mov_b32_e32 v28, 0
	s_and_saveexec_b64 s[92:93], s[22:23]
	s_cbranch_execz .LBB111_73
.LBB111_90:                             ;   in Loop: Header=BB111_61 Depth=2
	global_load_ushort v28, v[0:1], off offset:256
	s_or_b64 exec, exec, s[92:93]
	s_and_saveexec_b64 s[92:93], s[24:25]
	s_cbranch_execz .LBB111_74
.LBB111_91:                             ;   in Loop: Header=BB111_61 Depth=2
	global_load_ushort v29, v[0:1], off offset:384
	s_waitcnt vmcnt(0)
	v_lshl_or_b32 v28, v29, 16, v28
	s_or_b64 exec, exec, s[92:93]
	v_mov_b32_e32 v29, 0
	s_and_saveexec_b64 s[92:93], s[26:27]
	s_cbranch_execz .LBB111_75
.LBB111_92:                             ;   in Loop: Header=BB111_61 Depth=2
	global_load_ushort v29, v[0:1], off offset:512
	s_or_b64 exec, exec, s[92:93]
	s_and_saveexec_b64 s[92:93], s[28:29]
	s_cbranch_execz .LBB111_76
.LBB111_93:                             ;   in Loop: Header=BB111_61 Depth=2
	global_load_ushort v31, v[0:1], off offset:640
	s_waitcnt vmcnt(0)
	v_lshl_or_b32 v29, v31, 16, v29
	s_or_b64 exec, exec, s[92:93]
	v_mov_b32_e32 v31, 0
	s_and_saveexec_b64 s[92:93], s[30:31]
	s_cbranch_execz .LBB111_77
.LBB111_94:                             ;   in Loop: Header=BB111_61 Depth=2
	global_load_ushort v31, v[0:1], off offset:768
	s_or_b64 exec, exec, s[92:93]
	s_and_saveexec_b64 s[92:93], s[34:35]
	s_cbranch_execnz .LBB111_78
	s_branch .LBB111_79
.LBB111_95:                             ;   in Loop: Header=BB111_61 Depth=2
                                        ; implicit-def: $vgpr29
.LBB111_96:                             ;   in Loop: Header=BB111_61 Depth=2
	s_andn2_b64 vcc, exec, s[68:69]
	s_waitcnt lgkmcnt(0)
	v_mov_b32_e32 v29, 0
	s_cbranch_vccnz .LBB111_98
; %bb.97:                               ;   in Loop: Header=BB111_61 Depth=2
	s_mov_b32 s91, s73
	s_lshl_b64 s[92:93], s[90:91], 2
	s_add_u32 s92, s61, s92
	s_addc_u32 s93, s65, s93
	global_load_dword v29, v9, s[92:93]
.LBB111_98:                             ;   in Loop: Header=BB111_61 Depth=2
	v_mov_b32_e32 v28, 1.0
.LBB111_99:                             ;   in Loop: Header=BB111_61 Depth=2
	v_mul_f32_e32 v92, 0x3fb8aa3b, v30
	s_waitcnt lgkmcnt(9)
	v_cvt_f32_f16_e32 v31, v4
	v_cvt_f32_f16_sdwa v32, v4 dst_sel:DWORD dst_unused:UNUSED_PAD src0_sel:WORD_1
	v_mul_f32_e32 v4, v92, v71
	v_cmp_gt_f32_e32 vcc, s70, v4
	v_cvt_f32_f16_e32 v35, v6
	v_cvt_f32_f16_sdwa v60, v6 dst_sel:DWORD dst_unused:UNUSED_PAD src0_sel:WORD_1
	v_cndmask_b32_e32 v4, 0, v69, vcc
	v_mul_f32_e32 v6, v92, v72
	v_cvt_f32_f16_e32 v33, v5
	v_cvt_f32_f16_sdwa v34, v5 dst_sel:DWORD dst_unused:UNUSED_PAD src0_sel:WORD_1
	v_fmac_f32_e32 v4, v92, v71
	v_cndmask_b32_e32 v5, 1.0, v70, vcc
	v_cmp_gt_f32_e32 vcc, s70, v6
	v_exp_f32_e32 v4, v4
	v_cvt_f32_f16_e32 v93, v7
	v_cndmask_b32_e32 v6, 0, v69, vcc
	v_fmac_f32_e32 v6, v92, v72
	v_exp_f32_e32 v6, v6
	v_cvt_f32_f16_sdwa v94, v7 dst_sel:DWORD dst_unused:UNUSED_PAD src0_sel:WORD_1
	v_mul_f32_e32 v5, v4, v5
	v_mul_f32_e32 v7, v92, v73
	v_cndmask_b32_e64 v86, 1.0, v5, s[36:37]
	v_cndmask_b32_e32 v5, 1.0, v70, vcc
	v_cmp_gt_f32_e32 vcc, s70, v7
	v_mul_f32_e32 v6, v6, v5
	v_mul_f32_e32 v30, v92, v74
	v_cndmask_b32_e32 v7, 0, v69, vcc
	v_fmac_f32_e32 v7, v92, v73
	v_cndmask_b32_e64 v87, 1.0, v6, s[38:39]
	v_cndmask_b32_e32 v6, 1.0, v70, vcc
	v_cmp_gt_f32_e32 vcc, s70, v30
	v_exp_f32_e32 v7, v7
	v_mul_f32_e32 v4, v85, v31
	v_cndmask_b32_e32 v30, 0, v69, vcc
	v_fmac_f32_e32 v30, v92, v74
	v_exp_f32_e32 v31, v30
	v_mul_f32_e32 v6, v7, v6
	v_cndmask_b32_e64 v88, 1.0, v6, s[40:41]
	v_cndmask_b32_e32 v6, 1.0, v70, vcc
	v_mul_f32_e32 v6, v31, v6
	v_mul_f32_e32 v31, v92, v75
	v_cmp_gt_f32_e32 vcc, s70, v31
	v_mul_f32_e32 v5, v84, v32
	v_mul_f32_e32 v7, v83, v33
	v_cndmask_b32_e32 v31, 0, v69, vcc
	v_fmac_f32_e32 v31, v92, v75
	v_exp_f32_e32 v32, v31
	v_cndmask_b32_e64 v30, 0, v7, s[40:41]
	v_mul_f32_e32 v7, v82, v34
	v_cndmask_b32_e64 v89, 1.0, v6, s[42:43]
	v_cndmask_b32_e32 v6, 1.0, v70, vcc
	v_cndmask_b32_e64 v31, 0, v7, s[42:43]
	v_mul_f32_e32 v7, v32, v6
	v_mul_f32_e32 v32, v92, v76
	v_cmp_gt_f32_e32 vcc, s70, v32
	v_mul_f32_e32 v33, v92, v77
	v_cndmask_b32_e64 v90, 1.0, v7, s[44:45]
	v_cndmask_b32_e32 v32, 0, v69, vcc
	v_fmac_f32_e32 v32, v92, v76
	v_exp_f32_e32 v32, v32
	v_cndmask_b32_e32 v7, 1.0, v70, vcc
	v_cmp_gt_f32_e32 vcc, s70, v33
	v_mul_f32_e32 v34, v92, v15
	v_mul_f32_e32 v32, v32, v7
	v_cndmask_b32_e32 v33, 0, v69, vcc
	v_fmac_f32_e32 v33, v92, v77
	v_cndmask_b32_e64 v91, 1.0, v32, s[46:47]
	v_cndmask_b32_e32 v32, 1.0, v70, vcc
	v_cmp_gt_f32_e32 vcc, s70, v34
	v_exp_f32_e32 v33, v33
	v_cndmask_b32_e64 v4, 0, v4, s[36:37]
	v_cndmask_b32_e32 v34, 0, v69, vcc
	v_fmac_f32_e32 v34, v92, v15
	v_exp_f32_e32 v34, v34
	v_mul_f32_e32 v33, v33, v32
	v_cndmask_b32_e64 v92, 1.0, v33, s[48:49]
	v_cndmask_b32_e32 v33, 1.0, v70, vcc
	v_cndmask_b32_e64 v5, 0, v5, s[38:39]
	v_mul_f32_e32 v34, v34, v33
	v_mul_f32_e32 v6, v81, v35
	;; [unrolled: 1-line block ×3, first 2 shown]
	v_cndmask_b32_e64 v93, 1.0, v34, s[50:51]
	v_mul_f32_e32 v34, v87, v86
	v_fma_f32 v35, v87, v4, v5
	v_mul_f32_e32 v34, v34, v88
	v_fma_f32 v35, v35, v88, v30
	v_cndmask_b32_e64 v6, 0, v6, s[44:45]
	v_mul_f32_e32 v7, v80, v60
	v_mul_f32_e32 v34, v34, v89
	v_fma_f32 v35, v35, v89, v31
	v_cndmask_b32_e64 v7, 0, v7, s[46:47]
	v_mul_f32_e32 v34, v34, v90
	v_fma_f32 v35, v35, v90, v6
	v_cndmask_b32_e64 v32, 0, v32, s[48:49]
	v_mul_f32_e32 v33, v78, v94
	v_mul_f32_e32 v34, v34, v91
	v_fma_f32 v35, v35, v91, v7
	v_cndmask_b32_e64 v33, 0, v33, s[50:51]
	v_mul_f32_e32 v34, v34, v92
	v_fma_f32 v35, v35, v92, v32
	v_mul_f32_e32 v34, v34, v93
	v_fma_f32 v61, v35, v93, v33
	s_nop 0
	v_mov_b32_dpp v94, v34 row_shr:1 row_mask:0xf bank_mask:0xf
	v_mov_b32_dpp v60, v61 row_shr:1 row_mask:0xf bank_mask:0xf
	s_and_saveexec_b64 s[92:93], s[0:1]
; %bb.100:                              ;   in Loop: Header=BB111_61 Depth=2
	v_mul_f32_e32 v94, v34, v94
	v_fmac_f32_e32 v61, v34, v60
	v_mov_b32_e32 v34, v94
; %bb.101:                              ;   in Loop: Header=BB111_61 Depth=2
	s_or_b64 exec, exec, s[92:93]
	s_nop 0
	v_mov_b32_dpp v60, v34 row_shr:2 row_mask:0xf bank_mask:0xf
	v_mov_b32_dpp v94, v61 row_shr:2 row_mask:0xf bank_mask:0xf
	s_and_saveexec_b64 s[92:93], s[52:53]
; %bb.102:                              ;   in Loop: Header=BB111_61 Depth=2
	v_fmac_f32_e32 v61, v34, v94
	v_mul_f32_e32 v34, v34, v60
; %bb.103:                              ;   in Loop: Header=BB111_61 Depth=2
	s_or_b64 exec, exec, s[92:93]
	s_nop 0
	v_mov_b32_dpp v60, v34 row_shr:4 row_mask:0xf bank_mask:0xf
	v_mov_b32_dpp v94, v61 row_shr:4 row_mask:0xf bank_mask:0xf
	s_and_saveexec_b64 s[92:93], s[4:5]
; %bb.104:                              ;   in Loop: Header=BB111_61 Depth=2
	v_fmac_f32_e32 v61, v34, v94
	v_mul_f32_e32 v34, v34, v60
; %bb.105:                              ;   in Loop: Header=BB111_61 Depth=2
	s_or_b64 exec, exec, s[92:93]
	s_nop 0
	v_mov_b32_dpp v60, v34 row_shr:8 row_mask:0xf bank_mask:0xf
	v_mov_b32_dpp v94, v61 row_shr:8 row_mask:0xf bank_mask:0xf
	s_and_saveexec_b64 s[92:93], s[6:7]
; %bb.106:                              ;   in Loop: Header=BB111_61 Depth=2
	v_fmac_f32_e32 v61, v34, v94
	v_mul_f32_e32 v34, v34, v60
; %bb.107:                              ;   in Loop: Header=BB111_61 Depth=2
	s_or_b64 exec, exec, s[92:93]
	s_nop 0
	v_mov_b32_dpp v60, v34 row_bcast:15 row_mask:0xf bank_mask:0xf
	v_mov_b32_dpp v94, v61 row_bcast:15 row_mask:0xf bank_mask:0xf
	s_and_saveexec_b64 s[92:93], s[8:9]
; %bb.108:                              ;   in Loop: Header=BB111_61 Depth=2
	v_fmac_f32_e32 v61, v34, v94
	v_mul_f32_e32 v34, v34, v60
; %bb.109:                              ;   in Loop: Header=BB111_61 Depth=2
	s_or_b64 exec, exec, s[92:93]
	s_nop 0
	v_mov_b32_dpp v60, v34 row_bcast:31 row_mask:0xf bank_mask:0xf
	v_mov_b32_dpp v94, v61 row_bcast:31 row_mask:0xf bank_mask:0xf
	v_mov_b32_e32 v35, v61
	v_mul_f32_e32 v60, v34, v60
	v_fmac_f32_e32 v35, v34, v94
	v_cndmask_b32_e64 v34, v34, v60, s[10:11]
	v_cndmask_b32_e64 v35, v61, v35, s[10:11]
	s_and_saveexec_b64 s[92:93], s[12:13]
	s_cbranch_execz .LBB111_111
; %bb.110:                              ;   in Loop: Header=BB111_61 Depth=2
	ds_write_b64 v9, v[34:35] offset:2112
.LBB111_111:                            ;   in Loop: Header=BB111_61 Depth=2
	s_or_b64 exec, exec, s[92:93]
	ds_bpermute_b32 v94, v59, v34
	ds_bpermute_b32 v60, v59, v35
	s_waitcnt vmcnt(0) lgkmcnt(2)
	v_mov_b32_e32 v35, v29
	s_waitcnt lgkmcnt(0)
	; wave barrier
	s_waitcnt lgkmcnt(0)
	s_and_saveexec_b64 s[92:93], s[14:15]
	s_cbranch_execz .LBB111_115
; %bb.112:                              ;   in Loop: Header=BB111_61 Depth=2
	ds_read_b64 v[34:35], v9 offset:2112
	s_and_saveexec_b64 s[94:95], s[16:17]
	s_cbranch_execz .LBB111_114
; %bb.113:                              ;   in Loop: Header=BB111_61 Depth=2
	ds_write_b64 v9, v[28:29] offset:2112
.LBB111_114:                            ;   in Loop: Header=BB111_61 Depth=2
	s_or_b64 exec, exec, s[94:95]
	s_waitcnt lgkmcnt(0)
	v_fmac_f32_e32 v35, v29, v34
	v_mul_f32_e32 v28, v28, v34
	v_mov_b32_e32 v29, v35
.LBB111_115:                            ;   in Loop: Header=BB111_61 Depth=2
	s_or_b64 exec, exec, s[92:93]
	s_waitcnt lgkmcnt(0)
	; wave barrier
	ds_read_b32 v34, v9 offset:2116
	s_and_saveexec_b64 s[92:93], s[16:17]
	s_cbranch_execz .LBB111_60
; %bb.116:                              ;   in Loop: Header=BB111_61 Depth=2
	v_mov_b32_e32 v61, s78
	s_andn2_b64 vcc, exec, s[84:85]
	ds_write_b64 v61, v[28:29]
	s_cbranch_vccnz .LBB111_60
; %bb.117:                              ;   in Loop: Header=BB111_61 Depth=2
	s_mov_b32 s91, s73
	s_lshl_b64 s[94:95], s[90:91], 2
	s_add_u32 s94, s61, s94
	s_addc_u32 s95, s65, s95
	global_store_dword v9, v35, s[94:95]
	s_branch .LBB111_60
.LBB111_118:                            ;   in Loop: Header=BB111_12 Depth=1
	s_mov_b32 s38, 0x3fb8aa3b
	s_mov_b32 s39, 0xc2ce8ed0
	;; [unrolled: 1-line block ×4, first 2 shown]
.LBB111_119:                            ;   in Loop: Header=BB111_12 Depth=1
	v_cvt_f16_f32_e32 v0, v23
	v_cvt_f16_f32_e32 v1, v21
	;; [unrolled: 1-line block ×8, first 2 shown]
	v_pack_b32_f16 v3, v4, v3
	v_pack_b32_f16 v2, v5, v2
	;; [unrolled: 1-line block ×4, first 2 shown]
	s_waitcnt lgkmcnt(0)
	; wave barrier
	ds_write_b128 v51, v[0:3]
	; wave barrier
	ds_read_u16 v15, v44 offset:128
	ds_read_u16 v7, v45 offset:256
	;; [unrolled: 1-line block ×7, first 2 shown]
	s_mov_b32 s83, s73
	v_lshl_add_u64 v[0:1], s[82:83], 1, v[12:13]
	s_and_saveexec_b64 s[2:3], s[18:19]
	s_cbranch_execnz .LBB111_129
; %bb.120:                              ;   in Loop: Header=BB111_12 Depth=1
	s_or_b64 exec, exec, s[2:3]
	s_and_saveexec_b64 s[2:3], s[20:21]
	s_cbranch_execnz .LBB111_130
.LBB111_121:                            ;   in Loop: Header=BB111_12 Depth=1
	s_or_b64 exec, exec, s[2:3]
	s_and_saveexec_b64 s[2:3], s[22:23]
	s_cbranch_execnz .LBB111_131
.LBB111_122:                            ;   in Loop: Header=BB111_12 Depth=1
	s_or_b64 exec, exec, s[2:3]
	s_and_saveexec_b64 s[2:3], s[24:25]
	s_cbranch_execnz .LBB111_132
.LBB111_123:                            ;   in Loop: Header=BB111_12 Depth=1
	s_or_b64 exec, exec, s[2:3]
	s_and_saveexec_b64 s[2:3], s[26:27]
	s_cbranch_execnz .LBB111_133
.LBB111_124:                            ;   in Loop: Header=BB111_12 Depth=1
	s_or_b64 exec, exec, s[2:3]
	s_and_saveexec_b64 s[2:3], s[28:29]
	s_cbranch_execnz .LBB111_134
.LBB111_125:                            ;   in Loop: Header=BB111_12 Depth=1
	s_or_b64 exec, exec, s[2:3]
	s_and_saveexec_b64 s[2:3], s[30:31]
	s_cbranch_execnz .LBB111_135
.LBB111_126:                            ;   in Loop: Header=BB111_12 Depth=1
	s_or_b64 exec, exec, s[2:3]
	s_and_saveexec_b64 s[2:3], s[34:35]
	s_cbranch_execz .LBB111_11
	s_branch .LBB111_136
.LBB111_127:                            ;   in Loop: Header=BB111_12 Depth=1
	global_load_ushort v19, v[4:5], off offset:640
	s_or_b64 exec, exec, s[2:3]
	s_and_saveexec_b64 s[2:3], s[30:31]
	s_cbranch_execz .LBB111_40
.LBB111_128:                            ;   in Loop: Header=BB111_12 Depth=1
	global_load_ushort v18, v[4:5], off offset:768
	s_or_b64 exec, exec, s[2:3]
	v_mov_b32_e32 v20, 0
	s_and_saveexec_b64 s[2:3], s[34:35]
	s_cbranch_execnz .LBB111_41
	s_branch .LBB111_42
.LBB111_129:                            ;   in Loop: Header=BB111_12 Depth=1
	ds_read_u16 v16, v43
	s_waitcnt lgkmcnt(0)
	global_store_short v[0:1], v16, off
	s_or_b64 exec, exec, s[2:3]
	s_and_saveexec_b64 s[2:3], s[20:21]
	s_cbranch_execz .LBB111_121
.LBB111_130:                            ;   in Loop: Header=BB111_12 Depth=1
	s_waitcnt lgkmcnt(6)
	global_store_short v[0:1], v15, off offset:128
	s_or_b64 exec, exec, s[2:3]
	s_and_saveexec_b64 s[2:3], s[22:23]
	s_cbranch_execz .LBB111_122
.LBB111_131:                            ;   in Loop: Header=BB111_12 Depth=1
	s_waitcnt lgkmcnt(5)
	global_store_short v[0:1], v7, off offset:256
	s_or_b64 exec, exec, s[2:3]
	s_and_saveexec_b64 s[2:3], s[24:25]
	s_cbranch_execz .LBB111_123
.LBB111_132:                            ;   in Loop: Header=BB111_12 Depth=1
	s_waitcnt lgkmcnt(4)
	global_store_short v[0:1], v6, off offset:384
	s_or_b64 exec, exec, s[2:3]
	s_and_saveexec_b64 s[2:3], s[26:27]
	s_cbranch_execz .LBB111_124
.LBB111_133:                            ;   in Loop: Header=BB111_12 Depth=1
	s_waitcnt lgkmcnt(3)
	global_store_short v[0:1], v5, off offset:512
	s_or_b64 exec, exec, s[2:3]
	s_and_saveexec_b64 s[2:3], s[28:29]
	s_cbranch_execz .LBB111_125
.LBB111_134:                            ;   in Loop: Header=BB111_12 Depth=1
	s_waitcnt lgkmcnt(2)
	global_store_short v[0:1], v4, off offset:640
	s_or_b64 exec, exec, s[2:3]
	s_and_saveexec_b64 s[2:3], s[30:31]
	s_cbranch_execz .LBB111_126
.LBB111_135:                            ;   in Loop: Header=BB111_12 Depth=1
	s_waitcnt lgkmcnt(1)
	global_store_short v[0:1], v3, off offset:768
	s_or_b64 exec, exec, s[2:3]
	s_and_saveexec_b64 s[2:3], s[34:35]
	s_cbranch_execz .LBB111_11
.LBB111_136:                            ;   in Loop: Header=BB111_12 Depth=1
	s_waitcnt lgkmcnt(0)
	global_store_short v[0:1], v2, off offset:896
	s_branch .LBB111_11
.LBB111_137:
	s_endpgm
	.section	.rodata,"a",@progbits
	.p2align	6, 0x0
	.amdhsa_kernel _Z25selective_scan_fwd_kernelI32Selective_Scan_fwd_kernel_traitsILi64ELi8ELi1ELb0ELb1ELb1ELb0ELb0EN3c104HalfEffEEv13SSMParamsBase
		.amdhsa_group_segment_fixed_size 0
		.amdhsa_private_segment_fixed_size 0
		.amdhsa_kernarg_size 248
		.amdhsa_user_sgpr_count 2
		.amdhsa_user_sgpr_dispatch_ptr 0
		.amdhsa_user_sgpr_queue_ptr 0
		.amdhsa_user_sgpr_kernarg_segment_ptr 1
		.amdhsa_user_sgpr_dispatch_id 0
		.amdhsa_user_sgpr_kernarg_preload_length 0
		.amdhsa_user_sgpr_kernarg_preload_offset 0
		.amdhsa_user_sgpr_private_segment_size 0
		.amdhsa_uses_dynamic_stack 0
		.amdhsa_enable_private_segment 0
		.amdhsa_system_sgpr_workgroup_id_x 1
		.amdhsa_system_sgpr_workgroup_id_y 1
		.amdhsa_system_sgpr_workgroup_id_z 0
		.amdhsa_system_sgpr_workgroup_info 0
		.amdhsa_system_vgpr_workitem_id 0
		.amdhsa_next_free_vgpr 96
		.amdhsa_next_free_sgpr 100
		.amdhsa_accum_offset 96
		.amdhsa_reserve_vcc 1
		.amdhsa_float_round_mode_32 0
		.amdhsa_float_round_mode_16_64 0
		.amdhsa_float_denorm_mode_32 3
		.amdhsa_float_denorm_mode_16_64 3
		.amdhsa_dx10_clamp 1
		.amdhsa_ieee_mode 1
		.amdhsa_fp16_overflow 0
		.amdhsa_tg_split 0
		.amdhsa_exception_fp_ieee_invalid_op 0
		.amdhsa_exception_fp_denorm_src 0
		.amdhsa_exception_fp_ieee_div_zero 0
		.amdhsa_exception_fp_ieee_overflow 0
		.amdhsa_exception_fp_ieee_underflow 0
		.amdhsa_exception_fp_ieee_inexact 0
		.amdhsa_exception_int_div_zero 0
	.end_amdhsa_kernel
	.section	.text._Z25selective_scan_fwd_kernelI32Selective_Scan_fwd_kernel_traitsILi64ELi8ELi1ELb0ELb1ELb1ELb0ELb0EN3c104HalfEffEEv13SSMParamsBase,"axG",@progbits,_Z25selective_scan_fwd_kernelI32Selective_Scan_fwd_kernel_traitsILi64ELi8ELi1ELb0ELb1ELb1ELb0ELb0EN3c104HalfEffEEv13SSMParamsBase,comdat
.Lfunc_end111:
	.size	_Z25selective_scan_fwd_kernelI32Selective_Scan_fwd_kernel_traitsILi64ELi8ELi1ELb0ELb1ELb1ELb0ELb0EN3c104HalfEffEEv13SSMParamsBase, .Lfunc_end111-_Z25selective_scan_fwd_kernelI32Selective_Scan_fwd_kernel_traitsILi64ELi8ELi1ELb0ELb1ELb1ELb0ELb0EN3c104HalfEffEEv13SSMParamsBase
                                        ; -- End function
	.section	.AMDGPU.csdata,"",@progbits
; Kernel info:
; codeLenInByte = 10508
; NumSgprs: 106
; NumVgprs: 96
; NumAgprs: 0
; TotalNumVgprs: 96
; ScratchSize: 0
; MemoryBound: 0
; FloatMode: 240
; IeeeMode: 1
; LDSByteSize: 0 bytes/workgroup (compile time only)
; SGPRBlocks: 13
; VGPRBlocks: 11
; NumSGPRsForWavesPerEU: 106
; NumVGPRsForWavesPerEU: 96
; AccumOffset: 96
; Occupancy: 5
; WaveLimiterHint : 0
; COMPUTE_PGM_RSRC2:SCRATCH_EN: 0
; COMPUTE_PGM_RSRC2:USER_SGPR: 2
; COMPUTE_PGM_RSRC2:TRAP_HANDLER: 0
; COMPUTE_PGM_RSRC2:TGID_X_EN: 1
; COMPUTE_PGM_RSRC2:TGID_Y_EN: 1
; COMPUTE_PGM_RSRC2:TGID_Z_EN: 0
; COMPUTE_PGM_RSRC2:TIDIG_COMP_CNT: 0
; COMPUTE_PGM_RSRC3_GFX90A:ACCUM_OFFSET: 23
; COMPUTE_PGM_RSRC3_GFX90A:TG_SPLIT: 0
	.section	.text._Z25selective_scan_fwd_kernelI32Selective_Scan_fwd_kernel_traitsILi64ELi16ELi1ELb1ELb1ELb1ELb1ELb1EN3c104HalfEffEEv13SSMParamsBase,"axG",@progbits,_Z25selective_scan_fwd_kernelI32Selective_Scan_fwd_kernel_traitsILi64ELi16ELi1ELb1ELb1ELb1ELb1ELb1EN3c104HalfEffEEv13SSMParamsBase,comdat
	.protected	_Z25selective_scan_fwd_kernelI32Selective_Scan_fwd_kernel_traitsILi64ELi16ELi1ELb1ELb1ELb1ELb1ELb1EN3c104HalfEffEEv13SSMParamsBase ; -- Begin function _Z25selective_scan_fwd_kernelI32Selective_Scan_fwd_kernel_traitsILi64ELi16ELi1ELb1ELb1ELb1ELb1ELb1EN3c104HalfEffEEv13SSMParamsBase
	.globl	_Z25selective_scan_fwd_kernelI32Selective_Scan_fwd_kernel_traitsILi64ELi16ELi1ELb1ELb1ELb1ELb1ELb1EN3c104HalfEffEEv13SSMParamsBase
	.p2align	8
	.type	_Z25selective_scan_fwd_kernelI32Selective_Scan_fwd_kernel_traitsILi64ELi16ELi1ELb1ELb1ELb1ELb1ELb1EN3c104HalfEffEEv13SSMParamsBase,@function
_Z25selective_scan_fwd_kernelI32Selective_Scan_fwd_kernel_traitsILi64ELi16ELi1ELb1ELb1ELb1ELb1ELb1EN3c104HalfEffEEv13SSMParamsBase: ; @_Z25selective_scan_fwd_kernelI32Selective_Scan_fwd_kernel_traitsILi64ELi16ELi1ELb1ELb1ELb1ELb1ELb1EN3c104HalfEffEEv13SSMParamsBase
; %bb.0:
	s_load_dword s36, s[0:1], 0x18
	s_load_dwordx4 s[4:7], s[0:1], 0xe8
	s_load_dwordx8 s[20:27], s[0:1], 0xc8
	s_mov_b32 s34, s3
	s_ashr_i32 s3, s2, 31
	s_lshl_b64 s[8:9], s[2:3], 2
	s_waitcnt lgkmcnt(0)
	s_abs_i32 s33, s36
	v_cvt_f32_u32_e32 v1, s33
	s_add_u32 s28, s26, s8
	s_addc_u32 s29, s27, s9
	s_cmp_eq_u64 s[6:7], 0
	v_rcp_iflag_f32_e32 v1, v1
                                        ; implicit-def: $vgpr95 : SGPR spill to VGPR lane
	s_nop 0
	v_mul_f32_e32 v1, 0x4f7ffffe, v1
	v_cvt_u32_f32_e32 v1, v1
	s_nop 0
	v_readfirstlane_b32 s37, v1
	s_cbranch_scc1 .LBB112_2
; %bb.1:
	s_add_u32 s6, s6, s2
	s_addc_u32 s7, s7, s3
	v_mov_b32_e32 v1, 0
	global_load_ubyte v1, v1, s[6:7]
	s_waitcnt vmcnt(0)
	v_and_b32_e32 v1, 1, v1
	v_cmp_eq_u32_e64 s[6:7], 1, v1
	s_branch .LBB112_3
.LBB112_2:
	s_mov_b64 s[6:7], 0
.LBB112_3:
	s_nop 0
	v_writelane_b32 v95, s6, 0
	s_cmp_eq_u64 s[4:5], 0
	s_nop 0
	v_writelane_b32 v95, s7, 1
	s_load_dwordx2 s[6:7], s[0:1], 0x20
	s_cbranch_scc1 .LBB112_5
; %bb.4:
	s_add_u32 s2, s4, s8
	s_addc_u32 s3, s5, s9
	s_load_dword s2, s[2:3], 0x0
	s_waitcnt lgkmcnt(0)
	s_ashr_i32 s3, s2, 31
.LBB112_5:
	s_waitcnt lgkmcnt(0)
	s_cmp_eq_u64 s[6:7], s[2:3]
	s_cbranch_scc1 .LBB112_298
; %bb.6:
	s_load_dwordx16 s[4:19], s[0:1], 0x88
	s_load_dwordx2 s[26:27], s[28:29], 0x0
	s_mov_b32 s3, 0
	v_writelane_b32 v95, s3, 2
	v_writelane_b32 v95, s3, 3
	s_waitcnt lgkmcnt(0)
	s_cmp_eq_u64 s[10:11], 0
	s_cbranch_scc1 .LBB112_8
; %bb.7:
	s_ashr_i32 s35, s34, 31
	s_lshl_b64 s[28:29], s[34:35], 2
	s_add_u32 s10, s10, s28
	s_addc_u32 s11, s11, s29
	s_load_dword s3, s[10:11], 0x0
	s_waitcnt lgkmcnt(0)
	v_writelane_b32 v95, s3, 3
.LBB112_8:
	s_cmp_eq_u64 s[16:17], 0
	s_cbranch_scc1 .LBB112_10
; %bb.9:
	s_ashr_i32 s35, s34, 31
	s_lshl_b64 s[10:11], s[34:35], 2
	s_add_u32 s10, s16, s10
	s_addc_u32 s11, s17, s11
	s_load_dword s3, s[10:11], 0x0
	s_waitcnt lgkmcnt(0)
	v_writelane_b32 v95, s3, 2
.LBB112_10:
	s_sub_i32 s35, s27, s26
	s_cmp_lt_i32 s35, 1
	s_cbranch_scc1 .LBB112_298
; %bb.11:
	v_mbcnt_lo_u32_b32 v1, -1, 0
	v_mbcnt_hi_u32_b32 v20, -1, v1
	s_sub_i32 s3, 0, s33
	v_lshrrev_b32_e32 v1, 5, v20
	s_mul_i32 s3, s3, s37
	v_and_b32_e32 v1, 2, v1
	s_mul_hi_u32 s3, s37, s3
	v_add_u32_e32 v1, v1, v20
	s_abs_i32 s16, s34
	s_add_i32 s37, s37, s3
	v_add_u32_e32 v2, 64, v20
	v_lshl_add_u32 v1, v1, 1, 0
	s_load_dwordx8 s[40:47], s[0:1], 0x2c
	s_load_dwordx2 s[10:11], s[0:1], 0x7c
	s_load_dwordx4 s[28:31], s[0:1], 0x6c
	s_load_dwordx8 s[48:55], s[0:1], 0x4c
	s_mul_hi_u32 s3, s16, s37
	s_load_dword s37, s[0:1], 0xc
	s_load_dword s17, s[0:1], 0x28
	scratch_store_dword off, v1, off        ; 4-byte Folded Spill
	scratch_store_dword off, v2, off offset:180 ; 4-byte Folded Spill
	v_lshrrev_b32_e32 v1, 5, v2
	v_and_b32_e32 v1, 6, v1
	v_add_lshl_u32 v1, v1, v20, 1
	v_or_b32_e32 v3, 0x80, v20
	v_add_u32_e32 v2, 0, v1
	scratch_store_dword off, v2, off offset:8 ; 4-byte Folded Spill
	scratch_store_dword off, v3, off offset:184 ; 4-byte Folded Spill
	v_lshrrev_b32_e32 v2, 5, v3
	v_and_b32_e32 v2, 6, v2
	s_load_dword s97, s[0:1], 0x84
	s_ashr_i32 s0, s34, 31
	s_ashr_i32 s1, s36, 31
	v_add_lshl_u32 v2, v2, v20, 1
	s_xor_b32 s0, s0, s1
	s_mul_i32 s1, s3, s33
	v_add_u32_e32 v4, 0xc0, v20
	v_add_u32_e32 v3, 0, v2
	s_sub_i32 s1, s16, s1
	scratch_store_dword off, v3, off offset:12 ; 4-byte Folded Spill
	scratch_store_dword off, v4, off offset:188 ; 4-byte Folded Spill
	v_lshrrev_b32_e32 v3, 5, v4
	s_add_i32 s16, s3, 1
	s_sub_i32 s27, s1, s33
	v_and_b32_e32 v3, 14, v3
	s_cmp_ge_u32 s1, s33
	v_add_lshl_u32 v3, v3, v20, 1
	s_cselect_b32 s3, s16, s3
	v_or_b32_e32 v5, 0x100, v20
	v_add_u32_e32 v4, 0, v3
	s_cselect_b32 s1, s27, s1
	s_add_i32 s16, s3, 1
	scratch_store_dword off, v4, off offset:16 ; 4-byte Folded Spill
	scratch_store_dword off, v5, off offset:192 ; 4-byte Folded Spill
	v_lshrrev_b32_e32 v4, 5, v5
	s_cmp_ge_u32 s1, s33
	v_and_b32_e32 v4, 10, v4
	s_cselect_b32 s1, s16, s3
	v_add_lshl_u32 v4, v4, v20, 1
	s_xor_b32 s1, s1, s0
	s_waitcnt lgkmcnt(0)
	s_mul_i32 s98, s26, s50
	s_mov_b32 s99, 0
	v_add_u32_e32 v6, 0x140, v20
	v_add_u32_e32 v5, 0, v4
	s_sub_i32 s3, s1, s0
	s_lshl_b64 s[0:1], s[98:99], 1
	scratch_store_dword off, v5, off offset:20 ; 4-byte Folded Spill
	scratch_store_dword off, v6, off offset:196 ; 4-byte Folded Spill
	v_lshrrev_b32_e32 v5, 5, v6
	s_add_u32 s12, s12, s0
	s_mul_i32 s98, s51, s34
	v_and_b32_e32 v5, 14, v5
	s_addc_u32 s13, s13, s1
	s_lshl_b64 s[0:1], s[98:99], 1
	v_add_lshl_u32 v5, v5, v20, 1
	s_add_u32 s38, s12, s0
	s_mul_i32 s98, s26, s52
	v_or_b32_e32 v7, 0x180, v20
	v_add_u32_e32 v6, 0, v5
	s_addc_u32 s39, s13, s1
	s_lshl_b64 s[0:1], s[98:99], 1
	scratch_store_dword off, v6, off offset:24 ; 4-byte Folded Spill
	scratch_store_dword off, v7, off offset:200 ; 4-byte Folded Spill
	v_lshrrev_b32_e32 v6, 5, v7
	s_add_u32 s12, s14, s0
	s_mul_i32 s98, s53, s34
	v_and_b32_e32 v6, 14, v6
	s_addc_u32 s13, s15, s1
	s_lshl_b64 s[0:1], s[98:99], 1
	v_add_lshl_u32 v6, v6, v20, 1
	s_add_u32 s0, s12, s0
	v_add_u32_e32 v8, 0x1c0, v20
	v_add_u32_e32 v7, 0, v6
	s_addc_u32 s1, s13, s1
	scratch_store_dword off, v7, off offset:28 ; 4-byte Folded Spill
	scratch_store_dword off, v8, off offset:204 ; 4-byte Folded Spill
	v_lshrrev_b32_e32 v7, 5, v8
	v_writelane_b32 v95, s0, 4
	s_mul_i32 s98, s40, s34
	v_and_b32_e32 v7, 30, v7
	v_writelane_b32 v95, s1, 5
	s_lshl_b64 s[0:1], s[98:99], 2
	v_add_lshl_u32 v7, v7, v20, 1
	s_add_u32 s0, s4, s0
	v_or_b32_e32 v9, 0x200, v20
	v_add_u32_e32 v8, 0, v7
	v_writelane_b32 v95, s0, 6
	s_addc_u32 s0, s5, s1
	s_mul_i32 s98, s26, s42
	scratch_store_dword off, v8, off offset:32 ; 4-byte Folded Spill
	scratch_store_dword off, v9, off offset:208 ; 4-byte Folded Spill
	v_lshrrev_b32_e32 v8, 5, v9
	v_writelane_b32 v95, s0, 7
	s_lshl_b64 s[0:1], s[98:99], 1
	v_and_b32_e32 v8, 18, v8
	s_add_u32 s4, s6, s0
	s_mul_i32 s98, s3, s45
	v_add_lshl_u32 v8, v8, v20, 1
	s_addc_u32 s5, s7, s1
	s_lshl_b64 s[0:1], s[98:99], 1
	v_add_u32_e32 v10, 0x240, v20
	v_add_u32_e32 v9, 0, v8
	s_add_u32 s0, s4, s0
	scratch_store_dword off, v9, off offset:36 ; 4-byte Folded Spill
	scratch_store_dword off, v10, off offset:212 ; 4-byte Folded Spill
	v_lshrrev_b32_e32 v9, 5, v10
	s_addc_u32 s1, s5, s1
	v_and_b32_e32 v9, 22, v9
	v_writelane_b32 v95, s0, 8
	v_add_lshl_u32 v9, v9, v20, 1
	v_or_b32_e32 v11, 0x280, v20
	v_writelane_b32 v95, s1, 9
	v_add_u32_e32 v10, 0, v9
	v_writelane_b32 v95, s40, 10
	scratch_store_dword off, v10, off offset:40 ; 4-byte Folded Spill
	scratch_store_dword off, v11, off offset:216 ; 4-byte Folded Spill
	v_lshrrev_b32_e32 v10, 5, v11
	v_writelane_b32 v95, s41, 11
	v_and_b32_e32 v10, 22, v10
	v_writelane_b32 v95, s42, 12
	s_mul_i32 s98, s26, s46
	v_add_lshl_u32 v10, v10, v20, 1
	v_writelane_b32 v95, s43, 13
	s_lshl_b64 s[0:1], s[98:99], 1
	v_add_u32_e32 v12, 0x2c0, v20
	v_add_u32_e32 v11, 0, v10
	v_writelane_b32 v95, s44, 14
	s_add_u32 s4, s8, s0
	s_mul_i32 s98, s3, s49
	scratch_store_dword off, v11, off offset:44 ; 4-byte Folded Spill
	scratch_store_dword off, v12, off offset:220 ; 4-byte Folded Spill
	v_lshrrev_b32_e32 v11, 5, v12
	v_writelane_b32 v95, s45, 15
	s_addc_u32 s5, s9, s1
	s_lshl_b64 s[0:1], s[98:99], 1
	v_and_b32_e32 v11, 30, v11
	v_writelane_b32 v95, s46, 16
	s_add_u32 s0, s4, s0
	v_add_lshl_u32 v11, v11, v20, 1
	v_writelane_b32 v95, s47, 17
	s_addc_u32 s1, s5, s1
	v_or_b32_e32 v13, 0x300, v20
	v_add_u32_e32 v12, 0, v11
	v_writelane_b32 v95, s0, 18
	s_mul_i32 s98, s2, s10
	scratch_store_dword off, v12, off offset:48 ; 4-byte Folded Spill
	scratch_store_dword off, v13, off offset:224 ; 4-byte Folded Spill
	v_lshrrev_b32_e32 v12, 5, v13
	v_writelane_b32 v95, s1, 19
	s_lshl_b64 s[0:1], s[98:99], 2
	v_and_b32_e32 v12, 26, v12
	s_add_u32 s2, s20, s0
	s_mul_i32 s98, s11, s34
	v_add_lshl_u32 v12, v12, v20, 1
	s_addc_u32 s3, s21, s1
	s_lshl_b64 s[0:1], s[98:99], 2
	v_add_u32_e32 v14, 0x340, v20
	v_add_u32_e32 v13, 0, v12
	s_add_u32 s0, s2, s0
	scratch_store_dword off, v13, off offset:52 ; 4-byte Folded Spill
	scratch_store_dword off, v14, off offset:228 ; 4-byte Folded Spill
	v_lshrrev_b32_e32 v13, 5, v14
	v_writelane_b32 v95, s0, 20
	s_addc_u32 s0, s3, s1
	v_and_b32_e32 v13, 30, v13
	v_writelane_b32 v95, s0, 21
	s_add_i32 s0, s35, 0x7ff
	v_add_lshl_u32 v13, v13, v20, 1
	s_lshr_b32 s1, s0, 11
	v_or_b32_e32 v15, 0x380, v20
	v_add_u32_e32 v14, 0, v13
	scratch_store_dword off, v14, off offset:56 ; 4-byte Folded Spill
	scratch_store_dword off, v15, off offset:232 ; 4-byte Folded Spill
	v_lshrrev_b32_e32 v14, 5, v15
	s_bitcmp1_b32 s17, 0
	v_and_b32_e32 v14, 30, v14
	s_cselect_b64 s[6:7], -1, 0
	s_cmp_gt_i32 s37, 0
	v_add_lshl_u32 v14, v14, v20, 1
	s_cselect_b64 s[2:3], -1, 0
	s_add_i32 s0, 0, 0x840
	v_add_u32_e32 v15, 0, v14
	v_add_u32_e32 v1, s0, v1
	;; [unrolled: 1-line block ×3, first 2 shown]
	scratch_store_dword off, v15, off offset:60 ; 4-byte Folded Spill
	scratch_store_dword off, v16, off offset:236 ; 4-byte Folded Spill
	;; [unrolled: 1-line block ×3, first 2 shown]
	v_add_u32_e32 v1, s0, v2
	scratch_store_dword off, v1, off offset:100 ; 4-byte Folded Spill
	v_add_u32_e32 v1, s0, v3
	scratch_store_dword off, v1, off offset:104 ; 4-byte Folded Spill
	;; [unrolled: 2-line block ×7, first 2 shown]
	v_add_u32_e32 v1, s0, v9
	v_lshrrev_b32_e32 v15, 5, v16
	scratch_store_dword off, v1, off offset:128 ; 4-byte Folded Spill
	v_add_u32_e32 v1, s0, v10
	v_and_b32_e32 v15, 62, v15
	scratch_store_dword off, v1, off offset:132 ; 4-byte Folded Spill
	v_add_u32_e32 v1, s0, v11
	v_add_lshl_u32 v15, v15, v20, 1
	scratch_store_dword off, v1, off offset:136 ; 4-byte Folded Spill
	v_add_u32_e32 v1, s0, v12
	v_add_u32_e32 v16, 0, v15
	v_lshrrev_b32_e32 v18, 1, v20
	scratch_store_dword off, v1, off offset:140 ; 4-byte Folded Spill
	v_add_u32_e32 v1, s0, v13
	scratch_store_dword off, v16, off offset:64 ; 4-byte Folded Spill
	v_lshlrev_b32_e32 v16, 4, v20
	v_and_b32_e32 v18, 62, v18
	scratch_store_dword off, v1, off offset:144 ; 4-byte Folded Spill
	v_add_u32_e32 v1, s0, v14
	v_add_lshl_u32 v16, v18, v16, 1
	v_writelane_b32 v95, s37, 22
	scratch_store_dword off, v1, off offset:148 ; 4-byte Folded Spill
	v_add_u32_e32 v1, s0, v15
	v_writelane_b32 v95, s2, 23
	scratch_store_dword off, v1, off offset:152 ; 4-byte Folded Spill
	v_add_u32_e32 v1, s0, v16
	s_and_b32 s0, s35, 0x3ff
	v_writelane_b32 v95, s3, 24
	s_cmp_eq_u32 s0, 0
	v_writelane_b32 v95, s35, 25
	s_cselect_b64 s[2:3], -1, 0
	v_writelane_b32 v95, s2, 26
	s_add_i32 s0, s1, -1
	s_mul_i32 s98, s26, s28
	v_writelane_b32 v95, s3, 27
	v_writelane_b32 v95, s1, 28
	;; [unrolled: 1-line block ×3, first 2 shown]
	s_lshl_b64 s[0:1], s[98:99], 1
	scratch_store_dword off, v1, off offset:156 ; 4-byte Folded Spill
	v_and_b32_e32 v1, 15, v20
	s_add_u32 s4, s18, s0
	s_addc_u32 s5, s19, s1
	v_cmp_ne_u32_e64 s[0:1], 0, v1
	v_cmp_lt_u32_e64 s[2:3], 3, v1
	s_mul_i32 s98, s29, s34
	v_writelane_b32 v95, s0, 30
	v_and_b32_e32 v2, 64, v20
	v_lshlrev_b32_e32 v19, 4, v0
	v_writelane_b32 v95, s1, 31
	v_cmp_lt_u32_e64 s[0:1], 1, v1
	v_cmp_eq_u32_e64 s[16:17], 0, v0
	v_add_u32_e32 v18, 0, v16
	v_writelane_b32 v95, s0, 32
	v_mov_b32_e32 v17, 0
	scratch_store_dword off, v18, off offset:4 ; 4-byte Folded Spill
	v_writelane_b32 v95, s1, 33
	v_cmp_lt_u32_e64 s[0:1], 7, v1
	v_and_b32_e32 v1, 16, v20
	v_lshlrev_b32_e32 v16, 1, v20
	v_writelane_b32 v95, s0, 34
	v_cmp_lt_u32_e64 s[12:13], 31, v20
	s_mov_b32 s8, 0xc2ce8ed0
	v_writelane_b32 v95, s1, 35
	v_cmp_ne_u32_e64 s[0:1], 0, v1
	v_add_u32_e32 v1, -1, v20
	v_cmp_lt_i32_e32 vcc, v1, v2
	v_writelane_b32 v95, s0, 36
	s_mov_b32 s9, 0x42b17218
	v_cndmask_b32_e32 v1, v1, v20, vcc
	v_writelane_b32 v95, s1, 37
	s_lshl_b64 s[0:1], s[98:99], 1
	s_add_u32 s0, s4, s0
	s_mul_i32 s98, s26, s54
	s_addc_u32 s1, s5, s1
	s_lshl_b64 s[4:5], s[98:99], 1
	s_add_u32 s14, s22, s4
	v_writelane_b32 v95, s48, 38
	s_mul_i32 s98, s55, s34
	s_addc_u32 s15, s23, s5
	s_lshl_b64 s[4:5], s[98:99], 1
	s_add_u32 s18, s14, s4
	s_mul_i32 s98, s26, s30
	s_addc_u32 s19, s15, s5
	s_lshl_b64 s[14:15], s[98:99], 1
	s_add_u32 s22, s24, s14
	v_cmp_eq_u32_e64 s[4:5], 63, v0
	v_lshlrev_b32_e32 v1, 2, v1
	s_addc_u32 s23, s25, s15
	v_cmp_gt_u32_e64 s[14:15], 64, v0
	v_mov_b32_e32 v0, v20
	scratch_store_dwordx2 off, v[0:1], off offset:172 ; 8-byte Folded Spill
	v_or_b32_e32 v0, 1, v19
	scratch_store_dword off, v0, off offset:268 ; 4-byte Folded Spill
	v_or_b32_e32 v0, 2, v19
	scratch_store_dword off, v0, off offset:272 ; 4-byte Folded Spill
	;; [unrolled: 2-line block ×6, first 2 shown]
                                        ; implicit-def: $vgpr0
	v_writelane_b32 v95, s49, 39
	v_or_b32_e32 v0, 7, v19
	v_writelane_b32 v95, s50, 40
	scratch_store_dword off, v0, off offset:292 ; 4-byte Folded Spill
	v_or_b32_e32 v0, 8, v19
	v_writelane_b32 v95, s51, 41
	scratch_store_dword off, v0, off offset:296 ; 4-byte Folded Spill
	;; [unrolled: 3-line block ×4, first 2 shown]
	v_or_b32_e32 v0, 11, v19
	v_writelane_b32 v95, s54, 44
	s_mul_i32 s98, s31, s34
	scratch_store_dword off, v0, off offset:308 ; 4-byte Folded Spill
	v_or_b32_e32 v0, 12, v19
	v_writelane_b32 v95, s55, 45
	s_lshl_b64 s[20:21], s[98:99], 1
	scratch_store_dword off, v0, off offset:312 ; 4-byte Folded Spill
	v_or_b32_e32 v0, 13, v19
	v_writelane_b32 v95, s4, 46
	s_add_u32 s20, s22, s20
	scratch_store_dword off, v0, off offset:316 ; 4-byte Folded Spill
	v_or_b32_e32 v0, 14, v19
	v_writelane_b32 v95, s5, 47
	scratch_store_dword off, v1, off offset:160 ; 4-byte Folded Spill
	s_addc_u32 s21, s23, s21
	s_add_i32 s22, 0, 0x1088
	scratch_store_dword off, v0, off offset:320 ; 4-byte Folded Spill
	scratch_store_dword off, v19, off offset:264 ; 4-byte Folded Spill
	v_or_b32_e32 v0, 15, v19
	v_writelane_b32 v95, s22, 48
	scratch_store_dword off, v0, off offset:324 ; 4-byte Folded Spill
	v_lshl_add_u64 v[0:1], s[0:1], 0, v[16:17]
	scratch_store_dwordx2 off, v[0:1], off offset:240 ; 8-byte Folded Spill
	v_lshl_add_u64 v[0:1], s[18:19], 0, v[16:17]
	v_writelane_b32 v95, s97, 49
	scratch_store_dwordx2 off, v[0:1], off offset:248 ; 8-byte Folded Spill
	v_lshl_add_u64 v[0:1], s[20:21], 0, v[16:17]
	v_writelane_b32 v95, s6, 50
	s_mov_b32 s4, 0x41a00000
	s_mov_b32 s5, 0x3fb8aa3b
	;; [unrolled: 1-line block ×7, first 2 shown]
	v_mov_b32_e32 v39, 0x7f800000
	v_mov_b32_e32 v20, 0x42800000
	;; [unrolled: 1-line block ×3, first 2 shown]
	s_mov_b32 s1, 0
	scratch_store_dwordx2 off, v[0:1], off offset:256 ; 8-byte Folded Spill
	v_mov_b32_e32 v0, 0x3f317218
	v_writelane_b32 v95, s7, 51
	scratch_store_dwordx2 off, v[0:1], off offset:164 ; 8-byte Folded Spill
	s_branch .LBB112_13
.LBB112_12:                             ;   in Loop: Header=BB112_13 Depth=1
	s_or_b64 exec, exec, s[18:19]
	v_readlane_b32 s0, v95, 4
	v_readlane_b32 s1, v95, 5
	s_add_u32 s0, s0, 0x800
	s_addc_u32 s1, s1, 0
	v_writelane_b32 v95, s0, 4
	s_nop 1
	v_writelane_b32 v95, s1, 5
	s_nop 0
	v_readlane_b32 s38, v95, 55
	v_readlane_b32 s39, v95, 56
	s_add_u32 s38, s38, 0x800
	s_addc_u32 s39, s39, 0
	v_readlane_b32 s0, v95, 8
	v_readlane_b32 s1, v95, 9
	s_add_u32 s0, s0, 0x800
	s_addc_u32 s1, s1, 0
	v_writelane_b32 v95, s0, 8
	s_nop 1
	v_writelane_b32 v95, s1, 9
	s_nop 0
	v_readlane_b32 s0, v95, 18
	v_readlane_b32 s1, v95, 19
	s_add_u32 s0, s0, 0x800
	s_addc_u32 s1, s1, 0
	v_writelane_b32 v95, s0, 18
	s_nop 1
	v_writelane_b32 v95, s1, 19
	s_nop 0
	v_readlane_b32 s1, v95, 52
	s_add_i32 s1, s1, 1
	v_readlane_b32 s0, v95, 28
	s_cmp_lg_u32 s1, s0
	s_cbranch_scc0 .LBB112_298
.LBB112_13:                             ; =>This Loop Header: Depth=1
                                        ;     Child Loop BB112_110 Depth 2
	s_waitcnt lgkmcnt(0)
	; wave barrier
	s_waitcnt vmcnt(63) expcnt(7) lgkmcnt(15)
	scratch_load_dwordx2 v[0:1], off, off offset:172 ; 8-byte Folded Reload
	s_lshl_b32 s20, s1, 10
	v_writelane_b32 v95, s1, 52
	s_mov_b32 s18, s20
	v_readlane_b32 s0, v95, 25
	v_writelane_b32 v95, s18, 53
	s_sub_i32 s82, s0, s20
	s_waitcnt vmcnt(0) lgkmcnt(0)
	v_mov_b32_e32 v2, v0
	v_writelane_b32 v95, s19, 54
	v_lshlrev_b32_e32 v16, 1, v2
	v_writelane_b32 v95, s38, 55
	v_cmp_gt_u32_e64 s[18:19], s82, v2
	v_mov_b32_e32 v2, 0
	v_writelane_b32 v95, s39, 56
	v_lshl_add_u64 v[0:1], s[38:39], 0, v[16:17]
	s_and_saveexec_b64 s[20:21], s[18:19]
	s_cbranch_execz .LBB112_15
; %bb.14:                               ;   in Loop: Header=BB112_13 Depth=1
	global_load_ushort v2, v[0:1], off
.LBB112_15:                             ;   in Loop: Header=BB112_13 Depth=1
	s_or_b64 exec, exec, s[20:21]
	scratch_load_dword v3, off, off offset:180 ; 4-byte Folded Reload
	v_mov_b32_e32 v4, 0
	s_waitcnt vmcnt(0)
	v_cmp_gt_u32_e64 s[20:21], s82, v3
	v_mov_b32_e32 v3, 0
	s_and_saveexec_b64 s[22:23], s[20:21]
	s_cbranch_execz .LBB112_17
; %bb.16:                               ;   in Loop: Header=BB112_13 Depth=1
	global_load_ushort v4, v[0:1], off offset:128
.LBB112_17:                             ;   in Loop: Header=BB112_13 Depth=1
	s_or_b64 exec, exec, s[22:23]
	scratch_load_dword v5, off, off offset:184 ; 4-byte Folded Reload
	s_waitcnt vmcnt(0)
	v_cmp_gt_u32_e64 s[22:23], s82, v5
	s_and_saveexec_b64 s[24:25], s[22:23]
	s_cbranch_execz .LBB112_19
; %bb.18:                               ;   in Loop: Header=BB112_13 Depth=1
	global_load_ushort v3, v[0:1], off offset:256
.LBB112_19:                             ;   in Loop: Header=BB112_13 Depth=1
	s_or_b64 exec, exec, s[24:25]
	scratch_load_dword v5, off, off offset:188 ; 4-byte Folded Reload
	v_mov_b32_e32 v6, 0
	s_waitcnt vmcnt(0)
	v_cmp_gt_u32_e64 s[24:25], s82, v5
	v_mov_b32_e32 v5, 0
	s_and_saveexec_b64 s[26:27], s[24:25]
	s_cbranch_execz .LBB112_21
; %bb.20:                               ;   in Loop: Header=BB112_13 Depth=1
	global_load_ushort v6, v[0:1], off offset:384
.LBB112_21:                             ;   in Loop: Header=BB112_13 Depth=1
	s_or_b64 exec, exec, s[26:27]
	scratch_load_dword v7, off, off offset:192 ; 4-byte Folded Reload
	s_waitcnt vmcnt(0)
	v_cmp_gt_u32_e64 s[26:27], s82, v7
	s_and_saveexec_b64 s[28:29], s[26:27]
	s_cbranch_execz .LBB112_23
; %bb.22:                               ;   in Loop: Header=BB112_13 Depth=1
	global_load_ushort v5, v[0:1], off offset:512
.LBB112_23:                             ;   in Loop: Header=BB112_13 Depth=1
	;; [unrolled: 20-line block ×4, first 2 shown]
	s_or_b64 exec, exec, s[38:39]
	scratch_load_dword v10, off, off offset:212 ; 4-byte Folded Reload
	v_mov_b32_e32 v12, 0
	v_mov_b32_e32 v13, 0
	s_waitcnt vmcnt(0)
	v_cmp_gt_u32_e64 s[38:39], s82, v10
	s_and_saveexec_b64 s[40:41], s[38:39]
	s_cbranch_execz .LBB112_33
; %bb.32:                               ;   in Loop: Header=BB112_13 Depth=1
	global_load_ushort v13, v[0:1], off offset:1152
.LBB112_33:                             ;   in Loop: Header=BB112_13 Depth=1
	s_or_b64 exec, exec, s[40:41]
	scratch_load_dword v10, off, off offset:216 ; 4-byte Folded Reload
	s_waitcnt vmcnt(0)
	v_cmp_gt_u32_e64 s[40:41], s82, v10
	s_and_saveexec_b64 s[42:43], s[40:41]
	s_cbranch_execz .LBB112_35
; %bb.34:                               ;   in Loop: Header=BB112_13 Depth=1
	global_load_ushort v12, v[0:1], off offset:1280
.LBB112_35:                             ;   in Loop: Header=BB112_13 Depth=1
	s_or_b64 exec, exec, s[42:43]
	scratch_load_dword v10, off, off offset:220 ; 4-byte Folded Reload
	v_mov_b32_e32 v14, 0
	v_mov_b32_e32 v15, 0
	s_waitcnt vmcnt(0)
	v_cmp_gt_u32_e64 s[42:43], s82, v10
	s_and_saveexec_b64 s[44:45], s[42:43]
	s_cbranch_execz .LBB112_37
; %bb.36:                               ;   in Loop: Header=BB112_13 Depth=1
	global_load_ushort v15, v[0:1], off offset:1408
.LBB112_37:                             ;   in Loop: Header=BB112_13 Depth=1
	s_or_b64 exec, exec, s[44:45]
	scratch_load_dword v10, off, off offset:224 ; 4-byte Folded Reload
	s_waitcnt vmcnt(0)
	v_cmp_gt_u32_e64 s[44:45], s82, v10
	s_and_saveexec_b64 s[46:47], s[44:45]
	s_cbranch_execz .LBB112_39
; %bb.38:                               ;   in Loop: Header=BB112_13 Depth=1
	global_load_ushort v14, v[0:1], off offset:1536
.LBB112_39:                             ;   in Loop: Header=BB112_13 Depth=1
	;; [unrolled: 20-line block ×3, first 2 shown]
	s_or_b64 exec, exec, s[50:51]
	scratch_load_dword v10, off, off offset:236 ; 4-byte Folded Reload
	v_mov_b32_e32 v22, 0
	s_waitcnt vmcnt(0)
	v_cmp_gt_u32_e64 s[50:51], s82, v10
	v_mov_b32_e32 v10, 0
	s_and_saveexec_b64 s[52:53], s[50:51]
	s_cbranch_execz .LBB112_45
; %bb.44:                               ;   in Loop: Header=BB112_13 Depth=1
	global_load_ushort v22, v[0:1], off offset:1920
.LBB112_45:                             ;   in Loop: Header=BB112_13 Depth=1
	s_or_b64 exec, exec, s[52:53]
	scratch_load_dword v0, off, off         ; 4-byte Folded Reload
	v_readlane_b32 s0, v95, 4
	v_readlane_b32 s1, v95, 5
	s_waitcnt vmcnt(0)
	ds_write_b16 v0, v2
	scratch_load_dword v0, off, off offset:8 ; 4-byte Folded Reload
	s_waitcnt vmcnt(0)
	ds_write_b16 v0, v4 offset:128
	scratch_load_dword v0, off, off offset:12 ; 4-byte Folded Reload
	s_waitcnt vmcnt(0)
	ds_write_b16 v0, v3 offset:256
	;; [unrolled: 3-line block ×8, first 2 shown]
	scratch_load_dword v0, off, off offset:40 ; 4-byte Folded Reload
	v_lshl_add_u64 v[8:9], s[0:1], 0, v[16:17]
	s_waitcnt vmcnt(0)
	ds_write_b16 v0, v13 offset:1152
	scratch_load_dword v0, off, off offset:44 ; 4-byte Folded Reload
	s_waitcnt vmcnt(0)
	ds_write_b16 v0, v12 offset:1280
	scratch_load_dword v0, off, off offset:48 ; 4-byte Folded Reload
	;; [unrolled: 3-line block ×6, first 2 shown]
	s_waitcnt vmcnt(0)
	ds_write_b16 v0, v22 offset:1920
	; wave barrier
	scratch_load_dword v4, off, off offset:4 ; 4-byte Folded Reload
	s_waitcnt vmcnt(0)
	ds_read_b128 v[0:3], v4
	ds_read_b128 v[4:7], v4 offset:16
	s_waitcnt lgkmcnt(0)
	; wave barrier
	s_waitcnt lgkmcnt(0)
	s_and_saveexec_b64 s[52:53], s[18:19]
	s_cbranch_execz .LBB112_47
; %bb.46:                               ;   in Loop: Header=BB112_13 Depth=1
	global_load_ushort v10, v[8:9], off
.LBB112_47:                             ;   in Loop: Header=BB112_13 Depth=1
	s_or_b64 exec, exec, s[52:53]
	v_mov_b32_e32 v11, 0
	v_mov_b32_e32 v12, 0
	s_and_saveexec_b64 s[52:53], s[20:21]
	s_cbranch_execz .LBB112_49
; %bb.48:                               ;   in Loop: Header=BB112_13 Depth=1
	global_load_ushort v12, v[8:9], off offset:128
.LBB112_49:                             ;   in Loop: Header=BB112_13 Depth=1
	s_or_b64 exec, exec, s[52:53]
	s_and_saveexec_b64 s[52:53], s[22:23]
	s_cbranch_execz .LBB112_51
; %bb.50:                               ;   in Loop: Header=BB112_13 Depth=1
	global_load_ushort v11, v[8:9], off offset:256
.LBB112_51:                             ;   in Loop: Header=BB112_13 Depth=1
	s_or_b64 exec, exec, s[52:53]
	v_mov_b32_e32 v13, 0
	v_mov_b32_e32 v14, 0
	s_and_saveexec_b64 s[52:53], s[24:25]
	s_cbranch_execz .LBB112_53
; %bb.52:                               ;   in Loop: Header=BB112_13 Depth=1
	global_load_ushort v14, v[8:9], off offset:384
.LBB112_53:                             ;   in Loop: Header=BB112_13 Depth=1
	s_or_b64 exec, exec, s[52:53]
	s_and_saveexec_b64 s[52:53], s[26:27]
	s_cbranch_execz .LBB112_55
; %bb.54:                               ;   in Loop: Header=BB112_13 Depth=1
	global_load_ushort v13, v[8:9], off offset:512
.LBB112_55:                             ;   in Loop: Header=BB112_13 Depth=1
	;; [unrolled: 14-line block ×6, first 2 shown]
	s_or_b64 exec, exec, s[52:53]
	v_mov_b32_e32 v27, 0
	v_mov_b32_e32 v28, 0
	s_and_saveexec_b64 s[52:53], s[46:47]
	s_cbranch_execnz .LBB112_267
; %bb.72:                               ;   in Loop: Header=BB112_13 Depth=1
	s_or_b64 exec, exec, s[52:53]
	s_and_saveexec_b64 s[52:53], s[48:49]
	s_cbranch_execnz .LBB112_268
.LBB112_73:                             ;   in Loop: Header=BB112_13 Depth=1
	s_or_b64 exec, exec, s[52:53]
	v_mov_b32_e32 v29, 0
	s_and_saveexec_b64 s[52:53], s[50:51]
	s_cbranch_execz .LBB112_75
.LBB112_74:                             ;   in Loop: Header=BB112_13 Depth=1
	global_load_ushort v29, v[8:9], off offset:1920
.LBB112_75:                             ;   in Loop: Header=BB112_13 Depth=1
	s_or_b64 exec, exec, s[52:53]
	scratch_load_dword v8, off, off         ; 4-byte Folded Reload
	v_readlane_b32 s0, v95, 2
	s_waitcnt vmcnt(0)
	ds_write_b16 v8, v10
	scratch_load_dword v8, off, off offset:8 ; 4-byte Folded Reload
	s_waitcnt vmcnt(0)
	ds_write_b16 v8, v12 offset:128
	scratch_load_dword v8, off, off offset:12 ; 4-byte Folded Reload
	s_waitcnt vmcnt(0)
	ds_write_b16 v8, v11 offset:256
	;; [unrolled: 3-line block ×15, first 2 shown]
	; wave barrier
	scratch_load_dword v8, off, off offset:4 ; 4-byte Folded Reload
	s_waitcnt vmcnt(0)
	ds_read_b128 v[12:15], v8
	ds_read_b128 v[8:11], v8 offset:16
	s_waitcnt lgkmcnt(1)
	v_cvt_f32_f16_e32 v18, v12
	v_add_f32_e32 v22, s0, v18
	v_cmp_ge_f32_e32 vcc, s4, v22
	s_and_b64 s[0:1], s[6:7], vcc
	s_and_saveexec_b64 s[54:55], s[0:1]
	s_cbranch_execz .LBB112_77
; %bb.76:                               ;   in Loop: Header=BB112_13 Depth=1
	v_mul_f32_e32 v18, 0x3fb8aa3b, v22
	v_rndne_f32_e32 v19, v18
	v_sub_f32_e32 v23, v18, v19
	v_fma_f32 v18, v22, s5, -v18
	v_fmac_f32_e32 v18, 0x32a5705f, v22
	v_add_f32_e32 v18, v23, v18
	v_cvt_i32_f32_e32 v19, v19
	v_exp_f32_e32 v18, v18
	v_cmp_ngt_f32_e32 vcc, s8, v22
	v_ldexp_f32 v18, v18, v19
	s_nop 0
	v_cndmask_b32_e32 v18, 0, v18, vcc
	v_cmp_nlt_f32_e32 vcc, s9, v22
	s_nop 1
	v_cndmask_b32_e32 v36, v39, v18, vcc
	v_add_f32_e32 v22, 1.0, v36
	v_add_f32_e32 v18, -1.0, v22
	v_sub_f32_e32 v19, v18, v22
	v_add_f32_e32 v19, 1.0, v19
	v_sub_f32_e32 v18, v36, v18
	v_add_f32_e32 v23, v18, v19
	v_frexp_mant_f32_e32 v24, v22
	v_cvt_f64_f32_e32 v[18:19], v22
	v_frexp_exp_i32_f64_e32 v18, v[18:19]
	v_cmp_gt_f32_e32 vcc, s11, v24
	v_cmp_gt_f32_e64 s[52:53], s57, v36
	s_nop 0
	v_subbrev_co_u32_e32 v28, vcc, 0, v18, vcc
	v_sub_u32_e32 v18, 0, v28
	v_ldexp_f32 v19, v22, v18
	v_add_f32_e32 v22, -1.0, v19
	v_add_f32_e32 v24, 1.0, v19
	v_ldexp_f32 v18, v23, v18
	v_add_f32_e32 v23, 1.0, v22
	v_add_f32_e32 v25, -1.0, v24
	v_sub_f32_e32 v23, v19, v23
	v_sub_f32_e32 v19, v19, v25
	v_add_f32_e32 v23, v18, v23
	v_add_f32_e32 v18, v18, v19
	;; [unrolled: 1-line block ×3, first 2 shown]
	v_rcp_f32_e32 v31, v29
	v_sub_f32_e32 v19, v24, v29
	v_add_f32_e32 v30, v18, v19
	v_add_f32_e32 v19, v22, v23
	v_mul_f32_e32 v33, v19, v31
	v_sub_f32_e32 v18, v22, v19
	v_mul_f32_e32 v22, v29, v33
	v_fma_f32 v24, v33, v29, -v22
	v_fmac_f32_e32 v24, v33, v30
	v_add_f32_e32 v32, v23, v18
	v_add_f32_e32 v18, v22, v24
	v_sub_f32_e32 v23, v19, v18
	v_pk_add_f32 v[26:27], v[18:19], v[22:23] neg_lo:[0,1] neg_hi:[0,1]
	v_mov_b32_e32 v25, v18
	v_pk_add_f32 v[18:19], v[26:27], v[24:25] neg_lo:[0,1] neg_hi:[0,1]
	v_cmp_eq_f32_e32 vcc, s10, v36
	v_add_f32_e32 v19, v32, v19
	v_add_f32_e32 v18, v18, v19
	;; [unrolled: 1-line block ×3, first 2 shown]
	v_mul_f32_e32 v32, v31, v19
	v_mul_f32_e32 v22, v29, v32
	v_fma_f32 v24, v32, v29, -v22
	v_fmac_f32_e32 v24, v32, v30
	v_sub_f32_e32 v23, v23, v19
	v_add_f32_e32 v29, v18, v23
	v_add_f32_e32 v18, v22, v24
	v_sub_f32_e32 v23, v19, v18
	v_pk_add_f32 v[26:27], v[18:19], v[22:23] neg_lo:[0,1] neg_hi:[0,1]
	v_mov_b32_e32 v25, v18
	v_pk_add_f32 v[18:19], v[26:27], v[24:25] neg_lo:[0,1] neg_hi:[0,1]
	scratch_load_dwordx2 v[26:27], off, off offset:164 ; 8-byte Folded Reload
	v_add_f32_e32 v19, v29, v19
	v_add_f32_e32 v18, v18, v19
	;; [unrolled: 1-line block ×4, first 2 shown]
	v_sub_f32_e32 v22, v19, v33
	v_mul_f32_e32 v18, v31, v18
	v_sub_f32_e32 v22, v32, v22
	v_add_f32_e32 v22, v22, v18
	v_add_f32_e32 v24, v19, v22
	v_mul_f32_e32 v25, v24, v24
	v_mov_b32_e32 v18, 0x3ecc95a3
	v_fmamk_f32 v18, v25, 0x3e9b6dac, v18
	v_fmaak_f32 v31, v25, v18, 0x3f2aaada
	v_cvt_f32_i32_e32 v18, v28
	v_sub_f32_e32 v19, v24, v19
	v_sub_f32_e32 v19, v22, v19
	v_ldexp_f32 v23, v24, 1
	s_or_b64 vcc, s[52:53], vcc
	s_waitcnt vmcnt(0)
	v_mov_b32_e32 v30, v26
	v_ldexp_f32 v26, v19, 1
	v_mul_f32_e32 v19, v24, v25
	v_mov_b32_e32 v22, v30
	v_pk_mul_f32 v[24:25], v[18:19], v[30:31]
	scratch_store_dwordx2 off, v[22:23], off offset:164 ; 8-byte Folded Spill
	v_fma_f32 v22, v18, s56, -v24
	v_fmac_f32_e32 v22, 0xb102e308, v18
	v_pk_add_f32 v[18:19], v[24:25], v[22:23]
	s_nop 0
	v_sub_f32_e32 v23, v19, v23
	v_sub_f32_e32 v23, v25, v23
	v_add_f32_e32 v27, v26, v23
	v_mov_b32_e32 v26, v24
	v_pk_add_f32 v[24:25], v[18:19], v[24:25] neg_lo:[0,1] neg_hi:[0,1]
	v_pk_add_f32 v[28:29], v[18:19], v[26:27]
	v_mov_b32_e32 v23, v18
	v_mov_b32_e32 v25, v29
	v_pk_add_f32 v[30:31], v[22:23], v[24:25] neg_lo:[0,1] neg_hi:[0,1]
	v_pk_add_f32 v[22:23], v[22:23], v[24:25]
	v_mov_b32_e32 v26, v27
	v_mov_b32_e32 v24, v23
	v_pk_add_f32 v[32:33], v[24:25], v[18:19] neg_lo:[0,1] neg_hi:[0,1]
	v_mov_b32_e32 v22, v29
	v_mov_b32_e32 v25, v32
	v_pk_add_f32 v[34:35], v[28:29], v[24:25] neg_lo:[0,1] neg_hi:[0,1]
	v_mov_b32_e32 v28, v19
	v_mov_b32_e32 v29, v32
	;; [unrolled: 1-line block ×3, first 2 shown]
	v_pk_add_f32 v[22:23], v[22:23], v[28:29] neg_lo:[0,1] neg_hi:[0,1]
	v_mov_b32_e32 v27, v18
	v_pk_add_f32 v[18:19], v[26:27], v[22:23] neg_lo:[0,1] neg_hi:[0,1]
	v_mov_b32_e32 v34, v30
	v_pk_add_f32 v[22:23], v[34:35], v[18:19]
	s_nop 0
	v_mov_b32_e32 v26, v23
	v_pk_add_f32 v[26:27], v[22:23], v[26:27]
	s_nop 0
	v_pk_add_f32 v[24:25], v[24:25], v[26:27]
	v_mov_b32_e32 v19, v26
	v_mov_b32_e32 v23, v24
	v_pk_add_f32 v[28:29], v[22:23], v[30:31] neg_lo:[0,1] neg_hi:[0,1]
	s_nop 0
	v_sub_f32_e32 v22, v22, v28
	v_pk_add_f32 v[18:19], v[18:19], v[28:29] neg_lo:[0,1] neg_hi:[0,1]
	v_sub_f32_e32 v22, v30, v22
	v_add_f32_e32 v18, v18, v22
	v_add_f32_e32 v18, v18, v19
	v_add_f32_e32 v18, v24, v18
	v_cndmask_b32_e32 v22, v18, v36, vcc
.LBB112_77:                             ;   in Loop: Header=BB112_13 Depth=1
	s_or_b64 exec, exec, s[54:55]
	v_cvt_f32_f16_sdwa v12, v12 dst_sel:DWORD dst_unused:UNUSED_PAD src0_sel:WORD_1
	v_readlane_b32 s0, v95, 2
	s_nop 1
	v_add_f32_e32 v23, s0, v12
	v_cmp_ge_f32_e32 vcc, s4, v23
	s_and_b64 s[0:1], s[6:7], vcc
	s_and_saveexec_b64 s[54:55], s[0:1]
	s_cbranch_execz .LBB112_79
; %bb.78:                               ;   in Loop: Header=BB112_13 Depth=1
	v_mul_f32_e32 v12, 0x3fb8aa3b, v23
	v_rndne_f32_e32 v18, v12
	v_sub_f32_e32 v19, v12, v18
	v_fma_f32 v12, v23, s5, -v12
	v_fmac_f32_e32 v12, 0x32a5705f, v23
	v_add_f32_e32 v12, v19, v12
	v_cvt_i32_f32_e32 v18, v18
	v_exp_f32_e32 v12, v12
	v_cmp_ngt_f32_e32 vcc, s8, v23
	v_ldexp_f32 v12, v12, v18
	s_nop 0
	v_cndmask_b32_e32 v12, 0, v12, vcc
	v_cmp_nlt_f32_e32 vcc, s9, v23
	s_nop 1
	v_cndmask_b32_e32 v36, v39, v12, vcc
	v_add_f32_e32 v12, 1.0, v36
	v_add_f32_e32 v18, -1.0, v12
	v_sub_f32_e32 v19, v18, v12
	v_add_f32_e32 v19, 1.0, v19
	v_sub_f32_e32 v18, v36, v18
	v_add_f32_e32 v23, v18, v19
	v_frexp_mant_f32_e32 v24, v12
	v_cvt_f64_f32_e32 v[18:19], v12
	v_frexp_exp_i32_f64_e32 v18, v[18:19]
	v_cmp_gt_f32_e32 vcc, s11, v24
	v_cmp_gt_f32_e64 s[52:53], s57, v36
	s_nop 0
	v_subbrev_co_u32_e32 v30, vcc, 0, v18, vcc
	v_sub_u32_e32 v18, 0, v30
	v_ldexp_f32 v12, v12, v18
	v_ldexp_f32 v18, v23, v18
	v_add_f32_e32 v23, -1.0, v12
	v_add_f32_e32 v19, 1.0, v23
	v_sub_f32_e32 v19, v12, v19
	v_add_f32_e32 v24, v18, v19
	v_add_f32_e32 v19, 1.0, v12
	v_add_f32_e32 v25, -1.0, v19
	v_sub_f32_e32 v12, v12, v25
	v_add_f32_e32 v12, v18, v12
	v_add_f32_e32 v31, v19, v12
	v_rcp_f32_e32 v32, v31
	v_sub_f32_e32 v18, v19, v31
	v_add_f32_e32 v19, v23, v24
	v_add_f32_e32 v12, v12, v18
	v_sub_f32_e32 v18, v23, v19
	v_mul_f32_e32 v33, v19, v32
	v_add_f32_e32 v23, v24, v18
	v_mul_f32_e32 v24, v31, v33
	v_fma_f32 v26, v33, v31, -v24
	v_fmac_f32_e32 v26, v33, v12
	v_add_f32_e32 v18, v24, v26
	v_sub_f32_e32 v25, v19, v18
	v_pk_add_f32 v[28:29], v[18:19], v[24:25] neg_lo:[0,1] neg_hi:[0,1]
	v_mov_b32_e32 v27, v18
	v_pk_add_f32 v[18:19], v[28:29], v[26:27] neg_lo:[0,1] neg_hi:[0,1]
	v_cmp_eq_f32_e32 vcc, s10, v36
	v_add_f32_e32 v19, v23, v19
	v_add_f32_e32 v18, v18, v19
	;; [unrolled: 1-line block ×3, first 2 shown]
	v_mul_f32_e32 v23, v32, v19
	v_mul_f32_e32 v24, v31, v23
	v_fma_f32 v26, v23, v31, -v24
	v_fmac_f32_e32 v26, v23, v12
	v_sub_f32_e32 v12, v25, v19
	v_add_f32_e32 v12, v18, v12
	v_add_f32_e32 v18, v24, v26
	v_sub_f32_e32 v25, v19, v18
	v_pk_add_f32 v[28:29], v[18:19], v[24:25] neg_lo:[0,1] neg_hi:[0,1]
	v_mov_b32_e32 v27, v18
	v_pk_add_f32 v[18:19], v[28:29], v[26:27] neg_lo:[0,1] neg_hi:[0,1]
	scratch_load_dwordx2 v[26:27], off, off offset:164 ; 8-byte Folded Reload
	v_add_f32_e32 v12, v12, v19
	v_add_f32_e32 v12, v18, v12
	;; [unrolled: 1-line block ×4, first 2 shown]
	v_sub_f32_e32 v18, v19, v33
	v_mul_f32_e32 v12, v32, v12
	v_sub_f32_e32 v18, v23, v18
	v_add_f32_e32 v12, v18, v12
	v_add_f32_e32 v23, v19, v12
	v_mul_f32_e32 v24, v23, v23
	v_mov_b32_e32 v18, 0x3ecc95a3
	v_fmamk_f32 v18, v24, 0x3e9b6dac, v18
	s_waitcnt vmcnt(0)
	v_fmaak_f32 v27, v24, v18, 0x3f2aaada
	v_cvt_f32_i32_e32 v18, v30
	v_sub_f32_e32 v19, v23, v19
	v_sub_f32_e32 v12, v12, v19
	v_mul_f32_e32 v19, v23, v24
	v_ldexp_f32 v25, v23, 1
	v_ldexp_f32 v12, v12, 1
	s_or_b64 vcc, s[52:53], vcc
	v_mov_b32_e32 v24, v26
	v_pk_mul_f32 v[26:27], v[18:19], v[26:27]
	scratch_store_dwordx2 off, v[24:25], off offset:164 ; 8-byte Folded Spill
	v_fma_f32 v24, v18, s56, -v26
	v_fmac_f32_e32 v24, 0xb102e308, v18
	v_pk_add_f32 v[18:19], v[26:27], v[24:25]
	v_mov_b32_e32 v28, v26
	v_sub_f32_e32 v23, v19, v25
	v_sub_f32_e32 v23, v27, v23
	v_add_f32_e32 v29, v12, v23
	v_pk_add_f32 v[26:27], v[18:19], v[26:27] neg_lo:[0,1] neg_hi:[0,1]
	v_pk_add_f32 v[30:31], v[18:19], v[28:29]
	v_mov_b32_e32 v25, v18
	v_mov_b32_e32 v27, v31
	v_pk_add_f32 v[32:33], v[24:25], v[26:27] neg_lo:[0,1] neg_hi:[0,1]
	v_pk_add_f32 v[24:25], v[24:25], v[26:27]
	s_nop 0
	v_mov_b32_e32 v12, v25
	v_pk_add_f32 v[26:27], v[12:13], v[18:19] neg_lo:[0,1] neg_hi:[0,1]
	v_mov_b32_e32 v24, v31
	v_mov_b32_e32 v23, v26
	v_pk_add_f32 v[34:35], v[30:31], v[22:23] neg_lo:[0,1] neg_hi:[0,1]
	v_mov_b32_e32 v30, v19
	v_mov_b32_e32 v31, v26
	;; [unrolled: 1-line block ×3, first 2 shown]
	v_pk_add_f32 v[24:25], v[24:25], v[30:31] neg_lo:[0,1] neg_hi:[0,1]
	v_mov_b32_e32 v26, v29
	v_mov_b32_e32 v27, v18
	v_pk_add_f32 v[18:19], v[26:27], v[24:25] neg_lo:[0,1] neg_hi:[0,1]
	v_mov_b32_e32 v34, v32
	v_pk_add_f32 v[24:25], v[34:35], v[18:19]
	s_nop 0
	v_mov_b32_e32 v26, v25
	v_pk_add_f32 v[26:27], v[24:25], v[26:27]
	s_nop 0
	v_pk_add_f32 v[28:29], v[12:13], v[26:27]
	v_mov_b32_e32 v19, v26
	v_mov_b32_e32 v25, v28
	v_pk_add_f32 v[30:31], v[24:25], v[32:33] neg_lo:[0,1] neg_hi:[0,1]
	s_nop 0
	v_sub_f32_e32 v12, v24, v30
	v_pk_add_f32 v[18:19], v[18:19], v[30:31] neg_lo:[0,1] neg_hi:[0,1]
	v_sub_f32_e32 v12, v32, v12
	v_add_f32_e32 v12, v18, v12
	v_add_f32_e32 v12, v12, v19
	;; [unrolled: 1-line block ×3, first 2 shown]
	v_cndmask_b32_e32 v23, v12, v36, vcc
.LBB112_79:                             ;   in Loop: Header=BB112_13 Depth=1
	s_or_b64 exec, exec, s[54:55]
	v_cvt_f32_f16_e32 v12, v13
	v_readlane_b32 s0, v95, 2
	s_nop 1
	v_add_f32_e32 v24, s0, v12
	v_cmp_ge_f32_e32 vcc, s4, v24
	s_and_b64 s[0:1], s[6:7], vcc
	s_and_saveexec_b64 s[54:55], s[0:1]
	s_cbranch_execz .LBB112_81
; %bb.80:                               ;   in Loop: Header=BB112_13 Depth=1
	v_mul_f32_e32 v12, 0x3fb8aa3b, v24
	v_rndne_f32_e32 v18, v12
	v_sub_f32_e32 v19, v12, v18
	v_fma_f32 v12, v24, s5, -v12
	v_fmac_f32_e32 v12, 0x32a5705f, v24
	v_add_f32_e32 v12, v19, v12
	v_cvt_i32_f32_e32 v18, v18
	v_exp_f32_e32 v12, v12
	v_cmp_ngt_f32_e32 vcc, s8, v24
	v_ldexp_f32 v12, v12, v18
	s_nop 0
	v_cndmask_b32_e32 v12, 0, v12, vcc
	v_cmp_nlt_f32_e32 vcc, s9, v24
	s_nop 1
	v_cndmask_b32_e32 v36, v39, v12, vcc
	v_add_f32_e32 v12, 1.0, v36
	v_add_f32_e32 v18, -1.0, v12
	v_sub_f32_e32 v19, v18, v12
	v_add_f32_e32 v19, 1.0, v19
	v_sub_f32_e32 v18, v36, v18
	v_add_f32_e32 v24, v18, v19
	v_frexp_mant_f32_e32 v25, v12
	v_cvt_f64_f32_e32 v[18:19], v12
	v_frexp_exp_i32_f64_e32 v18, v[18:19]
	v_cmp_gt_f32_e32 vcc, s11, v25
	v_cmp_gt_f32_e64 s[52:53], s57, v36
	s_nop 0
	v_subbrev_co_u32_e32 v30, vcc, 0, v18, vcc
	v_sub_u32_e32 v18, 0, v30
	v_ldexp_f32 v12, v12, v18
	v_ldexp_f32 v18, v24, v18
	v_add_f32_e32 v24, -1.0, v12
	v_add_f32_e32 v19, 1.0, v24
	v_sub_f32_e32 v19, v12, v19
	v_add_f32_e32 v25, v18, v19
	v_add_f32_e32 v19, 1.0, v12
	v_add_f32_e32 v26, -1.0, v19
	v_sub_f32_e32 v12, v12, v26
	v_add_f32_e32 v12, v18, v12
	v_add_f32_e32 v31, v19, v12
	v_rcp_f32_e32 v32, v31
	v_sub_f32_e32 v18, v19, v31
	v_add_f32_e32 v19, v24, v25
	v_add_f32_e32 v12, v12, v18
	v_mul_f32_e32 v34, v19, v32
	v_sub_f32_e32 v18, v24, v19
	v_mul_f32_e32 v24, v31, v34
	v_fma_f32 v26, v34, v31, -v24
	v_fmac_f32_e32 v26, v34, v12
	v_add_f32_e32 v33, v25, v18
	v_add_f32_e32 v18, v24, v26
	v_sub_f32_e32 v25, v19, v18
	v_pk_add_f32 v[28:29], v[18:19], v[24:25] neg_lo:[0,1] neg_hi:[0,1]
	v_mov_b32_e32 v27, v18
	v_pk_add_f32 v[18:19], v[28:29], v[26:27] neg_lo:[0,1] neg_hi:[0,1]
	v_cmp_eq_f32_e32 vcc, s10, v36
	v_add_f32_e32 v19, v33, v19
	v_add_f32_e32 v18, v18, v19
	v_add_f32_e32 v19, v25, v18
	v_mul_f32_e32 v33, v32, v19
	v_mul_f32_e32 v24, v31, v33
	v_fma_f32 v26, v33, v31, -v24
	v_fmac_f32_e32 v26, v33, v12
	v_sub_f32_e32 v12, v25, v19
	v_add_f32_e32 v12, v18, v12
	v_add_f32_e32 v18, v24, v26
	v_sub_f32_e32 v25, v19, v18
	v_pk_add_f32 v[28:29], v[18:19], v[24:25] neg_lo:[0,1] neg_hi:[0,1]
	v_mov_b32_e32 v27, v18
	v_pk_add_f32 v[18:19], v[28:29], v[26:27] neg_lo:[0,1] neg_hi:[0,1]
	scratch_load_dwordx2 v[28:29], off, off offset:164 ; 8-byte Folded Reload
	v_add_f32_e32 v12, v12, v19
	v_add_f32_e32 v12, v18, v12
	;; [unrolled: 1-line block ×4, first 2 shown]
	v_sub_f32_e32 v18, v19, v34
	v_mul_f32_e32 v12, v32, v12
	v_sub_f32_e32 v18, v33, v18
	v_add_f32_e32 v12, v18, v12
	v_add_f32_e32 v24, v19, v12
	v_mul_f32_e32 v26, v24, v24
	v_mov_b32_e32 v18, 0x3ecc95a3
	v_fmamk_f32 v18, v26, 0x3e9b6dac, v18
	s_waitcnt vmcnt(0)
	v_fmaak_f32 v29, v26, v18, 0x3f2aaada
	v_cvt_f32_i32_e32 v18, v30
	v_sub_f32_e32 v19, v24, v19
	v_sub_f32_e32 v12, v12, v19
	v_mul_f32_e32 v19, v24, v26
	v_ldexp_f32 v25, v24, 1
	v_ldexp_f32 v12, v12, 1
	s_or_b64 vcc, s[52:53], vcc
	v_mov_b32_e32 v24, v28
	v_pk_mul_f32 v[26:27], v[18:19], v[28:29]
	scratch_store_dwordx2 off, v[24:25], off offset:164 ; 8-byte Folded Spill
	v_fma_f32 v24, v18, s56, -v26
	v_fmac_f32_e32 v24, 0xb102e308, v18
	v_pk_add_f32 v[18:19], v[26:27], v[24:25]
	v_mov_b32_e32 v28, v26
	v_sub_f32_e32 v25, v19, v25
	v_sub_f32_e32 v25, v27, v25
	v_add_f32_e32 v29, v12, v25
	v_pk_add_f32 v[26:27], v[18:19], v[26:27] neg_lo:[0,1] neg_hi:[0,1]
	v_pk_add_f32 v[30:31], v[18:19], v[28:29]
	v_mov_b32_e32 v25, v18
	v_mov_b32_e32 v27, v31
	v_pk_add_f32 v[32:33], v[24:25], v[26:27] neg_lo:[0,1] neg_hi:[0,1]
	v_pk_add_f32 v[24:25], v[24:25], v[26:27]
	s_nop 0
	v_mov_b32_e32 v12, v25
	v_pk_add_f32 v[26:27], v[12:13], v[18:19] neg_lo:[0,1] neg_hi:[0,1]
	v_mov_b32_e32 v24, v31
	v_mov_b32_e32 v27, v26
	v_pk_add_f32 v[34:35], v[30:31], v[26:27] neg_lo:[0,1] neg_hi:[0,1]
	v_mov_b32_e32 v30, v19
	v_mov_b32_e32 v31, v26
	v_mov_b32_e32 v33, v25
	v_pk_add_f32 v[24:25], v[24:25], v[30:31] neg_lo:[0,1] neg_hi:[0,1]
	v_mov_b32_e32 v26, v29
	v_mov_b32_e32 v27, v18
	v_pk_add_f32 v[18:19], v[26:27], v[24:25] neg_lo:[0,1] neg_hi:[0,1]
	v_mov_b32_e32 v34, v32
	v_pk_add_f32 v[24:25], v[34:35], v[18:19]
	s_nop 0
	v_mov_b32_e32 v26, v25
	v_pk_add_f32 v[26:27], v[24:25], v[26:27]
	s_nop 0
	v_pk_add_f32 v[28:29], v[12:13], v[26:27]
	v_mov_b32_e32 v19, v26
	v_mov_b32_e32 v25, v28
	v_pk_add_f32 v[30:31], v[24:25], v[32:33] neg_lo:[0,1] neg_hi:[0,1]
	s_nop 0
	v_sub_f32_e32 v12, v24, v30
	v_pk_add_f32 v[18:19], v[18:19], v[30:31] neg_lo:[0,1] neg_hi:[0,1]
	v_sub_f32_e32 v12, v32, v12
	v_add_f32_e32 v12, v18, v12
	v_add_f32_e32 v12, v12, v19
	;; [unrolled: 1-line block ×3, first 2 shown]
	v_cndmask_b32_e32 v24, v12, v36, vcc
.LBB112_81:                             ;   in Loop: Header=BB112_13 Depth=1
	s_or_b64 exec, exec, s[54:55]
	v_cvt_f32_f16_sdwa v12, v13 dst_sel:DWORD dst_unused:UNUSED_PAD src0_sel:WORD_1
	v_readlane_b32 s0, v95, 2
	s_nop 1
	v_add_f32_e32 v25, s0, v12
	v_cmp_ge_f32_e32 vcc, s4, v25
	s_and_b64 s[0:1], s[6:7], vcc
	s_and_saveexec_b64 s[54:55], s[0:1]
	s_cbranch_execz .LBB112_83
; %bb.82:                               ;   in Loop: Header=BB112_13 Depth=1
	v_mul_f32_e32 v12, 0x3fb8aa3b, v25
	v_rndne_f32_e32 v13, v12
	v_sub_f32_e32 v18, v12, v13
	v_fma_f32 v12, v25, s5, -v12
	v_fmac_f32_e32 v12, 0x32a5705f, v25
	v_add_f32_e32 v12, v18, v12
	v_cvt_i32_f32_e32 v13, v13
	v_exp_f32_e32 v12, v12
	v_cmp_ngt_f32_e32 vcc, s8, v25
	v_ldexp_f32 v12, v12, v13
	s_nop 0
	v_cndmask_b32_e32 v12, 0, v12, vcc
	v_cmp_nlt_f32_e32 vcc, s9, v25
	s_nop 1
	v_cndmask_b32_e32 v38, v39, v12, vcc
	v_add_f32_e32 v18, 1.0, v38
	v_add_f32_e32 v12, -1.0, v18
	v_sub_f32_e32 v13, v12, v18
	v_add_f32_e32 v13, 1.0, v13
	v_sub_f32_e32 v12, v38, v12
	v_add_f32_e32 v19, v12, v13
	v_frexp_mant_f32_e32 v25, v18
	v_cvt_f64_f32_e32 v[12:13], v18
	v_frexp_exp_i32_f64_e32 v12, v[12:13]
	v_cmp_gt_f32_e32 vcc, s11, v25
	v_cmp_gt_f32_e64 s[52:53], s57, v38
	s_nop 0
	v_subbrev_co_u32_e32 v25, vcc, 0, v12, vcc
	v_sub_u32_e32 v12, 0, v25
	v_ldexp_f32 v13, v18, v12
	v_add_f32_e32 v18, -1.0, v13
	v_add_f32_e32 v26, 1.0, v13
	v_ldexp_f32 v12, v19, v12
	v_add_f32_e32 v19, 1.0, v18
	v_add_f32_e32 v27, -1.0, v26
	v_sub_f32_e32 v19, v13, v19
	v_sub_f32_e32 v13, v13, v27
	v_add_f32_e32 v19, v12, v19
	v_add_f32_e32 v12, v12, v13
	;; [unrolled: 1-line block ×3, first 2 shown]
	v_rcp_f32_e32 v32, v30
	v_sub_f32_e32 v13, v26, v30
	v_add_f32_e32 v31, v12, v13
	v_add_f32_e32 v13, v18, v19
	v_mul_f32_e32 v34, v13, v32
	v_sub_f32_e32 v12, v18, v13
	v_mul_f32_e32 v18, v30, v34
	v_fma_f32 v26, v34, v30, -v18
	v_fmac_f32_e32 v26, v34, v31
	v_add_f32_e32 v33, v19, v12
	v_add_f32_e32 v12, v18, v26
	v_sub_f32_e32 v19, v13, v12
	v_pk_add_f32 v[28:29], v[12:13], v[18:19] neg_lo:[0,1] neg_hi:[0,1]
	v_mov_b32_e32 v27, v12
	v_pk_add_f32 v[12:13], v[28:29], v[26:27] neg_lo:[0,1] neg_hi:[0,1]
	v_cmp_eq_f32_e32 vcc, s10, v38
	v_add_f32_e32 v13, v33, v13
	v_add_f32_e32 v12, v12, v13
	;; [unrolled: 1-line block ×3, first 2 shown]
	v_mul_f32_e32 v33, v32, v13
	v_mul_f32_e32 v18, v30, v33
	v_fma_f32 v26, v33, v30, -v18
	v_fmac_f32_e32 v26, v33, v31
	v_sub_f32_e32 v19, v19, v13
	v_add_f32_e32 v30, v12, v19
	v_add_f32_e32 v12, v18, v26
	v_sub_f32_e32 v19, v13, v12
	v_pk_add_f32 v[28:29], v[12:13], v[18:19] neg_lo:[0,1] neg_hi:[0,1]
	v_mov_b32_e32 v27, v12
	v_pk_add_f32 v[12:13], v[28:29], v[26:27] neg_lo:[0,1] neg_hi:[0,1]
	scratch_load_dwordx2 v[28:29], off, off offset:164 ; 8-byte Folded Reload
	v_add_f32_e32 v13, v30, v13
	v_add_f32_e32 v12, v12, v13
	;; [unrolled: 1-line block ×4, first 2 shown]
	v_sub_f32_e32 v18, v13, v34
	v_mul_f32_e32 v12, v32, v12
	v_sub_f32_e32 v18, v33, v18
	v_add_f32_e32 v18, v18, v12
	v_add_f32_e32 v26, v13, v18
	v_mul_f32_e32 v27, v26, v26
	v_mov_b32_e32 v12, 0x3ecc95a3
	v_fmamk_f32 v12, v27, 0x3e9b6dac, v12
	s_waitcnt vmcnt(0)
	v_fmaak_f32 v29, v27, v12, 0x3f2aaada
	v_cvt_f32_i32_e32 v12, v25
	v_sub_f32_e32 v13, v26, v13
	v_sub_f32_e32 v13, v18, v13
	v_ldexp_f32 v25, v13, 1
	v_mul_f32_e32 v13, v26, v27
	v_ldexp_f32 v19, v26, 1
	s_or_b64 vcc, s[52:53], vcc
	v_mov_b32_e32 v18, v28
	v_pk_mul_f32 v[26:27], v[12:13], v[28:29]
	scratch_store_dwordx2 off, v[18:19], off offset:164 ; 8-byte Folded Spill
	v_fma_f32 v18, v12, s56, -v26
	v_fmac_f32_e32 v18, 0xb102e308, v12
	v_pk_add_f32 v[12:13], v[26:27], v[18:19]
	v_mov_b32_e32 v28, v26
	v_sub_f32_e32 v19, v13, v19
	v_sub_f32_e32 v19, v27, v19
	v_add_f32_e32 v29, v25, v19
	v_pk_add_f32 v[26:27], v[12:13], v[26:27] neg_lo:[0,1] neg_hi:[0,1]
	v_pk_add_f32 v[30:31], v[12:13], v[28:29]
	v_mov_b32_e32 v19, v12
	v_mov_b32_e32 v27, v31
	v_pk_add_f32 v[32:33], v[18:19], v[26:27] neg_lo:[0,1] neg_hi:[0,1]
	v_pk_add_f32 v[18:19], v[18:19], v[26:27]
	v_mov_b32_e32 v28, v29
	v_mov_b32_e32 v26, v19
	v_pk_add_f32 v[34:35], v[26:27], v[12:13] neg_lo:[0,1] neg_hi:[0,1]
	v_mov_b32_e32 v18, v31
	v_mov_b32_e32 v25, v34
	v_pk_add_f32 v[36:37], v[30:31], v[24:25] neg_lo:[0,1] neg_hi:[0,1]
	v_mov_b32_e32 v30, v13
	v_mov_b32_e32 v31, v34
	;; [unrolled: 1-line block ×3, first 2 shown]
	v_pk_add_f32 v[18:19], v[18:19], v[30:31] neg_lo:[0,1] neg_hi:[0,1]
	v_mov_b32_e32 v29, v12
	v_pk_add_f32 v[12:13], v[28:29], v[18:19] neg_lo:[0,1] neg_hi:[0,1]
	v_mov_b32_e32 v36, v32
	v_pk_add_f32 v[18:19], v[36:37], v[12:13]
	s_nop 0
	v_mov_b32_e32 v28, v19
	v_pk_add_f32 v[28:29], v[18:19], v[28:29]
	s_nop 0
	v_pk_add_f32 v[26:27], v[26:27], v[28:29]
	v_mov_b32_e32 v13, v28
	v_mov_b32_e32 v19, v26
	v_pk_add_f32 v[30:31], v[18:19], v[32:33] neg_lo:[0,1] neg_hi:[0,1]
	s_nop 0
	v_sub_f32_e32 v18, v18, v30
	v_pk_add_f32 v[12:13], v[12:13], v[30:31] neg_lo:[0,1] neg_hi:[0,1]
	v_sub_f32_e32 v18, v32, v18
	v_add_f32_e32 v12, v12, v18
	v_add_f32_e32 v12, v12, v13
	;; [unrolled: 1-line block ×3, first 2 shown]
	v_cndmask_b32_e32 v25, v12, v38, vcc
.LBB112_83:                             ;   in Loop: Header=BB112_13 Depth=1
	s_or_b64 exec, exec, s[54:55]
	v_cvt_f32_f16_e32 v12, v14
	v_readlane_b32 s0, v95, 2
	s_nop 1
	v_add_f32_e32 v18, s0, v12
	v_cmp_ge_f32_e32 vcc, s4, v18
	s_and_b64 s[0:1], s[6:7], vcc
	s_and_saveexec_b64 s[54:55], s[0:1]
	s_cbranch_execz .LBB112_85
; %bb.84:                               ;   in Loop: Header=BB112_13 Depth=1
	v_mul_f32_e32 v12, 0x3fb8aa3b, v18
	v_rndne_f32_e32 v13, v12
	v_sub_f32_e32 v19, v12, v13
	v_fma_f32 v12, v18, s5, -v12
	v_fmac_f32_e32 v12, 0x32a5705f, v18
	v_add_f32_e32 v12, v19, v12
	v_cvt_i32_f32_e32 v13, v13
	v_exp_f32_e32 v12, v12
	v_cmp_ngt_f32_e32 vcc, s8, v18
	v_ldexp_f32 v12, v12, v13
	s_nop 0
	v_cndmask_b32_e32 v12, 0, v12, vcc
	v_cmp_nlt_f32_e32 vcc, s9, v18
	s_nop 1
	v_cndmask_b32_e32 v38, v39, v12, vcc
	v_add_f32_e32 v18, 1.0, v38
	v_add_f32_e32 v12, -1.0, v18
	v_sub_f32_e32 v13, v12, v18
	v_add_f32_e32 v13, 1.0, v13
	v_sub_f32_e32 v12, v38, v12
	v_add_f32_e32 v19, v12, v13
	v_frexp_mant_f32_e32 v26, v18
	v_cvt_f64_f32_e32 v[12:13], v18
	v_frexp_exp_i32_f64_e32 v12, v[12:13]
	v_cmp_gt_f32_e32 vcc, s11, v26
	v_cmp_gt_f32_e64 s[52:53], s57, v38
	s_nop 0
	v_subbrev_co_u32_e32 v30, vcc, 0, v12, vcc
	v_sub_u32_e32 v12, 0, v30
	v_ldexp_f32 v13, v18, v12
	v_add_f32_e32 v18, -1.0, v13
	v_add_f32_e32 v26, 1.0, v13
	v_ldexp_f32 v12, v19, v12
	v_add_f32_e32 v19, 1.0, v18
	v_add_f32_e32 v27, -1.0, v26
	v_sub_f32_e32 v19, v13, v19
	v_sub_f32_e32 v13, v13, v27
	v_add_f32_e32 v19, v12, v19
	v_add_f32_e32 v12, v12, v13
	;; [unrolled: 1-line block ×3, first 2 shown]
	v_rcp_f32_e32 v33, v31
	v_sub_f32_e32 v13, v26, v31
	v_add_f32_e32 v32, v12, v13
	v_add_f32_e32 v13, v18, v19
	v_mul_f32_e32 v35, v13, v33
	v_sub_f32_e32 v12, v18, v13
	v_mul_f32_e32 v18, v31, v35
	v_fma_f32 v26, v35, v31, -v18
	v_fmac_f32_e32 v26, v35, v32
	v_add_f32_e32 v34, v19, v12
	v_add_f32_e32 v12, v18, v26
	v_sub_f32_e32 v19, v13, v12
	v_pk_add_f32 v[28:29], v[12:13], v[18:19] neg_lo:[0,1] neg_hi:[0,1]
	v_mov_b32_e32 v27, v12
	v_pk_add_f32 v[12:13], v[28:29], v[26:27] neg_lo:[0,1] neg_hi:[0,1]
	v_cmp_eq_f32_e32 vcc, s10, v38
	v_add_f32_e32 v13, v34, v13
	v_add_f32_e32 v12, v12, v13
	;; [unrolled: 1-line block ×3, first 2 shown]
	v_mul_f32_e32 v34, v33, v13
	v_mul_f32_e32 v18, v31, v34
	v_fma_f32 v26, v34, v31, -v18
	v_fmac_f32_e32 v26, v34, v32
	v_sub_f32_e32 v19, v19, v13
	v_add_f32_e32 v31, v12, v19
	v_add_f32_e32 v12, v18, v26
	v_sub_f32_e32 v19, v13, v12
	v_pk_add_f32 v[28:29], v[12:13], v[18:19] neg_lo:[0,1] neg_hi:[0,1]
	v_mov_b32_e32 v27, v12
	v_pk_add_f32 v[12:13], v[28:29], v[26:27] neg_lo:[0,1] neg_hi:[0,1]
	scratch_load_dwordx2 v[28:29], off, off offset:164 ; 8-byte Folded Reload
	v_add_f32_e32 v13, v31, v13
	v_add_f32_e32 v12, v12, v13
	;; [unrolled: 1-line block ×4, first 2 shown]
	v_sub_f32_e32 v18, v13, v35
	v_mul_f32_e32 v12, v33, v12
	v_sub_f32_e32 v18, v34, v18
	v_add_f32_e32 v18, v18, v12
	v_add_f32_e32 v26, v13, v18
	v_mul_f32_e32 v27, v26, v26
	v_mov_b32_e32 v12, 0x3ecc95a3
	v_fmamk_f32 v12, v27, 0x3e9b6dac, v12
	v_fmaak_f32 v33, v27, v12, 0x3f2aaada
	v_cvt_f32_i32_e32 v12, v30
	v_sub_f32_e32 v13, v26, v13
	v_sub_f32_e32 v13, v18, v13
	v_ldexp_f32 v19, v26, 1
	s_or_b64 vcc, s[52:53], vcc
	s_waitcnt vmcnt(0)
	v_mov_b32_e32 v32, v28
	v_ldexp_f32 v28, v13, 1
	v_mul_f32_e32 v13, v26, v27
	v_mov_b32_e32 v18, v32
	v_pk_mul_f32 v[26:27], v[12:13], v[32:33]
	scratch_store_dwordx2 off, v[18:19], off offset:164 ; 8-byte Folded Spill
	v_fma_f32 v18, v12, s56, -v26
	v_fmac_f32_e32 v18, 0xb102e308, v12
	v_pk_add_f32 v[12:13], v[26:27], v[18:19]
	s_nop 0
	v_sub_f32_e32 v19, v13, v19
	v_sub_f32_e32 v19, v27, v19
	v_add_f32_e32 v29, v28, v19
	v_mov_b32_e32 v28, v26
	v_pk_add_f32 v[26:27], v[12:13], v[26:27] neg_lo:[0,1] neg_hi:[0,1]
	v_pk_add_f32 v[30:31], v[12:13], v[28:29]
	v_mov_b32_e32 v19, v12
	v_mov_b32_e32 v27, v31
	v_pk_add_f32 v[32:33], v[18:19], v[26:27] neg_lo:[0,1] neg_hi:[0,1]
	v_pk_add_f32 v[18:19], v[18:19], v[26:27]
	v_mov_b32_e32 v28, v29
	v_mov_b32_e32 v26, v19
	v_pk_add_f32 v[34:35], v[26:27], v[12:13] neg_lo:[0,1] neg_hi:[0,1]
	v_mov_b32_e32 v18, v31
	v_mov_b32_e32 v27, v34
	v_pk_add_f32 v[36:37], v[30:31], v[26:27] neg_lo:[0,1] neg_hi:[0,1]
	v_mov_b32_e32 v30, v13
	v_mov_b32_e32 v31, v34
	v_mov_b32_e32 v33, v19
	v_pk_add_f32 v[18:19], v[18:19], v[30:31] neg_lo:[0,1] neg_hi:[0,1]
	v_mov_b32_e32 v29, v12
	v_pk_add_f32 v[12:13], v[28:29], v[18:19] neg_lo:[0,1] neg_hi:[0,1]
	v_mov_b32_e32 v36, v32
	v_pk_add_f32 v[18:19], v[36:37], v[12:13]
	s_nop 0
	v_mov_b32_e32 v28, v19
	v_pk_add_f32 v[28:29], v[18:19], v[28:29]
	s_nop 0
	v_pk_add_f32 v[26:27], v[26:27], v[28:29]
	v_mov_b32_e32 v13, v28
	v_mov_b32_e32 v19, v26
	v_pk_add_f32 v[30:31], v[18:19], v[32:33] neg_lo:[0,1] neg_hi:[0,1]
	s_nop 0
	v_sub_f32_e32 v18, v18, v30
	v_pk_add_f32 v[12:13], v[12:13], v[30:31] neg_lo:[0,1] neg_hi:[0,1]
	v_sub_f32_e32 v18, v32, v18
	v_add_f32_e32 v12, v12, v18
	v_add_f32_e32 v12, v12, v13
	;; [unrolled: 1-line block ×3, first 2 shown]
	v_cndmask_b32_e32 v18, v12, v38, vcc
.LBB112_85:                             ;   in Loop: Header=BB112_13 Depth=1
	s_or_b64 exec, exec, s[54:55]
	v_cvt_f32_f16_sdwa v12, v14 dst_sel:DWORD dst_unused:UNUSED_PAD src0_sel:WORD_1
	v_readlane_b32 s0, v95, 2
	s_nop 1
	v_add_f32_e32 v74, s0, v12
	v_cmp_ge_f32_e32 vcc, s4, v74
	s_and_b64 s[0:1], s[6:7], vcc
	s_and_saveexec_b64 s[54:55], s[0:1]
	s_cbranch_execz .LBB112_87
; %bb.86:                               ;   in Loop: Header=BB112_13 Depth=1
	v_mul_f32_e32 v12, 0x3fb8aa3b, v74
	v_rndne_f32_e32 v13, v12
	v_sub_f32_e32 v14, v12, v13
	v_fma_f32 v12, v74, s5, -v12
	v_fmac_f32_e32 v12, 0x32a5705f, v74
	v_add_f32_e32 v12, v14, v12
	v_cvt_i32_f32_e32 v13, v13
	v_exp_f32_e32 v12, v12
	v_cmp_ngt_f32_e32 vcc, s8, v74
	v_ldexp_f32 v12, v12, v13
	s_nop 0
	v_cndmask_b32_e32 v12, 0, v12, vcc
	v_cmp_nlt_f32_e32 vcc, s9, v74
	s_nop 1
	v_cndmask_b32_e32 v38, v39, v12, vcc
	v_add_f32_e32 v14, 1.0, v38
	v_add_f32_e32 v12, -1.0, v14
	v_sub_f32_e32 v13, v12, v14
	v_add_f32_e32 v13, 1.0, v13
	v_sub_f32_e32 v12, v38, v12
	v_add_f32_e32 v19, v12, v13
	v_frexp_mant_f32_e32 v26, v14
	v_cvt_f64_f32_e32 v[12:13], v14
	v_frexp_exp_i32_f64_e32 v12, v[12:13]
	v_cmp_gt_f32_e32 vcc, s11, v26
	v_cmp_gt_f32_e64 s[52:53], s57, v38
	s_nop 0
	v_subbrev_co_u32_e32 v32, vcc, 0, v12, vcc
	v_sub_u32_e32 v12, 0, v32
	v_ldexp_f32 v13, v14, v12
	v_add_f32_e32 v14, -1.0, v13
	v_add_f32_e32 v26, 1.0, v13
	v_ldexp_f32 v12, v19, v12
	v_add_f32_e32 v19, 1.0, v14
	v_add_f32_e32 v27, -1.0, v26
	v_sub_f32_e32 v19, v13, v19
	v_sub_f32_e32 v13, v13, v27
	v_add_f32_e32 v19, v12, v19
	v_add_f32_e32 v12, v12, v13
	;; [unrolled: 1-line block ×3, first 2 shown]
	v_rcp_f32_e32 v35, v33
	v_sub_f32_e32 v13, v26, v33
	v_add_f32_e32 v34, v12, v13
	v_add_f32_e32 v13, v14, v19
	v_sub_f32_e32 v12, v14, v13
	v_add_f32_e32 v14, v19, v12
	v_mul_f32_e32 v19, v13, v35
	v_mul_f32_e32 v26, v33, v19
	v_fma_f32 v28, v19, v33, -v26
	v_fmac_f32_e32 v28, v19, v34
	v_add_f32_e32 v12, v26, v28
	v_sub_f32_e32 v27, v13, v12
	v_pk_add_f32 v[30:31], v[12:13], v[26:27] neg_lo:[0,1] neg_hi:[0,1]
	v_mov_b32_e32 v29, v12
	v_pk_add_f32 v[12:13], v[30:31], v[28:29] neg_lo:[0,1] neg_hi:[0,1]
	v_cmp_eq_f32_e32 vcc, s10, v38
	v_add_f32_e32 v13, v14, v13
	v_add_f32_e32 v12, v12, v13
	;; [unrolled: 1-line block ×3, first 2 shown]
	v_mul_f32_e32 v14, v35, v13
	v_mul_f32_e32 v26, v33, v14
	v_fma_f32 v28, v14, v33, -v26
	v_fmac_f32_e32 v28, v14, v34
	v_sub_f32_e32 v27, v27, v13
	v_add_f32_e32 v33, v12, v27
	v_add_f32_e32 v12, v26, v28
	v_sub_f32_e32 v27, v13, v12
	v_pk_add_f32 v[30:31], v[12:13], v[26:27] neg_lo:[0,1] neg_hi:[0,1]
	v_mov_b32_e32 v29, v12
	v_pk_add_f32 v[12:13], v[30:31], v[28:29] neg_lo:[0,1] neg_hi:[0,1]
	scratch_load_dwordx2 v[28:29], off, off offset:164 ; 8-byte Folded Reload
	v_add_f32_e32 v13, v33, v13
	v_add_f32_e32 v12, v12, v13
	;; [unrolled: 1-line block ×4, first 2 shown]
	v_sub_f32_e32 v19, v13, v19
	v_mul_f32_e32 v12, v35, v12
	v_sub_f32_e32 v14, v14, v19
	v_add_f32_e32 v14, v14, v12
	v_add_f32_e32 v19, v13, v14
	v_mul_f32_e32 v26, v19, v19
	v_mov_b32_e32 v12, 0x3ecc95a3
	v_fmamk_f32 v12, v26, 0x3e9b6dac, v12
	s_waitcnt vmcnt(0)
	v_fmaak_f32 v29, v26, v12, 0x3f2aaada
	v_cvt_f32_i32_e32 v12, v32
	v_sub_f32_e32 v13, v19, v13
	v_sub_f32_e32 v13, v14, v13
	v_ldexp_f32 v14, v13, 1
	v_mul_f32_e32 v13, v19, v26
	v_ldexp_f32 v27, v19, 1
	s_or_b64 vcc, s[52:53], vcc
	v_mov_b32_e32 v26, v28
	v_pk_mul_f32 v[28:29], v[12:13], v[28:29]
	scratch_store_dwordx2 off, v[26:27], off offset:164 ; 8-byte Folded Spill
	v_fma_f32 v26, v12, s56, -v28
	v_fmac_f32_e32 v26, 0xb102e308, v12
	v_pk_add_f32 v[12:13], v[28:29], v[26:27]
	v_mov_b32_e32 v30, v28
	v_sub_f32_e32 v19, v13, v27
	v_sub_f32_e32 v19, v29, v19
	v_add_f32_e32 v31, v14, v19
	v_pk_add_f32 v[28:29], v[12:13], v[28:29] neg_lo:[0,1] neg_hi:[0,1]
	v_pk_add_f32 v[32:33], v[12:13], v[30:31]
	v_mov_b32_e32 v27, v12
	v_mov_b32_e32 v29, v33
	v_pk_add_f32 v[34:35], v[26:27], v[28:29] neg_lo:[0,1] neg_hi:[0,1]
	v_pk_add_f32 v[26:27], v[26:27], v[28:29]
	s_nop 0
	v_mov_b32_e32 v14, v27
	v_pk_add_f32 v[28:29], v[14:15], v[12:13] neg_lo:[0,1] neg_hi:[0,1]
	v_mov_b32_e32 v26, v33
	v_mov_b32_e32 v19, v28
	v_pk_add_f32 v[36:37], v[32:33], v[18:19] neg_lo:[0,1] neg_hi:[0,1]
	v_mov_b32_e32 v32, v13
	v_mov_b32_e32 v33, v28
	v_mov_b32_e32 v35, v27
	v_pk_add_f32 v[26:27], v[26:27], v[32:33] neg_lo:[0,1] neg_hi:[0,1]
	v_mov_b32_e32 v28, v31
	v_mov_b32_e32 v29, v12
	v_pk_add_f32 v[12:13], v[28:29], v[26:27] neg_lo:[0,1] neg_hi:[0,1]
	v_mov_b32_e32 v36, v34
	v_pk_add_f32 v[26:27], v[36:37], v[12:13]
	s_nop 0
	v_mov_b32_e32 v28, v27
	v_pk_add_f32 v[28:29], v[26:27], v[28:29]
	s_nop 0
	v_pk_add_f32 v[30:31], v[14:15], v[28:29]
	v_mov_b32_e32 v13, v28
	v_mov_b32_e32 v27, v30
	v_pk_add_f32 v[32:33], v[26:27], v[34:35] neg_lo:[0,1] neg_hi:[0,1]
	s_nop 0
	v_sub_f32_e32 v14, v26, v32
	v_pk_add_f32 v[12:13], v[12:13], v[32:33] neg_lo:[0,1] neg_hi:[0,1]
	v_sub_f32_e32 v14, v34, v14
	v_add_f32_e32 v12, v12, v14
	v_add_f32_e32 v12, v12, v13
	;; [unrolled: 1-line block ×3, first 2 shown]
	v_cndmask_b32_e32 v74, v12, v38, vcc
.LBB112_87:                             ;   in Loop: Header=BB112_13 Depth=1
	s_or_b64 exec, exec, s[54:55]
	v_cvt_f32_f16_e32 v12, v15
	v_readlane_b32 s0, v95, 2
	s_nop 1
	v_add_f32_e32 v92, s0, v12
	v_cmp_ge_f32_e32 vcc, s4, v92
	s_and_b64 s[0:1], s[6:7], vcc
	s_and_saveexec_b64 s[54:55], s[0:1]
	s_cbranch_execz .LBB112_89
; %bb.88:                               ;   in Loop: Header=BB112_13 Depth=1
	v_mul_f32_e32 v12, 0x3fb8aa3b, v92
	v_rndne_f32_e32 v13, v12
	v_sub_f32_e32 v14, v12, v13
	v_fma_f32 v12, v92, s5, -v12
	v_fmac_f32_e32 v12, 0x32a5705f, v92
	v_add_f32_e32 v12, v14, v12
	v_cvt_i32_f32_e32 v13, v13
	v_exp_f32_e32 v12, v12
	v_cmp_ngt_f32_e32 vcc, s8, v92
	v_ldexp_f32 v12, v12, v13
	s_nop 0
	v_cndmask_b32_e32 v12, 0, v12, vcc
	v_cmp_nlt_f32_e32 vcc, s9, v92
	s_nop 1
	v_cndmask_b32_e32 v38, v39, v12, vcc
	v_add_f32_e32 v14, 1.0, v38
	v_add_f32_e32 v12, -1.0, v14
	v_sub_f32_e32 v13, v12, v14
	v_add_f32_e32 v13, 1.0, v13
	v_sub_f32_e32 v12, v38, v12
	v_add_f32_e32 v19, v12, v13
	v_frexp_mant_f32_e32 v26, v14
	v_cvt_f64_f32_e32 v[12:13], v14
	v_frexp_exp_i32_f64_e32 v12, v[12:13]
	v_cmp_gt_f32_e32 vcc, s11, v26
	v_cmp_gt_f32_e64 s[52:53], s57, v38
	s_nop 0
	v_subbrev_co_u32_e32 v32, vcc, 0, v12, vcc
	v_sub_u32_e32 v12, 0, v32
	v_ldexp_f32 v13, v14, v12
	v_add_f32_e32 v14, -1.0, v13
	v_add_f32_e32 v26, 1.0, v13
	v_ldexp_f32 v12, v19, v12
	v_add_f32_e32 v19, 1.0, v14
	v_add_f32_e32 v27, -1.0, v26
	v_sub_f32_e32 v19, v13, v19
	v_sub_f32_e32 v13, v13, v27
	v_add_f32_e32 v19, v12, v19
	v_add_f32_e32 v12, v12, v13
	;; [unrolled: 1-line block ×3, first 2 shown]
	v_rcp_f32_e32 v35, v33
	v_sub_f32_e32 v13, v26, v33
	v_add_f32_e32 v34, v12, v13
	v_add_f32_e32 v13, v14, v19
	v_sub_f32_e32 v12, v14, v13
	v_add_f32_e32 v14, v19, v12
	v_mul_f32_e32 v19, v13, v35
	v_mul_f32_e32 v26, v33, v19
	v_fma_f32 v28, v19, v33, -v26
	v_fmac_f32_e32 v28, v19, v34
	v_add_f32_e32 v12, v26, v28
	v_sub_f32_e32 v27, v13, v12
	v_pk_add_f32 v[30:31], v[12:13], v[26:27] neg_lo:[0,1] neg_hi:[0,1]
	v_mov_b32_e32 v29, v12
	v_pk_add_f32 v[12:13], v[30:31], v[28:29] neg_lo:[0,1] neg_hi:[0,1]
	v_cmp_eq_f32_e32 vcc, s10, v38
	v_add_f32_e32 v13, v14, v13
	v_add_f32_e32 v12, v12, v13
	;; [unrolled: 1-line block ×3, first 2 shown]
	v_mul_f32_e32 v14, v35, v13
	v_mul_f32_e32 v26, v33, v14
	v_fma_f32 v28, v14, v33, -v26
	v_fmac_f32_e32 v28, v14, v34
	v_sub_f32_e32 v27, v27, v13
	v_add_f32_e32 v33, v12, v27
	v_add_f32_e32 v12, v26, v28
	v_sub_f32_e32 v27, v13, v12
	v_pk_add_f32 v[30:31], v[12:13], v[26:27] neg_lo:[0,1] neg_hi:[0,1]
	v_mov_b32_e32 v29, v12
	v_pk_add_f32 v[12:13], v[30:31], v[28:29] neg_lo:[0,1] neg_hi:[0,1]
	scratch_load_dwordx2 v[28:29], off, off offset:164 ; 8-byte Folded Reload
	v_add_f32_e32 v13, v33, v13
	v_add_f32_e32 v12, v12, v13
	;; [unrolled: 1-line block ×4, first 2 shown]
	v_sub_f32_e32 v19, v13, v19
	v_mul_f32_e32 v12, v35, v12
	v_sub_f32_e32 v14, v14, v19
	v_add_f32_e32 v14, v14, v12
	v_add_f32_e32 v19, v13, v14
	v_mul_f32_e32 v26, v19, v19
	v_mov_b32_e32 v12, 0x3ecc95a3
	v_fmamk_f32 v12, v26, 0x3e9b6dac, v12
	s_waitcnt vmcnt(0)
	v_fmaak_f32 v29, v26, v12, 0x3f2aaada
	v_cvt_f32_i32_e32 v12, v32
	v_sub_f32_e32 v13, v19, v13
	v_sub_f32_e32 v13, v14, v13
	v_ldexp_f32 v14, v13, 1
	v_mul_f32_e32 v13, v19, v26
	v_ldexp_f32 v27, v19, 1
	s_or_b64 vcc, s[52:53], vcc
	v_mov_b32_e32 v26, v28
	v_pk_mul_f32 v[28:29], v[12:13], v[28:29]
	scratch_store_dwordx2 off, v[26:27], off offset:164 ; 8-byte Folded Spill
	v_fma_f32 v26, v12, s56, -v28
	v_fmac_f32_e32 v26, 0xb102e308, v12
	v_pk_add_f32 v[12:13], v[28:29], v[26:27]
	v_mov_b32_e32 v30, v28
	v_sub_f32_e32 v19, v13, v27
	v_sub_f32_e32 v19, v29, v19
	v_add_f32_e32 v31, v14, v19
	v_pk_add_f32 v[28:29], v[12:13], v[28:29] neg_lo:[0,1] neg_hi:[0,1]
	v_pk_add_f32 v[32:33], v[12:13], v[30:31]
	v_mov_b32_e32 v27, v12
	v_mov_b32_e32 v29, v33
	v_pk_add_f32 v[34:35], v[26:27], v[28:29] neg_lo:[0,1] neg_hi:[0,1]
	v_pk_add_f32 v[26:27], v[26:27], v[28:29]
	s_nop 0
	v_mov_b32_e32 v14, v27
	v_pk_add_f32 v[28:29], v[14:15], v[12:13] neg_lo:[0,1] neg_hi:[0,1]
	v_mov_b32_e32 v26, v33
	v_mov_b32_e32 v19, v28
	v_pk_add_f32 v[36:37], v[32:33], v[18:19] neg_lo:[0,1] neg_hi:[0,1]
	v_mov_b32_e32 v32, v13
	v_mov_b32_e32 v33, v28
	;; [unrolled: 1-line block ×3, first 2 shown]
	v_pk_add_f32 v[26:27], v[26:27], v[32:33] neg_lo:[0,1] neg_hi:[0,1]
	v_mov_b32_e32 v28, v31
	v_mov_b32_e32 v29, v12
	v_pk_add_f32 v[12:13], v[28:29], v[26:27] neg_lo:[0,1] neg_hi:[0,1]
	v_mov_b32_e32 v36, v34
	v_pk_add_f32 v[26:27], v[36:37], v[12:13]
	s_nop 0
	v_mov_b32_e32 v28, v27
	v_pk_add_f32 v[28:29], v[26:27], v[28:29]
	s_nop 0
	v_pk_add_f32 v[30:31], v[14:15], v[28:29]
	v_mov_b32_e32 v13, v28
	v_mov_b32_e32 v27, v30
	v_pk_add_f32 v[32:33], v[26:27], v[34:35] neg_lo:[0,1] neg_hi:[0,1]
	s_nop 0
	v_sub_f32_e32 v14, v26, v32
	v_pk_add_f32 v[12:13], v[12:13], v[32:33] neg_lo:[0,1] neg_hi:[0,1]
	v_sub_f32_e32 v14, v34, v14
	v_add_f32_e32 v12, v12, v14
	v_add_f32_e32 v12, v12, v13
	;; [unrolled: 1-line block ×3, first 2 shown]
	v_cndmask_b32_e32 v92, v12, v38, vcc
.LBB112_89:                             ;   in Loop: Header=BB112_13 Depth=1
	s_or_b64 exec, exec, s[54:55]
	v_cvt_f32_f16_sdwa v12, v15 dst_sel:DWORD dst_unused:UNUSED_PAD src0_sel:WORD_1
	v_readlane_b32 s0, v95, 2
	s_nop 1
	v_add_f32_e32 v93, s0, v12
	v_cmp_ge_f32_e32 vcc, s4, v93
	s_and_b64 s[0:1], s[6:7], vcc
	s_and_saveexec_b64 s[54:55], s[0:1]
	s_cbranch_execz .LBB112_91
; %bb.90:                               ;   in Loop: Header=BB112_13 Depth=1
	v_mul_f32_e32 v12, 0x3fb8aa3b, v93
	v_rndne_f32_e32 v13, v12
	v_sub_f32_e32 v14, v12, v13
	v_fma_f32 v12, v93, s5, -v12
	v_fmac_f32_e32 v12, 0x32a5705f, v93
	v_add_f32_e32 v12, v14, v12
	v_cvt_i32_f32_e32 v13, v13
	v_exp_f32_e32 v12, v12
	v_cmp_ngt_f32_e32 vcc, s8, v93
	v_ldexp_f32 v12, v12, v13
	s_nop 0
	v_cndmask_b32_e32 v12, 0, v12, vcc
	v_cmp_nlt_f32_e32 vcc, s9, v93
	s_nop 1
	v_cndmask_b32_e32 v38, v39, v12, vcc
	v_add_f32_e32 v14, 1.0, v38
	v_add_f32_e32 v12, -1.0, v14
	v_sub_f32_e32 v13, v12, v14
	v_add_f32_e32 v13, 1.0, v13
	v_sub_f32_e32 v12, v38, v12
	v_add_f32_e32 v15, v12, v13
	v_frexp_mant_f32_e32 v19, v14
	v_cvt_f64_f32_e32 v[12:13], v14
	v_frexp_exp_i32_f64_e32 v12, v[12:13]
	v_cmp_gt_f32_e32 vcc, s11, v19
	v_cmp_gt_f32_e64 s[52:53], s57, v38
	s_nop 0
	v_subbrev_co_u32_e32 v19, vcc, 0, v12, vcc
	v_sub_u32_e32 v12, 0, v19
	v_ldexp_f32 v13, v14, v12
	v_add_f32_e32 v14, -1.0, v13
	v_add_f32_e32 v26, 1.0, v13
	v_ldexp_f32 v12, v15, v12
	v_add_f32_e32 v15, 1.0, v14
	v_add_f32_e32 v27, -1.0, v26
	v_sub_f32_e32 v15, v13, v15
	v_sub_f32_e32 v13, v13, v27
	v_add_f32_e32 v15, v12, v15
	v_add_f32_e32 v12, v12, v13
	;; [unrolled: 1-line block ×3, first 2 shown]
	v_rcp_f32_e32 v32, v30
	v_sub_f32_e32 v13, v26, v30
	v_add_f32_e32 v31, v12, v13
	v_add_f32_e32 v13, v14, v15
	v_mul_f32_e32 v34, v13, v32
	v_sub_f32_e32 v12, v14, v13
	v_mul_f32_e32 v14, v30, v34
	v_fma_f32 v26, v34, v30, -v14
	v_fmac_f32_e32 v26, v34, v31
	v_add_f32_e32 v33, v15, v12
	v_add_f32_e32 v12, v14, v26
	v_sub_f32_e32 v15, v13, v12
	v_pk_add_f32 v[28:29], v[12:13], v[14:15] neg_lo:[0,1] neg_hi:[0,1]
	v_mov_b32_e32 v27, v12
	v_pk_add_f32 v[12:13], v[28:29], v[26:27] neg_lo:[0,1] neg_hi:[0,1]
	v_cmp_eq_f32_e32 vcc, s10, v38
	v_add_f32_e32 v13, v33, v13
	v_add_f32_e32 v12, v12, v13
	;; [unrolled: 1-line block ×3, first 2 shown]
	v_mul_f32_e32 v33, v32, v13
	v_mul_f32_e32 v14, v30, v33
	v_fma_f32 v26, v33, v30, -v14
	v_fmac_f32_e32 v26, v33, v31
	v_sub_f32_e32 v15, v15, v13
	v_add_f32_e32 v30, v12, v15
	v_add_f32_e32 v12, v14, v26
	v_sub_f32_e32 v15, v13, v12
	v_pk_add_f32 v[28:29], v[12:13], v[14:15] neg_lo:[0,1] neg_hi:[0,1]
	v_mov_b32_e32 v27, v12
	v_pk_add_f32 v[12:13], v[28:29], v[26:27] neg_lo:[0,1] neg_hi:[0,1]
	scratch_load_dwordx2 v[28:29], off, off offset:164 ; 8-byte Folded Reload
	v_add_f32_e32 v13, v30, v13
	v_add_f32_e32 v12, v12, v13
	;; [unrolled: 1-line block ×4, first 2 shown]
	v_sub_f32_e32 v14, v13, v34
	v_mul_f32_e32 v12, v32, v12
	v_sub_f32_e32 v14, v33, v14
	v_add_f32_e32 v14, v14, v12
	v_add_f32_e32 v26, v13, v14
	v_mul_f32_e32 v27, v26, v26
	v_mov_b32_e32 v12, 0x3ecc95a3
	v_fmamk_f32 v12, v27, 0x3e9b6dac, v12
	s_waitcnt vmcnt(0)
	v_fmaak_f32 v29, v27, v12, 0x3f2aaada
	v_cvt_f32_i32_e32 v12, v19
	v_sub_f32_e32 v13, v26, v13
	v_sub_f32_e32 v13, v14, v13
	v_ldexp_f32 v19, v13, 1
	v_mul_f32_e32 v13, v26, v27
	v_ldexp_f32 v15, v26, 1
	s_or_b64 vcc, s[52:53], vcc
	v_mov_b32_e32 v14, v28
	v_pk_mul_f32 v[26:27], v[12:13], v[28:29]
	scratch_store_dwordx2 off, v[14:15], off offset:164 ; 8-byte Folded Spill
	v_fma_f32 v14, v12, s56, -v26
	v_fmac_f32_e32 v14, 0xb102e308, v12
	v_pk_add_f32 v[12:13], v[26:27], v[14:15]
	v_mov_b32_e32 v28, v26
	v_sub_f32_e32 v15, v13, v15
	v_sub_f32_e32 v15, v27, v15
	v_add_f32_e32 v29, v19, v15
	v_pk_add_f32 v[26:27], v[12:13], v[26:27] neg_lo:[0,1] neg_hi:[0,1]
	v_pk_add_f32 v[30:31], v[12:13], v[28:29]
	v_mov_b32_e32 v15, v12
	v_mov_b32_e32 v27, v31
	v_pk_add_f32 v[32:33], v[14:15], v[26:27] neg_lo:[0,1] neg_hi:[0,1]
	v_pk_add_f32 v[14:15], v[14:15], v[26:27]
	v_mov_b32_e32 v28, v29
	v_mov_b32_e32 v26, v15
	v_pk_add_f32 v[34:35], v[26:27], v[12:13] neg_lo:[0,1] neg_hi:[0,1]
	v_mov_b32_e32 v14, v31
	v_mov_b32_e32 v19, v34
	v_pk_add_f32 v[36:37], v[30:31], v[18:19] neg_lo:[0,1] neg_hi:[0,1]
	v_mov_b32_e32 v30, v13
	v_mov_b32_e32 v31, v34
	;; [unrolled: 1-line block ×3, first 2 shown]
	v_pk_add_f32 v[14:15], v[14:15], v[30:31] neg_lo:[0,1] neg_hi:[0,1]
	v_mov_b32_e32 v29, v12
	v_pk_add_f32 v[12:13], v[28:29], v[14:15] neg_lo:[0,1] neg_hi:[0,1]
	v_mov_b32_e32 v36, v32
	v_pk_add_f32 v[14:15], v[36:37], v[12:13]
	s_nop 0
	v_mov_b32_e32 v28, v15
	v_pk_add_f32 v[28:29], v[14:15], v[28:29]
	s_nop 0
	v_pk_add_f32 v[26:27], v[26:27], v[28:29]
	v_mov_b32_e32 v13, v28
	v_mov_b32_e32 v15, v26
	v_pk_add_f32 v[30:31], v[14:15], v[32:33] neg_lo:[0,1] neg_hi:[0,1]
	s_nop 0
	v_sub_f32_e32 v14, v14, v30
	v_pk_add_f32 v[12:13], v[12:13], v[30:31] neg_lo:[0,1] neg_hi:[0,1]
	v_sub_f32_e32 v14, v32, v14
	v_add_f32_e32 v12, v12, v14
	v_add_f32_e32 v12, v12, v13
	;; [unrolled: 1-line block ×3, first 2 shown]
	v_cndmask_b32_e32 v93, v12, v38, vcc
.LBB112_91:                             ;   in Loop: Header=BB112_13 Depth=1
	s_or_b64 exec, exec, s[54:55]
	s_waitcnt lgkmcnt(0)
	v_cvt_f32_f16_e32 v12, v8
	v_readlane_b32 s0, v95, 2
	s_nop 1
	v_add_f32_e32 v94, s0, v12
	v_cmp_ge_f32_e32 vcc, s4, v94
	s_and_b64 s[0:1], s[6:7], vcc
	s_and_saveexec_b64 s[54:55], s[0:1]
	s_cbranch_execz .LBB112_93
; %bb.92:                               ;   in Loop: Header=BB112_13 Depth=1
	v_mul_f32_e32 v12, 0x3fb8aa3b, v94
	v_rndne_f32_e32 v13, v12
	v_sub_f32_e32 v14, v12, v13
	v_fma_f32 v12, v94, s5, -v12
	v_fmac_f32_e32 v12, 0x32a5705f, v94
	v_add_f32_e32 v12, v14, v12
	v_cvt_i32_f32_e32 v13, v13
	v_exp_f32_e32 v12, v12
	v_cmp_ngt_f32_e32 vcc, s8, v94
	v_ldexp_f32 v12, v12, v13
	s_nop 0
	v_cndmask_b32_e32 v12, 0, v12, vcc
	v_cmp_nlt_f32_e32 vcc, s9, v94
	s_nop 1
	v_cndmask_b32_e32 v38, v39, v12, vcc
	v_add_f32_e32 v14, 1.0, v38
	v_add_f32_e32 v12, -1.0, v14
	v_sub_f32_e32 v13, v12, v14
	v_add_f32_e32 v13, 1.0, v13
	v_sub_f32_e32 v12, v38, v12
	v_add_f32_e32 v15, v12, v13
	v_frexp_mant_f32_e32 v19, v14
	v_cvt_f64_f32_e32 v[12:13], v14
	v_frexp_exp_i32_f64_e32 v12, v[12:13]
	v_cmp_gt_f32_e32 vcc, s11, v19
	v_cmp_gt_f32_e64 s[52:53], s57, v38
	s_nop 0
	v_subbrev_co_u32_e32 v19, vcc, 0, v12, vcc
	v_sub_u32_e32 v12, 0, v19
	v_ldexp_f32 v13, v14, v12
	v_add_f32_e32 v14, -1.0, v13
	v_add_f32_e32 v26, 1.0, v13
	v_ldexp_f32 v12, v15, v12
	v_add_f32_e32 v15, 1.0, v14
	v_add_f32_e32 v27, -1.0, v26
	v_sub_f32_e32 v15, v13, v15
	v_sub_f32_e32 v13, v13, v27
	v_add_f32_e32 v15, v12, v15
	v_add_f32_e32 v12, v12, v13
	;; [unrolled: 1-line block ×3, first 2 shown]
	v_rcp_f32_e32 v32, v30
	v_sub_f32_e32 v13, v26, v30
	v_add_f32_e32 v31, v12, v13
	v_add_f32_e32 v13, v14, v15
	v_mul_f32_e32 v34, v13, v32
	v_sub_f32_e32 v12, v14, v13
	v_mul_f32_e32 v14, v30, v34
	v_fma_f32 v26, v34, v30, -v14
	v_fmac_f32_e32 v26, v34, v31
	v_add_f32_e32 v33, v15, v12
	v_add_f32_e32 v12, v14, v26
	v_sub_f32_e32 v15, v13, v12
	v_pk_add_f32 v[28:29], v[12:13], v[14:15] neg_lo:[0,1] neg_hi:[0,1]
	v_mov_b32_e32 v27, v12
	v_pk_add_f32 v[12:13], v[28:29], v[26:27] neg_lo:[0,1] neg_hi:[0,1]
	v_cmp_eq_f32_e32 vcc, s10, v38
	v_add_f32_e32 v13, v33, v13
	v_add_f32_e32 v12, v12, v13
	v_add_f32_e32 v13, v15, v12
	v_mul_f32_e32 v33, v32, v13
	v_mul_f32_e32 v14, v30, v33
	v_fma_f32 v26, v33, v30, -v14
	v_fmac_f32_e32 v26, v33, v31
	v_sub_f32_e32 v15, v15, v13
	v_add_f32_e32 v30, v12, v15
	v_add_f32_e32 v12, v14, v26
	v_sub_f32_e32 v15, v13, v12
	v_pk_add_f32 v[28:29], v[12:13], v[14:15] neg_lo:[0,1] neg_hi:[0,1]
	v_mov_b32_e32 v27, v12
	v_pk_add_f32 v[12:13], v[28:29], v[26:27] neg_lo:[0,1] neg_hi:[0,1]
	scratch_load_dwordx2 v[28:29], off, off offset:164 ; 8-byte Folded Reload
	v_add_f32_e32 v13, v30, v13
	v_add_f32_e32 v12, v12, v13
	;; [unrolled: 1-line block ×4, first 2 shown]
	v_sub_f32_e32 v14, v13, v34
	v_mul_f32_e32 v12, v32, v12
	v_sub_f32_e32 v14, v33, v14
	v_add_f32_e32 v14, v14, v12
	v_add_f32_e32 v26, v13, v14
	v_mul_f32_e32 v27, v26, v26
	v_mov_b32_e32 v12, 0x3ecc95a3
	v_fmamk_f32 v12, v27, 0x3e9b6dac, v12
	s_waitcnt vmcnt(0)
	v_fmaak_f32 v29, v27, v12, 0x3f2aaada
	v_cvt_f32_i32_e32 v12, v19
	v_sub_f32_e32 v13, v26, v13
	v_sub_f32_e32 v13, v14, v13
	v_ldexp_f32 v19, v13, 1
	v_mul_f32_e32 v13, v26, v27
	v_ldexp_f32 v15, v26, 1
	s_or_b64 vcc, s[52:53], vcc
	v_mov_b32_e32 v14, v28
	v_pk_mul_f32 v[26:27], v[12:13], v[28:29]
	scratch_store_dwordx2 off, v[14:15], off offset:164 ; 8-byte Folded Spill
	v_fma_f32 v14, v12, s56, -v26
	v_fmac_f32_e32 v14, 0xb102e308, v12
	v_pk_add_f32 v[12:13], v[26:27], v[14:15]
	v_mov_b32_e32 v28, v26
	v_sub_f32_e32 v15, v13, v15
	v_sub_f32_e32 v15, v27, v15
	v_add_f32_e32 v29, v19, v15
	v_pk_add_f32 v[26:27], v[12:13], v[26:27] neg_lo:[0,1] neg_hi:[0,1]
	v_pk_add_f32 v[30:31], v[12:13], v[28:29]
	v_mov_b32_e32 v15, v12
	v_mov_b32_e32 v27, v31
	v_pk_add_f32 v[32:33], v[14:15], v[26:27] neg_lo:[0,1] neg_hi:[0,1]
	v_pk_add_f32 v[14:15], v[14:15], v[26:27]
	v_mov_b32_e32 v28, v29
	v_mov_b32_e32 v26, v15
	v_pk_add_f32 v[34:35], v[26:27], v[12:13] neg_lo:[0,1] neg_hi:[0,1]
	v_mov_b32_e32 v14, v31
	v_mov_b32_e32 v19, v34
	v_pk_add_f32 v[36:37], v[30:31], v[18:19] neg_lo:[0,1] neg_hi:[0,1]
	v_mov_b32_e32 v30, v13
	v_mov_b32_e32 v31, v34
	;; [unrolled: 1-line block ×3, first 2 shown]
	v_pk_add_f32 v[14:15], v[14:15], v[30:31] neg_lo:[0,1] neg_hi:[0,1]
	v_mov_b32_e32 v29, v12
	v_pk_add_f32 v[12:13], v[28:29], v[14:15] neg_lo:[0,1] neg_hi:[0,1]
	v_mov_b32_e32 v36, v32
	v_pk_add_f32 v[14:15], v[36:37], v[12:13]
	s_nop 0
	v_mov_b32_e32 v28, v15
	v_pk_add_f32 v[28:29], v[14:15], v[28:29]
	s_nop 0
	v_pk_add_f32 v[26:27], v[26:27], v[28:29]
	v_mov_b32_e32 v13, v28
	v_mov_b32_e32 v15, v26
	v_pk_add_f32 v[30:31], v[14:15], v[32:33] neg_lo:[0,1] neg_hi:[0,1]
	s_nop 0
	v_sub_f32_e32 v14, v14, v30
	v_pk_add_f32 v[12:13], v[12:13], v[30:31] neg_lo:[0,1] neg_hi:[0,1]
	v_sub_f32_e32 v14, v32, v14
	v_add_f32_e32 v12, v12, v14
	v_add_f32_e32 v12, v12, v13
	;; [unrolled: 1-line block ×3, first 2 shown]
	v_cndmask_b32_e32 v94, v12, v38, vcc
.LBB112_93:                             ;   in Loop: Header=BB112_13 Depth=1
	s_or_b64 exec, exec, s[54:55]
	v_cvt_f32_f16_sdwa v8, v8 dst_sel:DWORD dst_unused:UNUSED_PAD src0_sel:WORD_1
	v_readlane_b32 s0, v95, 2
	s_nop 1
	v_add_f32_e32 v60, s0, v8
	v_cmp_ge_f32_e32 vcc, s4, v60
	s_and_b64 s[0:1], s[6:7], vcc
	s_and_saveexec_b64 s[54:55], s[0:1]
	s_cbranch_execz .LBB112_95
; %bb.94:                               ;   in Loop: Header=BB112_13 Depth=1
	v_mul_f32_e32 v8, 0x3fb8aa3b, v60
	v_rndne_f32_e32 v12, v8
	v_sub_f32_e32 v13, v8, v12
	v_fma_f32 v8, v60, s5, -v8
	v_fmac_f32_e32 v8, 0x32a5705f, v60
	v_add_f32_e32 v8, v13, v8
	v_cvt_i32_f32_e32 v12, v12
	v_exp_f32_e32 v8, v8
	v_cmp_ngt_f32_e32 vcc, s8, v60
	v_ldexp_f32 v8, v8, v12
	s_nop 0
	v_cndmask_b32_e32 v8, 0, v8, vcc
	v_cmp_nlt_f32_e32 vcc, s9, v60
	s_nop 1
	v_cndmask_b32_e32 v36, v39, v8, vcc
	v_add_f32_e32 v8, 1.0, v36
	v_add_f32_e32 v12, -1.0, v8
	v_sub_f32_e32 v13, v12, v8
	v_add_f32_e32 v13, 1.0, v13
	v_sub_f32_e32 v12, v36, v12
	v_add_f32_e32 v14, v12, v13
	v_frexp_mant_f32_e32 v15, v8
	v_cvt_f64_f32_e32 v[12:13], v8
	v_frexp_exp_i32_f64_e32 v12, v[12:13]
	v_cmp_gt_f32_e32 vcc, s11, v15
	v_cmp_gt_f32_e64 s[52:53], s57, v36
	s_nop 0
	v_subbrev_co_u32_e32 v19, vcc, 0, v12, vcc
	v_sub_u32_e32 v12, 0, v19
	v_ldexp_f32 v8, v8, v12
	v_ldexp_f32 v12, v14, v12
	v_add_f32_e32 v14, -1.0, v8
	v_add_f32_e32 v13, 1.0, v14
	v_sub_f32_e32 v13, v8, v13
	v_add_f32_e32 v15, v12, v13
	v_add_f32_e32 v13, 1.0, v8
	v_add_f32_e32 v26, -1.0, v13
	v_sub_f32_e32 v8, v8, v26
	v_add_f32_e32 v8, v12, v8
	v_add_f32_e32 v30, v13, v8
	v_rcp_f32_e32 v31, v30
	v_sub_f32_e32 v12, v13, v30
	v_add_f32_e32 v13, v14, v15
	v_add_f32_e32 v8, v8, v12
	v_mul_f32_e32 v33, v13, v31
	v_sub_f32_e32 v12, v14, v13
	v_mul_f32_e32 v14, v30, v33
	v_fma_f32 v26, v33, v30, -v14
	v_fmac_f32_e32 v26, v33, v8
	v_add_f32_e32 v32, v15, v12
	v_add_f32_e32 v12, v14, v26
	v_sub_f32_e32 v15, v13, v12
	v_pk_add_f32 v[28:29], v[12:13], v[14:15] neg_lo:[0,1] neg_hi:[0,1]
	v_mov_b32_e32 v27, v12
	v_pk_add_f32 v[12:13], v[28:29], v[26:27] neg_lo:[0,1] neg_hi:[0,1]
	v_cmp_eq_f32_e32 vcc, s10, v36
	v_add_f32_e32 v13, v32, v13
	v_add_f32_e32 v12, v12, v13
	;; [unrolled: 1-line block ×3, first 2 shown]
	v_mul_f32_e32 v32, v31, v13
	v_mul_f32_e32 v14, v30, v32
	v_fma_f32 v26, v32, v30, -v14
	v_fmac_f32_e32 v26, v32, v8
	v_sub_f32_e32 v8, v15, v13
	v_add_f32_e32 v8, v12, v8
	v_add_f32_e32 v12, v14, v26
	v_sub_f32_e32 v15, v13, v12
	v_pk_add_f32 v[28:29], v[12:13], v[14:15] neg_lo:[0,1] neg_hi:[0,1]
	v_mov_b32_e32 v27, v12
	v_pk_add_f32 v[12:13], v[28:29], v[26:27] neg_lo:[0,1] neg_hi:[0,1]
	scratch_load_dwordx2 v[28:29], off, off offset:164 ; 8-byte Folded Reload
	v_add_f32_e32 v8, v8, v13
	v_add_f32_e32 v8, v12, v8
	v_add_f32_e32 v13, v33, v32
	v_add_f32_e32 v8, v15, v8
	v_sub_f32_e32 v12, v13, v33
	v_mul_f32_e32 v8, v31, v8
	v_sub_f32_e32 v12, v32, v12
	v_add_f32_e32 v8, v12, v8
	v_add_f32_e32 v14, v13, v8
	v_mul_f32_e32 v26, v14, v14
	v_mov_b32_e32 v12, 0x3ecc95a3
	v_fmamk_f32 v12, v26, 0x3e9b6dac, v12
	s_waitcnt vmcnt(0)
	v_fmaak_f32 v29, v26, v12, 0x3f2aaada
	v_cvt_f32_i32_e32 v12, v19
	v_sub_f32_e32 v13, v14, v13
	v_sub_f32_e32 v8, v8, v13
	v_mul_f32_e32 v13, v14, v26
	v_ldexp_f32 v15, v14, 1
	v_ldexp_f32 v8, v8, 1
	s_or_b64 vcc, s[52:53], vcc
	v_mov_b32_e32 v14, v28
	v_pk_mul_f32 v[26:27], v[12:13], v[28:29]
	scratch_store_dwordx2 off, v[14:15], off offset:164 ; 8-byte Folded Spill
	v_fma_f32 v14, v12, s56, -v26
	v_fmac_f32_e32 v14, 0xb102e308, v12
	v_pk_add_f32 v[12:13], v[26:27], v[14:15]
	v_mov_b32_e32 v28, v26
	v_sub_f32_e32 v15, v13, v15
	v_sub_f32_e32 v15, v27, v15
	v_add_f32_e32 v29, v8, v15
	v_pk_add_f32 v[26:27], v[12:13], v[26:27] neg_lo:[0,1] neg_hi:[0,1]
	v_pk_add_f32 v[30:31], v[12:13], v[28:29]
	v_mov_b32_e32 v15, v12
	v_mov_b32_e32 v27, v31
	v_pk_add_f32 v[32:33], v[14:15], v[26:27] neg_lo:[0,1] neg_hi:[0,1]
	v_pk_add_f32 v[14:15], v[14:15], v[26:27]
	s_nop 0
	v_mov_b32_e32 v8, v15
	v_pk_add_f32 v[26:27], v[8:9], v[12:13] neg_lo:[0,1] neg_hi:[0,1]
	v_mov_b32_e32 v14, v31
	v_mov_b32_e32 v19, v26
	v_pk_add_f32 v[34:35], v[30:31], v[18:19] neg_lo:[0,1] neg_hi:[0,1]
	v_mov_b32_e32 v30, v13
	v_mov_b32_e32 v31, v26
	;; [unrolled: 1-line block ×3, first 2 shown]
	v_pk_add_f32 v[14:15], v[14:15], v[30:31] neg_lo:[0,1] neg_hi:[0,1]
	v_mov_b32_e32 v26, v29
	v_mov_b32_e32 v27, v12
	v_pk_add_f32 v[12:13], v[26:27], v[14:15] neg_lo:[0,1] neg_hi:[0,1]
	v_mov_b32_e32 v34, v32
	v_pk_add_f32 v[14:15], v[34:35], v[12:13]
	s_nop 0
	v_mov_b32_e32 v26, v15
	v_pk_add_f32 v[26:27], v[14:15], v[26:27]
	s_nop 0
	v_pk_add_f32 v[28:29], v[8:9], v[26:27]
	v_mov_b32_e32 v13, v26
	v_mov_b32_e32 v15, v28
	v_pk_add_f32 v[30:31], v[14:15], v[32:33] neg_lo:[0,1] neg_hi:[0,1]
	s_nop 0
	v_sub_f32_e32 v8, v14, v30
	v_pk_add_f32 v[12:13], v[12:13], v[30:31] neg_lo:[0,1] neg_hi:[0,1]
	v_sub_f32_e32 v8, v32, v8
	v_add_f32_e32 v8, v12, v8
	v_add_f32_e32 v8, v8, v13
	;; [unrolled: 1-line block ×3, first 2 shown]
	v_cndmask_b32_e32 v60, v8, v36, vcc
.LBB112_95:                             ;   in Loop: Header=BB112_13 Depth=1
	s_or_b64 exec, exec, s[54:55]
	v_cvt_f32_f16_e32 v8, v9
	v_readlane_b32 s0, v95, 2
	s_nop 1
	v_add_f32_e32 v61, s0, v8
	v_cmp_ge_f32_e32 vcc, s4, v61
	s_and_b64 s[0:1], s[6:7], vcc
	s_and_saveexec_b64 s[54:55], s[0:1]
	s_cbranch_execz .LBB112_97
; %bb.96:                               ;   in Loop: Header=BB112_13 Depth=1
	v_mul_f32_e32 v8, 0x3fb8aa3b, v61
	v_rndne_f32_e32 v12, v8
	v_sub_f32_e32 v13, v8, v12
	v_fma_f32 v8, v61, s5, -v8
	v_fmac_f32_e32 v8, 0x32a5705f, v61
	v_add_f32_e32 v8, v13, v8
	v_cvt_i32_f32_e32 v12, v12
	v_exp_f32_e32 v8, v8
	v_cmp_ngt_f32_e32 vcc, s8, v61
	v_ldexp_f32 v8, v8, v12
	s_nop 0
	v_cndmask_b32_e32 v8, 0, v8, vcc
	v_cmp_nlt_f32_e32 vcc, s9, v61
	s_nop 1
	v_cndmask_b32_e32 v36, v39, v8, vcc
	v_add_f32_e32 v8, 1.0, v36
	v_add_f32_e32 v12, -1.0, v8
	v_sub_f32_e32 v13, v12, v8
	v_add_f32_e32 v13, 1.0, v13
	v_sub_f32_e32 v12, v36, v12
	v_add_f32_e32 v14, v12, v13
	v_frexp_mant_f32_e32 v15, v8
	v_cvt_f64_f32_e32 v[12:13], v8
	v_frexp_exp_i32_f64_e32 v12, v[12:13]
	v_cmp_gt_f32_e32 vcc, s11, v15
	v_cmp_gt_f32_e64 s[52:53], s57, v36
	s_nop 0
	v_subbrev_co_u32_e32 v19, vcc, 0, v12, vcc
	v_sub_u32_e32 v12, 0, v19
	v_ldexp_f32 v8, v8, v12
	v_ldexp_f32 v12, v14, v12
	v_add_f32_e32 v14, -1.0, v8
	v_add_f32_e32 v13, 1.0, v14
	v_sub_f32_e32 v13, v8, v13
	v_add_f32_e32 v15, v12, v13
	v_add_f32_e32 v13, 1.0, v8
	v_add_f32_e32 v26, -1.0, v13
	v_sub_f32_e32 v8, v8, v26
	v_add_f32_e32 v8, v12, v8
	v_add_f32_e32 v30, v13, v8
	v_rcp_f32_e32 v31, v30
	v_sub_f32_e32 v12, v13, v30
	v_add_f32_e32 v13, v14, v15
	v_add_f32_e32 v8, v8, v12
	v_mul_f32_e32 v33, v13, v31
	v_sub_f32_e32 v12, v14, v13
	v_mul_f32_e32 v14, v30, v33
	v_fma_f32 v26, v33, v30, -v14
	v_fmac_f32_e32 v26, v33, v8
	v_add_f32_e32 v32, v15, v12
	v_add_f32_e32 v12, v14, v26
	v_sub_f32_e32 v15, v13, v12
	v_pk_add_f32 v[28:29], v[12:13], v[14:15] neg_lo:[0,1] neg_hi:[0,1]
	v_mov_b32_e32 v27, v12
	v_pk_add_f32 v[12:13], v[28:29], v[26:27] neg_lo:[0,1] neg_hi:[0,1]
	v_cmp_eq_f32_e32 vcc, s10, v36
	v_add_f32_e32 v13, v32, v13
	v_add_f32_e32 v12, v12, v13
	;; [unrolled: 1-line block ×3, first 2 shown]
	v_mul_f32_e32 v32, v31, v13
	v_mul_f32_e32 v14, v30, v32
	v_fma_f32 v26, v32, v30, -v14
	v_fmac_f32_e32 v26, v32, v8
	v_sub_f32_e32 v8, v15, v13
	v_add_f32_e32 v8, v12, v8
	v_add_f32_e32 v12, v14, v26
	v_sub_f32_e32 v15, v13, v12
	v_pk_add_f32 v[28:29], v[12:13], v[14:15] neg_lo:[0,1] neg_hi:[0,1]
	v_mov_b32_e32 v27, v12
	v_pk_add_f32 v[12:13], v[28:29], v[26:27] neg_lo:[0,1] neg_hi:[0,1]
	scratch_load_dwordx2 v[28:29], off, off offset:164 ; 8-byte Folded Reload
	v_add_f32_e32 v8, v8, v13
	v_add_f32_e32 v8, v12, v8
	;; [unrolled: 1-line block ×4, first 2 shown]
	v_sub_f32_e32 v12, v13, v33
	v_mul_f32_e32 v8, v31, v8
	v_sub_f32_e32 v12, v32, v12
	v_add_f32_e32 v8, v12, v8
	v_add_f32_e32 v14, v13, v8
	v_mul_f32_e32 v26, v14, v14
	v_mov_b32_e32 v12, 0x3ecc95a3
	v_fmamk_f32 v12, v26, 0x3e9b6dac, v12
	s_waitcnt vmcnt(0)
	v_fmaak_f32 v29, v26, v12, 0x3f2aaada
	v_cvt_f32_i32_e32 v12, v19
	v_sub_f32_e32 v13, v14, v13
	v_sub_f32_e32 v8, v8, v13
	v_mul_f32_e32 v13, v14, v26
	v_ldexp_f32 v15, v14, 1
	v_ldexp_f32 v8, v8, 1
	s_or_b64 vcc, s[52:53], vcc
	v_mov_b32_e32 v14, v28
	v_pk_mul_f32 v[26:27], v[12:13], v[28:29]
	scratch_store_dwordx2 off, v[14:15], off offset:164 ; 8-byte Folded Spill
	v_fma_f32 v14, v12, s56, -v26
	v_fmac_f32_e32 v14, 0xb102e308, v12
	v_pk_add_f32 v[12:13], v[26:27], v[14:15]
	v_mov_b32_e32 v28, v26
	v_sub_f32_e32 v15, v13, v15
	v_sub_f32_e32 v15, v27, v15
	v_add_f32_e32 v29, v8, v15
	v_pk_add_f32 v[26:27], v[12:13], v[26:27] neg_lo:[0,1] neg_hi:[0,1]
	v_pk_add_f32 v[30:31], v[12:13], v[28:29]
	v_mov_b32_e32 v15, v12
	v_mov_b32_e32 v27, v31
	v_pk_add_f32 v[32:33], v[14:15], v[26:27] neg_lo:[0,1] neg_hi:[0,1]
	v_pk_add_f32 v[14:15], v[14:15], v[26:27]
	s_nop 0
	v_mov_b32_e32 v8, v15
	v_pk_add_f32 v[26:27], v[8:9], v[12:13] neg_lo:[0,1] neg_hi:[0,1]
	v_mov_b32_e32 v14, v31
	v_mov_b32_e32 v19, v26
	v_pk_add_f32 v[34:35], v[30:31], v[18:19] neg_lo:[0,1] neg_hi:[0,1]
	v_mov_b32_e32 v30, v13
	v_mov_b32_e32 v31, v26
	;; [unrolled: 1-line block ×3, first 2 shown]
	v_pk_add_f32 v[14:15], v[14:15], v[30:31] neg_lo:[0,1] neg_hi:[0,1]
	v_mov_b32_e32 v26, v29
	v_mov_b32_e32 v27, v12
	v_pk_add_f32 v[12:13], v[26:27], v[14:15] neg_lo:[0,1] neg_hi:[0,1]
	v_mov_b32_e32 v34, v32
	v_pk_add_f32 v[14:15], v[34:35], v[12:13]
	s_nop 0
	v_mov_b32_e32 v26, v15
	v_pk_add_f32 v[26:27], v[14:15], v[26:27]
	s_nop 0
	v_pk_add_f32 v[28:29], v[8:9], v[26:27]
	v_mov_b32_e32 v13, v26
	v_mov_b32_e32 v15, v28
	v_pk_add_f32 v[30:31], v[14:15], v[32:33] neg_lo:[0,1] neg_hi:[0,1]
	s_nop 0
	v_sub_f32_e32 v8, v14, v30
	v_pk_add_f32 v[12:13], v[12:13], v[30:31] neg_lo:[0,1] neg_hi:[0,1]
	v_sub_f32_e32 v8, v32, v8
	v_add_f32_e32 v8, v12, v8
	v_add_f32_e32 v8, v8, v13
	;; [unrolled: 1-line block ×3, first 2 shown]
	v_cndmask_b32_e32 v61, v8, v36, vcc
.LBB112_97:                             ;   in Loop: Header=BB112_13 Depth=1
	s_or_b64 exec, exec, s[54:55]
	v_cvt_f32_f16_sdwa v8, v9 dst_sel:DWORD dst_unused:UNUSED_PAD src0_sel:WORD_1
	v_readlane_b32 s0, v95, 2
	s_nop 1
	v_add_f32_e32 v62, s0, v8
	v_cmp_ge_f32_e32 vcc, s4, v62
	s_and_b64 s[0:1], s[6:7], vcc
	s_and_saveexec_b64 s[54:55], s[0:1]
	s_cbranch_execz .LBB112_99
; %bb.98:                               ;   in Loop: Header=BB112_13 Depth=1
	v_mul_f32_e32 v8, 0x3fb8aa3b, v62
	v_rndne_f32_e32 v9, v8
	v_sub_f32_e32 v12, v8, v9
	v_fma_f32 v8, v62, s5, -v8
	v_fmac_f32_e32 v8, 0x32a5705f, v62
	v_add_f32_e32 v8, v12, v8
	v_cvt_i32_f32_e32 v9, v9
	v_exp_f32_e32 v8, v8
	v_cmp_ngt_f32_e32 vcc, s8, v62
	v_ldexp_f32 v8, v8, v9
	s_nop 0
	v_cndmask_b32_e32 v8, 0, v8, vcc
	v_cmp_nlt_f32_e32 vcc, s9, v62
	s_nop 1
	v_cndmask_b32_e32 v19, v39, v8, vcc
	v_add_f32_e32 v12, 1.0, v19
	v_add_f32_e32 v8, -1.0, v12
	v_sub_f32_e32 v9, v8, v12
	v_add_f32_e32 v9, 1.0, v9
	v_sub_f32_e32 v8, v19, v8
	v_add_f32_e32 v13, v8, v9
	v_frexp_mant_f32_e32 v14, v12
	v_cvt_f64_f32_e32 v[8:9], v12
	v_frexp_exp_i32_f64_e32 v8, v[8:9]
	v_cmp_gt_f32_e32 vcc, s11, v14
	v_cmp_gt_f32_e64 s[52:53], s57, v19
	s_nop 0
	v_subbrev_co_u32_e32 v28, vcc, 0, v8, vcc
	v_sub_u32_e32 v8, 0, v28
	v_ldexp_f32 v9, v12, v8
	v_add_f32_e32 v12, -1.0, v9
	v_add_f32_e32 v14, 1.0, v9
	v_ldexp_f32 v8, v13, v8
	v_add_f32_e32 v13, 1.0, v12
	v_add_f32_e32 v15, -1.0, v14
	v_sub_f32_e32 v13, v9, v13
	v_sub_f32_e32 v9, v9, v15
	v_add_f32_e32 v13, v8, v13
	v_add_f32_e32 v8, v8, v9
	;; [unrolled: 1-line block ×3, first 2 shown]
	v_rcp_f32_e32 v31, v29
	v_sub_f32_e32 v9, v14, v29
	v_add_f32_e32 v30, v8, v9
	v_add_f32_e32 v9, v12, v13
	v_mul_f32_e32 v33, v9, v31
	v_sub_f32_e32 v8, v12, v9
	v_mul_f32_e32 v12, v29, v33
	v_fma_f32 v14, v33, v29, -v12
	v_fmac_f32_e32 v14, v33, v30
	v_add_f32_e32 v32, v13, v8
	v_add_f32_e32 v8, v12, v14
	v_sub_f32_e32 v13, v9, v8
	v_pk_add_f32 v[26:27], v[8:9], v[12:13] neg_lo:[0,1] neg_hi:[0,1]
	v_mov_b32_e32 v15, v8
	v_pk_add_f32 v[8:9], v[26:27], v[14:15] neg_lo:[0,1] neg_hi:[0,1]
	v_cmp_eq_f32_e32 vcc, s10, v19
	v_add_f32_e32 v9, v32, v9
	v_add_f32_e32 v8, v8, v9
	;; [unrolled: 1-line block ×3, first 2 shown]
	v_mul_f32_e32 v32, v31, v9
	v_mul_f32_e32 v12, v29, v32
	v_fma_f32 v14, v32, v29, -v12
	v_fmac_f32_e32 v14, v32, v30
	v_sub_f32_e32 v13, v13, v9
	v_add_f32_e32 v29, v8, v13
	v_add_f32_e32 v8, v12, v14
	v_sub_f32_e32 v13, v9, v8
	v_pk_add_f32 v[26:27], v[8:9], v[12:13] neg_lo:[0,1] neg_hi:[0,1]
	v_mov_b32_e32 v15, v8
	v_pk_add_f32 v[8:9], v[26:27], v[14:15] neg_lo:[0,1] neg_hi:[0,1]
	scratch_load_dwordx2 v[26:27], off, off offset:164 ; 8-byte Folded Reload
	v_add_f32_e32 v9, v29, v9
	v_add_f32_e32 v8, v8, v9
	;; [unrolled: 1-line block ×4, first 2 shown]
	v_sub_f32_e32 v12, v9, v33
	v_mul_f32_e32 v8, v31, v8
	v_sub_f32_e32 v12, v32, v12
	v_add_f32_e32 v12, v12, v8
	v_add_f32_e32 v14, v9, v12
	v_mul_f32_e32 v15, v14, v14
	v_mov_b32_e32 v8, 0x3ecc95a3
	v_fmamk_f32 v8, v15, 0x3e9b6dac, v8
	v_fmaak_f32 v31, v15, v8, 0x3f2aaada
	v_cvt_f32_i32_e32 v8, v28
	v_sub_f32_e32 v9, v14, v9
	v_sub_f32_e32 v9, v12, v9
	v_ldexp_f32 v13, v14, 1
	s_or_b64 vcc, s[52:53], vcc
	s_waitcnt vmcnt(0)
	v_mov_b32_e32 v30, v26
	v_ldexp_f32 v26, v9, 1
	v_mul_f32_e32 v9, v14, v15
	v_mov_b32_e32 v12, v30
	v_pk_mul_f32 v[14:15], v[8:9], v[30:31]
	scratch_store_dwordx2 off, v[12:13], off offset:164 ; 8-byte Folded Spill
	v_fma_f32 v12, v8, s56, -v14
	v_fmac_f32_e32 v12, 0xb102e308, v8
	v_pk_add_f32 v[8:9], v[14:15], v[12:13]
	s_nop 0
	v_sub_f32_e32 v13, v9, v13
	v_sub_f32_e32 v13, v15, v13
	v_add_f32_e32 v27, v26, v13
	v_mov_b32_e32 v26, v14
	v_pk_add_f32 v[14:15], v[8:9], v[14:15] neg_lo:[0,1] neg_hi:[0,1]
	v_pk_add_f32 v[28:29], v[8:9], v[26:27]
	v_mov_b32_e32 v13, v8
	v_mov_b32_e32 v15, v29
	v_pk_add_f32 v[30:31], v[12:13], v[14:15] neg_lo:[0,1] neg_hi:[0,1]
	v_pk_add_f32 v[12:13], v[12:13], v[14:15]
	v_mov_b32_e32 v26, v27
	v_mov_b32_e32 v14, v13
	v_pk_add_f32 v[32:33], v[14:15], v[8:9] neg_lo:[0,1] neg_hi:[0,1]
	v_mov_b32_e32 v12, v29
	v_mov_b32_e32 v15, v32
	v_pk_add_f32 v[34:35], v[28:29], v[14:15] neg_lo:[0,1] neg_hi:[0,1]
	v_mov_b32_e32 v28, v9
	v_mov_b32_e32 v29, v32
	;; [unrolled: 1-line block ×3, first 2 shown]
	v_pk_add_f32 v[12:13], v[12:13], v[28:29] neg_lo:[0,1] neg_hi:[0,1]
	v_mov_b32_e32 v27, v8
	v_pk_add_f32 v[8:9], v[26:27], v[12:13] neg_lo:[0,1] neg_hi:[0,1]
	v_mov_b32_e32 v34, v30
	v_pk_add_f32 v[12:13], v[34:35], v[8:9]
	s_nop 0
	v_mov_b32_e32 v26, v13
	v_pk_add_f32 v[26:27], v[12:13], v[26:27]
	s_nop 0
	v_pk_add_f32 v[14:15], v[14:15], v[26:27]
	v_mov_b32_e32 v9, v26
	v_mov_b32_e32 v13, v14
	v_pk_add_f32 v[28:29], v[12:13], v[30:31] neg_lo:[0,1] neg_hi:[0,1]
	s_nop 0
	v_sub_f32_e32 v12, v12, v28
	v_pk_add_f32 v[8:9], v[8:9], v[28:29] neg_lo:[0,1] neg_hi:[0,1]
	v_sub_f32_e32 v12, v30, v12
	v_add_f32_e32 v8, v8, v12
	v_add_f32_e32 v8, v8, v9
	;; [unrolled: 1-line block ×3, first 2 shown]
	v_cndmask_b32_e32 v62, v8, v19, vcc
.LBB112_99:                             ;   in Loop: Header=BB112_13 Depth=1
	s_or_b64 exec, exec, s[54:55]
	v_cvt_f32_f16_e32 v8, v10
	v_readlane_b32 s0, v95, 2
	s_nop 1
	v_add_f32_e32 v63, s0, v8
	v_cmp_ge_f32_e32 vcc, s4, v63
	s_and_b64 s[0:1], s[6:7], vcc
	s_and_saveexec_b64 s[54:55], s[0:1]
	s_cbranch_execz .LBB112_101
; %bb.100:                              ;   in Loop: Header=BB112_13 Depth=1
	v_mul_f32_e32 v8, 0x3fb8aa3b, v63
	v_rndne_f32_e32 v9, v8
	v_sub_f32_e32 v12, v8, v9
	v_fma_f32 v8, v63, s5, -v8
	v_fmac_f32_e32 v8, 0x32a5705f, v63
	v_add_f32_e32 v8, v12, v8
	v_cvt_i32_f32_e32 v9, v9
	v_exp_f32_e32 v8, v8
	v_cmp_ngt_f32_e32 vcc, s8, v63
	v_ldexp_f32 v8, v8, v9
	s_nop 0
	v_cndmask_b32_e32 v8, 0, v8, vcc
	v_cmp_nlt_f32_e32 vcc, s9, v63
	s_nop 1
	v_cndmask_b32_e32 v19, v39, v8, vcc
	v_add_f32_e32 v12, 1.0, v19
	v_add_f32_e32 v8, -1.0, v12
	v_sub_f32_e32 v9, v8, v12
	v_add_f32_e32 v9, 1.0, v9
	v_sub_f32_e32 v8, v19, v8
	v_add_f32_e32 v13, v8, v9
	v_frexp_mant_f32_e32 v14, v12
	v_cvt_f64_f32_e32 v[8:9], v12
	v_frexp_exp_i32_f64_e32 v8, v[8:9]
	v_cmp_gt_f32_e32 vcc, s11, v14
	v_cmp_gt_f32_e64 s[52:53], s57, v19
	s_nop 0
	v_subbrev_co_u32_e32 v28, vcc, 0, v8, vcc
	v_sub_u32_e32 v8, 0, v28
	v_ldexp_f32 v9, v12, v8
	v_add_f32_e32 v12, -1.0, v9
	v_add_f32_e32 v14, 1.0, v9
	v_ldexp_f32 v8, v13, v8
	v_add_f32_e32 v13, 1.0, v12
	v_add_f32_e32 v15, -1.0, v14
	v_sub_f32_e32 v13, v9, v13
	v_sub_f32_e32 v9, v9, v15
	v_add_f32_e32 v13, v8, v13
	v_add_f32_e32 v8, v8, v9
	;; [unrolled: 1-line block ×3, first 2 shown]
	v_rcp_f32_e32 v31, v29
	v_sub_f32_e32 v9, v14, v29
	v_add_f32_e32 v30, v8, v9
	v_add_f32_e32 v9, v12, v13
	v_mul_f32_e32 v33, v9, v31
	v_sub_f32_e32 v8, v12, v9
	v_mul_f32_e32 v12, v29, v33
	v_fma_f32 v14, v33, v29, -v12
	v_fmac_f32_e32 v14, v33, v30
	v_add_f32_e32 v32, v13, v8
	v_add_f32_e32 v8, v12, v14
	v_sub_f32_e32 v13, v9, v8
	v_pk_add_f32 v[26:27], v[8:9], v[12:13] neg_lo:[0,1] neg_hi:[0,1]
	v_mov_b32_e32 v15, v8
	v_pk_add_f32 v[8:9], v[26:27], v[14:15] neg_lo:[0,1] neg_hi:[0,1]
	v_cmp_eq_f32_e32 vcc, s10, v19
	v_add_f32_e32 v9, v32, v9
	v_add_f32_e32 v8, v8, v9
	;; [unrolled: 1-line block ×3, first 2 shown]
	v_mul_f32_e32 v32, v31, v9
	v_mul_f32_e32 v12, v29, v32
	v_fma_f32 v14, v32, v29, -v12
	v_fmac_f32_e32 v14, v32, v30
	v_sub_f32_e32 v13, v13, v9
	v_add_f32_e32 v29, v8, v13
	v_add_f32_e32 v8, v12, v14
	v_sub_f32_e32 v13, v9, v8
	v_pk_add_f32 v[26:27], v[8:9], v[12:13] neg_lo:[0,1] neg_hi:[0,1]
	v_mov_b32_e32 v15, v8
	v_pk_add_f32 v[8:9], v[26:27], v[14:15] neg_lo:[0,1] neg_hi:[0,1]
	scratch_load_dwordx2 v[26:27], off, off offset:164 ; 8-byte Folded Reload
	v_add_f32_e32 v9, v29, v9
	v_add_f32_e32 v8, v8, v9
	;; [unrolled: 1-line block ×4, first 2 shown]
	v_sub_f32_e32 v12, v9, v33
	v_mul_f32_e32 v8, v31, v8
	v_sub_f32_e32 v12, v32, v12
	v_add_f32_e32 v12, v12, v8
	v_add_f32_e32 v14, v9, v12
	v_mul_f32_e32 v15, v14, v14
	v_mov_b32_e32 v8, 0x3ecc95a3
	v_fmamk_f32 v8, v15, 0x3e9b6dac, v8
	v_fmaak_f32 v31, v15, v8, 0x3f2aaada
	v_cvt_f32_i32_e32 v8, v28
	v_sub_f32_e32 v9, v14, v9
	v_sub_f32_e32 v9, v12, v9
	v_ldexp_f32 v13, v14, 1
	s_or_b64 vcc, s[52:53], vcc
	s_waitcnt vmcnt(0)
	v_mov_b32_e32 v30, v26
	v_ldexp_f32 v26, v9, 1
	v_mul_f32_e32 v9, v14, v15
	v_mov_b32_e32 v12, v30
	v_pk_mul_f32 v[14:15], v[8:9], v[30:31]
	scratch_store_dwordx2 off, v[12:13], off offset:164 ; 8-byte Folded Spill
	v_fma_f32 v12, v8, s56, -v14
	v_fmac_f32_e32 v12, 0xb102e308, v8
	v_pk_add_f32 v[8:9], v[14:15], v[12:13]
	s_nop 0
	v_sub_f32_e32 v13, v9, v13
	v_sub_f32_e32 v13, v15, v13
	v_add_f32_e32 v27, v26, v13
	v_mov_b32_e32 v26, v14
	v_pk_add_f32 v[14:15], v[8:9], v[14:15] neg_lo:[0,1] neg_hi:[0,1]
	v_pk_add_f32 v[28:29], v[8:9], v[26:27]
	v_mov_b32_e32 v13, v8
	v_mov_b32_e32 v15, v29
	v_pk_add_f32 v[30:31], v[12:13], v[14:15] neg_lo:[0,1] neg_hi:[0,1]
	v_pk_add_f32 v[12:13], v[12:13], v[14:15]
	v_mov_b32_e32 v26, v27
	v_mov_b32_e32 v14, v13
	v_pk_add_f32 v[32:33], v[14:15], v[8:9] neg_lo:[0,1] neg_hi:[0,1]
	v_mov_b32_e32 v12, v29
	v_mov_b32_e32 v15, v32
	v_pk_add_f32 v[34:35], v[28:29], v[14:15] neg_lo:[0,1] neg_hi:[0,1]
	v_mov_b32_e32 v28, v9
	v_mov_b32_e32 v29, v32
	v_mov_b32_e32 v31, v13
	v_pk_add_f32 v[12:13], v[12:13], v[28:29] neg_lo:[0,1] neg_hi:[0,1]
	v_mov_b32_e32 v27, v8
	v_pk_add_f32 v[8:9], v[26:27], v[12:13] neg_lo:[0,1] neg_hi:[0,1]
	v_mov_b32_e32 v34, v30
	v_pk_add_f32 v[12:13], v[34:35], v[8:9]
	s_nop 0
	v_mov_b32_e32 v26, v13
	v_pk_add_f32 v[26:27], v[12:13], v[26:27]
	s_nop 0
	v_pk_add_f32 v[14:15], v[14:15], v[26:27]
	v_mov_b32_e32 v9, v26
	v_mov_b32_e32 v13, v14
	v_pk_add_f32 v[28:29], v[12:13], v[30:31] neg_lo:[0,1] neg_hi:[0,1]
	s_nop 0
	v_sub_f32_e32 v12, v12, v28
	v_pk_add_f32 v[8:9], v[8:9], v[28:29] neg_lo:[0,1] neg_hi:[0,1]
	v_sub_f32_e32 v12, v30, v12
	v_add_f32_e32 v8, v8, v12
	v_add_f32_e32 v8, v8, v9
	;; [unrolled: 1-line block ×3, first 2 shown]
	v_cndmask_b32_e32 v63, v8, v19, vcc
.LBB112_101:                            ;   in Loop: Header=BB112_13 Depth=1
	s_or_b64 exec, exec, s[54:55]
	v_cvt_f32_f16_sdwa v8, v10 dst_sel:DWORD dst_unused:UNUSED_PAD src0_sel:WORD_1
	v_readlane_b32 s0, v95, 2
	s_nop 1
	v_add_f32_e32 v64, s0, v8
	v_cmp_ge_f32_e32 vcc, s4, v64
	s_and_b64 s[0:1], s[6:7], vcc
	s_and_saveexec_b64 s[54:55], s[0:1]
	s_cbranch_execz .LBB112_103
; %bb.102:                              ;   in Loop: Header=BB112_13 Depth=1
	v_mul_f32_e32 v8, 0x3fb8aa3b, v64
	v_rndne_f32_e32 v9, v8
	v_sub_f32_e32 v10, v8, v9
	v_fma_f32 v8, v64, s5, -v8
	v_fmac_f32_e32 v8, 0x32a5705f, v64
	v_add_f32_e32 v8, v10, v8
	v_cvt_i32_f32_e32 v9, v9
	v_exp_f32_e32 v8, v8
	v_cmp_ngt_f32_e32 vcc, s8, v64
	v_ldexp_f32 v8, v8, v9
	s_nop 0
	v_cndmask_b32_e32 v8, 0, v8, vcc
	v_cmp_nlt_f32_e32 vcc, s9, v64
	s_nop 1
	v_cndmask_b32_e32 v19, v39, v8, vcc
	v_add_f32_e32 v10, 1.0, v19
	v_add_f32_e32 v8, -1.0, v10
	v_sub_f32_e32 v9, v8, v10
	v_add_f32_e32 v9, 1.0, v9
	v_sub_f32_e32 v8, v19, v8
	v_add_f32_e32 v12, v8, v9
	v_frexp_mant_f32_e32 v13, v10
	v_cvt_f64_f32_e32 v[8:9], v10
	v_frexp_exp_i32_f64_e32 v8, v[8:9]
	v_cmp_gt_f32_e32 vcc, s11, v13
	v_cmp_gt_f32_e64 s[52:53], s57, v19
	s_nop 0
	v_subbrev_co_u32_e32 v28, vcc, 0, v8, vcc
	v_sub_u32_e32 v8, 0, v28
	v_ldexp_f32 v9, v10, v8
	v_add_f32_e32 v10, -1.0, v9
	v_add_f32_e32 v13, 1.0, v9
	v_ldexp_f32 v8, v12, v8
	v_add_f32_e32 v12, 1.0, v10
	v_add_f32_e32 v14, -1.0, v13
	v_sub_f32_e32 v12, v9, v12
	v_sub_f32_e32 v9, v9, v14
	v_add_f32_e32 v12, v8, v12
	v_add_f32_e32 v8, v8, v9
	;; [unrolled: 1-line block ×3, first 2 shown]
	v_rcp_f32_e32 v31, v29
	v_sub_f32_e32 v9, v13, v29
	v_add_f32_e32 v30, v8, v9
	v_add_f32_e32 v9, v10, v12
	v_sub_f32_e32 v8, v10, v9
	v_mul_f32_e32 v32, v9, v31
	v_add_f32_e32 v10, v12, v8
	v_mul_f32_e32 v12, v29, v32
	v_fma_f32 v14, v32, v29, -v12
	v_fmac_f32_e32 v14, v32, v30
	v_add_f32_e32 v8, v12, v14
	v_sub_f32_e32 v13, v9, v8
	v_pk_add_f32 v[26:27], v[8:9], v[12:13] neg_lo:[0,1] neg_hi:[0,1]
	v_mov_b32_e32 v15, v8
	v_pk_add_f32 v[8:9], v[26:27], v[14:15] neg_lo:[0,1] neg_hi:[0,1]
	v_cmp_eq_f32_e32 vcc, s10, v19
	v_add_f32_e32 v9, v10, v9
	v_add_f32_e32 v8, v8, v9
	v_add_f32_e32 v9, v13, v8
	v_mul_f32_e32 v10, v31, v9
	v_mul_f32_e32 v12, v29, v10
	v_fma_f32 v14, v10, v29, -v12
	v_fmac_f32_e32 v14, v10, v30
	v_sub_f32_e32 v13, v13, v9
	v_add_f32_e32 v29, v8, v13
	v_add_f32_e32 v8, v12, v14
	v_sub_f32_e32 v13, v9, v8
	v_pk_add_f32 v[26:27], v[8:9], v[12:13] neg_lo:[0,1] neg_hi:[0,1]
	v_mov_b32_e32 v15, v8
	v_pk_add_f32 v[8:9], v[26:27], v[14:15] neg_lo:[0,1] neg_hi:[0,1]
	scratch_load_dwordx2 v[26:27], off, off offset:164 ; 8-byte Folded Reload
	v_add_f32_e32 v9, v29, v9
	v_add_f32_e32 v8, v8, v9
	;; [unrolled: 1-line block ×4, first 2 shown]
	v_sub_f32_e32 v12, v9, v32
	v_mul_f32_e32 v8, v31, v8
	v_sub_f32_e32 v10, v10, v12
	v_add_f32_e32 v10, v10, v8
	v_add_f32_e32 v12, v9, v10
	v_mul_f32_e32 v14, v12, v12
	v_mov_b32_e32 v8, 0x3ecc95a3
	v_fmamk_f32 v8, v14, 0x3e9b6dac, v8
	s_waitcnt vmcnt(0)
	v_fmaak_f32 v27, v14, v8, 0x3f2aaada
	v_cvt_f32_i32_e32 v8, v28
	v_sub_f32_e32 v9, v12, v9
	v_sub_f32_e32 v9, v10, v9
	v_ldexp_f32 v10, v9, 1
	v_mul_f32_e32 v9, v12, v14
	v_ldexp_f32 v13, v12, 1
	s_or_b64 vcc, s[52:53], vcc
	v_mov_b32_e32 v12, v26
	v_pk_mul_f32 v[14:15], v[8:9], v[26:27]
	scratch_store_dwordx2 off, v[12:13], off offset:164 ; 8-byte Folded Spill
	v_fma_f32 v12, v8, s56, -v14
	v_fmac_f32_e32 v12, 0xb102e308, v8
	v_pk_add_f32 v[8:9], v[14:15], v[12:13]
	v_mov_b32_e32 v26, v14
	v_sub_f32_e32 v13, v9, v13
	v_sub_f32_e32 v13, v15, v13
	v_add_f32_e32 v27, v10, v13
	v_pk_add_f32 v[14:15], v[8:9], v[14:15] neg_lo:[0,1] neg_hi:[0,1]
	v_pk_add_f32 v[28:29], v[8:9], v[26:27]
	v_mov_b32_e32 v13, v8
	v_mov_b32_e32 v15, v29
	v_pk_add_f32 v[30:31], v[12:13], v[14:15] neg_lo:[0,1] neg_hi:[0,1]
	v_pk_add_f32 v[12:13], v[12:13], v[14:15]
	s_nop 0
	v_mov_b32_e32 v10, v13
	v_pk_add_f32 v[14:15], v[10:11], v[8:9] neg_lo:[0,1] neg_hi:[0,1]
	v_mov_b32_e32 v12, v29
	v_mov_b32_e32 v15, v14
	v_pk_add_f32 v[32:33], v[28:29], v[14:15] neg_lo:[0,1] neg_hi:[0,1]
	v_mov_b32_e32 v28, v9
	v_mov_b32_e32 v29, v14
	;; [unrolled: 1-line block ×3, first 2 shown]
	v_pk_add_f32 v[12:13], v[12:13], v[28:29] neg_lo:[0,1] neg_hi:[0,1]
	v_mov_b32_e32 v14, v27
	v_mov_b32_e32 v15, v8
	v_pk_add_f32 v[8:9], v[14:15], v[12:13] neg_lo:[0,1] neg_hi:[0,1]
	v_mov_b32_e32 v32, v30
	v_pk_add_f32 v[12:13], v[32:33], v[8:9]
	s_nop 0
	v_mov_b32_e32 v14, v13
	v_pk_add_f32 v[14:15], v[12:13], v[14:15]
	s_nop 0
	v_pk_add_f32 v[26:27], v[10:11], v[14:15]
	v_mov_b32_e32 v9, v14
	v_mov_b32_e32 v13, v26
	v_pk_add_f32 v[28:29], v[12:13], v[30:31] neg_lo:[0,1] neg_hi:[0,1]
	s_nop 0
	v_sub_f32_e32 v10, v12, v28
	v_pk_add_f32 v[8:9], v[8:9], v[28:29] neg_lo:[0,1] neg_hi:[0,1]
	v_sub_f32_e32 v10, v30, v10
	v_add_f32_e32 v8, v8, v10
	v_add_f32_e32 v8, v8, v9
	;; [unrolled: 1-line block ×3, first 2 shown]
	v_cndmask_b32_e32 v64, v8, v19, vcc
.LBB112_103:                            ;   in Loop: Header=BB112_13 Depth=1
	s_or_b64 exec, exec, s[54:55]
	v_cvt_f32_f16_e32 v8, v11
	v_readlane_b32 s0, v95, 2
	s_nop 1
	v_add_f32_e32 v65, s0, v8
	v_cmp_ge_f32_e32 vcc, s4, v65
	s_and_b64 s[0:1], s[6:7], vcc
	s_and_saveexec_b64 s[54:55], s[0:1]
	s_cbranch_execz .LBB112_105
; %bb.104:                              ;   in Loop: Header=BB112_13 Depth=1
	v_mul_f32_e32 v8, 0x3fb8aa3b, v65
	v_rndne_f32_e32 v9, v8
	v_sub_f32_e32 v10, v8, v9
	v_fma_f32 v8, v65, s5, -v8
	v_fmac_f32_e32 v8, 0x32a5705f, v65
	v_add_f32_e32 v8, v10, v8
	v_cvt_i32_f32_e32 v9, v9
	v_exp_f32_e32 v8, v8
	v_cmp_ngt_f32_e32 vcc, s8, v65
	v_ldexp_f32 v8, v8, v9
	s_nop 0
	v_cndmask_b32_e32 v8, 0, v8, vcc
	v_cmp_nlt_f32_e32 vcc, s9, v65
	s_nop 1
	v_cndmask_b32_e32 v19, v39, v8, vcc
	v_add_f32_e32 v10, 1.0, v19
	v_add_f32_e32 v8, -1.0, v10
	v_sub_f32_e32 v9, v8, v10
	v_add_f32_e32 v9, 1.0, v9
	v_sub_f32_e32 v8, v19, v8
	v_add_f32_e32 v12, v8, v9
	v_frexp_mant_f32_e32 v13, v10
	v_cvt_f64_f32_e32 v[8:9], v10
	v_frexp_exp_i32_f64_e32 v8, v[8:9]
	v_cmp_gt_f32_e32 vcc, s11, v13
	v_cmp_gt_f32_e64 s[52:53], s57, v19
	s_nop 0
	v_subbrev_co_u32_e32 v28, vcc, 0, v8, vcc
	v_sub_u32_e32 v8, 0, v28
	v_ldexp_f32 v9, v10, v8
	v_add_f32_e32 v10, -1.0, v9
	v_add_f32_e32 v13, 1.0, v9
	v_ldexp_f32 v8, v12, v8
	v_add_f32_e32 v12, 1.0, v10
	v_add_f32_e32 v14, -1.0, v13
	v_sub_f32_e32 v12, v9, v12
	v_sub_f32_e32 v9, v9, v14
	v_add_f32_e32 v12, v8, v12
	v_add_f32_e32 v8, v8, v9
	;; [unrolled: 1-line block ×3, first 2 shown]
	v_rcp_f32_e32 v31, v29
	v_sub_f32_e32 v9, v13, v29
	v_add_f32_e32 v30, v8, v9
	v_add_f32_e32 v9, v10, v12
	v_sub_f32_e32 v8, v10, v9
	v_mul_f32_e32 v32, v9, v31
	v_add_f32_e32 v10, v12, v8
	v_mul_f32_e32 v12, v29, v32
	v_fma_f32 v14, v32, v29, -v12
	v_fmac_f32_e32 v14, v32, v30
	v_add_f32_e32 v8, v12, v14
	v_sub_f32_e32 v13, v9, v8
	v_pk_add_f32 v[26:27], v[8:9], v[12:13] neg_lo:[0,1] neg_hi:[0,1]
	v_mov_b32_e32 v15, v8
	v_pk_add_f32 v[8:9], v[26:27], v[14:15] neg_lo:[0,1] neg_hi:[0,1]
	v_cmp_eq_f32_e32 vcc, s10, v19
	v_add_f32_e32 v9, v10, v9
	v_add_f32_e32 v8, v8, v9
	v_add_f32_e32 v9, v13, v8
	v_mul_f32_e32 v10, v31, v9
	v_mul_f32_e32 v12, v29, v10
	v_fma_f32 v14, v10, v29, -v12
	v_fmac_f32_e32 v14, v10, v30
	v_sub_f32_e32 v13, v13, v9
	v_add_f32_e32 v29, v8, v13
	v_add_f32_e32 v8, v12, v14
	v_sub_f32_e32 v13, v9, v8
	v_pk_add_f32 v[26:27], v[8:9], v[12:13] neg_lo:[0,1] neg_hi:[0,1]
	v_mov_b32_e32 v15, v8
	v_pk_add_f32 v[8:9], v[26:27], v[14:15] neg_lo:[0,1] neg_hi:[0,1]
	scratch_load_dwordx2 v[26:27], off, off offset:164 ; 8-byte Folded Reload
	v_add_f32_e32 v9, v29, v9
	v_add_f32_e32 v8, v8, v9
	;; [unrolled: 1-line block ×4, first 2 shown]
	v_sub_f32_e32 v12, v9, v32
	v_mul_f32_e32 v8, v31, v8
	v_sub_f32_e32 v10, v10, v12
	v_add_f32_e32 v10, v10, v8
	v_add_f32_e32 v12, v9, v10
	v_mul_f32_e32 v14, v12, v12
	v_mov_b32_e32 v8, 0x3ecc95a3
	v_fmamk_f32 v8, v14, 0x3e9b6dac, v8
	s_waitcnt vmcnt(0)
	v_fmaak_f32 v27, v14, v8, 0x3f2aaada
	v_cvt_f32_i32_e32 v8, v28
	v_sub_f32_e32 v9, v12, v9
	v_sub_f32_e32 v9, v10, v9
	v_ldexp_f32 v10, v9, 1
	v_mul_f32_e32 v9, v12, v14
	v_ldexp_f32 v13, v12, 1
	s_or_b64 vcc, s[52:53], vcc
	v_mov_b32_e32 v12, v26
	v_pk_mul_f32 v[14:15], v[8:9], v[26:27]
	scratch_store_dwordx2 off, v[12:13], off offset:164 ; 8-byte Folded Spill
	v_fma_f32 v12, v8, s56, -v14
	v_fmac_f32_e32 v12, 0xb102e308, v8
	v_pk_add_f32 v[8:9], v[14:15], v[12:13]
	v_mov_b32_e32 v26, v14
	v_sub_f32_e32 v13, v9, v13
	v_sub_f32_e32 v13, v15, v13
	v_add_f32_e32 v27, v10, v13
	v_pk_add_f32 v[14:15], v[8:9], v[14:15] neg_lo:[0,1] neg_hi:[0,1]
	v_pk_add_f32 v[28:29], v[8:9], v[26:27]
	v_mov_b32_e32 v13, v8
	v_mov_b32_e32 v15, v29
	v_pk_add_f32 v[30:31], v[12:13], v[14:15] neg_lo:[0,1] neg_hi:[0,1]
	v_pk_add_f32 v[12:13], v[12:13], v[14:15]
	s_nop 0
	v_mov_b32_e32 v10, v13
	v_pk_add_f32 v[14:15], v[10:11], v[8:9] neg_lo:[0,1] neg_hi:[0,1]
	v_mov_b32_e32 v12, v29
	v_mov_b32_e32 v15, v14
	v_pk_add_f32 v[32:33], v[28:29], v[14:15] neg_lo:[0,1] neg_hi:[0,1]
	v_mov_b32_e32 v28, v9
	v_mov_b32_e32 v29, v14
	;; [unrolled: 1-line block ×3, first 2 shown]
	v_pk_add_f32 v[12:13], v[12:13], v[28:29] neg_lo:[0,1] neg_hi:[0,1]
	v_mov_b32_e32 v14, v27
	v_mov_b32_e32 v15, v8
	v_pk_add_f32 v[8:9], v[14:15], v[12:13] neg_lo:[0,1] neg_hi:[0,1]
	v_mov_b32_e32 v32, v30
	v_pk_add_f32 v[12:13], v[32:33], v[8:9]
	s_nop 0
	v_mov_b32_e32 v14, v13
	v_pk_add_f32 v[14:15], v[12:13], v[14:15]
	s_nop 0
	v_pk_add_f32 v[26:27], v[10:11], v[14:15]
	v_mov_b32_e32 v9, v14
	v_mov_b32_e32 v13, v26
	v_pk_add_f32 v[28:29], v[12:13], v[30:31] neg_lo:[0,1] neg_hi:[0,1]
	s_nop 0
	v_sub_f32_e32 v10, v12, v28
	v_pk_add_f32 v[8:9], v[8:9], v[28:29] neg_lo:[0,1] neg_hi:[0,1]
	v_sub_f32_e32 v10, v30, v10
	v_add_f32_e32 v8, v8, v10
	v_add_f32_e32 v8, v8, v9
	;; [unrolled: 1-line block ×3, first 2 shown]
	v_cndmask_b32_e32 v65, v8, v19, vcc
.LBB112_105:                            ;   in Loop: Header=BB112_13 Depth=1
	s_or_b64 exec, exec, s[54:55]
	v_cvt_f32_f16_sdwa v8, v11 dst_sel:DWORD dst_unused:UNUSED_PAD src0_sel:WORD_1
	v_readlane_b32 s0, v95, 2
	s_nop 1
	v_add_f32_e32 v27, s0, v8
	v_cmp_ge_f32_e32 vcc, s4, v27
	s_and_b64 s[0:1], s[6:7], vcc
	s_and_saveexec_b64 s[54:55], s[0:1]
	s_cbranch_execz .LBB112_107
; %bb.106:                              ;   in Loop: Header=BB112_13 Depth=1
	v_mul_f32_e32 v8, 0x3fb8aa3b, v27
	v_rndne_f32_e32 v9, v8
	v_sub_f32_e32 v10, v8, v9
	v_fma_f32 v8, v27, s5, -v8
	v_fmac_f32_e32 v8, 0x32a5705f, v27
	v_add_f32_e32 v8, v10, v8
	v_cvt_i32_f32_e32 v9, v9
	v_exp_f32_e32 v8, v8
	v_cmp_ngt_f32_e32 vcc, s8, v27
	v_ldexp_f32 v8, v8, v9
	s_nop 0
	v_cndmask_b32_e32 v8, 0, v8, vcc
	v_cmp_nlt_f32_e32 vcc, s9, v27
	s_nop 1
	v_cndmask_b32_e32 v19, v39, v8, vcc
	v_add_f32_e32 v10, 1.0, v19
	v_add_f32_e32 v8, -1.0, v10
	v_sub_f32_e32 v9, v8, v10
	v_add_f32_e32 v9, 1.0, v9
	v_sub_f32_e32 v8, v19, v8
	v_add_f32_e32 v11, v8, v9
	v_frexp_mant_f32_e32 v12, v10
	v_cvt_f64_f32_e32 v[8:9], v10
	v_frexp_exp_i32_f64_e32 v8, v[8:9]
	v_cmp_gt_f32_e32 vcc, s11, v12
	v_cmp_gt_f32_e64 s[52:53], s57, v19
	s_nop 0
	v_subbrev_co_u32_e32 v26, vcc, 0, v8, vcc
	v_sub_u32_e32 v8, 0, v26
	v_ldexp_f32 v9, v10, v8
	v_add_f32_e32 v10, -1.0, v9
	v_add_f32_e32 v12, 1.0, v9
	v_ldexp_f32 v8, v11, v8
	v_add_f32_e32 v11, 1.0, v10
	v_add_f32_e32 v13, -1.0, v12
	v_sub_f32_e32 v11, v9, v11
	v_sub_f32_e32 v9, v9, v13
	v_add_f32_e32 v11, v8, v11
	v_add_f32_e32 v8, v8, v9
	v_add_f32_e32 v27, v12, v8
	v_rcp_f32_e32 v29, v27
	v_sub_f32_e32 v9, v12, v27
	v_add_f32_e32 v28, v8, v9
	v_add_f32_e32 v9, v10, v11
	v_mul_f32_e32 v31, v9, v29
	v_sub_f32_e32 v8, v10, v9
	v_mul_f32_e32 v10, v27, v31
	v_fma_f32 v12, v31, v27, -v10
	v_fmac_f32_e32 v12, v31, v28
	v_add_f32_e32 v30, v11, v8
	v_add_f32_e32 v8, v10, v12
	v_sub_f32_e32 v11, v9, v8
	v_pk_add_f32 v[14:15], v[8:9], v[10:11] neg_lo:[0,1] neg_hi:[0,1]
	v_mov_b32_e32 v13, v8
	v_pk_add_f32 v[8:9], v[14:15], v[12:13] neg_lo:[0,1] neg_hi:[0,1]
	v_cmp_eq_f32_e32 vcc, s10, v19
	v_add_f32_e32 v9, v30, v9
	v_add_f32_e32 v8, v8, v9
	;; [unrolled: 1-line block ×3, first 2 shown]
	v_mul_f32_e32 v30, v29, v9
	v_mul_f32_e32 v10, v27, v30
	v_fma_f32 v12, v30, v27, -v10
	v_fmac_f32_e32 v12, v30, v28
	v_sub_f32_e32 v11, v11, v9
	v_add_f32_e32 v27, v8, v11
	v_add_f32_e32 v8, v10, v12
	v_sub_f32_e32 v11, v9, v8
	v_pk_add_f32 v[14:15], v[8:9], v[10:11] neg_lo:[0,1] neg_hi:[0,1]
	v_mov_b32_e32 v13, v8
	v_pk_add_f32 v[8:9], v[14:15], v[12:13] neg_lo:[0,1] neg_hi:[0,1]
	scratch_load_dwordx2 v[14:15], off, off offset:164 ; 8-byte Folded Reload
	v_add_f32_e32 v9, v27, v9
	v_add_f32_e32 v8, v8, v9
	;; [unrolled: 1-line block ×4, first 2 shown]
	v_sub_f32_e32 v10, v9, v31
	v_mul_f32_e32 v8, v29, v8
	v_sub_f32_e32 v10, v30, v10
	v_add_f32_e32 v10, v10, v8
	v_add_f32_e32 v12, v9, v10
	v_mul_f32_e32 v13, v12, v12
	v_mov_b32_e32 v8, 0x3ecc95a3
	v_fmamk_f32 v8, v13, 0x3e9b6dac, v8
	v_fmaak_f32 v29, v13, v8, 0x3f2aaada
	v_cvt_f32_i32_e32 v8, v26
	v_sub_f32_e32 v9, v12, v9
	v_sub_f32_e32 v9, v10, v9
	v_ldexp_f32 v11, v12, 1
	s_or_b64 vcc, s[52:53], vcc
	s_waitcnt vmcnt(0)
	v_mov_b32_e32 v28, v14
	v_ldexp_f32 v14, v9, 1
	v_mul_f32_e32 v9, v12, v13
	v_mov_b32_e32 v10, v28
	v_pk_mul_f32 v[12:13], v[8:9], v[28:29]
	scratch_store_dwordx2 off, v[10:11], off offset:164 ; 8-byte Folded Spill
	v_fma_f32 v10, v8, s56, -v12
	v_fmac_f32_e32 v10, 0xb102e308, v8
	v_pk_add_f32 v[8:9], v[12:13], v[10:11]
	s_nop 0
	v_sub_f32_e32 v11, v9, v11
	v_sub_f32_e32 v11, v13, v11
	v_add_f32_e32 v15, v14, v11
	v_mov_b32_e32 v14, v12
	v_pk_add_f32 v[12:13], v[8:9], v[12:13] neg_lo:[0,1] neg_hi:[0,1]
	v_pk_add_f32 v[26:27], v[8:9], v[14:15]
	v_mov_b32_e32 v11, v8
	v_mov_b32_e32 v13, v27
	v_pk_add_f32 v[28:29], v[10:11], v[12:13] neg_lo:[0,1] neg_hi:[0,1]
	v_pk_add_f32 v[10:11], v[10:11], v[12:13]
	v_mov_b32_e32 v14, v15
	v_mov_b32_e32 v12, v11
	v_pk_add_f32 v[30:31], v[12:13], v[8:9] neg_lo:[0,1] neg_hi:[0,1]
	v_mov_b32_e32 v10, v27
	v_mov_b32_e32 v13, v30
	v_pk_add_f32 v[32:33], v[26:27], v[12:13] neg_lo:[0,1] neg_hi:[0,1]
	v_mov_b32_e32 v26, v9
	v_mov_b32_e32 v27, v30
	;; [unrolled: 1-line block ×3, first 2 shown]
	v_pk_add_f32 v[10:11], v[10:11], v[26:27] neg_lo:[0,1] neg_hi:[0,1]
	v_mov_b32_e32 v15, v8
	v_pk_add_f32 v[8:9], v[14:15], v[10:11] neg_lo:[0,1] neg_hi:[0,1]
	v_mov_b32_e32 v32, v28
	v_pk_add_f32 v[10:11], v[32:33], v[8:9]
	s_nop 0
	v_mov_b32_e32 v14, v11
	v_pk_add_f32 v[14:15], v[10:11], v[14:15]
	s_nop 0
	v_pk_add_f32 v[12:13], v[12:13], v[14:15]
	v_mov_b32_e32 v9, v14
	v_mov_b32_e32 v11, v12
	v_pk_add_f32 v[26:27], v[10:11], v[28:29] neg_lo:[0,1] neg_hi:[0,1]
	s_nop 0
	v_sub_f32_e32 v10, v10, v26
	v_pk_add_f32 v[8:9], v[8:9], v[26:27] neg_lo:[0,1] neg_hi:[0,1]
	v_sub_f32_e32 v10, v28, v10
	v_add_f32_e32 v8, v8, v10
	v_add_f32_e32 v8, v8, v9
	;; [unrolled: 1-line block ×3, first 2 shown]
	v_cndmask_b32_e32 v27, v8, v19, vcc
.LBB112_107:                            ;   in Loop: Header=BB112_13 Depth=1
	s_or_b64 exec, exec, s[54:55]
	v_cvt_f32_f16_e32 v8, v7
	v_cvt_f32_f16_sdwa v9, v6 dst_sel:DWORD dst_unused:UNUSED_PAD src0_sel:WORD_1
	v_cvt_f32_f16_e32 v6, v6
	v_cvt_f32_f16_sdwa v11, v7 dst_sel:DWORD dst_unused:UNUSED_PAD src0_sel:WORD_1
	v_cvt_f32_f16_sdwa v7, v5 dst_sel:DWORD dst_unused:UNUSED_PAD src0_sel:WORD_1
	v_cvt_f32_f16_e32 v5, v5
	v_cvt_f32_f16_sdwa v10, v4 dst_sel:DWORD dst_unused:UNUSED_PAD src0_sel:WORD_1
	v_cvt_f32_f16_e32 v4, v4
	;; [unrolled: 2-line block ×6, first 2 shown]
	v_readlane_b32 s0, v95, 3
	s_waitcnt lgkmcnt(0)
	; wave barrier
	s_nop 0
	v_mul_f32_e32 v30, s0, v8
	v_mul_f32_e32 v29, s0, v9
	;; [unrolled: 1-line block ×16, first 2 shown]
	v_readlane_b32 s0, v95, 23
	v_readlane_b32 s1, v95, 24
	s_and_b64 vcc, exec, s[0:1]
	s_cbranch_vccz .LBB112_200
; %bb.108:                              ;   in Loop: Header=BB112_13 Depth=1
	v_mul_f32_e32 v82, v22, v0
	scratch_load_dword v0, off, off offset:264 ; 4-byte Folded Reload
	v_readlane_b32 s0, v95, 8
	v_readlane_b32 s1, v95, 9
	v_mul_f32_e32 v8, v65, v8
	v_mul_f32_e32 v6, v63, v6
	v_lshl_add_u64 v[44:45], s[0:1], 0, v[16:17]
	v_readlane_b32 s0, v95, 18
	v_readlane_b32 s1, v95, 19
	v_mul_f32_e32 v5, v61, v5
	s_mov_b32 s98, 0
	v_lshl_add_u64 v[46:47], s[0:1], 0, v[16:17]
	v_readlane_b32 s1, v95, 52
	s_cmp_lg_u32 s1, 0
	v_readlane_b32 s0, v95, 29
	s_cselect_b64 s[86:87], -1, 0
	s_cmp_eq_u32 s1, s0
	v_readlane_b32 s0, v95, 26
	v_readlane_b32 s1, v95, 27
	s_cselect_b64 s[90:91], -1, 0
	v_mul_f32_e32 v11, v27, v11
	scratch_store_dword off, v8, off offset:72 ; 4-byte Folded Spill
	v_mul_f32_e32 v8, v64, v9
	scratch_store_dword off, v6, off offset:80 ; 4-byte Folded Spill
	;; [unrolled: 2-line block ×3, first 2 shown]
	v_mul_f32_e32 v5, v60, v10
	v_mul_f32_e32 v72, v94, v4
	;; [unrolled: 1-line block ×9, first 2 shown]
	s_mov_b32 s92, s98
	s_mov_b32 s94, s98
	;; [unrolled: 1-line block ×3, first 2 shown]
	scratch_store_dword off, v11, off offset:68 ; 4-byte Folded Spill
	scratch_store_dword off, v8, off offset:76 ; 4-byte Folded Spill
	scratch_store_dword off, v6, off offset:84 ; 4-byte Folded Spill
	scratch_store_dword off, v5, off offset:92 ; 4-byte Folded Spill
	s_waitcnt vmcnt(7)
	v_cmp_gt_u32_e32 vcc, s82, v0
	scratch_load_dword v0, off, off offset:268 ; 4-byte Folded Reload
	s_or_b64 s[52:53], s[0:1], vcc
	s_waitcnt vmcnt(0)
	v_cmp_gt_u32_e32 vcc, s82, v0
	scratch_load_dword v0, off, off offset:272 ; 4-byte Folded Reload
	s_or_b64 s[54:55], s[0:1], vcc
	;; [unrolled: 4-line block ×15, first 2 shown]
	s_waitcnt vmcnt(0)
	v_cmp_gt_u32_e32 vcc, s82, v0
	s_or_b64 s[82:83], s[0:1], vcc
	v_readlane_b32 s0, v95, 22
	v_readlane_b32 s1, v95, 48
	s_branch .LBB112_110
.LBB112_109:                            ;   in Loop: Header=BB112_110 Depth=2
	s_or_b64 exec, exec, s[84:85]
	v_mul_f32_e32 v48, v83, v69
	v_fma_f32 v49, v83, v70, v8
	v_cndmask_b32_e64 v8, v49, v8, s[16:17]
	v_cndmask_b32_e64 v48, v48, v83, s[16:17]
	s_waitcnt lgkmcnt(0)
	v_fmac_f32_e32 v8, v58, v48
	v_fmac_f32_e32 v9, v8, v84
	;; [unrolled: 1-line block ×15, first 2 shown]
	v_readlane_b32 s4, v95, 38
	v_fmac_f32_e32 v57, v56, v68
	v_cvt_f32_f16_sdwa v49, v4 dst_sel:DWORD dst_unused:UNUSED_PAD src0_sel:WORD_1
	v_cvt_f32_f16_sdwa v59, v5 dst_sel:DWORD dst_unused:UNUSED_PAD src0_sel:WORD_1
	v_cvt_f32_f16_e32 v48, v4
	v_cvt_f32_f16_e32 v58, v5
	v_cvt_f32_f16_sdwa v5, v6 dst_sel:DWORD dst_unused:UNUSED_PAD src0_sel:WORD_1
	v_cvt_f32_f16_sdwa v67, v7 dst_sel:DWORD dst_unused:UNUSED_PAD src0_sel:WORD_1
	v_cvt_f32_f16_e32 v4, v6
	v_cvt_f32_f16_e32 v66, v7
	;; [unrolled: 4-line block ×4, first 2 shown]
	v_readlane_b32 s5, v95, 39
	v_readlane_b32 s6, v95, 40
	;; [unrolled: 1-line block ×7, first 2 shown]
	s_add_i32 s94, s94, s4
	v_readlane_b32 s4, v95, 10
	v_readlane_b32 s5, v95, 11
	;; [unrolled: 1-line block ×3, first 2 shown]
	s_add_i32 s1, s1, 8
	s_add_i32 s0, s0, -1
	s_add_i32 s96, s96, s97
	s_add_i32 s92, s92, s8
	;; [unrolled: 1-line block ×3, first 2 shown]
	v_pk_fma_f32 v[42:43], v[10:11], v[58:59], v[42:43]
	v_pk_fma_f32 v[40:41], v[8:9], v[48:49], v[40:41]
	;; [unrolled: 1-line block ×7, first 2 shown]
	s_cmp_eq_u32 s0, 0
	v_pk_fma_f32 v[28:29], v[50:51], v[0:1], v[28:29]
	v_readlane_b32 s6, v95, 12
	v_readlane_b32 s7, v95, 13
	;; [unrolled: 1-line block ×5, first 2 shown]
	s_cbranch_scc1 .LBB112_199
.LBB112_110:                            ;   Parent Loop BB112_13 Depth=1
                                        ; =>  This Inner Loop Header: Depth=2
	s_lshl_b64 s[84:85], s[98:99], 2
	v_readlane_b32 s4, v95, 6
	s_add_u32 s84, s4, s84
	v_readlane_b32 s4, v95, 7
	s_addc_u32 s85, s4, s85
	global_load_dword v50, v17, s[84:85]
	s_mov_b32 s93, s99
	v_lshl_add_u64 v[0:1], s[92:93], 1, v[44:45]
	v_mov_b32_e32 v2, 0
	v_mov_b32_e32 v3, 0
	s_and_saveexec_b64 s[84:85], s[18:19]
	s_cbranch_execnz .LBB112_146
; %bb.111:                              ;   in Loop: Header=BB112_110 Depth=2
	s_or_b64 exec, exec, s[84:85]
	s_and_saveexec_b64 s[84:85], s[20:21]
	s_cbranch_execnz .LBB112_147
.LBB112_112:                            ;   in Loop: Header=BB112_110 Depth=2
	s_or_b64 exec, exec, s[84:85]
	v_mov_b32_e32 v4, 0
	s_and_saveexec_b64 s[84:85], s[22:23]
	s_cbranch_execnz .LBB112_148
.LBB112_113:                            ;   in Loop: Header=BB112_110 Depth=2
	s_or_b64 exec, exec, s[84:85]
	s_and_saveexec_b64 s[84:85], s[24:25]
	s_cbranch_execnz .LBB112_149
.LBB112_114:                            ;   in Loop: Header=BB112_110 Depth=2
	s_or_b64 exec, exec, s[84:85]
	v_mov_b32_e32 v5, 0
	s_and_saveexec_b64 s[84:85], s[26:27]
	s_cbranch_execnz .LBB112_150
.LBB112_115:                            ;   in Loop: Header=BB112_110 Depth=2
	s_or_b64 exec, exec, s[84:85]
	s_and_saveexec_b64 s[84:85], s[28:29]
	s_cbranch_execnz .LBB112_151
.LBB112_116:                            ;   in Loop: Header=BB112_110 Depth=2
	s_or_b64 exec, exec, s[84:85]
	v_mov_b32_e32 v6, 0
	s_and_saveexec_b64 s[84:85], s[30:31]
	s_cbranch_execnz .LBB112_152
.LBB112_117:                            ;   in Loop: Header=BB112_110 Depth=2
	s_or_b64 exec, exec, s[84:85]
	s_and_saveexec_b64 s[84:85], s[34:35]
	s_cbranch_execnz .LBB112_153
.LBB112_118:                            ;   in Loop: Header=BB112_110 Depth=2
	s_or_b64 exec, exec, s[84:85]
	v_mov_b32_e32 v7, 0
	s_and_saveexec_b64 s[84:85], s[36:37]
	s_cbranch_execnz .LBB112_154
.LBB112_119:                            ;   in Loop: Header=BB112_110 Depth=2
	s_or_b64 exec, exec, s[84:85]
	s_and_saveexec_b64 s[84:85], s[38:39]
	s_cbranch_execnz .LBB112_155
.LBB112_120:                            ;   in Loop: Header=BB112_110 Depth=2
	s_or_b64 exec, exec, s[84:85]
	v_mov_b32_e32 v8, 0
	s_and_saveexec_b64 s[84:85], s[40:41]
	s_cbranch_execnz .LBB112_156
.LBB112_121:                            ;   in Loop: Header=BB112_110 Depth=2
	s_or_b64 exec, exec, s[84:85]
	s_and_saveexec_b64 s[84:85], s[42:43]
	s_cbranch_execnz .LBB112_157
.LBB112_122:                            ;   in Loop: Header=BB112_110 Depth=2
	s_or_b64 exec, exec, s[84:85]
	v_mov_b32_e32 v9, 0
	s_and_saveexec_b64 s[84:85], s[44:45]
	s_cbranch_execnz .LBB112_158
.LBB112_123:                            ;   in Loop: Header=BB112_110 Depth=2
	s_or_b64 exec, exec, s[84:85]
	s_and_saveexec_b64 s[84:85], s[46:47]
	s_cbranch_execnz .LBB112_159
.LBB112_124:                            ;   in Loop: Header=BB112_110 Depth=2
	s_or_b64 exec, exec, s[84:85]
	v_mov_b32_e32 v10, 0
	s_and_saveexec_b64 s[84:85], s[48:49]
	s_cbranch_execnz .LBB112_160
.LBB112_125:                            ;   in Loop: Header=BB112_110 Depth=2
	s_or_b64 exec, exec, s[84:85]
	s_and_saveexec_b64 s[84:85], s[50:51]
	s_cbranch_execz .LBB112_127
.LBB112_126:                            ;   in Loop: Header=BB112_110 Depth=2
	global_load_ushort v0, v[0:1], off offset:1920
	s_waitcnt vmcnt(0)
	v_lshl_or_b32 v10, v0, 16, v10
.LBB112_127:                            ;   in Loop: Header=BB112_110 Depth=2
	s_or_b64 exec, exec, s[84:85]
	scratch_load_dword v0, off, off         ; 4-byte Folded Reload
	s_mov_b32 s95, s99
	s_waitcnt vmcnt(0)
	ds_write_b16 v0, v3
	scratch_load_dword v0, off, off offset:8 ; 4-byte Folded Reload
	v_mov_b32_e32 v3, 0
	s_waitcnt vmcnt(0)
	ds_write_b16 v0, v2 offset:128
	scratch_load_dword v0, off, off offset:12 ; 4-byte Folded Reload
	v_mov_b32_e32 v2, 0
	s_waitcnt vmcnt(0)
	ds_write_b16 v0, v4 offset:256
	scratch_load_dword v0, off, off offset:16 ; 4-byte Folded Reload
	s_waitcnt vmcnt(0)
	ds_write_b16_d16_hi v0, v4 offset:384
	scratch_load_dword v0, off, off offset:20 ; 4-byte Folded Reload
	s_waitcnt vmcnt(0)
	ds_write_b16 v0, v5 offset:512
	scratch_load_dword v0, off, off offset:24 ; 4-byte Folded Reload
	s_waitcnt vmcnt(0)
	ds_write_b16_d16_hi v0, v5 offset:640
	scratch_load_dword v0, off, off offset:28 ; 4-byte Folded Reload
	;; [unrolled: 6-line block ×6, first 2 shown]
	s_waitcnt vmcnt(0)
	ds_write_b16 v0, v10 offset:1792
	scratch_load_dword v0, off, off offset:64 ; 4-byte Folded Reload
	s_waitcnt vmcnt(0)
	ds_write_b16_d16_hi v0, v10 offset:1920
	; wave barrier
	scratch_load_dword v0, off, off offset:4 ; 4-byte Folded Reload
	s_waitcnt vmcnt(0)
	ds_read_b128 v[12:15], v0
	ds_read_b128 v[8:11], v0 offset:16
	v_lshl_add_u64 v[0:1], s[94:95], 1, v[46:47]
	s_and_saveexec_b64 s[84:85], s[18:19]
	s_cbranch_execnz .LBB112_161
; %bb.128:                              ;   in Loop: Header=BB112_110 Depth=2
	s_or_b64 exec, exec, s[84:85]
	s_and_saveexec_b64 s[84:85], s[20:21]
	s_cbranch_execnz .LBB112_162
.LBB112_129:                            ;   in Loop: Header=BB112_110 Depth=2
	s_or_b64 exec, exec, s[84:85]
	v_mov_b32_e32 v4, 0
	s_and_saveexec_b64 s[84:85], s[22:23]
	s_cbranch_execnz .LBB112_163
.LBB112_130:                            ;   in Loop: Header=BB112_110 Depth=2
	s_or_b64 exec, exec, s[84:85]
	s_and_saveexec_b64 s[84:85], s[24:25]
	s_cbranch_execnz .LBB112_164
.LBB112_131:                            ;   in Loop: Header=BB112_110 Depth=2
	s_or_b64 exec, exec, s[84:85]
	v_mov_b32_e32 v5, 0
	s_and_saveexec_b64 s[84:85], s[26:27]
	s_cbranch_execnz .LBB112_165
.LBB112_132:                            ;   in Loop: Header=BB112_110 Depth=2
	s_or_b64 exec, exec, s[84:85]
	s_and_saveexec_b64 s[84:85], s[28:29]
	s_cbranch_execnz .LBB112_166
.LBB112_133:                            ;   in Loop: Header=BB112_110 Depth=2
	s_or_b64 exec, exec, s[84:85]
	v_mov_b32_e32 v6, 0
	s_and_saveexec_b64 s[84:85], s[30:31]
	s_cbranch_execnz .LBB112_167
.LBB112_134:                            ;   in Loop: Header=BB112_110 Depth=2
	s_or_b64 exec, exec, s[84:85]
	s_and_saveexec_b64 s[84:85], s[34:35]
	s_cbranch_execnz .LBB112_168
.LBB112_135:                            ;   in Loop: Header=BB112_110 Depth=2
	s_or_b64 exec, exec, s[84:85]
	v_mov_b32_e32 v7, 0
	s_and_saveexec_b64 s[84:85], s[36:37]
	s_cbranch_execnz .LBB112_169
.LBB112_136:                            ;   in Loop: Header=BB112_110 Depth=2
	s_or_b64 exec, exec, s[84:85]
	s_and_saveexec_b64 s[84:85], s[38:39]
	s_cbranch_execnz .LBB112_170
.LBB112_137:                            ;   in Loop: Header=BB112_110 Depth=2
	s_or_b64 exec, exec, s[84:85]
	v_mov_b32_e32 v16, 0
	s_and_saveexec_b64 s[84:85], s[40:41]
	s_cbranch_execnz .LBB112_171
.LBB112_138:                            ;   in Loop: Header=BB112_110 Depth=2
	s_or_b64 exec, exec, s[84:85]
	s_and_saveexec_b64 s[84:85], s[42:43]
	s_cbranch_execnz .LBB112_172
.LBB112_139:                            ;   in Loop: Header=BB112_110 Depth=2
	s_or_b64 exec, exec, s[84:85]
	v_mov_b32_e32 v26, 0
	s_and_saveexec_b64 s[84:85], s[44:45]
	s_cbranch_execnz .LBB112_173
.LBB112_140:                            ;   in Loop: Header=BB112_110 Depth=2
	s_or_b64 exec, exec, s[84:85]
	s_and_saveexec_b64 s[84:85], s[46:47]
	s_cbranch_execnz .LBB112_174
.LBB112_141:                            ;   in Loop: Header=BB112_110 Depth=2
	s_or_b64 exec, exec, s[84:85]
	v_mov_b32_e32 v48, 0
	s_and_saveexec_b64 s[84:85], s[48:49]
	s_cbranch_execnz .LBB112_175
.LBB112_142:                            ;   in Loop: Header=BB112_110 Depth=2
	s_or_b64 exec, exec, s[84:85]
	s_and_saveexec_b64 s[84:85], s[50:51]
	s_cbranch_execz .LBB112_144
.LBB112_143:                            ;   in Loop: Header=BB112_110 Depth=2
	global_load_ushort v0, v[0:1], off offset:1920
	s_waitcnt vmcnt(0)
	v_lshl_or_b32 v48, v0, 16, v48
.LBB112_144:                            ;   in Loop: Header=BB112_110 Depth=2
	s_or_b64 exec, exec, s[84:85]
	scratch_load_dword v0, off, off         ; 4-byte Folded Reload
	s_andn2_b64 vcc, exec, s[86:87]
	s_waitcnt vmcnt(0)
	ds_write_b16 v0, v3 offset:2112
	scratch_load_dword v0, off, off offset:96 ; 4-byte Folded Reload
	s_waitcnt vmcnt(0)
	ds_write_b16 v0, v2 offset:128
	scratch_load_dword v0, off, off offset:100 ; 4-byte Folded Reload
	;; [unrolled: 3-line block ×3, first 2 shown]
	s_waitcnt vmcnt(0)
	ds_write_b16_d16_hi v0, v4 offset:384
	scratch_load_dword v0, off, off offset:108 ; 4-byte Folded Reload
	s_waitcnt vmcnt(0)
	ds_write_b16 v0, v5 offset:512
	scratch_load_dword v0, off, off offset:112 ; 4-byte Folded Reload
	s_waitcnt vmcnt(0)
	ds_write_b16_d16_hi v0, v5 offset:640
	scratch_load_dword v0, off, off offset:116 ; 4-byte Folded Reload
	s_waitcnt vmcnt(0)
	ds_write_b16 v0, v6 offset:768
	scratch_load_dword v0, off, off offset:120 ; 4-byte Folded Reload
	;; [unrolled: 6-line block ×6, first 2 shown]
	s_waitcnt vmcnt(0)
	ds_write_b16_d16_hi v0, v48 offset:1920
	; wave barrier
	scratch_load_dword v0, off, off offset:4 ; 4-byte Folded Reload
	s_waitcnt vmcnt(0)
	ds_read_b128 v[4:7], v0 offset:2112
	scratch_load_dword v0, off, off offset:156 ; 4-byte Folded Reload
	s_waitcnt vmcnt(0)
	ds_read_b128 v[0:3], v0 offset:16
	s_cbranch_vccnz .LBB112_176
; %bb.145:                              ;   in Loop: Header=BB112_110 Depth=2
	v_mov_b32_e32 v16, s1
	ds_read_b64 v[48:49], v16
	s_cbranch_execz .LBB112_177
	s_branch .LBB112_180
.LBB112_146:                            ;   in Loop: Header=BB112_110 Depth=2
	global_load_ushort v3, v[0:1], off
	s_or_b64 exec, exec, s[84:85]
	s_and_saveexec_b64 s[84:85], s[20:21]
	s_cbranch_execz .LBB112_112
.LBB112_147:                            ;   in Loop: Header=BB112_110 Depth=2
	global_load_ushort v2, v[0:1], off offset:128
	s_or_b64 exec, exec, s[84:85]
	v_mov_b32_e32 v4, 0
	s_and_saveexec_b64 s[84:85], s[22:23]
	s_cbranch_execz .LBB112_113
.LBB112_148:                            ;   in Loop: Header=BB112_110 Depth=2
	global_load_ushort v4, v[0:1], off offset:256
	s_or_b64 exec, exec, s[84:85]
	s_and_saveexec_b64 s[84:85], s[24:25]
	s_cbranch_execz .LBB112_114
.LBB112_149:                            ;   in Loop: Header=BB112_110 Depth=2
	global_load_ushort v5, v[0:1], off offset:384
	s_waitcnt vmcnt(0)
	v_lshl_or_b32 v4, v5, 16, v4
	s_or_b64 exec, exec, s[84:85]
	v_mov_b32_e32 v5, 0
	s_and_saveexec_b64 s[84:85], s[26:27]
	s_cbranch_execz .LBB112_115
.LBB112_150:                            ;   in Loop: Header=BB112_110 Depth=2
	global_load_ushort v5, v[0:1], off offset:512
	s_or_b64 exec, exec, s[84:85]
	s_and_saveexec_b64 s[84:85], s[28:29]
	s_cbranch_execz .LBB112_116
.LBB112_151:                            ;   in Loop: Header=BB112_110 Depth=2
	global_load_ushort v6, v[0:1], off offset:640
	s_waitcnt vmcnt(0)
	v_lshl_or_b32 v5, v6, 16, v5
	s_or_b64 exec, exec, s[84:85]
	v_mov_b32_e32 v6, 0
	s_and_saveexec_b64 s[84:85], s[30:31]
	s_cbranch_execz .LBB112_117
.LBB112_152:                            ;   in Loop: Header=BB112_110 Depth=2
	global_load_ushort v6, v[0:1], off offset:768
	s_or_b64 exec, exec, s[84:85]
	s_and_saveexec_b64 s[84:85], s[34:35]
	s_cbranch_execz .LBB112_118
.LBB112_153:                            ;   in Loop: Header=BB112_110 Depth=2
	global_load_ushort v7, v[0:1], off offset:896
	s_waitcnt vmcnt(0)
	v_lshl_or_b32 v6, v7, 16, v6
	s_or_b64 exec, exec, s[84:85]
	v_mov_b32_e32 v7, 0
	s_and_saveexec_b64 s[84:85], s[36:37]
	s_cbranch_execz .LBB112_119
.LBB112_154:                            ;   in Loop: Header=BB112_110 Depth=2
	global_load_ushort v7, v[0:1], off offset:1024
	s_or_b64 exec, exec, s[84:85]
	s_and_saveexec_b64 s[84:85], s[38:39]
	s_cbranch_execz .LBB112_120
.LBB112_155:                            ;   in Loop: Header=BB112_110 Depth=2
	global_load_ushort v8, v[0:1], off offset:1152
	s_waitcnt vmcnt(0)
	v_lshl_or_b32 v7, v8, 16, v7
	s_or_b64 exec, exec, s[84:85]
	v_mov_b32_e32 v8, 0
	s_and_saveexec_b64 s[84:85], s[40:41]
	s_cbranch_execz .LBB112_121
.LBB112_156:                            ;   in Loop: Header=BB112_110 Depth=2
	global_load_ushort v8, v[0:1], off offset:1280
	s_or_b64 exec, exec, s[84:85]
	s_and_saveexec_b64 s[84:85], s[42:43]
	s_cbranch_execz .LBB112_122
.LBB112_157:                            ;   in Loop: Header=BB112_110 Depth=2
	global_load_ushort v9, v[0:1], off offset:1408
	s_waitcnt vmcnt(0)
	v_lshl_or_b32 v8, v9, 16, v8
	s_or_b64 exec, exec, s[84:85]
	v_mov_b32_e32 v9, 0
	s_and_saveexec_b64 s[84:85], s[44:45]
	s_cbranch_execz .LBB112_123
.LBB112_158:                            ;   in Loop: Header=BB112_110 Depth=2
	global_load_ushort v9, v[0:1], off offset:1536
	s_or_b64 exec, exec, s[84:85]
	s_and_saveexec_b64 s[84:85], s[46:47]
	s_cbranch_execz .LBB112_124
.LBB112_159:                            ;   in Loop: Header=BB112_110 Depth=2
	global_load_ushort v10, v[0:1], off offset:1664
	s_waitcnt vmcnt(0)
	v_lshl_or_b32 v9, v10, 16, v9
	s_or_b64 exec, exec, s[84:85]
	v_mov_b32_e32 v10, 0
	s_and_saveexec_b64 s[84:85], s[48:49]
	s_cbranch_execz .LBB112_125
.LBB112_160:                            ;   in Loop: Header=BB112_110 Depth=2
	global_load_ushort v10, v[0:1], off offset:1792
	s_or_b64 exec, exec, s[84:85]
	s_and_saveexec_b64 s[84:85], s[50:51]
	s_cbranch_execnz .LBB112_126
	s_branch .LBB112_127
.LBB112_161:                            ;   in Loop: Header=BB112_110 Depth=2
	global_load_ushort v3, v[0:1], off
	s_or_b64 exec, exec, s[84:85]
	s_and_saveexec_b64 s[84:85], s[20:21]
	s_cbranch_execz .LBB112_129
.LBB112_162:                            ;   in Loop: Header=BB112_110 Depth=2
	global_load_ushort v2, v[0:1], off offset:128
	s_or_b64 exec, exec, s[84:85]
	v_mov_b32_e32 v4, 0
	s_and_saveexec_b64 s[84:85], s[22:23]
	s_cbranch_execz .LBB112_130
.LBB112_163:                            ;   in Loop: Header=BB112_110 Depth=2
	global_load_ushort v4, v[0:1], off offset:256
	s_or_b64 exec, exec, s[84:85]
	s_and_saveexec_b64 s[84:85], s[24:25]
	s_cbranch_execz .LBB112_131
.LBB112_164:                            ;   in Loop: Header=BB112_110 Depth=2
	global_load_ushort v5, v[0:1], off offset:384
	s_waitcnt vmcnt(0)
	v_lshl_or_b32 v4, v5, 16, v4
	s_or_b64 exec, exec, s[84:85]
	v_mov_b32_e32 v5, 0
	s_and_saveexec_b64 s[84:85], s[26:27]
	s_cbranch_execz .LBB112_132
.LBB112_165:                            ;   in Loop: Header=BB112_110 Depth=2
	global_load_ushort v5, v[0:1], off offset:512
	s_or_b64 exec, exec, s[84:85]
	s_and_saveexec_b64 s[84:85], s[28:29]
	s_cbranch_execz .LBB112_133
.LBB112_166:                            ;   in Loop: Header=BB112_110 Depth=2
	global_load_ushort v6, v[0:1], off offset:640
	s_waitcnt vmcnt(0)
	v_lshl_or_b32 v5, v6, 16, v5
	s_or_b64 exec, exec, s[84:85]
	v_mov_b32_e32 v6, 0
	s_and_saveexec_b64 s[84:85], s[30:31]
	s_cbranch_execz .LBB112_134
.LBB112_167:                            ;   in Loop: Header=BB112_110 Depth=2
	global_load_ushort v6, v[0:1], off offset:768
	s_or_b64 exec, exec, s[84:85]
	s_and_saveexec_b64 s[84:85], s[34:35]
	s_cbranch_execz .LBB112_135
.LBB112_168:                            ;   in Loop: Header=BB112_110 Depth=2
	global_load_ushort v7, v[0:1], off offset:896
	s_waitcnt vmcnt(0)
	v_lshl_or_b32 v6, v7, 16, v6
	s_or_b64 exec, exec, s[84:85]
	v_mov_b32_e32 v7, 0
	s_and_saveexec_b64 s[84:85], s[36:37]
	s_cbranch_execz .LBB112_136
.LBB112_169:                            ;   in Loop: Header=BB112_110 Depth=2
	global_load_ushort v7, v[0:1], off offset:1024
	s_or_b64 exec, exec, s[84:85]
	s_and_saveexec_b64 s[84:85], s[38:39]
	s_cbranch_execz .LBB112_137
.LBB112_170:                            ;   in Loop: Header=BB112_110 Depth=2
	global_load_ushort v16, v[0:1], off offset:1152
	s_waitcnt vmcnt(0)
	v_lshl_or_b32 v7, v16, 16, v7
	s_or_b64 exec, exec, s[84:85]
	v_mov_b32_e32 v16, 0
	s_and_saveexec_b64 s[84:85], s[40:41]
	s_cbranch_execz .LBB112_138
.LBB112_171:                            ;   in Loop: Header=BB112_110 Depth=2
	global_load_ushort v16, v[0:1], off offset:1280
	s_or_b64 exec, exec, s[84:85]
	s_and_saveexec_b64 s[84:85], s[42:43]
	s_cbranch_execz .LBB112_139
.LBB112_172:                            ;   in Loop: Header=BB112_110 Depth=2
	global_load_ushort v26, v[0:1], off offset:1408
	s_waitcnt vmcnt(0)
	v_lshl_or_b32 v16, v26, 16, v16
	s_or_b64 exec, exec, s[84:85]
	v_mov_b32_e32 v26, 0
	s_and_saveexec_b64 s[84:85], s[44:45]
	s_cbranch_execz .LBB112_140
.LBB112_173:                            ;   in Loop: Header=BB112_110 Depth=2
	global_load_ushort v26, v[0:1], off offset:1536
	s_or_b64 exec, exec, s[84:85]
	s_and_saveexec_b64 s[84:85], s[46:47]
	s_cbranch_execz .LBB112_141
.LBB112_174:                            ;   in Loop: Header=BB112_110 Depth=2
	global_load_ushort v48, v[0:1], off offset:1664
	s_waitcnt vmcnt(0)
	v_lshl_or_b32 v26, v48, 16, v26
	s_or_b64 exec, exec, s[84:85]
	v_mov_b32_e32 v48, 0
	s_and_saveexec_b64 s[84:85], s[48:49]
	s_cbranch_execz .LBB112_142
.LBB112_175:                            ;   in Loop: Header=BB112_110 Depth=2
	global_load_ushort v48, v[0:1], off offset:1792
	s_or_b64 exec, exec, s[84:85]
	s_and_saveexec_b64 s[84:85], s[50:51]
	s_cbranch_execnz .LBB112_143
	s_branch .LBB112_144
.LBB112_176:                            ;   in Loop: Header=BB112_110 Depth=2
                                        ; implicit-def: $vgpr49
.LBB112_177:                            ;   in Loop: Header=BB112_110 Depth=2
	v_readlane_b32 s84, v95, 0
	v_readlane_b32 s85, v95, 1
	s_andn2_b64 vcc, exec, s[84:85]
	s_waitcnt lgkmcnt(0)
	v_mov_b32_e32 v49, 0
	s_cbranch_vccnz .LBB112_179
; %bb.178:                              ;   in Loop: Header=BB112_110 Depth=2
	s_mov_b32 s97, s99
	s_lshl_b64 s[84:85], s[96:97], 2
	v_readlane_b32 s4, v95, 20
	s_add_u32 s84, s4, s84
	v_readlane_b32 s4, v95, 21
	s_addc_u32 s85, s4, s85
	global_load_dword v49, v17, s[84:85]
	v_readlane_b32 s97, v95, 49
.LBB112_179:                            ;   in Loop: Header=BB112_110 Depth=2
	v_mov_b32_e32 v48, 1.0
.LBB112_180:                            ;   in Loop: Header=BB112_110 Depth=2
	v_mul_f32_e32 v56, 0x3fb8aa3b, v50
	s_waitcnt lgkmcnt(14)
	v_cvt_f32_f16_e32 v53, v8
	v_cvt_f32_f16_sdwa v54, v8 dst_sel:DWORD dst_unused:UNUSED_PAD src0_sel:WORD_1
	v_mul_f32_e32 v8, v56, v22
	v_cmp_gt_f32_e32 vcc, s33, v8
	v_cvt_f32_f16_e32 v59, v10
	v_cvt_f32_f16_sdwa v67, v10 dst_sel:DWORD dst_unused:UNUSED_PAD src0_sel:WORD_1
	v_cndmask_b32_e32 v8, 0, v20, vcc
	v_mul_f32_e32 v10, v56, v23
	v_cvt_f32_f16_e32 v55, v9
	v_cvt_f32_f16_sdwa v58, v9 dst_sel:DWORD dst_unused:UNUSED_PAD src0_sel:WORD_1
	v_fmac_f32_e32 v8, v56, v22
	v_cndmask_b32_e32 v9, 1.0, v21, vcc
	v_cmp_gt_f32_e32 vcc, s33, v10
	v_exp_f32_e32 v8, v8
	v_cvt_f32_f16_e32 v16, v12
	v_cndmask_b32_e32 v10, 0, v20, vcc
	v_fmac_f32_e32 v10, v56, v23
	v_cvt_f32_f16_sdwa v12, v12 dst_sel:DWORD dst_unused:UNUSED_PAD src0_sel:WORD_1
	v_exp_f32_e32 v10, v10
	v_cvt_f32_f16_e32 v68, v11
	v_cvt_f32_f16_sdwa v57, v11 dst_sel:DWORD dst_unused:UNUSED_PAD src0_sel:WORD_1
	v_mul_f32_e32 v9, v8, v9
	v_mul_f32_e32 v11, v56, v24
	v_cndmask_b32_e64 v83, 1.0, v9, s[52:53]
	v_cndmask_b32_e32 v9, 1.0, v21, vcc
	v_cmp_gt_f32_e32 vcc, s33, v11
	v_mul_f32_e32 v10, v10, v9
	v_mul_f32_e32 v9, v81, v12
	v_cndmask_b32_e32 v11, 0, v20, vcc
	v_mul_f32_e32 v12, v56, v25
	v_fmac_f32_e32 v11, v56, v24
	v_cndmask_b32_e64 v84, 1.0, v10, s[54:55]
	v_cndmask_b32_e32 v10, 1.0, v21, vcc
	v_cmp_gt_f32_e32 vcc, s33, v12
	v_exp_f32_e32 v11, v11
	v_cvt_f32_f16_e32 v26, v13
	v_cndmask_b32_e32 v12, 0, v20, vcc
	v_fmac_f32_e32 v12, v56, v25
	v_cvt_f32_f16_sdwa v13, v13 dst_sel:DWORD dst_unused:UNUSED_PAD src0_sel:WORD_1
	v_exp_f32_e32 v12, v12
	v_mul_f32_e32 v11, v11, v10
	v_cndmask_b32_e64 v85, 1.0, v11, s[56:57]
	v_cndmask_b32_e32 v11, 1.0, v21, vcc
	v_mul_f32_e32 v12, v12, v11
	v_mul_f32_e32 v11, v79, v13
	;; [unrolled: 1-line block ×3, first 2 shown]
	v_cmp_gt_f32_e32 vcc, s33, v13
	v_mul_f32_e32 v8, v82, v16
	v_mul_f32_e32 v16, v56, v74
	v_cndmask_b32_e32 v13, 0, v20, vcc
	v_fmac_f32_e32 v13, v56, v18
	v_cndmask_b32_e64 v86, 1.0, v12, s[58:59]
	v_cndmask_b32_e32 v12, 1.0, v21, vcc
	v_cmp_gt_f32_e32 vcc, s33, v16
	v_exp_f32_e32 v13, v13
	v_cvt_f32_f16_e32 v51, v14
	v_cndmask_b32_e32 v16, 0, v20, vcc
	v_fmac_f32_e32 v16, v56, v74
	v_cvt_f32_f16_sdwa v14, v14 dst_sel:DWORD dst_unused:UNUSED_PAD src0_sel:WORD_1
	v_exp_f32_e32 v16, v16
	v_mul_f32_e32 v13, v13, v12
	v_cndmask_b32_e64 v87, 1.0, v13, s[60:61]
	v_cndmask_b32_e32 v13, 1.0, v21, vcc
	v_mul_f32_e32 v16, v16, v13
	v_mul_f32_e32 v13, v77, v14
	;; [unrolled: 1-line block ×3, first 2 shown]
	v_cmp_gt_f32_e32 vcc, s33, v14
	v_mul_f32_e32 v10, v80, v26
	v_mul_f32_e32 v26, v56, v93
	v_cndmask_b32_e32 v14, 0, v20, vcc
	v_fmac_f32_e32 v14, v56, v92
	v_cndmask_b32_e64 v88, 1.0, v16, s[62:63]
	v_cndmask_b32_e32 v16, 1.0, v21, vcc
	v_cmp_gt_f32_e32 vcc, s33, v26
	v_exp_f32_e32 v14, v14
	v_cvt_f32_f16_e32 v52, v15
	v_cndmask_b32_e32 v26, 0, v20, vcc
	v_fmac_f32_e32 v26, v56, v93
	v_exp_f32_e32 v26, v26
	v_mul_f32_e32 v16, v14, v16
	v_cndmask_b32_e64 v89, 1.0, v16, s[64:65]
	v_cndmask_b32_e32 v16, 1.0, v21, vcc
	v_mul_f32_e32 v16, v26, v16
	v_mul_f32_e32 v26, v56, v94
	v_cmp_gt_f32_e32 vcc, s33, v26
	v_cndmask_b32_e64 v90, 1.0, v16, s[66:67]
	v_mul_f32_e32 v14, v76, v52
	v_cndmask_b32_e32 v26, 0, v20, vcc
	v_fmac_f32_e32 v26, v56, v94
	v_exp_f32_e32 v26, v26
	v_cndmask_b32_e32 v16, 1.0, v21, vcc
	v_mul_f32_e32 v50, v56, v60
	v_cmp_gt_f32_e32 vcc, s33, v50
	v_mul_f32_e32 v16, v26, v16
	v_mul_f32_e32 v26, v72, v53
	v_cndmask_b32_e64 v52, 0, v26, s[68:69]
	scratch_load_dword v26, off, off offset:92 ; 4-byte Folded Reload
	v_cndmask_b32_e32 v50, 0, v20, vcc
	v_fmac_f32_e32 v50, v56, v60
	v_exp_f32_e32 v50, v50
	v_cndmask_b32_e64 v73, 1.0, v16, s[68:69]
	v_cndmask_b32_e32 v16, 1.0, v21, vcc
	v_mul_f32_e32 v12, v78, v51
	v_mul_f32_e32 v16, v50, v16
	;; [unrolled: 1-line block ×3, first 2 shown]
	v_cmp_gt_f32_e32 vcc, s33, v50
	v_cndmask_b32_e64 v75, 1.0, v16, s[70:71]
	v_mul_f32_e32 v51, v56, v63
	v_cndmask_b32_e32 v50, 0, v20, vcc
	v_fmac_f32_e32 v50, v56, v61
	v_exp_f32_e32 v50, v50
	v_cndmask_b32_e32 v16, 1.0, v21, vcc
	v_cndmask_b32_e64 v8, 0, v8, s[52:53]
	v_cndmask_b32_e64 v9, 0, v9, s[54:55]
	v_mul_f32_e32 v16, v50, v16
	v_mul_f32_e32 v50, v56, v62
	v_cmp_gt_f32_e32 vcc, s33, v50
	v_cvt_f32_f16_sdwa v15, v15 dst_sel:DWORD dst_unused:UNUSED_PAD src0_sel:WORD_1
	v_cndmask_b32_e64 v10, 0, v10, s[56:57]
	v_cndmask_b32_e32 v50, 0, v20, vcc
	v_fmac_f32_e32 v50, v56, v62
	v_exp_f32_e32 v50, v50
	v_cndmask_b32_e64 v11, 0, v11, s[58:59]
	v_cndmask_b32_e64 v12, 0, v12, s[60:61]
	;; [unrolled: 1-line block ×4, first 2 shown]
	v_mul_f32_e32 v15, v19, v15
	v_cndmask_b32_e64 v15, 0, v15, s[66:67]
	v_readlane_b32 s4, v95, 30
	v_readlane_b32 s5, v95, 31
	s_waitcnt vmcnt(0)
	v_mul_f32_e32 v26, v26, v54
	v_cndmask_b32_e64 v53, 0, v26, s[70:71]
	scratch_load_dword v26, off, off offset:88 ; 4-byte Folded Reload
	s_waitcnt vmcnt(0)
	v_mul_f32_e32 v26, v26, v55
	v_cndmask_b32_e64 v54, 0, v26, s[72:73]
	v_cndmask_b32_e64 v26, 1.0, v16, s[72:73]
	v_cndmask_b32_e32 v16, 1.0, v21, vcc
	v_mul_f32_e32 v16, v50, v16
	scratch_load_dword v50, off, off offset:84 ; 4-byte Folded Reload
	v_cmp_gt_f32_e32 vcc, s33, v51
	v_cndmask_b32_e64 v91, 1.0, v16, s[74:75]
	s_waitcnt vmcnt(0)
	v_mul_f32_e32 v50, v50, v58
	v_cndmask_b32_e64 v55, 0, v50, s[74:75]
	scratch_load_dword v50, off, off offset:80 ; 4-byte Folded Reload
	v_cndmask_b32_e32 v51, 0, v20, vcc
	v_fmac_f32_e32 v51, v56, v63
	v_exp_f32_e32 v51, v51
	v_cndmask_b32_e32 v16, 1.0, v21, vcc
	v_mul_f32_e32 v58, v56, v65
	v_mul_f32_e32 v16, v51, v16
	;; [unrolled: 1-line block ×3, first 2 shown]
	v_cmp_gt_f32_e32 vcc, s33, v51
	v_cndmask_b32_e64 v66, 1.0, v16, s[76:77]
	s_nop 0
	v_cndmask_b32_e32 v51, 0, v20, vcc
	v_fmac_f32_e32 v51, v56, v64
	v_cndmask_b32_e32 v16, 1.0, v21, vcc
	v_cmp_gt_f32_e32 vcc, s33, v58
	v_exp_f32_e32 v51, v51
	s_nop 0
	v_cndmask_b32_e32 v58, 0, v20, vcc
	v_fmac_f32_e32 v58, v56, v65
	v_exp_f32_e32 v58, v58
	v_mul_f32_e32 v16, v51, v16
	scratch_load_dword v51, off, off offset:76 ; 4-byte Folded Reload
	v_cndmask_b32_e64 v16, 1.0, v16, s[78:79]
	s_waitcnt vmcnt(1)
	v_mul_f32_e32 v50, v50, v59
	v_cndmask_b32_e32 v59, 1.0, v21, vcc
	v_mul_f32_e32 v58, v58, v59
	scratch_load_dword v59, off, off offset:72 ; 4-byte Folded Reload
	v_cndmask_b32_e64 v50, 0, v50, s[76:77]
	s_waitcnt vmcnt(1)
	v_mul_f32_e32 v51, v51, v67
	v_mul_f32_e32 v67, v56, v27
	v_cmp_gt_f32_e32 vcc, s33, v67
	v_cndmask_b32_e64 v51, 0, v51, s[78:79]
	s_waitcnt vmcnt(0)
	v_mul_f32_e32 v59, v59, v68
	v_cndmask_b32_e32 v67, 0, v20, vcc
	v_fmac_f32_e32 v67, v56, v27
	v_cndmask_b32_e64 v56, 0, v59, s[80:81]
	scratch_load_dword v59, off, off offset:68 ; 4-byte Folded Reload
	v_exp_f32_e32 v68, v67
	v_cndmask_b32_e64 v67, 1.0, v58, s[80:81]
	v_cndmask_b32_e32 v58, 1.0, v21, vcc
	v_mul_f32_e32 v58, v68, v58
	v_cndmask_b32_e64 v68, 1.0, v58, s[82:83]
	v_mul_f32_e32 v58, v84, v83
	v_mul_f32_e32 v58, v58, v85
	;; [unrolled: 1-line block ×15, first 2 shown]
	s_waitcnt vmcnt(0)
	v_mul_f32_e32 v57, v59, v57
	v_fma_f32 v59, v84, v8, v9
	v_fma_f32 v59, v59, v85, v10
	;; [unrolled: 1-line block ×13, first 2 shown]
	v_cndmask_b32_e64 v57, 0, v57, s[82:83]
	v_fma_f32 v59, v59, v67, v56
	v_fma_f32 v71, v59, v68, v57
	v_mov_b32_dpp v70, v58 row_shr:1 row_mask:0xf bank_mask:0xf
	s_nop 0
	v_mov_b32_dpp v69, v71 row_shr:1 row_mask:0xf bank_mask:0xf
	s_and_saveexec_b64 s[84:85], s[4:5]
; %bb.181:                              ;   in Loop: Header=BB112_110 Depth=2
	v_mul_f32_e32 v70, v58, v70
	v_fmac_f32_e32 v71, v58, v69
	v_mov_b32_e32 v58, v70
; %bb.182:                              ;   in Loop: Header=BB112_110 Depth=2
	s_or_b64 exec, exec, s[84:85]
	v_readlane_b32 s4, v95, 32
	v_mov_b32_dpp v69, v58 row_shr:2 row_mask:0xf bank_mask:0xf
	v_mov_b32_dpp v70, v71 row_shr:2 row_mask:0xf bank_mask:0xf
	v_readlane_b32 s5, v95, 33
	s_and_saveexec_b64 s[84:85], s[4:5]
; %bb.183:                              ;   in Loop: Header=BB112_110 Depth=2
	v_fmac_f32_e32 v71, v58, v70
	v_mul_f32_e32 v58, v58, v69
; %bb.184:                              ;   in Loop: Header=BB112_110 Depth=2
	s_or_b64 exec, exec, s[84:85]
	s_nop 0
	v_mov_b32_dpp v69, v58 row_shr:4 row_mask:0xf bank_mask:0xf
	v_mov_b32_dpp v70, v71 row_shr:4 row_mask:0xf bank_mask:0xf
	s_and_saveexec_b64 s[84:85], s[2:3]
; %bb.185:                              ;   in Loop: Header=BB112_110 Depth=2
	v_fmac_f32_e32 v71, v58, v70
	v_mul_f32_e32 v58, v58, v69
; %bb.186:                              ;   in Loop: Header=BB112_110 Depth=2
	s_or_b64 exec, exec, s[84:85]
	v_readlane_b32 s4, v95, 34
	v_mov_b32_dpp v69, v58 row_shr:8 row_mask:0xf bank_mask:0xf
	v_mov_b32_dpp v70, v71 row_shr:8 row_mask:0xf bank_mask:0xf
	v_readlane_b32 s5, v95, 35
	s_and_saveexec_b64 s[84:85], s[4:5]
; %bb.187:                              ;   in Loop: Header=BB112_110 Depth=2
	v_fmac_f32_e32 v71, v58, v70
	v_mul_f32_e32 v58, v58, v69
; %bb.188:                              ;   in Loop: Header=BB112_110 Depth=2
	s_or_b64 exec, exec, s[84:85]
	v_readlane_b32 s4, v95, 36
	v_mov_b32_dpp v69, v58 row_bcast:15 row_mask:0xf bank_mask:0xf
	v_mov_b32_dpp v70, v71 row_bcast:15 row_mask:0xf bank_mask:0xf
	v_readlane_b32 s5, v95, 37
	s_and_saveexec_b64 s[84:85], s[4:5]
; %bb.189:                              ;   in Loop: Header=BB112_110 Depth=2
	v_fmac_f32_e32 v71, v58, v70
	v_mul_f32_e32 v58, v58, v69
; %bb.190:                              ;   in Loop: Header=BB112_110 Depth=2
	s_or_b64 exec, exec, s[84:85]
	s_nop 0
	v_mov_b32_dpp v69, v58 row_bcast:31 row_mask:0xf bank_mask:0xf
	v_mov_b32_dpp v70, v71 row_bcast:31 row_mask:0xf bank_mask:0xf
	v_mov_b32_e32 v59, v71
	v_mul_f32_e32 v69, v58, v69
	v_fmac_f32_e32 v59, v58, v70
	v_readlane_b32 s4, v95, 46
	v_cndmask_b32_e64 v58, v58, v69, s[12:13]
	v_cndmask_b32_e64 v59, v71, v59, s[12:13]
	v_readlane_b32 s5, v95, 47
	s_and_saveexec_b64 s[84:85], s[4:5]
	s_cbranch_execz .LBB112_192
; %bb.191:                              ;   in Loop: Header=BB112_110 Depth=2
	ds_write_b64 v17, v[58:59] offset:4224
.LBB112_192:                            ;   in Loop: Header=BB112_110 Depth=2
	s_or_b64 exec, exec, s[84:85]
	scratch_load_dword v70, off, off offset:160 ; 4-byte Folded Reload
	s_waitcnt lgkmcnt(0)
	; wave barrier
	s_waitcnt vmcnt(0) lgkmcnt(0)
	ds_bpermute_b32 v69, v70, v58
	ds_bpermute_b32 v70, v70, v59
	v_mov_b32_e32 v59, v49
	s_and_saveexec_b64 s[84:85], s[14:15]
	s_cbranch_execz .LBB112_196
; %bb.193:                              ;   in Loop: Header=BB112_110 Depth=2
	ds_read_b64 v[58:59], v17 offset:4224
	s_and_saveexec_b64 s[88:89], s[16:17]
	s_cbranch_execz .LBB112_195
; %bb.194:                              ;   in Loop: Header=BB112_110 Depth=2
	ds_write_b64 v17, v[48:49] offset:4224
.LBB112_195:                            ;   in Loop: Header=BB112_110 Depth=2
	s_or_b64 exec, exec, s[88:89]
	s_waitcnt lgkmcnt(0)
	v_fmac_f32_e32 v59, v49, v58
	v_mul_f32_e32 v48, v48, v58
	v_mov_b32_e32 v49, v59
.LBB112_196:                            ;   in Loop: Header=BB112_110 Depth=2
	s_or_b64 exec, exec, s[84:85]
	s_waitcnt lgkmcnt(0)
	; wave barrier
	s_waitcnt lgkmcnt(0)
	ds_read_b32 v58, v17 offset:4228
	s_and_saveexec_b64 s[84:85], s[16:17]
	s_cbranch_execz .LBB112_109
; %bb.197:                              ;   in Loop: Header=BB112_110 Depth=2
	v_mov_b32_e32 v71, s1
	s_andn2_b64 vcc, exec, s[90:91]
	ds_write_b64 v71, v[48:49]
	s_cbranch_vccnz .LBB112_109
; %bb.198:                              ;   in Loop: Header=BB112_110 Depth=2
	s_mov_b32 s97, s99
	s_lshl_b64 s[88:89], s[96:97], 2
	v_readlane_b32 s4, v95, 20
	s_add_u32 s88, s4, s88
	v_readlane_b32 s4, v95, 21
	v_readlane_b32 s97, v95, 49
	s_addc_u32 s89, s4, s89
	global_store_dword v17, v59, s[88:89]
	s_branch .LBB112_109
.LBB112_199:                            ;   in Loop: Header=BB112_13 Depth=1
	v_readlane_b32 s6, v95, 50
	v_readlane_b32 s7, v95, 51
	s_mov_b32 s4, 0x41a00000
	s_mov_b32 s5, 0x3fb8aa3b
	;; [unrolled: 1-line block ×8, first 2 shown]
.LBB112_200:                            ;   in Loop: Header=BB112_13 Depth=1
	v_cvt_f16_f32_e32 v0, v40
	v_cvt_f16_f32_e32 v4, v41
	s_waitcnt lgkmcnt(0)
	; wave barrier
	v_cvt_f16_f32_e32 v1, v42
	v_pack_b32_f16 v0, v0, v4
	scratch_load_dword v4, off, off offset:4 ; 4-byte Folded Reload
	v_cvt_f16_f32_e32 v5, v43
	v_cvt_f16_f32_e32 v2, v36
	;; [unrolled: 1-line block ×13, first 2 shown]
	v_pack_b32_f16 v3, v3, v7
	v_pack_b32_f16 v2, v2, v6
	;; [unrolled: 1-line block ×3, first 2 shown]
	v_readlane_b32 s0, v95, 53
	v_readlane_b32 s1, v95, 54
	s_mov_b32 s1, s99
	s_mov_b64 s[58:59], s[0:1]
	s_waitcnt vmcnt(0)
	ds_write_b128 v4, v[0:3]
	v_pack_b32_f16 v3, v14, v15
	v_pack_b32_f16 v2, v12, v13
	;; [unrolled: 1-line block ×4, first 2 shown]
	ds_write_b128 v4, v[0:3] offset:16
	; wave barrier
	scratch_load_dword v0, off, off offset:8 ; 4-byte Folded Reload
	s_waitcnt vmcnt(0)
	ds_read_u16 v16, v0 offset:128
	scratch_load_dword v0, off, off offset:12 ; 4-byte Folded Reload
	s_waitcnt vmcnt(0)
	ds_read_u16 v15, v0 offset:256
	;; [unrolled: 3-line block ×15, first 2 shown]
	scratch_load_dwordx2 v[0:1], off, off offset:240 ; 8-byte Folded Reload
	s_waitcnt vmcnt(0)
	v_lshl_add_u64 v[0:1], s[0:1], 1, v[0:1]
	s_and_saveexec_b64 s[52:53], s[18:19]
	s_cbranch_execnz .LBB112_269
; %bb.201:                              ;   in Loop: Header=BB112_13 Depth=1
	s_or_b64 exec, exec, s[52:53]
	s_and_saveexec_b64 s[52:53], s[20:21]
	s_cbranch_execnz .LBB112_270
.LBB112_202:                            ;   in Loop: Header=BB112_13 Depth=1
	s_or_b64 exec, exec, s[52:53]
	s_and_saveexec_b64 s[52:53], s[22:23]
	s_cbranch_execnz .LBB112_271
.LBB112_203:                            ;   in Loop: Header=BB112_13 Depth=1
	s_or_b64 exec, exec, s[52:53]
	s_and_saveexec_b64 s[52:53], s[24:25]
	s_cbranch_execnz .LBB112_272
.LBB112_204:                            ;   in Loop: Header=BB112_13 Depth=1
	s_or_b64 exec, exec, s[52:53]
	s_and_saveexec_b64 s[52:53], s[26:27]
	s_cbranch_execnz .LBB112_273
.LBB112_205:                            ;   in Loop: Header=BB112_13 Depth=1
	s_or_b64 exec, exec, s[52:53]
	s_and_saveexec_b64 s[52:53], s[28:29]
	s_cbranch_execnz .LBB112_274
.LBB112_206:                            ;   in Loop: Header=BB112_13 Depth=1
	s_or_b64 exec, exec, s[52:53]
	s_and_saveexec_b64 s[52:53], s[30:31]
	s_cbranch_execnz .LBB112_275
.LBB112_207:                            ;   in Loop: Header=BB112_13 Depth=1
	s_or_b64 exec, exec, s[52:53]
	s_and_saveexec_b64 s[52:53], s[34:35]
	s_cbranch_execnz .LBB112_276
.LBB112_208:                            ;   in Loop: Header=BB112_13 Depth=1
	s_or_b64 exec, exec, s[52:53]
	s_and_saveexec_b64 s[52:53], s[36:37]
	s_cbranch_execnz .LBB112_277
.LBB112_209:                            ;   in Loop: Header=BB112_13 Depth=1
	s_or_b64 exec, exec, s[52:53]
	s_and_saveexec_b64 s[52:53], s[38:39]
	s_cbranch_execnz .LBB112_278
.LBB112_210:                            ;   in Loop: Header=BB112_13 Depth=1
	s_or_b64 exec, exec, s[52:53]
	s_and_saveexec_b64 s[52:53], s[40:41]
	s_cbranch_execnz .LBB112_279
.LBB112_211:                            ;   in Loop: Header=BB112_13 Depth=1
	s_or_b64 exec, exec, s[52:53]
	s_and_saveexec_b64 s[52:53], s[42:43]
	s_cbranch_execnz .LBB112_280
.LBB112_212:                            ;   in Loop: Header=BB112_13 Depth=1
	s_or_b64 exec, exec, s[52:53]
	s_and_saveexec_b64 s[52:53], s[44:45]
	s_cbranch_execnz .LBB112_281
.LBB112_213:                            ;   in Loop: Header=BB112_13 Depth=1
	s_or_b64 exec, exec, s[52:53]
	s_and_saveexec_b64 s[52:53], s[46:47]
	s_cbranch_execnz .LBB112_282
.LBB112_214:                            ;   in Loop: Header=BB112_13 Depth=1
	s_or_b64 exec, exec, s[52:53]
	s_and_saveexec_b64 s[52:53], s[48:49]
	s_cbranch_execnz .LBB112_283
.LBB112_215:                            ;   in Loop: Header=BB112_13 Depth=1
	s_or_b64 exec, exec, s[52:53]
	s_and_saveexec_b64 s[52:53], s[50:51]
	s_cbranch_execz .LBB112_217
.LBB112_216:                            ;   in Loop: Header=BB112_13 Depth=1
	s_waitcnt lgkmcnt(0)
	global_store_short v[0:1], v2, off offset:1920
.LBB112_217:                            ;   in Loop: Header=BB112_13 Depth=1
	s_or_b64 exec, exec, s[52:53]
	s_waitcnt lgkmcnt(0)
	; wave barrier
	s_waitcnt lgkmcnt(0)
	scratch_load_dwordx2 v[0:1], off, off offset:248 ; 8-byte Folded Reload
	v_mov_b32_e32 v2, 0
	v_mov_b32_e32 v3, 0
	s_waitcnt vmcnt(0)
	v_lshl_add_u64 v[0:1], s[58:59], 1, v[0:1]
	s_and_saveexec_b64 s[52:53], s[18:19]
	s_cbranch_execz .LBB112_219
; %bb.218:                              ;   in Loop: Header=BB112_13 Depth=1
	global_load_ushort v3, v[0:1], off
.LBB112_219:                            ;   in Loop: Header=BB112_13 Depth=1
	s_or_b64 exec, exec, s[52:53]
	s_and_saveexec_b64 s[52:53], s[20:21]
	s_cbranch_execz .LBB112_221
; %bb.220:                              ;   in Loop: Header=BB112_13 Depth=1
	global_load_ushort v2, v[0:1], off offset:128
.LBB112_221:                            ;   in Loop: Header=BB112_13 Depth=1
	s_or_b64 exec, exec, s[52:53]
	v_mov_b32_e32 v4, 0
	v_mov_b32_e32 v5, 0
	s_and_saveexec_b64 s[52:53], s[22:23]
	s_cbranch_execz .LBB112_223
; %bb.222:                              ;   in Loop: Header=BB112_13 Depth=1
	global_load_ushort v5, v[0:1], off offset:256
.LBB112_223:                            ;   in Loop: Header=BB112_13 Depth=1
	s_or_b64 exec, exec, s[52:53]
	s_and_saveexec_b64 s[52:53], s[24:25]
	s_cbranch_execz .LBB112_225
; %bb.224:                              ;   in Loop: Header=BB112_13 Depth=1
	global_load_ushort v4, v[0:1], off offset:384
.LBB112_225:                            ;   in Loop: Header=BB112_13 Depth=1
	s_or_b64 exec, exec, s[52:53]
	v_mov_b32_e32 v6, 0
	v_mov_b32_e32 v7, 0
	s_and_saveexec_b64 s[52:53], s[26:27]
	s_cbranch_execz .LBB112_227
; %bb.226:                              ;   in Loop: Header=BB112_13 Depth=1
	global_load_ushort v7, v[0:1], off offset:512
.LBB112_227:                            ;   in Loop: Header=BB112_13 Depth=1
	;; [unrolled: 14-line block ×7, first 2 shown]
	s_or_b64 exec, exec, s[52:53]
	s_and_saveexec_b64 s[52:53], s[50:51]
	s_cbranch_execz .LBB112_249
; %bb.248:                              ;   in Loop: Header=BB112_13 Depth=1
	global_load_ushort v16, v[0:1], off offset:1920
.LBB112_249:                            ;   in Loop: Header=BB112_13 Depth=1
	s_or_b64 exec, exec, s[52:53]
	scratch_load_dword v0, off, off         ; 4-byte Folded Reload
	scratch_load_dword v44, off, off offset:8 ; 4-byte Folded Reload
	scratch_load_dword v45, off, off offset:12 ; 4-byte Folded Reload
	;; [unrolled: 1-line block ×15, first 2 shown]
	s_mov_b32 s52, 0xbfb8aa3b
	s_mov_b32 s53, 0xb2a5705f
	;; [unrolled: 1-line block ×4, first 2 shown]
	v_mov_b32_e32 v26, 0x7f800000
	s_waitcnt vmcnt(15)
	ds_write_b16 v0, v3
	s_waitcnt vmcnt(14)
	ds_write_b16 v44, v2 offset:128
	s_waitcnt vmcnt(13)
	ds_write_b16 v45, v5 offset:256
	;; [unrolled: 2-line block ×15, first 2 shown]
	; wave barrier
	scratch_load_dword v59, off, off offset:4 ; 4-byte Folded Reload
	s_waitcnt vmcnt(0)
	ds_read_b128 v[4:7], v59
	ds_read_b128 v[0:3], v59 offset:16
	s_waitcnt lgkmcnt(0)
	; wave barrier
	s_waitcnt lgkmcnt(0)
	v_cvt_f32_f16_e32 v12, v4
	v_cvt_f32_f16_sdwa v13, v4 dst_sel:DWORD dst_unused:UNUSED_PAD src0_sel:WORD_1
	v_cvt_f32_f16_e32 v10, v5
	v_cvt_f32_f16_sdwa v11, v5 dst_sel:DWORD dst_unused:UNUSED_PAD src0_sel:WORD_1
	v_mul_f32_e32 v8, 0xbfb8aa3b, v12
	v_rndne_f32_e32 v9, v8
	v_sub_f32_e32 v14, v8, v9
	v_fma_mix_f32 v8, v4, s52, -v8 op_sel_hi:[1,0,0]
	v_cvt_i32_f32_e32 v9, v9
	v_fma_mix_f32 v8, v4, s53, v8 op_sel_hi:[1,0,0]
	v_cmp_nlt_f32_e32 vcc, s54, v12
	v_add_f32_e32 v8, v14, v8
	v_exp_f32_e32 v8, v8
	s_nop 0
	v_ldexp_f32 v8, v8, v9
	v_mul_f32_e32 v9, 0xbfb8aa3b, v13
	v_rndne_f32_e32 v14, v9
	v_sub_f32_e32 v15, v9, v14
	v_fma_mix_f32 v9, v4, s52, -v9 op_sel:[1,0,0] op_sel_hi:[1,0,0]
	v_cndmask_b32_e32 v8, 0, v8, vcc
	v_fma_mix_f32 v4, v4, s53, v9 op_sel:[1,0,0] op_sel_hi:[1,0,0]
	v_cvt_i32_f32_e32 v9, v14
	v_add_f32_e32 v4, v15, v4
	v_exp_f32_e32 v4, v4
	v_cmp_ngt_f32_e32 vcc, s55, v12
	v_ldexp_f32 v4, v4, v9
	s_nop 0
	v_cndmask_b32_e32 v8, v26, v8, vcc
	v_cmp_nlt_f32_e32 vcc, s54, v13
	s_nop 1
	v_cndmask_b32_e32 v4, 0, v4, vcc
	v_cmp_ngt_f32_e32 vcc, s55, v13
	s_nop 1
	v_cndmask_b32_e32 v9, v26, v4, vcc
	v_mul_f32_e32 v4, 0xbfb8aa3b, v10
	v_rndne_f32_e32 v14, v4
	v_sub_f32_e32 v15, v4, v14
	v_fma_mix_f32 v4, v5, s52, -v4 op_sel_hi:[1,0,0]
	v_cvt_i32_f32_e32 v14, v14
	v_fma_mix_f32 v4, v5, s53, v4 op_sel_hi:[1,0,0]
	v_pk_add_f32 v[8:9], v[8:9], 1.0 op_sel_hi:[1,0]
	v_add_f32_e32 v4, v15, v4
	v_exp_f32_e32 v4, v4
	v_cmp_nlt_f32_e32 vcc, s54, v10
	v_ldexp_f32 v4, v4, v14
	v_mul_f32_e32 v14, 0xbfb8aa3b, v11
	v_rndne_f32_e32 v15, v14
	v_sub_f32_e32 v16, v14, v15
	v_fma_mix_f32 v14, v5, s52, -v14 op_sel:[1,0,0] op_sel_hi:[1,0,0]
	v_cndmask_b32_e32 v4, 0, v4, vcc
	v_fma_mix_f32 v5, v5, s53, v14 op_sel:[1,0,0] op_sel_hi:[1,0,0]
	v_cvt_i32_f32_e32 v14, v15
	v_add_f32_e32 v5, v16, v5
	v_exp_f32_e32 v5, v5
	v_cmp_ngt_f32_e32 vcc, s55, v10
	v_ldexp_f32 v5, v5, v14
	v_div_scale_f32 v14, s[0:1], v9, v9, v13
	v_rcp_f32_e32 v15, v14
	v_cndmask_b32_e32 v4, v26, v4, vcc
	v_cmp_nlt_f32_e32 vcc, s54, v11
	v_fma_f32 v16, -v14, v15, 1.0
	s_nop 0
	v_cndmask_b32_e32 v5, 0, v5, vcc
	v_cmp_ngt_f32_e32 vcc, s55, v11
	v_fmac_f32_e32 v15, v16, v15
	s_nop 0
	v_cndmask_b32_e32 v5, v26, v5, vcc
	v_div_scale_f32 v16, vcc, v13, v9, v13
	v_mul_f32_e32 v18, v16, v15
	v_fma_f32 v19, -v14, v18, v16
	v_fmac_f32_e32 v18, v19, v15
	v_fma_f32 v14, -v14, v18, v16
	v_div_fmas_f32 v14, v14, v15, v18
	v_div_fixup_f32 v9, v14, v9, v13
	v_div_scale_f32 v13, s[0:1], v8, v8, v12
	v_rcp_f32_e32 v14, v13
	v_pk_add_f32 v[4:5], v[4:5], 1.0 op_sel_hi:[1,0]
	v_fma_f32 v15, -v13, v14, 1.0
	v_fmac_f32_e32 v14, v15, v14
	v_div_scale_f32 v15, vcc, v12, v8, v12
	v_mul_f32_e32 v16, v15, v14
	v_fma_f32 v18, -v13, v16, v15
	v_fmac_f32_e32 v16, v18, v14
	v_fma_f32 v13, -v13, v16, v15
	v_div_fmas_f32 v13, v13, v14, v16
	v_div_fixup_f32 v8, v13, v8, v12
	v_div_scale_f32 v12, s[0:1], v5, v5, v11
	v_rcp_f32_e32 v13, v12
	v_pk_mul_f32 v[8:9], v[40:41], v[8:9]
	v_cvt_f32_f16_sdwa v18, v6 dst_sel:DWORD dst_unused:UNUSED_PAD src0_sel:WORD_1
	v_fma_f32 v14, -v12, v13, 1.0
	v_fmac_f32_e32 v13, v14, v13
	v_div_scale_f32 v14, vcc, v11, v5, v11
	v_mul_f32_e32 v15, v14, v13
	v_fma_f32 v16, -v12, v15, v14
	v_fmac_f32_e32 v15, v16, v13
	v_fma_f32 v12, -v12, v15, v14
	v_div_fmas_f32 v12, v12, v13, v15
	v_div_fixup_f32 v5, v12, v5, v11
	v_div_scale_f32 v11, s[0:1], v4, v4, v10
	v_rcp_f32_e32 v12, v11
	v_cvt_f32_f16_e32 v16, v6
	v_fma_f32 v13, -v11, v12, 1.0
	v_fmac_f32_e32 v12, v13, v12
	v_div_scale_f32 v13, vcc, v10, v4, v10
	v_mul_f32_e32 v14, v13, v12
	v_fma_f32 v15, -v11, v14, v13
	v_fmac_f32_e32 v14, v15, v12
	v_fma_f32 v11, -v11, v14, v13
	v_div_fmas_f32 v11, v11, v12, v14
	v_div_fixup_f32 v4, v11, v4, v10
	v_pk_mul_f32 v[4:5], v[42:43], v[4:5]
	v_cvt_f16_f32_e32 v11, v8
	v_cvt_f16_f32_e32 v13, v4
	v_mul_f32_e32 v4, 0xbfb8aa3b, v16
	v_cvt_f16_f32_e32 v12, v5
	v_rndne_f32_e32 v5, v4
	v_sub_f32_e32 v8, v4, v5
	v_fma_mix_f32 v4, v6, s52, -v4 op_sel_hi:[1,0,0]
	v_cvt_i32_f32_e32 v5, v5
	v_fma_mix_f32 v4, v6, s53, v4 op_sel_hi:[1,0,0]
	v_cmp_nlt_f32_e32 vcc, s54, v16
	v_add_f32_e32 v4, v8, v4
	v_exp_f32_e32 v4, v4
	v_cvt_f16_f32_e32 v10, v9
	v_cvt_f32_f16_e32 v14, v7
	v_cvt_f32_f16_sdwa v15, v7 dst_sel:DWORD dst_unused:UNUSED_PAD src0_sel:WORD_1
	v_ldexp_f32 v4, v4, v5
	v_cndmask_b32_e32 v4, 0, v4, vcc
	v_cmp_ngt_f32_e32 vcc, s55, v16
	s_nop 1
	v_cndmask_b32_e32 v8, v26, v4, vcc
	v_mul_f32_e32 v4, 0xbfb8aa3b, v18
	v_rndne_f32_e32 v5, v4
	v_sub_f32_e32 v9, v4, v5
	v_fma_mix_f32 v4, v6, s52, -v4 op_sel:[1,0,0] op_sel_hi:[1,0,0]
	v_cvt_i32_f32_e32 v5, v5
	v_fma_mix_f32 v4, v6, s53, v4 op_sel:[1,0,0] op_sel_hi:[1,0,0]
	v_cmp_nlt_f32_e32 vcc, s54, v18
	v_add_f32_e32 v4, v9, v4
	v_exp_f32_e32 v4, v4
	s_nop 0
	v_ldexp_f32 v4, v4, v5
	v_cndmask_b32_e32 v4, 0, v4, vcc
	v_cmp_ngt_f32_e32 vcc, s55, v18
	s_nop 1
	v_cndmask_b32_e32 v9, v26, v4, vcc
	v_mul_f32_e32 v4, 0xbfb8aa3b, v14
	v_rndne_f32_e32 v5, v4
	v_sub_f32_e32 v6, v4, v5
	v_fma_mix_f32 v4, v7, s52, -v4 op_sel_hi:[1,0,0]
	v_cvt_i32_f32_e32 v5, v5
	v_fma_mix_f32 v4, v7, s53, v4 op_sel_hi:[1,0,0]
	v_cmp_nlt_f32_e32 vcc, s54, v14
	v_add_f32_e32 v4, v6, v4
	v_exp_f32_e32 v4, v4
	s_nop 0
	v_ldexp_f32 v4, v4, v5
	v_mul_f32_e32 v5, 0xbfb8aa3b, v15
	v_rndne_f32_e32 v6, v5
	v_sub_f32_e32 v19, v5, v6
	v_fma_mix_f32 v5, v7, s52, -v5 op_sel:[1,0,0] op_sel_hi:[1,0,0]
	v_cvt_i32_f32_e32 v6, v6
	v_fma_mix_f32 v5, v7, s53, v5 op_sel:[1,0,0] op_sel_hi:[1,0,0]
	v_cndmask_b32_e32 v4, 0, v4, vcc
	v_add_f32_e32 v5, v19, v5
	v_exp_f32_e32 v5, v5
	v_cmp_ngt_f32_e32 vcc, s55, v14
	v_ldexp_f32 v5, v5, v6
	v_pk_add_f32 v[6:7], v[8:9], 1.0 op_sel_hi:[1,0]
	v_cndmask_b32_e32 v4, v26, v4, vcc
	v_div_scale_f32 v8, s[0:1], v7, v7, v18
	v_rcp_f32_e32 v9, v8
	v_cmp_nlt_f32_e32 vcc, s54, v15
	v_fma_f32 v19, -v8, v9, 1.0
	s_nop 0
	v_cndmask_b32_e32 v5, 0, v5, vcc
	v_cmp_ngt_f32_e32 vcc, s55, v15
	v_fmac_f32_e32 v9, v19, v9
	s_nop 0
	v_cndmask_b32_e32 v5, v26, v5, vcc
	v_div_scale_f32 v19, vcc, v18, v7, v18
	v_mul_f32_e32 v22, v19, v9
	v_fma_f32 v23, -v8, v22, v19
	v_fmac_f32_e32 v22, v23, v9
	v_fma_f32 v8, -v8, v22, v19
	v_div_fmas_f32 v8, v8, v9, v22
	v_div_fixup_f32 v7, v8, v7, v18
	v_div_scale_f32 v8, s[0:1], v6, v6, v16
	v_rcp_f32_e32 v9, v8
	v_pk_add_f32 v[4:5], v[4:5], 1.0 op_sel_hi:[1,0]
	v_fma_f32 v18, -v8, v9, 1.0
	v_fmac_f32_e32 v9, v18, v9
	v_div_scale_f32 v18, vcc, v16, v6, v16
	v_mul_f32_e32 v19, v18, v9
	v_fma_f32 v22, -v8, v19, v18
	v_fmac_f32_e32 v19, v22, v9
	v_fma_f32 v8, -v8, v19, v18
	v_div_fmas_f32 v8, v8, v9, v19
	v_div_fixup_f32 v6, v8, v6, v16
	v_div_scale_f32 v8, s[0:1], v5, v5, v15
	v_rcp_f32_e32 v9, v8
	s_nop 0
	v_fma_f32 v16, -v8, v9, 1.0
	v_fmac_f32_e32 v9, v16, v9
	v_div_scale_f32 v16, vcc, v15, v5, v15
	v_mul_f32_e32 v18, v16, v9
	v_fma_f32 v19, -v8, v18, v16
	v_fmac_f32_e32 v18, v19, v9
	v_fma_f32 v8, -v8, v18, v16
	v_div_fmas_f32 v8, v8, v9, v18
	v_div_fixup_f32 v5, v8, v5, v15
	v_div_scale_f32 v8, s[0:1], v4, v4, v14
	v_rcp_f32_e32 v9, v8
	s_nop 0
	v_fma_f32 v15, -v8, v9, 1.0
	v_fmac_f32_e32 v9, v15, v9
	v_div_scale_f32 v15, vcc, v14, v4, v14
	v_mul_f32_e32 v16, v15, v9
	v_fma_f32 v18, -v8, v16, v15
	v_fmac_f32_e32 v16, v18, v9
	v_fma_f32 v8, -v8, v16, v15
	v_div_fmas_f32 v8, v8, v9, v16
	v_cvt_f32_f16_e32 v16, v0
	v_div_fixup_f32 v4, v8, v4, v14
	v_pk_mul_f32 v[4:5], v[38:39], v[4:5]
	v_pk_mul_f32 v[8:9], v[36:37], v[6:7]
	v_cvt_f32_f16_sdwa v18, v0 dst_sel:DWORD dst_unused:UNUSED_PAD src0_sel:WORD_1
	v_cvt_f16_f32_e32 v6, v9
	v_cvt_f16_f32_e32 v9, v4
	v_mul_f32_e32 v4, 0xbfb8aa3b, v16
	v_cvt_f16_f32_e32 v7, v8
	v_cvt_f16_f32_e32 v8, v5
	v_rndne_f32_e32 v5, v4
	v_sub_f32_e32 v19, v4, v5
	v_fma_mix_f32 v4, v0, s52, -v4 op_sel_hi:[1,0,0]
	v_cvt_i32_f32_e32 v5, v5
	v_fma_mix_f32 v4, v0, s53, v4 op_sel_hi:[1,0,0]
	v_cvt_f32_f16_e32 v14, v1
	v_add_f32_e32 v4, v19, v4
	v_exp_f32_e32 v4, v4
	v_cmp_nlt_f32_e32 vcc, s54, v16
	v_cvt_f32_f16_sdwa v15, v1 dst_sel:DWORD dst_unused:UNUSED_PAD src0_sel:WORD_1
	v_ldexp_f32 v4, v4, v5
	v_mul_f32_e32 v5, 0xbfb8aa3b, v18
	v_rndne_f32_e32 v19, v5
	v_sub_f32_e32 v22, v5, v19
	v_fma_mix_f32 v5, v0, s52, -v5 op_sel:[1,0,0] op_sel_hi:[1,0,0]
	v_cndmask_b32_e32 v4, 0, v4, vcc
	v_fma_mix_f32 v0, v0, s53, v5 op_sel:[1,0,0] op_sel_hi:[1,0,0]
	v_cvt_i32_f32_e32 v5, v19
	v_add_f32_e32 v0, v22, v0
	v_exp_f32_e32 v0, v0
	v_cmp_ngt_f32_e32 vcc, s55, v16
	v_ldexp_f32 v0, v0, v5
	s_nop 0
	v_cndmask_b32_e32 v4, v26, v4, vcc
	v_cmp_nlt_f32_e32 vcc, s54, v18
	s_nop 1
	v_cndmask_b32_e32 v0, 0, v0, vcc
	v_cmp_ngt_f32_e32 vcc, s55, v18
	s_nop 1
	v_cndmask_b32_e32 v5, v26, v0, vcc
	v_mul_f32_e32 v0, 0xbfb8aa3b, v14
	v_rndne_f32_e32 v19, v0
	v_sub_f32_e32 v22, v0, v19
	v_fma_mix_f32 v0, v1, s52, -v0 op_sel_hi:[1,0,0]
	v_cvt_i32_f32_e32 v19, v19
	v_fma_mix_f32 v0, v1, s53, v0 op_sel_hi:[1,0,0]
	v_pk_add_f32 v[4:5], v[4:5], 1.0 op_sel_hi:[1,0]
	v_add_f32_e32 v0, v22, v0
	v_exp_f32_e32 v0, v0
	v_cmp_nlt_f32_e32 vcc, s54, v14
	v_ldexp_f32 v0, v0, v19
	v_mul_f32_e32 v19, 0xbfb8aa3b, v15
	v_rndne_f32_e32 v22, v19
	v_sub_f32_e32 v23, v19, v22
	v_fma_mix_f32 v19, v1, s52, -v19 op_sel:[1,0,0] op_sel_hi:[1,0,0]
	v_cndmask_b32_e32 v0, 0, v0, vcc
	v_fma_mix_f32 v1, v1, s53, v19 op_sel:[1,0,0] op_sel_hi:[1,0,0]
	v_cvt_i32_f32_e32 v19, v22
	v_add_f32_e32 v1, v23, v1
	v_exp_f32_e32 v1, v1
	v_cmp_ngt_f32_e32 vcc, s55, v14
	v_ldexp_f32 v1, v1, v19
	v_div_scale_f32 v19, s[0:1], v5, v5, v18
	v_rcp_f32_e32 v22, v19
	v_cndmask_b32_e32 v0, v26, v0, vcc
	v_cmp_nlt_f32_e32 vcc, s54, v15
	v_fma_f32 v23, -v19, v22, 1.0
	s_nop 0
	v_cndmask_b32_e32 v1, 0, v1, vcc
	v_cmp_ngt_f32_e32 vcc, s55, v15
	v_fmac_f32_e32 v22, v23, v22
	s_nop 0
	v_cndmask_b32_e32 v1, v26, v1, vcc
	v_div_scale_f32 v23, vcc, v18, v5, v18
	v_mul_f32_e32 v24, v23, v22
	v_fma_f32 v25, -v19, v24, v23
	v_fmac_f32_e32 v24, v25, v22
	v_fma_f32 v19, -v19, v24, v23
	v_div_fmas_f32 v19, v19, v22, v24
	v_div_fixup_f32 v5, v19, v5, v18
	v_div_scale_f32 v18, s[0:1], v4, v4, v16
	v_rcp_f32_e32 v19, v18
	v_pk_add_f32 v[0:1], v[0:1], 1.0 op_sel_hi:[1,0]
	v_fma_f32 v22, -v18, v19, 1.0
	v_fmac_f32_e32 v19, v22, v19
	v_div_scale_f32 v22, vcc, v16, v4, v16
	v_mul_f32_e32 v23, v22, v19
	v_fma_f32 v24, -v18, v23, v22
	v_fmac_f32_e32 v23, v24, v19
	v_fma_f32 v18, -v18, v23, v22
	v_div_fmas_f32 v18, v18, v19, v23
	v_div_fixup_f32 v4, v18, v4, v16
	v_div_scale_f32 v16, s[0:1], v1, v1, v15
	v_rcp_f32_e32 v18, v16
	v_pk_mul_f32 v[4:5], v[32:33], v[4:5]
	v_cvt_f32_f16_sdwa v24, v2 dst_sel:DWORD dst_unused:UNUSED_PAD src0_sel:WORD_1
	v_fma_f32 v19, -v16, v18, 1.0
	v_fmac_f32_e32 v18, v19, v18
	v_div_scale_f32 v19, vcc, v15, v1, v15
	v_mul_f32_e32 v22, v19, v18
	v_fma_f32 v23, -v16, v22, v19
	v_fmac_f32_e32 v22, v23, v18
	v_fma_f32 v16, -v16, v22, v19
	v_div_fmas_f32 v16, v16, v18, v22
	v_div_fixup_f32 v1, v16, v1, v15
	v_div_scale_f32 v15, s[0:1], v0, v0, v14
	v_rcp_f32_e32 v16, v15
	v_cvt_f32_f16_e32 v23, v2
	v_fma_f32 v18, -v15, v16, 1.0
	v_fmac_f32_e32 v16, v18, v16
	v_div_scale_f32 v18, vcc, v14, v0, v14
	v_mul_f32_e32 v19, v18, v16
	v_fma_f32 v22, -v15, v19, v18
	v_fmac_f32_e32 v19, v22, v16
	v_fma_f32 v15, -v15, v19, v18
	v_div_fmas_f32 v15, v15, v16, v19
	v_div_fixup_f32 v0, v15, v0, v14
	v_pk_mul_f32 v[0:1], v[34:35], v[0:1]
	v_cvt_f16_f32_e32 v15, v4
	v_cvt_f16_f32_e32 v18, v0
	v_mul_f32_e32 v0, 0xbfb8aa3b, v23
	v_cvt_f16_f32_e32 v16, v1
	v_rndne_f32_e32 v1, v0
	v_sub_f32_e32 v4, v0, v1
	v_fma_mix_f32 v0, v2, s52, -v0 op_sel_hi:[1,0,0]
	v_cvt_i32_f32_e32 v1, v1
	v_fma_mix_f32 v0, v2, s53, v0 op_sel_hi:[1,0,0]
	v_cmp_nlt_f32_e32 vcc, s54, v23
	v_add_f32_e32 v0, v4, v0
	v_exp_f32_e32 v0, v0
	v_cvt_f16_f32_e32 v14, v5
	v_cvt_f32_f16_e32 v19, v3
	v_cvt_f32_f16_sdwa v22, v3 dst_sel:DWORD dst_unused:UNUSED_PAD src0_sel:WORD_1
	v_ldexp_f32 v0, v0, v1
	v_cndmask_b32_e32 v0, 0, v0, vcc
	v_cmp_ngt_f32_e32 vcc, s55, v23
	s_nop 1
	v_cndmask_b32_e32 v4, v26, v0, vcc
	v_mul_f32_e32 v0, 0xbfb8aa3b, v24
	v_rndne_f32_e32 v1, v0
	v_sub_f32_e32 v5, v0, v1
	v_fma_mix_f32 v0, v2, s52, -v0 op_sel:[1,0,0] op_sel_hi:[1,0,0]
	v_cvt_i32_f32_e32 v1, v1
	v_fma_mix_f32 v0, v2, s53, v0 op_sel:[1,0,0] op_sel_hi:[1,0,0]
	v_cmp_nlt_f32_e32 vcc, s54, v24
	v_add_f32_e32 v0, v5, v0
	v_exp_f32_e32 v0, v0
	s_nop 0
	v_ldexp_f32 v0, v0, v1
	v_cndmask_b32_e32 v0, 0, v0, vcc
	v_cmp_ngt_f32_e32 vcc, s55, v24
	s_nop 1
	v_cndmask_b32_e32 v5, v26, v0, vcc
	v_mul_f32_e32 v0, 0xbfb8aa3b, v19
	v_rndne_f32_e32 v1, v0
	v_sub_f32_e32 v2, v0, v1
	v_fma_mix_f32 v0, v3, s52, -v0 op_sel_hi:[1,0,0]
	v_cvt_i32_f32_e32 v1, v1
	v_fma_mix_f32 v0, v3, s53, v0 op_sel_hi:[1,0,0]
	v_cmp_nlt_f32_e32 vcc, s54, v19
	v_add_f32_e32 v0, v2, v0
	v_exp_f32_e32 v0, v0
	s_nop 0
	v_ldexp_f32 v0, v0, v1
	v_mul_f32_e32 v1, 0xbfb8aa3b, v22
	v_rndne_f32_e32 v2, v1
	v_sub_f32_e32 v25, v1, v2
	v_fma_mix_f32 v1, v3, s52, -v1 op_sel:[1,0,0] op_sel_hi:[1,0,0]
	v_cvt_i32_f32_e32 v2, v2
	v_fma_mix_f32 v1, v3, s53, v1 op_sel:[1,0,0] op_sel_hi:[1,0,0]
	v_cndmask_b32_e32 v0, 0, v0, vcc
	v_add_f32_e32 v1, v25, v1
	v_exp_f32_e32 v1, v1
	v_cmp_ngt_f32_e32 vcc, s55, v19
	v_ldexp_f32 v1, v1, v2
	v_pk_add_f32 v[2:3], v[4:5], 1.0 op_sel_hi:[1,0]
	v_cndmask_b32_e32 v0, v26, v0, vcc
	v_div_scale_f32 v4, s[0:1], v3, v3, v24
	v_rcp_f32_e32 v5, v4
	v_cmp_nlt_f32_e32 vcc, s54, v22
	v_fma_f32 v25, -v4, v5, 1.0
	s_nop 0
	v_cndmask_b32_e32 v1, 0, v1, vcc
	v_cmp_ngt_f32_e32 vcc, s55, v22
	v_fmac_f32_e32 v5, v25, v5
	s_nop 0
	v_cndmask_b32_e32 v1, v26, v1, vcc
	v_div_scale_f32 v25, vcc, v24, v3, v24
	v_mul_f32_e32 v26, v25, v5
	v_fma_f32 v27, -v4, v26, v25
	v_fmac_f32_e32 v26, v27, v5
	v_fma_f32 v4, -v4, v26, v25
	v_div_fmas_f32 v4, v4, v5, v26
	v_div_fixup_f32 v3, v4, v3, v24
	v_div_scale_f32 v4, s[0:1], v2, v2, v23
	v_rcp_f32_e32 v5, v4
	v_pk_add_f32 v[0:1], v[0:1], 1.0 op_sel_hi:[1,0]
	v_fma_f32 v24, -v4, v5, 1.0
	v_fmac_f32_e32 v5, v24, v5
	v_div_scale_f32 v24, vcc, v23, v2, v23
	v_mul_f32_e32 v25, v24, v5
	v_fma_f32 v26, -v4, v25, v24
	v_fmac_f32_e32 v25, v26, v5
	v_fma_f32 v4, -v4, v25, v24
	v_div_fmas_f32 v4, v4, v5, v25
	v_div_fixup_f32 v2, v4, v2, v23
	v_div_scale_f32 v4, s[0:1], v1, v1, v22
	v_rcp_f32_e32 v5, v4
	v_pk_mul_f32 v[2:3], v[28:29], v[2:3]
	v_fma_f32 v23, -v4, v5, 1.0
	v_fmac_f32_e32 v5, v23, v5
	v_div_scale_f32 v23, vcc, v22, v1, v22
	v_mul_f32_e32 v24, v23, v5
	v_fma_f32 v25, -v4, v24, v23
	v_fmac_f32_e32 v24, v25, v5
	v_fma_f32 v4, -v4, v24, v23
	v_div_fmas_f32 v4, v4, v5, v24
	v_div_fixup_f32 v1, v4, v1, v22
	v_div_scale_f32 v4, s[0:1], v0, v0, v19
	v_rcp_f32_e32 v5, v4
	s_nop 0
	v_fma_f32 v22, -v4, v5, 1.0
	v_fmac_f32_e32 v5, v22, v5
	v_div_scale_f32 v22, vcc, v19, v0, v19
	v_mul_f32_e32 v23, v22, v5
	v_fma_f32 v24, -v4, v23, v22
	v_fmac_f32_e32 v23, v24, v5
	v_fma_f32 v4, -v4, v23, v22
	v_div_fmas_f32 v4, v4, v5, v23
	v_div_fixup_f32 v0, v4, v0, v19
	v_pk_mul_f32 v[0:1], v[30:31], v[0:1]
	v_cvt_f16_f32_e32 v4, v3
	v_cvt_f16_f32_e32 v5, v2
	;; [unrolled: 1-line block ×4, first 2 shown]
	v_pack_b32_f16 v3, v9, v8
	v_pack_b32_f16 v2, v7, v6
	;; [unrolled: 1-line block ×4, first 2 shown]
	ds_write_b128 v59, v[0:3]
	v_pack_b32_f16 v3, v22, v19
	v_pack_b32_f16 v2, v5, v4
	;; [unrolled: 1-line block ×4, first 2 shown]
	ds_write_b128 v59, v[0:3] offset:16
	; wave barrier
	ds_read_u16 v16, v44 offset:128
	ds_read_u16 v15, v45 offset:256
	ds_read_u16 v14, v46 offset:384
	ds_read_u16 v13, v47 offset:512
	ds_read_u16 v12, v48 offset:640
	ds_read_u16 v11, v49 offset:768
	ds_read_u16 v10, v50 offset:896
	ds_read_u16 v9, v51 offset:1024
	ds_read_u16 v8, v52 offset:1152
	ds_read_u16 v7, v53 offset:1280
	ds_read_u16 v6, v54 offset:1408
	ds_read_u16 v5, v55 offset:1536
	ds_read_u16 v4, v56 offset:1664
	ds_read_u16 v3, v57 offset:1792
	ds_read_u16 v2, v58 offset:1920
	scratch_load_dwordx2 v[0:1], off, off offset:256 ; 8-byte Folded Reload
	s_waitcnt vmcnt(0)
	v_lshl_add_u64 v[0:1], s[58:59], 1, v[0:1]
	s_and_saveexec_b64 s[52:53], s[18:19]
	s_cbranch_execz .LBB112_251
; %bb.250:                              ;   in Loop: Header=BB112_13 Depth=1
	scratch_load_dword v18, off, off        ; 4-byte Folded Reload
	s_waitcnt vmcnt(0)
	ds_read_u16 v18, v18
	s_waitcnt lgkmcnt(0)
	global_store_short v[0:1], v18, off
.LBB112_251:                            ;   in Loop: Header=BB112_13 Depth=1
	s_or_b64 exec, exec, s[52:53]
	s_and_saveexec_b64 s[18:19], s[20:21]
	s_cbranch_execz .LBB112_253
; %bb.252:                              ;   in Loop: Header=BB112_13 Depth=1
	s_waitcnt lgkmcnt(14)
	global_store_short v[0:1], v16, off offset:128
.LBB112_253:                            ;   in Loop: Header=BB112_13 Depth=1
	s_or_b64 exec, exec, s[18:19]
	s_mov_b64 s[18:19], exec
	s_and_b64 s[0:1], s[18:19], s[22:23]
	v_mov_b32_e32 v39, 0x7f800000
	s_mov_b64 exec, s[0:1]
	s_cbranch_execnz .LBB112_284
; %bb.254:                              ;   in Loop: Header=BB112_13 Depth=1
	s_or_b64 exec, exec, s[18:19]
	s_and_saveexec_b64 s[18:19], s[24:25]
	s_cbranch_execnz .LBB112_285
.LBB112_255:                            ;   in Loop: Header=BB112_13 Depth=1
	s_or_b64 exec, exec, s[18:19]
	s_and_saveexec_b64 s[18:19], s[26:27]
	s_cbranch_execnz .LBB112_286
.LBB112_256:                            ;   in Loop: Header=BB112_13 Depth=1
	s_or_b64 exec, exec, s[18:19]
	s_and_saveexec_b64 s[18:19], s[28:29]
	s_cbranch_execnz .LBB112_287
.LBB112_257:                            ;   in Loop: Header=BB112_13 Depth=1
	s_or_b64 exec, exec, s[18:19]
	s_and_saveexec_b64 s[18:19], s[30:31]
	s_cbranch_execnz .LBB112_288
.LBB112_258:                            ;   in Loop: Header=BB112_13 Depth=1
	s_or_b64 exec, exec, s[18:19]
	s_and_saveexec_b64 s[18:19], s[34:35]
	s_cbranch_execnz .LBB112_289
.LBB112_259:                            ;   in Loop: Header=BB112_13 Depth=1
	s_or_b64 exec, exec, s[18:19]
	s_and_saveexec_b64 s[18:19], s[36:37]
	s_cbranch_execnz .LBB112_290
.LBB112_260:                            ;   in Loop: Header=BB112_13 Depth=1
	s_or_b64 exec, exec, s[18:19]
	s_and_saveexec_b64 s[18:19], s[38:39]
	s_cbranch_execnz .LBB112_291
.LBB112_261:                            ;   in Loop: Header=BB112_13 Depth=1
	s_or_b64 exec, exec, s[18:19]
	s_and_saveexec_b64 s[18:19], s[40:41]
	s_cbranch_execnz .LBB112_292
.LBB112_262:                            ;   in Loop: Header=BB112_13 Depth=1
	s_or_b64 exec, exec, s[18:19]
	s_and_saveexec_b64 s[18:19], s[42:43]
	s_cbranch_execnz .LBB112_293
.LBB112_263:                            ;   in Loop: Header=BB112_13 Depth=1
	s_or_b64 exec, exec, s[18:19]
	s_and_saveexec_b64 s[18:19], s[44:45]
	s_cbranch_execnz .LBB112_294
.LBB112_264:                            ;   in Loop: Header=BB112_13 Depth=1
	s_or_b64 exec, exec, s[18:19]
	s_and_saveexec_b64 s[18:19], s[46:47]
	s_cbranch_execnz .LBB112_295
.LBB112_265:                            ;   in Loop: Header=BB112_13 Depth=1
	s_or_b64 exec, exec, s[18:19]
	s_and_saveexec_b64 s[18:19], s[48:49]
	s_cbranch_execnz .LBB112_296
.LBB112_266:                            ;   in Loop: Header=BB112_13 Depth=1
	s_or_b64 exec, exec, s[18:19]
	s_and_saveexec_b64 s[18:19], s[50:51]
	s_cbranch_execz .LBB112_12
	s_branch .LBB112_297
.LBB112_267:                            ;   in Loop: Header=BB112_13 Depth=1
	global_load_ushort v28, v[8:9], off offset:1664
	s_or_b64 exec, exec, s[52:53]
	s_and_saveexec_b64 s[52:53], s[48:49]
	s_cbranch_execz .LBB112_73
.LBB112_268:                            ;   in Loop: Header=BB112_13 Depth=1
	global_load_ushort v27, v[8:9], off offset:1792
	s_or_b64 exec, exec, s[52:53]
	v_mov_b32_e32 v29, 0
	s_and_saveexec_b64 s[52:53], s[50:51]
	s_cbranch_execnz .LBB112_74
	s_branch .LBB112_75
.LBB112_269:                            ;   in Loop: Header=BB112_13 Depth=1
	scratch_load_dword v18, off, off        ; 4-byte Folded Reload
	s_waitcnt vmcnt(0)
	ds_read_u16 v18, v18
	s_waitcnt lgkmcnt(0)
	global_store_short v[0:1], v18, off
	s_or_b64 exec, exec, s[52:53]
	s_and_saveexec_b64 s[52:53], s[20:21]
	s_cbranch_execz .LBB112_202
.LBB112_270:                            ;   in Loop: Header=BB112_13 Depth=1
	s_waitcnt lgkmcnt(14)
	global_store_short v[0:1], v16, off offset:128
	s_or_b64 exec, exec, s[52:53]
	s_and_saveexec_b64 s[52:53], s[22:23]
	s_cbranch_execz .LBB112_203
.LBB112_271:                            ;   in Loop: Header=BB112_13 Depth=1
	s_waitcnt lgkmcnt(13)
	global_store_short v[0:1], v15, off offset:256
	s_or_b64 exec, exec, s[52:53]
	s_and_saveexec_b64 s[52:53], s[24:25]
	s_cbranch_execz .LBB112_204
.LBB112_272:                            ;   in Loop: Header=BB112_13 Depth=1
	s_waitcnt lgkmcnt(12)
	global_store_short v[0:1], v14, off offset:384
	s_or_b64 exec, exec, s[52:53]
	s_and_saveexec_b64 s[52:53], s[26:27]
	s_cbranch_execz .LBB112_205
.LBB112_273:                            ;   in Loop: Header=BB112_13 Depth=1
	s_waitcnt lgkmcnt(11)
	global_store_short v[0:1], v13, off offset:512
	s_or_b64 exec, exec, s[52:53]
	s_and_saveexec_b64 s[52:53], s[28:29]
	s_cbranch_execz .LBB112_206
.LBB112_274:                            ;   in Loop: Header=BB112_13 Depth=1
	s_waitcnt lgkmcnt(10)
	global_store_short v[0:1], v12, off offset:640
	s_or_b64 exec, exec, s[52:53]
	s_and_saveexec_b64 s[52:53], s[30:31]
	s_cbranch_execz .LBB112_207
.LBB112_275:                            ;   in Loop: Header=BB112_13 Depth=1
	s_waitcnt lgkmcnt(9)
	global_store_short v[0:1], v11, off offset:768
	s_or_b64 exec, exec, s[52:53]
	s_and_saveexec_b64 s[52:53], s[34:35]
	s_cbranch_execz .LBB112_208
.LBB112_276:                            ;   in Loop: Header=BB112_13 Depth=1
	s_waitcnt lgkmcnt(8)
	global_store_short v[0:1], v10, off offset:896
	s_or_b64 exec, exec, s[52:53]
	s_and_saveexec_b64 s[52:53], s[36:37]
	s_cbranch_execz .LBB112_209
.LBB112_277:                            ;   in Loop: Header=BB112_13 Depth=1
	s_waitcnt lgkmcnt(7)
	global_store_short v[0:1], v9, off offset:1024
	s_or_b64 exec, exec, s[52:53]
	s_and_saveexec_b64 s[52:53], s[38:39]
	s_cbranch_execz .LBB112_210
.LBB112_278:                            ;   in Loop: Header=BB112_13 Depth=1
	s_waitcnt lgkmcnt(6)
	global_store_short v[0:1], v8, off offset:1152
	s_or_b64 exec, exec, s[52:53]
	s_and_saveexec_b64 s[52:53], s[40:41]
	s_cbranch_execz .LBB112_211
.LBB112_279:                            ;   in Loop: Header=BB112_13 Depth=1
	s_waitcnt lgkmcnt(5)
	global_store_short v[0:1], v7, off offset:1280
	s_or_b64 exec, exec, s[52:53]
	s_and_saveexec_b64 s[52:53], s[42:43]
	s_cbranch_execz .LBB112_212
.LBB112_280:                            ;   in Loop: Header=BB112_13 Depth=1
	s_waitcnt lgkmcnt(4)
	global_store_short v[0:1], v6, off offset:1408
	s_or_b64 exec, exec, s[52:53]
	s_and_saveexec_b64 s[52:53], s[44:45]
	s_cbranch_execz .LBB112_213
.LBB112_281:                            ;   in Loop: Header=BB112_13 Depth=1
	s_waitcnt lgkmcnt(3)
	global_store_short v[0:1], v5, off offset:1536
	s_or_b64 exec, exec, s[52:53]
	s_and_saveexec_b64 s[52:53], s[46:47]
	s_cbranch_execz .LBB112_214
.LBB112_282:                            ;   in Loop: Header=BB112_13 Depth=1
	s_waitcnt lgkmcnt(2)
	global_store_short v[0:1], v4, off offset:1664
	s_or_b64 exec, exec, s[52:53]
	s_and_saveexec_b64 s[52:53], s[48:49]
	s_cbranch_execz .LBB112_215
.LBB112_283:                            ;   in Loop: Header=BB112_13 Depth=1
	s_waitcnt lgkmcnt(1)
	global_store_short v[0:1], v3, off offset:1792
	s_or_b64 exec, exec, s[52:53]
	s_and_saveexec_b64 s[52:53], s[50:51]
	s_cbranch_execnz .LBB112_216
	s_branch .LBB112_217
.LBB112_284:                            ;   in Loop: Header=BB112_13 Depth=1
	s_waitcnt lgkmcnt(13)
	global_store_short v[0:1], v15, off offset:256
	s_or_b64 exec, exec, s[18:19]
	s_and_saveexec_b64 s[18:19], s[24:25]
	s_cbranch_execz .LBB112_255
.LBB112_285:                            ;   in Loop: Header=BB112_13 Depth=1
	s_waitcnt lgkmcnt(12)
	global_store_short v[0:1], v14, off offset:384
	s_or_b64 exec, exec, s[18:19]
	s_and_saveexec_b64 s[18:19], s[26:27]
	s_cbranch_execz .LBB112_256
.LBB112_286:                            ;   in Loop: Header=BB112_13 Depth=1
	s_waitcnt lgkmcnt(11)
	global_store_short v[0:1], v13, off offset:512
	s_or_b64 exec, exec, s[18:19]
	s_and_saveexec_b64 s[18:19], s[28:29]
	s_cbranch_execz .LBB112_257
.LBB112_287:                            ;   in Loop: Header=BB112_13 Depth=1
	s_waitcnt lgkmcnt(10)
	global_store_short v[0:1], v12, off offset:640
	s_or_b64 exec, exec, s[18:19]
	s_and_saveexec_b64 s[18:19], s[30:31]
	s_cbranch_execz .LBB112_258
.LBB112_288:                            ;   in Loop: Header=BB112_13 Depth=1
	s_waitcnt lgkmcnt(9)
	global_store_short v[0:1], v11, off offset:768
	s_or_b64 exec, exec, s[18:19]
	s_and_saveexec_b64 s[18:19], s[34:35]
	s_cbranch_execz .LBB112_259
.LBB112_289:                            ;   in Loop: Header=BB112_13 Depth=1
	s_waitcnt lgkmcnt(8)
	global_store_short v[0:1], v10, off offset:896
	s_or_b64 exec, exec, s[18:19]
	s_and_saveexec_b64 s[18:19], s[36:37]
	s_cbranch_execz .LBB112_260
.LBB112_290:                            ;   in Loop: Header=BB112_13 Depth=1
	s_waitcnt lgkmcnt(7)
	global_store_short v[0:1], v9, off offset:1024
	s_or_b64 exec, exec, s[18:19]
	s_and_saveexec_b64 s[18:19], s[38:39]
	s_cbranch_execz .LBB112_261
.LBB112_291:                            ;   in Loop: Header=BB112_13 Depth=1
	s_waitcnt lgkmcnt(6)
	global_store_short v[0:1], v8, off offset:1152
	s_or_b64 exec, exec, s[18:19]
	s_and_saveexec_b64 s[18:19], s[40:41]
	s_cbranch_execz .LBB112_262
.LBB112_292:                            ;   in Loop: Header=BB112_13 Depth=1
	s_waitcnt lgkmcnt(5)
	global_store_short v[0:1], v7, off offset:1280
	s_or_b64 exec, exec, s[18:19]
	s_and_saveexec_b64 s[18:19], s[42:43]
	s_cbranch_execz .LBB112_263
.LBB112_293:                            ;   in Loop: Header=BB112_13 Depth=1
	s_waitcnt lgkmcnt(4)
	global_store_short v[0:1], v6, off offset:1408
	s_or_b64 exec, exec, s[18:19]
	s_and_saveexec_b64 s[18:19], s[44:45]
	s_cbranch_execz .LBB112_264
.LBB112_294:                            ;   in Loop: Header=BB112_13 Depth=1
	s_waitcnt lgkmcnt(3)
	global_store_short v[0:1], v5, off offset:1536
	s_or_b64 exec, exec, s[18:19]
	s_and_saveexec_b64 s[18:19], s[46:47]
	s_cbranch_execz .LBB112_265
.LBB112_295:                            ;   in Loop: Header=BB112_13 Depth=1
	s_waitcnt lgkmcnt(2)
	global_store_short v[0:1], v4, off offset:1664
	s_or_b64 exec, exec, s[18:19]
	s_and_saveexec_b64 s[18:19], s[48:49]
	s_cbranch_execz .LBB112_266
.LBB112_296:                            ;   in Loop: Header=BB112_13 Depth=1
	s_waitcnt lgkmcnt(1)
	global_store_short v[0:1], v3, off offset:1792
	s_or_b64 exec, exec, s[18:19]
	s_and_saveexec_b64 s[18:19], s[50:51]
	s_cbranch_execz .LBB112_12
.LBB112_297:                            ;   in Loop: Header=BB112_13 Depth=1
	s_waitcnt lgkmcnt(0)
	global_store_short v[0:1], v2, off offset:1920
	s_branch .LBB112_12
.LBB112_298:
	s_endpgm
	.section	.rodata,"a",@progbits
	.p2align	6, 0x0
	.amdhsa_kernel _Z25selective_scan_fwd_kernelI32Selective_Scan_fwd_kernel_traitsILi64ELi16ELi1ELb1ELb1ELb1ELb1ELb1EN3c104HalfEffEEv13SSMParamsBase
		.amdhsa_group_segment_fixed_size 0
		.amdhsa_private_segment_fixed_size 332
		.amdhsa_kernarg_size 248
		.amdhsa_user_sgpr_count 2
		.amdhsa_user_sgpr_dispatch_ptr 0
		.amdhsa_user_sgpr_queue_ptr 0
		.amdhsa_user_sgpr_kernarg_segment_ptr 1
		.amdhsa_user_sgpr_dispatch_id 0
		.amdhsa_user_sgpr_kernarg_preload_length 0
		.amdhsa_user_sgpr_kernarg_preload_offset 0
		.amdhsa_user_sgpr_private_segment_size 0
		.amdhsa_uses_dynamic_stack 0
		.amdhsa_enable_private_segment 1
		.amdhsa_system_sgpr_workgroup_id_x 1
		.amdhsa_system_sgpr_workgroup_id_y 1
		.amdhsa_system_sgpr_workgroup_id_z 0
		.amdhsa_system_sgpr_workgroup_info 0
		.amdhsa_system_vgpr_workitem_id 0
		.amdhsa_next_free_vgpr 96
		.amdhsa_next_free_sgpr 100
		.amdhsa_accum_offset 96
		.amdhsa_reserve_vcc 1
		.amdhsa_float_round_mode_32 0
		.amdhsa_float_round_mode_16_64 0
		.amdhsa_float_denorm_mode_32 3
		.amdhsa_float_denorm_mode_16_64 3
		.amdhsa_dx10_clamp 1
		.amdhsa_ieee_mode 1
		.amdhsa_fp16_overflow 0
		.amdhsa_tg_split 0
		.amdhsa_exception_fp_ieee_invalid_op 0
		.amdhsa_exception_fp_denorm_src 0
		.amdhsa_exception_fp_ieee_div_zero 0
		.amdhsa_exception_fp_ieee_overflow 0
		.amdhsa_exception_fp_ieee_underflow 0
		.amdhsa_exception_fp_ieee_inexact 0
		.amdhsa_exception_int_div_zero 0
	.end_amdhsa_kernel
	.section	.text._Z25selective_scan_fwd_kernelI32Selective_Scan_fwd_kernel_traitsILi64ELi16ELi1ELb1ELb1ELb1ELb1ELb1EN3c104HalfEffEEv13SSMParamsBase,"axG",@progbits,_Z25selective_scan_fwd_kernelI32Selective_Scan_fwd_kernel_traitsILi64ELi16ELi1ELb1ELb1ELb1ELb1ELb1EN3c104HalfEffEEv13SSMParamsBase,comdat
.Lfunc_end112:
	.size	_Z25selective_scan_fwd_kernelI32Selective_Scan_fwd_kernel_traitsILi64ELi16ELi1ELb1ELb1ELb1ELb1ELb1EN3c104HalfEffEEv13SSMParamsBase, .Lfunc_end112-_Z25selective_scan_fwd_kernelI32Selective_Scan_fwd_kernel_traitsILi64ELi16ELi1ELb1ELb1ELb1ELb1ELb1EN3c104HalfEffEEv13SSMParamsBase
                                        ; -- End function
	.section	.AMDGPU.csdata,"",@progbits
; Kernel info:
; codeLenInByte = 27176
; NumSgprs: 106
; NumVgprs: 96
; NumAgprs: 0
; TotalNumVgprs: 96
; ScratchSize: 332
; MemoryBound: 0
; FloatMode: 240
; IeeeMode: 1
; LDSByteSize: 0 bytes/workgroup (compile time only)
; SGPRBlocks: 13
; VGPRBlocks: 11
; NumSGPRsForWavesPerEU: 106
; NumVGPRsForWavesPerEU: 96
; AccumOffset: 96
; Occupancy: 5
; WaveLimiterHint : 1
; COMPUTE_PGM_RSRC2:SCRATCH_EN: 1
; COMPUTE_PGM_RSRC2:USER_SGPR: 2
; COMPUTE_PGM_RSRC2:TRAP_HANDLER: 0
; COMPUTE_PGM_RSRC2:TGID_X_EN: 1
; COMPUTE_PGM_RSRC2:TGID_Y_EN: 1
; COMPUTE_PGM_RSRC2:TGID_Z_EN: 0
; COMPUTE_PGM_RSRC2:TIDIG_COMP_CNT: 0
; COMPUTE_PGM_RSRC3_GFX90A:ACCUM_OFFSET: 23
; COMPUTE_PGM_RSRC3_GFX90A:TG_SPLIT: 0
	.section	.text._Z25selective_scan_fwd_kernelI32Selective_Scan_fwd_kernel_traitsILi64ELi16ELi1ELb1ELb1ELb1ELb1ELb0EN3c104HalfEffEEv13SSMParamsBase,"axG",@progbits,_Z25selective_scan_fwd_kernelI32Selective_Scan_fwd_kernel_traitsILi64ELi16ELi1ELb1ELb1ELb1ELb1ELb0EN3c104HalfEffEEv13SSMParamsBase,comdat
	.protected	_Z25selective_scan_fwd_kernelI32Selective_Scan_fwd_kernel_traitsILi64ELi16ELi1ELb1ELb1ELb1ELb1ELb0EN3c104HalfEffEEv13SSMParamsBase ; -- Begin function _Z25selective_scan_fwd_kernelI32Selective_Scan_fwd_kernel_traitsILi64ELi16ELi1ELb1ELb1ELb1ELb1ELb0EN3c104HalfEffEEv13SSMParamsBase
	.globl	_Z25selective_scan_fwd_kernelI32Selective_Scan_fwd_kernel_traitsILi64ELi16ELi1ELb1ELb1ELb1ELb1ELb0EN3c104HalfEffEEv13SSMParamsBase
	.p2align	8
	.type	_Z25selective_scan_fwd_kernelI32Selective_Scan_fwd_kernel_traitsILi64ELi16ELi1ELb1ELb1ELb1ELb1ELb0EN3c104HalfEffEEv13SSMParamsBase,@function
_Z25selective_scan_fwd_kernelI32Selective_Scan_fwd_kernel_traitsILi64ELi16ELi1ELb1ELb1ELb1ELb1ELb0EN3c104HalfEffEEv13SSMParamsBase: ; @_Z25selective_scan_fwd_kernelI32Selective_Scan_fwd_kernel_traitsILi64ELi16ELi1ELb1ELb1ELb1ELb1ELb0EN3c104HalfEffEEv13SSMParamsBase
; %bb.0:
	s_load_dword s37, s[0:1], 0x18
	s_load_dwordx4 s[4:7], s[0:1], 0xe8
	s_mov_b32 s28, s3
	s_waitcnt lgkmcnt(0)
	s_abs_i32 s36, s37
	v_cvt_f32_u32_e32 v1, s36
	s_cmp_eq_u64 s[6:7], 0
	v_rcp_iflag_f32_e32 v1, v1
	s_nop 0
	v_mul_f32_e32 v1, 0x4f7ffffe, v1
	v_cvt_u32_f32_e32 v1, v1
	s_nop 0
	v_readfirstlane_b32 s24, v1
	s_cbranch_scc1 .LBB113_3
; %bb.1:
	s_ashr_i32 s3, s2, 31
	s_add_u32 s6, s6, s2
	s_addc_u32 s7, s7, s3
	v_mov_b32_e32 v1, 0
	global_load_ubyte v1, v1, s[6:7]
	s_waitcnt vmcnt(0)
	v_and_b32_e32 v1, 1, v1
	v_cmp_eq_u32_e64 s[58:59], 1, v1
	s_load_dwordx2 s[6:7], s[0:1], 0x20
	s_cmp_eq_u64 s[4:5], 0
	s_cbranch_scc1 .LBB113_4
.LBB113_2:
	s_ashr_i32 s3, s2, 31
	s_lshl_b64 s[8:9], s[2:3], 2
	s_add_u32 s4, s4, s8
	s_addc_u32 s5, s5, s9
	s_load_dword s34, s[4:5], 0x0
	s_waitcnt lgkmcnt(0)
	s_ashr_i32 s35, s34, 31
	s_cmp_eq_u64 s[6:7], s[34:35]
	s_cbranch_scc0 .LBB113_5
	s_branch .LBB113_85
.LBB113_3:
	s_mov_b64 s[58:59], 0
	s_load_dwordx2 s[6:7], s[0:1], 0x20
	s_cmp_eq_u64 s[4:5], 0
	s_cbranch_scc0 .LBB113_2
.LBB113_4:
	s_mov_b32 s34, s2
	s_ashr_i32 s35, s34, 31
	s_waitcnt lgkmcnt(0)
	s_cmp_eq_u64 s[6:7], s[34:35]
	s_cbranch_scc1 .LBB113_85
.LBB113_5:
	s_load_dwordx16 s[4:19], s[0:1], 0x88
	s_load_dwordx2 s[38:39], s[0:1], 0x8
	s_mov_b32 s33, 0
	s_mov_b32 s98, 0
	s_waitcnt lgkmcnt(0)
	s_cmp_eq_u64 s[10:11], 0
	s_cbranch_scc1 .LBB113_7
; %bb.6:
	s_ashr_i32 s29, s28, 31
	s_lshl_b64 s[20:21], s[28:29], 2
	s_add_u32 s10, s10, s20
	s_addc_u32 s11, s11, s21
	s_load_dword s98, s[10:11], 0x0
.LBB113_7:
	s_cmp_eq_u64 s[16:17], 0
	s_cbranch_scc1 .LBB113_9
; %bb.8:
	s_ashr_i32 s29, s28, 31
	s_lshl_b64 s[10:11], s[28:29], 2
	s_add_u32 s10, s16, s10
	s_addc_u32 s11, s17, s11
	s_load_dword s33, s[10:11], 0x0
.LBB113_9:
	s_cmp_lt_i32 s38, 1
	s_cbranch_scc1 .LBB113_85
; %bb.10:
	s_sub_i32 s3, 0, s36
	s_mul_i32 s3, s3, s24
	s_mul_hi_u32 s3, s24, s3
	s_abs_i32 s16, s28
	s_add_i32 s3, s24, s3
	s_load_dwordx8 s[60:67], s[0:1], 0x2c
	s_load_dwordx2 s[10:11], s[0:1], 0x7c
	s_load_dwordx4 s[20:23], s[0:1], 0x6c
	s_load_dwordx8 s[68:75], s[0:1], 0x4c
	s_load_dwordx2 s[30:31], s[0:1], 0xd8
	s_load_dwordx4 s[24:27], s[0:1], 0xc8
	s_load_dword s99, s[0:1], 0x84
	s_mul_hi_u32 s3, s16, s3
	s_load_dword s17, s[0:1], 0x28
	s_ashr_i32 s0, s28, 31
	s_ashr_i32 s1, s37, 31
	s_xor_b32 s0, s0, s1
	s_mul_i32 s1, s3, s36
	s_sub_i32 s1, s16, s1
	s_add_i32 s16, s3, 1
	s_sub_i32 s29, s1, s36
	s_cmp_ge_u32 s1, s36
	s_cselect_b32 s3, s16, s3
	s_cselect_b32 s1, s29, s1
	s_add_i32 s16, s3, 1
	s_cmp_ge_u32 s1, s36
	s_cselect_b32 s1, s16, s3
	s_xor_b32 s1, s1, s0
	s_waitcnt lgkmcnt(0)
	s_mul_i32 s78, s70, s2
	s_mov_b32 s79, 0
	s_sub_i32 s3, s1, s0
	s_lshl_b64 s[0:1], s[78:79], 1
	s_add_u32 s12, s12, s0
	s_mul_i32 s78, s71, s28
	s_addc_u32 s13, s13, s1
	s_lshl_b64 s[0:1], s[78:79], 1
	s_add_u32 s70, s12, s0
	s_mul_i32 s78, s72, s2
	s_addc_u32 s71, s13, s1
	;; [unrolled: 4-line block ×10, first 2 shown]
	s_lshl_b64 s[0:1], s[78:79], 2
	s_add_u32 s65, s3, s0
	s_addc_u32 s69, s4, s1
	s_add_i32 s0, s38, 0x7ff
	s_lshr_b32 s1, s0, 11
	s_bitcmp1_b32 s17, 0
	s_cselect_b64 s[80:81], -1, 0
	s_cmp_gt_i32 s39, 0
	s_cselect_b64 s[4:5], -1, 0
                                        ; implicit-def: $vgpr95 : SGPR spill to VGPR lane
	s_mul_i32 s78, s20, s2
	v_writelane_b32 v95, s4, 0
	v_mbcnt_lo_u32_b32 v1, -1, 0
	v_mbcnt_hi_u32_b32 v2, -1, v1
	v_writelane_b32 v95, s5, 1
	s_add_i32 s4, 0, 0x840
	v_writelane_b32 v95, s38, 2
	s_and_b32 s0, s38, 0x3ff
	s_cmp_eq_u32 s0, 0
	v_writelane_b32 v95, s39, 3
	s_cselect_b64 s[84:85], -1, 0
	v_writelane_b32 v95, s1, 4
	s_add_i32 s0, s1, -1
	v_writelane_b32 v95, s0, 5
	s_lshl_b64 s[0:1], s[78:79], 1
	s_movk_i32 s3, 0x80
	s_add_u32 s16, s18, s0
	s_addc_u32 s17, s19, s1
	v_cmp_gt_u32_e64 s[0:1], s3, v2
	v_add_u32_e32 v1, 64, v2
	v_lshrrev_b32_e32 v3, 5, v2
	v_writelane_b32 v95, s0, 6
	v_add_u32_e32 v3, v3, v2
	v_lshl_add_u32 v3, v3, 4, 0
	v_writelane_b32 v95, s1, 7
	v_cmp_gt_u32_e64 s[0:1], s3, v1
	v_lshrrev_b32_e32 v1, 5, v1
	v_add_lshl_u32 v1, v1, v2, 4
	scratch_store_dword off, v3, off        ; 4-byte Folded Spill
	v_add_u32_e32 v3, 0, v1
	scratch_store_dword off, v3, off offset:4 ; 4-byte Folded Spill
	v_lshlrev_b32_e32 v3, 1, v2
	v_bfe_u32 v4, v2, 4, 27
	v_add_lshl_u32 v3, v4, v3, 4
	v_add_u32_e32 v1, s4, v1
	scratch_store_dword off, v1, off offset:44 ; 4-byte Folded Spill
	v_add_u32_e32 v1, s4, v3
	scratch_store_dword off, v1, off offset:48 ; 4-byte Folded Spill
	v_and_b32_e32 v1, 15, v2
	v_cmp_ne_u32_e64 s[4:5], 0, v1
	v_cmp_lt_u32_e64 s[6:7], 1, v1
	v_cmp_lt_u32_e64 s[8:9], 3, v1
	v_cmp_lt_u32_e64 s[10:11], 7, v1
	v_and_b32_e32 v1, 16, v2
	v_add_u32_e32 v4, 0, v3
	v_cmp_ne_u32_e64 s[12:13], 0, v1
	v_add_u32_e32 v1, -1, v2
	v_and_b32_e32 v3, 64, v2
	v_cmp_lt_i32_e32 vcc, v1, v3
	scratch_store_dword off, v4, off offset:8 ; 4-byte Folded Spill
	v_lshlrev_b32_e32 v4, 4, v0
	v_cndmask_b32_e32 v1, v1, v2, vcc
	v_lshlrev_b32_e32 v1, 2, v1
	scratch_store_dword off, v1, off offset:52 ; 4-byte Folded Spill
	v_or_b32_e32 v1, 1, v4
	v_writelane_b32 v95, s0, 8
	s_mul_i32 s78, s21, s28
	scratch_store_dword off, v1, off offset:188 ; 4-byte Folded Spill
	v_or_b32_e32 v1, 2, v4
	v_writelane_b32 v95, s1, 9
	s_lshl_b64 s[0:1], s[78:79], 1
	scratch_store_dword off, v1, off offset:192 ; 4-byte Folded Spill
	v_or_b32_e32 v1, 3, v4
	s_add_u32 s0, s16, s0
	s_mul_i32 s78, s74, s2
	scratch_store_dword off, v1, off offset:196 ; 4-byte Folded Spill
	v_or_b32_e32 v1, 4, v4
	s_addc_u32 s1, s17, s1
	s_lshl_b64 s[16:17], s[78:79], 1
	scratch_store_dword off, v1, off offset:200 ; 4-byte Folded Spill
	v_or_b32_e32 v1, 5, v4
	v_mov_b32_e32 v43, 0
	s_add_u32 s3, s26, s16
	v_lshlrev_b32_e32 v42, 4, v2
	s_mul_i32 s78, s75, s28
	scratch_store_dword off, v1, off offset:204 ; 4-byte Folded Spill
	v_or_b32_e32 v1, 6, v4
	s_addc_u32 s20, s27, s17
	v_lshl_add_u64 v[6:7], s[0:1], 0, v[42:43]
	s_lshl_b64 s[0:1], s[78:79], 1
	scratch_store_dword off, v1, off offset:208 ; 4-byte Folded Spill
	v_or_b32_e32 v1, 7, v4
	s_add_u32 s0, s3, s0
	s_mul_i32 s78, s22, s2
	scratch_store_dword off, v1, off offset:212 ; 4-byte Folded Spill
	v_or_b32_e32 v1, 8, v4
	s_addc_u32 s1, s20, s1
	s_lshl_b64 s[2:3], s[78:79], 1
	scratch_store_dword off, v1, off offset:216 ; 4-byte Folded Spill
	v_or_b32_e32 v1, 9, v4
	s_add_u32 s20, s30, s2
	s_mul_i32 s78, s23, s28
	scratch_store_dword off, v1, off offset:220 ; 4-byte Folded Spill
	v_or_b32_e32 v1, 10, v4
	s_addc_u32 s21, s31, s3
	s_lshl_b64 s[2:3], s[78:79], 1
	scratch_store_dword off, v1, off offset:224 ; 4-byte Folded Spill
	v_or_b32_e32 v1, 11, v4
	s_add_u32 s2, s20, s2
	scratch_store_dword off, v1, off offset:228 ; 4-byte Folded Spill
	v_or_b32_e32 v1, 12, v4
	scratch_store_dwordx2 off, v[6:7], off offset:160 ; 8-byte Folded Spill
	s_addc_u32 s3, s21, s3
	v_lshl_add_u64 v[6:7], s[0:1], 0, v[42:43]
	scratch_store_dword off, v1, off offset:232 ; 4-byte Folded Spill
	v_or_b32_e32 v1, 13, v4
	scratch_store_dwordx2 off, v[6:7], off offset:168 ; 8-byte Folded Spill
	v_lshl_add_u64 v[6:7], s[2:3], 0, v[42:43]
	scratch_store_dword off, v1, off offset:236 ; 4-byte Folded Spill
	v_or_b32_e32 v1, 14, v4
	s_add_i32 s0, 0, 0x1088
	v_cmp_lt_u32_e64 s[14:15], 31, v2
	v_cmp_eq_u32_e64 s[16:17], 63, v0
	v_cmp_gt_u32_e64 s[18:19], 64, v0
	scratch_store_dwordx2 off, v[6:7], off offset:176 ; 8-byte Folded Spill
	scratch_store_dword off, v1, off offset:240 ; 4-byte Folded Spill
	scratch_store_dword off, v4, off offset:184 ; 4-byte Folded Spill
	v_or_b32_e32 v1, 15, v4
	s_mov_b32 s26, 0x3fb8aa3b
	s_mov_b32 s27, 0xc2ce8ed0
	s_mov_b32 s28, 0x42b17218
	s_mov_b32 s29, 0x7f800000
	s_mov_b32 s30, 0x3f2aaaab
	v_mov_b32_e32 v30, 0x3ecc95a3
	s_mov_b32 s31, 0x3f317218
	s_mov_b32 s34, 0x33800000
	v_writelane_b32 v95, s0, 10
	s_mov_b32 s77, 0xc2fc0000
	s_mov_b32 s0, 0xbfb8aa3b
	;; [unrolled: 1-line block ×5, first 2 shown]
	v_lshlrev_b32_e32 v42, 4, v2
	v_mov_b32_e32 v31, 0x7f800000
	v_mov_b32_e32 v32, 0x3f317218
	v_mov_b32_e32 v94, 0x42800000
	v_mov_b32_e32 v89, 0x1f800000
	s_mov_b32 s83, 0
                                        ; implicit-def: $vgpr2_vgpr3
	v_cmp_eq_u32_e64 s[20:21], 0, v0
	scratch_store_dword off, v1, off offset:244 ; 4-byte Folded Spill
                                        ; implicit-def: $vgpr1
	scratch_store_dwordx4 off, v[2:5], off offset:120 ; 16-byte Folded Spill
                                        ; implicit-def: $vgpr2_vgpr3
	scratch_store_dwordx4 off, v[2:5], off offset:104 ; 16-byte Folded Spill
                                        ; implicit-def: $vgpr2_vgpr3
	scratch_store_dwordx4 off, v[2:5], off offset:56 ; 16-byte Folded Spill
                                        ; implicit-def: $vgpr38_vgpr39
                                        ; implicit-def: $vgpr2_vgpr3
	scratch_store_dwordx4 off, v[2:5], off offset:88 ; 16-byte Folded Spill
                                        ; implicit-def: $vgpr2_vgpr3
	scratch_store_dwordx4 off, v[2:5], off offset:72 ; 16-byte Folded Spill
	s_branch .LBB113_12
.LBB113_11:                             ;   in Loop: Header=BB113_12 Depth=1
	s_or_b64 exec, exec, s[22:23]
	scratch_load_dword v27, off, off        ; 4-byte Folded Reload
	scratch_load_dword v28, off, off offset:4 ; 4-byte Folded Reload
	v_mov_b32_e32 v24, 0x7f800000
	s_add_u32 s72, s72, 0x800
	s_addc_u32 s73, s73, 0
	s_add_u32 s70, s70, 0x800
	s_addc_u32 s71, s71, 0
	;; [unrolled: 2-line block ×4, first 2 shown]
	s_add_i32 s83, s83, 1
	v_mov_b32_e32 v31, 0x7f800000
	s_waitcnt vmcnt(1)
	ds_write2_b64 v27, v[6:7], v[8:9] offset1:1
	s_waitcnt vmcnt(0)
	ds_write_b128 v28, v[2:5] offset:1024
	; wave barrier
	scratch_load_dword v29, off, off offset:8 ; 4-byte Folded Reload
	s_waitcnt vmcnt(0)
	ds_read_b128 v[16:19], v29
	ds_read_b128 v[34:37], v29 offset:16
	s_waitcnt lgkmcnt(1)
	v_cvt_f32_f16_e32 v6, v16
	v_cvt_f32_f16_sdwa v7, v16 dst_sel:DWORD dst_unused:UNUSED_PAD src0_sel:WORD_1
	v_cvt_f32_f16_e32 v9, v17
	v_cvt_f32_f16_sdwa v8, v17 dst_sel:DWORD dst_unused:UNUSED_PAD src0_sel:WORD_1
	v_mul_f32_e32 v2, 0xbfb8aa3b, v6
	v_rndne_f32_e32 v3, v2
	v_fma_mix_f32 v4, v16, s0, -v2 op_sel_hi:[1,0,0]
	v_sub_f32_e32 v2, v2, v3
	v_fma_mix_f32 v4, v16, s1, v4 op_sel_hi:[1,0,0]
	v_cvt_i32_f32_e32 v3, v3
	v_add_f32_e32 v2, v2, v4
	v_exp_f32_e32 v2, v2
	v_cmp_nlt_f32_e32 vcc, s56, v6
	scratch_store_dwordx4 off, v[16:19], off offset:120 ; 16-byte Folded Spill
	s_waitcnt lgkmcnt(0)
	scratch_store_dwordx4 off, v[34:37], off offset:104 ; 16-byte Folded Spill
	v_ldexp_f32 v2, v2, v3
	v_mul_f32_e32 v3, 0xbfb8aa3b, v7
	v_rndne_f32_e32 v4, v3
	v_sub_f32_e32 v5, v3, v4
	v_fma_mix_f32 v3, v16, s0, -v3 op_sel:[1,0,0] op_sel_hi:[1,0,0]
	v_cvt_i32_f32_e32 v4, v4
	v_fma_mix_f32 v3, v16, s1, v3 op_sel:[1,0,0] op_sel_hi:[1,0,0]
	v_cndmask_b32_e32 v2, 0, v2, vcc
	v_add_f32_e32 v3, v5, v3
	v_exp_f32_e32 v3, v3
	v_cmp_ngt_f32_e32 vcc, s57, v6
	s_waitcnt lgkmcnt(0)
	; wave barrier
	v_ldexp_f32 v3, v3, v4
	v_mul_f32_e32 v4, 0xbfb8aa3b, v9
	v_rndne_f32_e32 v5, v4
	v_sub_f32_e32 v10, v4, v5
	v_fma_mix_f32 v4, v17, s0, -v4 op_sel_hi:[1,0,0]
	v_cvt_i32_f32_e32 v5, v5
	v_fma_mix_f32 v4, v17, s1, v4 op_sel_hi:[1,0,0]
	v_cndmask_b32_e32 v2, v24, v2, vcc
	v_add_f32_e32 v4, v10, v4
	v_exp_f32_e32 v4, v4
	v_cmp_nlt_f32_e32 vcc, s56, v7
	v_ldexp_f32 v4, v4, v5
	v_mul_f32_e32 v5, 0xbfb8aa3b, v8
	v_rndne_f32_e32 v10, v5
	v_sub_f32_e32 v11, v5, v10
	v_fma_mix_f32 v5, v17, s0, -v5 op_sel:[1,0,0] op_sel_hi:[1,0,0]
	v_cvt_i32_f32_e32 v10, v10
	v_fma_mix_f32 v5, v17, s1, v5 op_sel:[1,0,0] op_sel_hi:[1,0,0]
	v_cndmask_b32_e32 v3, 0, v3, vcc
	v_add_f32_e32 v5, v11, v5
	v_exp_f32_e32 v5, v5
	v_cmp_ngt_f32_e32 vcc, s57, v7
	v_ldexp_f32 v5, v5, v10
	s_nop 0
	v_cndmask_b32_e32 v3, v24, v3, vcc
	v_pk_add_f32 v[2:3], v[2:3], 1.0 op_sel_hi:[1,0]
	v_cmp_nlt_f32_e32 vcc, s56, v9
	v_div_scale_f32 v10, s[22:23], v3, v3, v7
	v_rcp_f32_e32 v11, v10
	v_cndmask_b32_e32 v4, 0, v4, vcc
	v_cmp_ngt_f32_e32 vcc, s57, v9
	v_fma_f32 v12, -v10, v11, 1.0
	s_nop 0
	v_cndmask_b32_e32 v4, v24, v4, vcc
	v_cmp_nlt_f32_e32 vcc, s56, v8
	v_fmac_f32_e32 v11, v12, v11
	s_nop 0
	v_cndmask_b32_e32 v5, 0, v5, vcc
	v_cmp_ngt_f32_e32 vcc, s57, v8
	s_nop 1
	v_cndmask_b32_e32 v5, v24, v5, vcc
	v_div_scale_f32 v12, vcc, v7, v3, v7
	v_mul_f32_e32 v13, v12, v11
	v_fma_f32 v14, -v10, v13, v12
	v_fmac_f32_e32 v13, v14, v11
	v_fma_f32 v10, -v10, v13, v12
	v_div_scale_f32 v12, s[22:23], v2, v2, v6
	v_rcp_f32_e32 v14, v12
	v_div_fmas_f32 v10, v10, v11, v13
	v_div_fixup_f32 v3, v10, v3, v7
	v_pk_add_f32 v[4:5], v[4:5], 1.0 op_sel_hi:[1,0]
	v_fma_f32 v7, -v12, v14, 1.0
	v_fmac_f32_e32 v14, v7, v14
	v_div_scale_f32 v7, vcc, v6, v2, v6
	v_mul_f32_e32 v10, v7, v14
	v_fma_f32 v11, -v12, v10, v7
	v_fmac_f32_e32 v10, v11, v14
	v_div_scale_f32 v11, s[22:23], v5, v5, v8
	v_fma_f32 v7, -v12, v10, v7
	v_rcp_f32_e32 v12, v11
	v_div_fmas_f32 v7, v7, v14, v10
	v_div_fixup_f32 v2, v7, v2, v6
	v_pk_mul_f32 v[2:3], v[62:63], v[2:3]
	v_fma_f32 v6, -v11, v12, 1.0
	v_fmac_f32_e32 v12, v6, v12
	v_div_scale_f32 v6, vcc, v8, v5, v8
	v_mul_f32_e32 v7, v6, v12
	v_fma_f32 v10, -v11, v7, v6
	v_fmac_f32_e32 v7, v10, v12
	v_div_scale_f32 v10, s[22:23], v4, v4, v9
	v_fma_f32 v6, -v11, v7, v6
	v_rcp_f32_e32 v11, v10
	v_div_fmas_f32 v6, v6, v12, v7
	v_div_fixup_f32 v5, v6, v5, v8
	v_cvt_f32_f16_e32 v13, v19
	v_fma_f32 v6, -v10, v11, 1.0
	v_fmac_f32_e32 v11, v6, v11
	v_div_scale_f32 v6, vcc, v9, v4, v9
	v_mul_f32_e32 v7, v6, v11
	v_fma_f32 v8, -v10, v7, v6
	v_fmac_f32_e32 v7, v8, v11
	v_fma_f32 v6, -v10, v7, v6
	v_cvt_f32_f16_e32 v10, v18
	v_div_fmas_f32 v6, v6, v11, v7
	v_div_fixup_f32 v4, v6, v4, v9
	v_cvt_f16_f32_e32 v7, v2
	v_mul_f32_e32 v2, 0xbfb8aa3b, v10
	v_pk_mul_f32 v[4:5], v[64:65], v[4:5]
	v_cvt_f16_f32_e32 v6, v3
	v_rndne_f32_e32 v3, v2
	v_cvt_f16_f32_e32 v9, v4
	v_sub_f32_e32 v4, v2, v3
	v_fma_mix_f32 v2, v18, s0, -v2 op_sel_hi:[1,0,0]
	v_cvt_i32_f32_e32 v3, v3
	v_fma_mix_f32 v2, v18, s1, v2 op_sel_hi:[1,0,0]
	v_cvt_f32_f16_sdwa v11, v18 dst_sel:DWORD dst_unused:UNUSED_PAD src0_sel:WORD_1
	v_add_f32_e32 v2, v4, v2
	v_exp_f32_e32 v2, v2
	v_cvt_f16_f32_e32 v8, v5
	v_cvt_f32_f16_sdwa v12, v19 dst_sel:DWORD dst_unused:UNUSED_PAD src0_sel:WORD_1
	v_cmp_nlt_f32_e32 vcc, s56, v10
	v_ldexp_f32 v2, v2, v3
	v_mul_f32_e32 v3, 0xbfb8aa3b, v11
	v_rndne_f32_e32 v4, v3
	v_sub_f32_e32 v5, v3, v4
	v_fma_mix_f32 v3, v18, s0, -v3 op_sel:[1,0,0] op_sel_hi:[1,0,0]
	v_cvt_i32_f32_e32 v4, v4
	v_fma_mix_f32 v3, v18, s1, v3 op_sel:[1,0,0] op_sel_hi:[1,0,0]
	v_cndmask_b32_e32 v2, 0, v2, vcc
	v_add_f32_e32 v3, v5, v3
	v_exp_f32_e32 v3, v3
	v_cmp_ngt_f32_e32 vcc, s57, v10
	v_ldexp_f32 v3, v3, v4
	v_mul_f32_e32 v4, 0xbfb8aa3b, v13
	v_rndne_f32_e32 v5, v4
	v_sub_f32_e32 v14, v4, v5
	v_fma_mix_f32 v4, v19, s0, -v4 op_sel_hi:[1,0,0]
	v_cvt_i32_f32_e32 v5, v5
	v_fma_mix_f32 v4, v19, s1, v4 op_sel_hi:[1,0,0]
	v_cndmask_b32_e32 v2, v24, v2, vcc
	v_add_f32_e32 v4, v14, v4
	v_exp_f32_e32 v4, v4
	v_cmp_nlt_f32_e32 vcc, s56, v11
	v_ldexp_f32 v4, v4, v5
	v_mul_f32_e32 v5, 0xbfb8aa3b, v12
	v_rndne_f32_e32 v14, v5
	v_sub_f32_e32 v15, v5, v14
	v_fma_mix_f32 v5, v19, s0, -v5 op_sel:[1,0,0] op_sel_hi:[1,0,0]
	v_cvt_i32_f32_e32 v14, v14
	v_fma_mix_f32 v5, v19, s1, v5 op_sel:[1,0,0] op_sel_hi:[1,0,0]
	v_cndmask_b32_e32 v3, 0, v3, vcc
	v_add_f32_e32 v5, v15, v5
	v_exp_f32_e32 v5, v5
	v_cmp_ngt_f32_e32 vcc, s57, v11
	v_ldexp_f32 v5, v5, v14
	s_nop 0
	v_cndmask_b32_e32 v3, v24, v3, vcc
	v_pk_add_f32 v[2:3], v[2:3], 1.0 op_sel_hi:[1,0]
	v_cmp_nlt_f32_e32 vcc, s56, v13
	v_div_scale_f32 v14, s[22:23], v3, v3, v11
	v_rcp_f32_e32 v15, v14
	v_cndmask_b32_e32 v4, 0, v4, vcc
	v_cmp_ngt_f32_e32 vcc, s57, v13
	v_fma_f32 v16, -v14, v15, 1.0
	s_nop 0
	v_cndmask_b32_e32 v4, v24, v4, vcc
	v_cmp_nlt_f32_e32 vcc, s56, v12
	v_fmac_f32_e32 v15, v16, v15
	s_nop 0
	v_cndmask_b32_e32 v5, 0, v5, vcc
	v_cmp_ngt_f32_e32 vcc, s57, v12
	s_nop 1
	v_cndmask_b32_e32 v5, v24, v5, vcc
	v_div_scale_f32 v16, vcc, v11, v3, v11
	v_mul_f32_e32 v17, v16, v15
	v_fma_f32 v18, -v14, v17, v16
	v_fmac_f32_e32 v17, v18, v15
	v_fma_f32 v14, -v14, v17, v16
	v_div_scale_f32 v16, s[22:23], v2, v2, v10
	v_rcp_f32_e32 v18, v16
	v_div_fmas_f32 v14, v14, v15, v17
	v_div_fixup_f32 v3, v14, v3, v11
	v_pk_add_f32 v[4:5], v[4:5], 1.0 op_sel_hi:[1,0]
	v_fma_f32 v11, -v16, v18, 1.0
	v_fmac_f32_e32 v18, v11, v18
	v_div_scale_f32 v11, vcc, v10, v2, v10
	v_mul_f32_e32 v14, v11, v18
	v_fma_f32 v15, -v16, v14, v11
	v_fmac_f32_e32 v14, v15, v18
	v_div_scale_f32 v15, s[22:23], v5, v5, v12
	v_fma_f32 v11, -v16, v14, v11
	v_rcp_f32_e32 v16, v15
	v_div_fmas_f32 v11, v11, v18, v14
	v_div_fixup_f32 v2, v11, v2, v10
	v_cvt_f32_f16_e32 v17, v35
	v_fma_f32 v10, -v15, v16, 1.0
	v_fmac_f32_e32 v16, v10, v16
	v_div_scale_f32 v10, vcc, v12, v5, v12
	v_mul_f32_e32 v11, v10, v16
	v_fma_f32 v14, -v15, v11, v10
	v_fmac_f32_e32 v11, v14, v16
	v_div_scale_f32 v14, s[22:23], v4, v4, v13
	v_fma_f32 v10, -v15, v11, v10
	v_rcp_f32_e32 v15, v14
	v_div_fmas_f32 v10, v10, v16, v11
	v_div_fixup_f32 v5, v10, v5, v12
	v_cvt_f32_f16_sdwa v16, v35 dst_sel:DWORD dst_unused:UNUSED_PAD src0_sel:WORD_1
	v_fma_f32 v10, -v14, v15, 1.0
	v_fmac_f32_e32 v15, v10, v15
	v_div_scale_f32 v10, vcc, v13, v4, v13
	v_mul_f32_e32 v11, v10, v15
	v_fma_f32 v12, -v14, v11, v10
	v_fmac_f32_e32 v11, v12, v15
	v_fma_f32 v10, -v14, v11, v10
	v_cvt_f32_f16_e32 v14, v34
	v_div_fmas_f32 v10, v10, v15, v11
	v_div_fixup_f32 v4, v10, v4, v13
	v_pk_mul_f32 v[10:11], v[60:61], v[4:5]
	v_pk_mul_f32 v[4:5], v[58:59], v[2:3]
	v_cvt_f32_f16_sdwa v15, v34 dst_sel:DWORD dst_unused:UNUSED_PAD src0_sel:WORD_1
	v_cvt_f16_f32_e32 v2, v5
	v_cvt_f16_f32_e32 v5, v10
	v_mul_f32_e32 v10, 0xbfb8aa3b, v14
	v_cvt_f16_f32_e32 v3, v4
	v_cvt_f16_f32_e32 v4, v11
	v_rndne_f32_e32 v11, v10
	v_sub_f32_e32 v12, v10, v11
	v_fma_mix_f32 v10, v34, s0, -v10 op_sel_hi:[1,0,0]
	v_cvt_i32_f32_e32 v11, v11
	v_fma_mix_f32 v10, v34, s1, v10 op_sel_hi:[1,0,0]
	v_cmp_nlt_f32_e32 vcc, s56, v14
	v_add_f32_e32 v10, v12, v10
	v_exp_f32_e32 v10, v10
	v_pack_b32_f16 v5, v5, v4
	v_pack_b32_f16 v4, v3, v2
	;; [unrolled: 1-line block ×3, first 2 shown]
	v_ldexp_f32 v10, v10, v11
	v_mul_f32_e32 v11, 0xbfb8aa3b, v15
	v_rndne_f32_e32 v12, v11
	v_sub_f32_e32 v13, v11, v12
	v_fma_mix_f32 v11, v34, s0, -v11 op_sel:[1,0,0] op_sel_hi:[1,0,0]
	v_cvt_i32_f32_e32 v12, v12
	v_fma_mix_f32 v11, v34, s1, v11 op_sel:[1,0,0] op_sel_hi:[1,0,0]
	v_cndmask_b32_e32 v10, 0, v10, vcc
	v_add_f32_e32 v11, v13, v11
	v_exp_f32_e32 v11, v11
	v_cmp_ngt_f32_e32 vcc, s57, v14
	v_pack_b32_f16 v2, v7, v6
	ds_write_b128 v29, v[2:5]
	v_ldexp_f32 v11, v11, v12
	v_mul_f32_e32 v12, 0xbfb8aa3b, v17
	v_rndne_f32_e32 v13, v12
	v_sub_f32_e32 v18, v12, v13
	v_fma_mix_f32 v12, v35, s0, -v12 op_sel_hi:[1,0,0]
	v_cvt_i32_f32_e32 v13, v13
	v_fma_mix_f32 v12, v35, s1, v12 op_sel_hi:[1,0,0]
	v_cndmask_b32_e32 v10, v24, v10, vcc
	v_add_f32_e32 v12, v18, v12
	v_exp_f32_e32 v12, v12
	v_cmp_nlt_f32_e32 vcc, s56, v15
	v_ldexp_f32 v12, v12, v13
	v_mul_f32_e32 v13, 0xbfb8aa3b, v16
	v_rndne_f32_e32 v18, v13
	v_sub_f32_e32 v19, v13, v18
	v_fma_mix_f32 v13, v35, s0, -v13 op_sel:[1,0,0] op_sel_hi:[1,0,0]
	v_cvt_i32_f32_e32 v18, v18
	v_fma_mix_f32 v13, v35, s1, v13 op_sel:[1,0,0] op_sel_hi:[1,0,0]
	v_cndmask_b32_e32 v11, 0, v11, vcc
	v_add_f32_e32 v13, v19, v13
	v_exp_f32_e32 v13, v13
	v_cmp_ngt_f32_e32 vcc, s57, v15
	v_ldexp_f32 v13, v13, v18
	s_nop 0
	v_cndmask_b32_e32 v11, v24, v11, vcc
	v_pk_add_f32 v[10:11], v[10:11], 1.0 op_sel_hi:[1,0]
	v_cmp_nlt_f32_e32 vcc, s56, v17
	v_div_scale_f32 v18, s[22:23], v11, v11, v15
	v_rcp_f32_e32 v19, v18
	v_cndmask_b32_e32 v12, 0, v12, vcc
	v_cmp_ngt_f32_e32 vcc, s57, v17
	v_fma_f32 v20, -v18, v19, 1.0
	s_nop 0
	v_cndmask_b32_e32 v12, v24, v12, vcc
	v_cmp_nlt_f32_e32 vcc, s56, v16
	v_fmac_f32_e32 v19, v20, v19
	s_nop 0
	v_cndmask_b32_e32 v13, 0, v13, vcc
	v_cmp_ngt_f32_e32 vcc, s57, v16
	s_nop 1
	v_cndmask_b32_e32 v13, v24, v13, vcc
	v_div_scale_f32 v20, vcc, v15, v11, v15
	v_mul_f32_e32 v21, v20, v19
	v_fma_f32 v22, -v18, v21, v20
	v_fmac_f32_e32 v21, v22, v19
	v_fma_f32 v18, -v18, v21, v20
	v_div_scale_f32 v20, s[22:23], v10, v10, v14
	v_rcp_f32_e32 v22, v20
	v_div_fmas_f32 v18, v18, v19, v21
	v_div_fixup_f32 v11, v18, v11, v15
	v_pk_add_f32 v[12:13], v[12:13], 1.0 op_sel_hi:[1,0]
	v_fma_f32 v15, -v20, v22, 1.0
	v_fmac_f32_e32 v22, v15, v22
	v_div_scale_f32 v15, vcc, v14, v10, v14
	v_mul_f32_e32 v18, v15, v22
	v_fma_f32 v19, -v20, v18, v15
	v_fmac_f32_e32 v18, v19, v22
	v_div_scale_f32 v19, s[22:23], v13, v13, v16
	v_fma_f32 v15, -v20, v18, v15
	v_rcp_f32_e32 v20, v19
	v_div_fmas_f32 v15, v15, v22, v18
	v_div_fixup_f32 v10, v15, v10, v14
	v_pk_mul_f32 v[10:11], v[54:55], v[10:11]
	v_fma_f32 v14, -v19, v20, 1.0
	v_fmac_f32_e32 v20, v14, v20
	v_div_scale_f32 v14, vcc, v16, v13, v16
	v_mul_f32_e32 v15, v14, v20
	v_fma_f32 v18, -v19, v15, v14
	v_fmac_f32_e32 v15, v18, v20
	v_div_scale_f32 v18, s[22:23], v12, v12, v17
	v_fma_f32 v14, -v19, v15, v14
	v_rcp_f32_e32 v19, v18
	v_div_fmas_f32 v14, v14, v20, v15
	v_div_fixup_f32 v13, v14, v13, v16
	v_cvt_f32_f16_e32 v21, v37
	v_fma_f32 v14, -v18, v19, 1.0
	v_fmac_f32_e32 v19, v14, v19
	v_div_scale_f32 v14, vcc, v17, v12, v17
	v_mul_f32_e32 v15, v14, v19
	v_fma_f32 v16, -v18, v15, v14
	v_fmac_f32_e32 v15, v16, v19
	v_fma_f32 v14, -v18, v15, v14
	v_div_fmas_f32 v14, v14, v19, v15
	v_cvt_f32_f16_e32 v15, v36
	v_div_fixup_f32 v12, v14, v12, v17
	v_cvt_f16_f32_e32 v16, v10
	v_pk_mul_f32 v[12:13], v[56:57], v[12:13]
	v_mul_f32_e32 v10, 0xbfb8aa3b, v15
	v_cvt_f16_f32_e32 v14, v11
	v_rndne_f32_e32 v11, v10
	v_cvt_f16_f32_e32 v18, v12
	v_sub_f32_e32 v12, v10, v11
	v_fma_mix_f32 v10, v36, s0, -v10 op_sel_hi:[1,0,0]
	v_cvt_i32_f32_e32 v11, v11
	v_fma_mix_f32 v10, v36, s1, v10 op_sel_hi:[1,0,0]
	v_cvt_f32_f16_sdwa v19, v36 dst_sel:DWORD dst_unused:UNUSED_PAD src0_sel:WORD_1
	v_add_f32_e32 v10, v12, v10
	v_exp_f32_e32 v10, v10
	v_cvt_f16_f32_e32 v17, v13
	v_cvt_f32_f16_sdwa v20, v37 dst_sel:DWORD dst_unused:UNUSED_PAD src0_sel:WORD_1
	v_cmp_nlt_f32_e32 vcc, s56, v15
	v_ldexp_f32 v10, v10, v11
	v_mul_f32_e32 v11, 0xbfb8aa3b, v19
	v_rndne_f32_e32 v12, v11
	v_sub_f32_e32 v13, v11, v12
	v_fma_mix_f32 v11, v36, s0, -v11 op_sel:[1,0,0] op_sel_hi:[1,0,0]
	v_cvt_i32_f32_e32 v12, v12
	v_fma_mix_f32 v11, v36, s1, v11 op_sel:[1,0,0] op_sel_hi:[1,0,0]
	v_cndmask_b32_e32 v10, 0, v10, vcc
	v_add_f32_e32 v11, v13, v11
	v_exp_f32_e32 v11, v11
	v_cmp_ngt_f32_e32 vcc, s57, v15
	v_ldexp_f32 v11, v11, v12
	v_mul_f32_e32 v12, 0xbfb8aa3b, v21
	v_rndne_f32_e32 v13, v12
	v_sub_f32_e32 v22, v12, v13
	v_fma_mix_f32 v12, v37, s0, -v12 op_sel_hi:[1,0,0]
	v_cvt_i32_f32_e32 v13, v13
	v_fma_mix_f32 v12, v37, s1, v12 op_sel_hi:[1,0,0]
	v_cndmask_b32_e32 v10, v24, v10, vcc
	v_add_f32_e32 v12, v22, v12
	v_exp_f32_e32 v12, v12
	v_cmp_nlt_f32_e32 vcc, s56, v19
	v_ldexp_f32 v12, v12, v13
	v_mul_f32_e32 v13, 0xbfb8aa3b, v20
	v_rndne_f32_e32 v22, v13
	v_sub_f32_e32 v23, v13, v22
	v_fma_mix_f32 v13, v37, s0, -v13 op_sel:[1,0,0] op_sel_hi:[1,0,0]
	v_cvt_i32_f32_e32 v22, v22
	v_fma_mix_f32 v13, v37, s1, v13 op_sel:[1,0,0] op_sel_hi:[1,0,0]
	v_cndmask_b32_e32 v11, 0, v11, vcc
	v_add_f32_e32 v13, v23, v13
	v_exp_f32_e32 v13, v13
	v_cmp_ngt_f32_e32 vcc, s57, v19
	v_ldexp_f32 v13, v13, v22
	s_nop 0
	v_cndmask_b32_e32 v11, v24, v11, vcc
	v_pk_add_f32 v[10:11], v[10:11], 1.0 op_sel_hi:[1,0]
	v_cmp_nlt_f32_e32 vcc, s56, v21
	v_div_scale_f32 v22, s[22:23], v11, v11, v19
	v_rcp_f32_e32 v23, v22
	v_cndmask_b32_e32 v12, 0, v12, vcc
	v_cmp_ngt_f32_e32 vcc, s57, v21
	s_nop 1
	v_cndmask_b32_e32 v12, v24, v12, vcc
	v_cmp_nlt_f32_e32 vcc, s56, v20
	s_nop 1
	v_cndmask_b32_e32 v13, 0, v13, vcc
	v_cmp_ngt_f32_e32 vcc, s57, v20
	s_nop 1
	v_cndmask_b32_e32 v13, v24, v13, vcc
	v_fma_f32 v24, -v22, v23, 1.0
	v_fmac_f32_e32 v23, v24, v23
	v_div_scale_f32 v24, vcc, v19, v11, v19
	v_mul_f32_e32 v25, v24, v23
	v_fma_f32 v26, -v22, v25, v24
	v_fmac_f32_e32 v25, v26, v23
	v_fma_f32 v22, -v22, v25, v24
	v_div_scale_f32 v24, s[22:23], v10, v10, v15
	v_rcp_f32_e32 v26, v24
	v_div_fmas_f32 v22, v22, v23, v25
	v_div_fixup_f32 v11, v22, v11, v19
	v_pk_add_f32 v[12:13], v[12:13], 1.0 op_sel_hi:[1,0]
	v_fma_f32 v19, -v24, v26, 1.0
	v_fmac_f32_e32 v26, v19, v26
	v_div_scale_f32 v19, vcc, v15, v10, v15
	v_mul_f32_e32 v22, v19, v26
	v_fma_f32 v23, -v24, v22, v19
	v_fmac_f32_e32 v22, v23, v26
	v_div_scale_f32 v23, s[22:23], v13, v13, v20
	v_fma_f32 v19, -v24, v22, v19
	v_rcp_f32_e32 v24, v23
	v_div_fmas_f32 v19, v19, v26, v22
	v_div_fixup_f32 v10, v19, v10, v15
	v_pk_mul_f32 v[0:1], v[0:1], v[10:11]
	v_fma_f32 v15, -v23, v24, 1.0
	v_fmac_f32_e32 v24, v15, v24
	v_div_scale_f32 v15, vcc, v20, v13, v20
	v_mul_f32_e32 v19, v15, v24
	v_fma_f32 v22, -v23, v19, v15
	v_fmac_f32_e32 v19, v22, v24
	v_div_scale_f32 v22, s[22:23], v12, v12, v21
	v_fma_f32 v15, -v23, v19, v15
	v_rcp_f32_e32 v23, v22
	v_div_fmas_f32 v15, v15, v24, v19
	v_div_fixup_f32 v13, v15, v13, v20
	v_cvt_f16_f32_e32 v1, v1
	v_fma_f32 v15, -v22, v23, 1.0
	v_fmac_f32_e32 v23, v15, v23
	v_div_scale_f32 v15, vcc, v21, v12, v21
	v_mul_f32_e32 v19, v15, v23
	v_fma_f32 v20, -v22, v19, v15
	v_fmac_f32_e32 v19, v20, v23
	v_fma_f32 v15, -v22, v19, v15
	v_div_fmas_f32 v15, v15, v23, v19
	v_div_fixup_f32 v12, v15, v12, v21
	v_pk_mul_f32 v[12:13], v[52:53], v[12:13]
	v_cvt_f16_f32_e32 v0, v0
	v_cvt_f16_f32_e32 v10, v13
	v_cvt_f16_f32_e32 v11, v12
	v_pack_b32_f16 v2, v0, v1
	v_pack_b32_f16 v1, v18, v17
	;; [unrolled: 1-line block ×4, first 2 shown]
	ds_write_b128 v29, v[0:3] offset:16
	; wave barrier
	scratch_load_dwordx2 v[8:9], off, off offset:176 ; 8-byte Folded Reload
	ds_read_b128 v[0:3], v27
	ds_read_b128 v[4:7], v28 offset:1024
	s_waitcnt lgkmcnt(1)
	v_lshrrev_b32_e32 v12, 16, v3
	v_alignbit_b32 v11, v2, v1, 16
	v_alignbit_b32 v10, v1, v0, 16
	s_waitcnt vmcnt(0)
	v_lshl_add_u64 v[8:9], s[2:3], 1, v[8:9]
	v_readlane_b32 s2, v95, 4
	s_cmp_eq_u32 s83, s2
	global_store_short v[8:9], v0, off
	v_alignbit_b32 v0, v3, v2, 16
	global_store_short v[8:9], v12, off offset:14
	global_store_dword v[8:9], v0, off offset:10
	global_store_dwordx2 v[8:9], v[10:11], off offset:2
	s_waitcnt lgkmcnt(0)
	global_store_dwordx4 v[8:9], v[4:7], off offset:1024
	s_cbranch_scc1 .LBB113_85
.LBB113_12:                             ; =>This Loop Header: Depth=1
                                        ;     Child Loop BB113_55 Depth 2
	v_lshl_add_u64 v[0:1], s[70:71], 0, v[42:43]
	s_waitcnt lgkmcnt(0)
	; wave barrier
	s_mov_b64 s[2:3], exec
	v_readlane_b32 s22, v95, 6
	v_readlane_b32 s23, v95, 7
	s_and_b64 s[22:23], s[2:3], s[22:23]
	s_mov_b64 exec, s[22:23]
	s_cbranch_execz .LBB113_14
; %bb.13:                               ;   in Loop: Header=BB113_12 Depth=1
	global_load_dwordx4 v[2:5], v[0:1], off
	s_waitcnt vmcnt(0)
	scratch_store_dwordx4 off, v[2:5], off offset:88 ; 16-byte Folded Spill
.LBB113_14:                             ;   in Loop: Header=BB113_12 Depth=1
	s_or_b64 exec, exec, s[2:3]
	s_mov_b64 s[2:3], exec
	v_readlane_b32 s22, v95, 8
	v_readlane_b32 s23, v95, 9
	s_and_b64 s[22:23], s[2:3], s[22:23]
	s_mov_b64 exec, s[22:23]
	s_cbranch_execz .LBB113_16
; %bb.15:                               ;   in Loop: Header=BB113_12 Depth=1
	global_load_dwordx4 v[0:3], v[0:1], off offset:1024
	s_waitcnt vmcnt(0)
	scratch_store_dwordx4 off, v[0:3], off offset:72 ; 16-byte Folded Spill
.LBB113_16:                             ;   in Loop: Header=BB113_12 Depth=1
	s_or_b64 exec, exec, s[2:3]
	scratch_load_dword v0, off, off         ; 4-byte Folded Reload
	scratch_load_dwordx4 v[2:5], off, off offset:88 ; 16-byte Folded Reload
	s_waitcnt vmcnt(0)
	ds_write_b128 v0, v[2:5]
	scratch_load_dword v0, off, off offset:4 ; 4-byte Folded Reload
	scratch_load_dwordx4 v[2:5], off, off offset:72 ; 16-byte Folded Reload
	s_waitcnt vmcnt(0)
	ds_write_b128 v0, v[2:5] offset:1024
	; wave barrier
	scratch_load_dword v0, off, off offset:8 ; 4-byte Folded Reload
	s_waitcnt vmcnt(0)
	ds_read_b128 v[2:5], v0
	s_waitcnt lgkmcnt(0)
	scratch_store_dwordx4 off, v[2:5], off offset:88 ; 16-byte Folded Spill
	ds_read_b128 v[0:3], v0 offset:16
	s_waitcnt lgkmcnt(0)
	scratch_store_dwordx4 off, v[0:3], off offset:72 ; 16-byte Folded Spill
	s_nop 1
	v_lshl_add_u64 v[0:1], s[72:73], 0, v[42:43]
	s_waitcnt lgkmcnt(0)
	; wave barrier
	s_mov_b64 s[2:3], exec
	v_readlane_b32 s22, v95, 6
	v_readlane_b32 s23, v95, 7
	s_and_b64 s[22:23], s[2:3], s[22:23]
	s_mov_b64 exec, s[22:23]
	s_cbranch_execz .LBB113_18
; %bb.17:                               ;   in Loop: Header=BB113_12 Depth=1
	global_load_dwordx4 v[2:5], v[0:1], off
	s_waitcnt vmcnt(0)
	scratch_store_dwordx4 off, v[2:5], off offset:56 ; 16-byte Folded Spill
.LBB113_18:                             ;   in Loop: Header=BB113_12 Depth=1
	s_or_b64 exec, exec, s[2:3]
	s_mov_b64 s[2:3], exec
	v_readlane_b32 s22, v95, 8
	v_readlane_b32 s23, v95, 9
	s_and_b64 s[22:23], s[2:3], s[22:23]
	s_mov_b64 exec, s[22:23]
	s_cbranch_execz .LBB113_20
; %bb.19:                               ;   in Loop: Header=BB113_12 Depth=1
	global_load_dwordx4 v[38:41], v[0:1], off offset:1024
.LBB113_20:                             ;   in Loop: Header=BB113_12 Depth=1
	s_or_b64 exec, exec, s[2:3]
	scratch_load_dword v0, off, off         ; 4-byte Folded Reload
	scratch_load_dwordx4 v[2:5], off, off offset:56 ; 16-byte Folded Reload
	s_mov_b32 s2, 0x41a00000
	s_waitcnt vmcnt(0)
	ds_write_b128 v0, v[2:5]
	scratch_load_dword v0, off, off offset:4 ; 4-byte Folded Reload
	s_waitcnt vmcnt(0)
	ds_write_b128 v0, v[38:41] offset:1024
	; wave barrier
	scratch_load_dword v0, off, off offset:8 ; 4-byte Folded Reload
	s_waitcnt vmcnt(0)
	ds_read_b128 v[2:5], v0
	ds_read_b128 v[38:41], v0 offset:16
	s_waitcnt lgkmcnt(1)
	v_cvt_f32_f16_e32 v0, v2
	scratch_store_dwordx4 off, v[2:5], off offset:56 ; 16-byte Folded Spill
	v_add_f32_e32 v90, s33, v0
	v_cmp_ge_f32_e32 vcc, s2, v90
	s_and_b64 s[2:3], s[80:81], vcc
	s_and_saveexec_b64 s[22:23], s[2:3]
	s_cbranch_execz .LBB113_22
; %bb.21:                               ;   in Loop: Header=BB113_12 Depth=1
	v_mul_f32_e32 v0, 0x3fb8aa3b, v90
	v_rndne_f32_e32 v1, v0
	v_sub_f32_e32 v2, v0, v1
	v_fma_f32 v0, v90, s26, -v0
	v_fmac_f32_e32 v0, 0x32a5705f, v90
	v_add_f32_e32 v0, v2, v0
	v_cvt_i32_f32_e32 v1, v1
	v_exp_f32_e32 v0, v0
	v_cmp_ngt_f32_e32 vcc, s27, v90
	v_ldexp_f32 v0, v0, v1
	s_nop 0
	v_cndmask_b32_e32 v0, 0, v0, vcc
	v_cmp_nlt_f32_e32 vcc, s28, v90
	s_nop 1
	v_cndmask_b32_e32 v16, v31, v0, vcc
	v_add_f32_e32 v2, 1.0, v16
	v_add_f32_e32 v0, -1.0, v2
	v_sub_f32_e32 v1, v0, v2
	v_add_f32_e32 v1, 1.0, v1
	v_sub_f32_e32 v0, v16, v0
	v_add_f32_e32 v3, v0, v1
	v_frexp_mant_f32_e32 v4, v2
	v_cvt_f64_f32_e32 v[0:1], v2
	v_frexp_exp_i32_f64_e32 v0, v[0:1]
	v_cmp_gt_f32_e32 vcc, s30, v4
	v_cmp_gt_f32_e64 s[2:3], s34, v16
	s_nop 0
	v_subbrev_co_u32_e32 v8, vcc, 0, v0, vcc
	v_sub_u32_e32 v0, 0, v8
	v_ldexp_f32 v1, v2, v0
	v_add_f32_e32 v2, -1.0, v1
	v_add_f32_e32 v4, 1.0, v1
	v_ldexp_f32 v0, v3, v0
	v_add_f32_e32 v3, 1.0, v2
	v_add_f32_e32 v5, -1.0, v4
	v_sub_f32_e32 v3, v1, v3
	v_sub_f32_e32 v1, v1, v5
	v_add_f32_e32 v3, v0, v3
	v_add_f32_e32 v0, v0, v1
	;; [unrolled: 1-line block ×3, first 2 shown]
	v_rcp_f32_e32 v11, v9
	v_sub_f32_e32 v1, v4, v9
	v_add_f32_e32 v10, v0, v1
	v_add_f32_e32 v1, v2, v3
	v_mul_f32_e32 v13, v1, v11
	v_sub_f32_e32 v0, v2, v1
	v_mul_f32_e32 v2, v9, v13
	v_fma_f32 v4, v13, v9, -v2
	v_fmac_f32_e32 v4, v13, v10
	v_add_f32_e32 v12, v3, v0
	v_add_f32_e32 v0, v2, v4
	v_sub_f32_e32 v3, v1, v0
	v_pk_add_f32 v[6:7], v[0:1], v[2:3] neg_lo:[0,1] neg_hi:[0,1]
	v_mov_b32_e32 v5, v0
	v_pk_add_f32 v[0:1], v[6:7], v[4:5] neg_lo:[0,1] neg_hi:[0,1]
	v_cmp_eq_f32_e32 vcc, s29, v16
	v_add_f32_e32 v1, v12, v1
	v_add_f32_e32 v0, v0, v1
	;; [unrolled: 1-line block ×3, first 2 shown]
	v_mul_f32_e32 v12, v11, v1
	v_mul_f32_e32 v2, v9, v12
	v_fma_f32 v4, v12, v9, -v2
	v_fmac_f32_e32 v4, v12, v10
	v_sub_f32_e32 v3, v3, v1
	v_add_f32_e32 v9, v0, v3
	v_add_f32_e32 v0, v2, v4
	v_sub_f32_e32 v3, v1, v0
	v_pk_add_f32 v[6:7], v[0:1], v[2:3] neg_lo:[0,1] neg_hi:[0,1]
	v_mov_b32_e32 v5, v0
	v_pk_add_f32 v[0:1], v[6:7], v[4:5] neg_lo:[0,1] neg_hi:[0,1]
	s_or_b64 vcc, s[2:3], vcc
	v_add_f32_e32 v1, v9, v1
	v_add_f32_e32 v0, v0, v1
	;; [unrolled: 1-line block ×4, first 2 shown]
	v_sub_f32_e32 v2, v1, v13
	v_mul_f32_e32 v0, v11, v0
	v_sub_f32_e32 v2, v12, v2
	v_add_f32_e32 v2, v2, v0
	v_add_f32_e32 v4, v1, v2
	v_mul_f32_e32 v5, v4, v4
	v_fmamk_f32 v0, v5, 0x3e9b6dac, v30
	v_fmaak_f32 v33, v5, v0, 0x3f2aaada
	v_cvt_f32_i32_e32 v0, v8
	v_sub_f32_e32 v1, v4, v1
	v_sub_f32_e32 v1, v2, v1
	v_ldexp_f32 v6, v1, 1
	v_mul_f32_e32 v1, v4, v5
	v_ldexp_f32 v3, v4, 1
	v_pk_mul_f32 v[4:5], v[0:1], v[32:33]
	s_nop 0
	v_fma_f32 v2, v0, s31, -v4
	v_fmac_f32_e32 v2, 0xb102e308, v0
	v_pk_add_f32 v[0:1], v[4:5], v[2:3]
	s_nop 0
	v_sub_f32_e32 v3, v1, v3
	v_sub_f32_e32 v3, v5, v3
	v_add_f32_e32 v7, v6, v3
	v_mov_b32_e32 v6, v4
	v_pk_add_f32 v[4:5], v[0:1], v[4:5] neg_lo:[0,1] neg_hi:[0,1]
	v_pk_add_f32 v[8:9], v[0:1], v[6:7]
	v_mov_b32_e32 v3, v0
	v_mov_b32_e32 v5, v9
	v_pk_add_f32 v[10:11], v[2:3], v[4:5] neg_lo:[0,1] neg_hi:[0,1]
	v_pk_add_f32 v[2:3], v[2:3], v[4:5]
	v_mov_b32_e32 v6, v7
	v_mov_b32_e32 v4, v3
	v_pk_add_f32 v[12:13], v[4:5], v[0:1] neg_lo:[0,1] neg_hi:[0,1]
	v_mov_b32_e32 v2, v9
	v_mov_b32_e32 v5, v12
	v_pk_add_f32 v[14:15], v[8:9], v[4:5] neg_lo:[0,1] neg_hi:[0,1]
	v_mov_b32_e32 v8, v1
	v_mov_b32_e32 v9, v12
	;; [unrolled: 1-line block ×3, first 2 shown]
	v_pk_add_f32 v[2:3], v[2:3], v[8:9] neg_lo:[0,1] neg_hi:[0,1]
	v_mov_b32_e32 v7, v0
	v_pk_add_f32 v[0:1], v[6:7], v[2:3] neg_lo:[0,1] neg_hi:[0,1]
	v_mov_b32_e32 v14, v10
	v_pk_add_f32 v[2:3], v[14:15], v[0:1]
	s_nop 0
	v_mov_b32_e32 v6, v3
	v_pk_add_f32 v[6:7], v[2:3], v[6:7]
	s_nop 0
	v_pk_add_f32 v[4:5], v[4:5], v[6:7]
	v_mov_b32_e32 v1, v6
	v_mov_b32_e32 v3, v4
	v_pk_add_f32 v[8:9], v[2:3], v[10:11] neg_lo:[0,1] neg_hi:[0,1]
	s_nop 0
	v_sub_f32_e32 v2, v2, v8
	v_pk_add_f32 v[0:1], v[0:1], v[8:9] neg_lo:[0,1] neg_hi:[0,1]
	v_sub_f32_e32 v2, v10, v2
	v_add_f32_e32 v0, v0, v2
	v_add_f32_e32 v0, v0, v1
	;; [unrolled: 1-line block ×3, first 2 shown]
	v_cndmask_b32_e32 v90, v0, v16, vcc
.LBB113_22:                             ;   in Loop: Header=BB113_12 Depth=1
	s_or_b64 exec, exec, s[22:23]
	scratch_load_dwordx4 v[0:3], off, off offset:56 ; 16-byte Folded Reload
	s_mov_b32 s2, 0x41a00000
	s_waitcnt vmcnt(0)
	v_cvt_f32_f16_sdwa v0, v0 dst_sel:DWORD dst_unused:UNUSED_PAD src0_sel:WORD_1
	v_add_f32_e32 v91, s33, v0
	v_cmp_ge_f32_e32 vcc, s2, v91
	s_and_b64 s[2:3], s[80:81], vcc
	s_and_saveexec_b64 s[22:23], s[2:3]
	s_cbranch_execz .LBB113_24
; %bb.23:                               ;   in Loop: Header=BB113_12 Depth=1
	v_mul_f32_e32 v0, 0x3fb8aa3b, v91
	v_rndne_f32_e32 v1, v0
	v_sub_f32_e32 v2, v0, v1
	v_fma_f32 v0, v91, s26, -v0
	v_fmac_f32_e32 v0, 0x32a5705f, v91
	v_add_f32_e32 v0, v2, v0
	v_cvt_i32_f32_e32 v1, v1
	v_exp_f32_e32 v0, v0
	v_cmp_ngt_f32_e32 vcc, s27, v91
	v_ldexp_f32 v0, v0, v1
	s_nop 0
	v_cndmask_b32_e32 v0, 0, v0, vcc
	v_cmp_nlt_f32_e32 vcc, s28, v91
	s_nop 1
	v_cndmask_b32_e32 v16, v31, v0, vcc
	v_add_f32_e32 v2, 1.0, v16
	v_add_f32_e32 v0, -1.0, v2
	v_sub_f32_e32 v1, v0, v2
	v_add_f32_e32 v1, 1.0, v1
	v_sub_f32_e32 v0, v16, v0
	v_add_f32_e32 v3, v0, v1
	v_frexp_mant_f32_e32 v4, v2
	v_cvt_f64_f32_e32 v[0:1], v2
	v_frexp_exp_i32_f64_e32 v0, v[0:1]
	v_cmp_gt_f32_e32 vcc, s30, v4
	v_cmp_gt_f32_e64 s[2:3], s34, v16
	s_nop 0
	v_subbrev_co_u32_e32 v8, vcc, 0, v0, vcc
	v_sub_u32_e32 v0, 0, v8
	v_ldexp_f32 v1, v2, v0
	v_add_f32_e32 v2, -1.0, v1
	v_add_f32_e32 v4, 1.0, v1
	v_ldexp_f32 v0, v3, v0
	v_add_f32_e32 v3, 1.0, v2
	v_add_f32_e32 v5, -1.0, v4
	v_sub_f32_e32 v3, v1, v3
	v_sub_f32_e32 v1, v1, v5
	v_add_f32_e32 v3, v0, v3
	v_add_f32_e32 v0, v0, v1
	;; [unrolled: 1-line block ×3, first 2 shown]
	v_rcp_f32_e32 v11, v9
	v_sub_f32_e32 v1, v4, v9
	v_add_f32_e32 v10, v0, v1
	v_add_f32_e32 v1, v2, v3
	v_mul_f32_e32 v13, v1, v11
	v_sub_f32_e32 v0, v2, v1
	v_mul_f32_e32 v2, v9, v13
	v_fma_f32 v4, v13, v9, -v2
	v_fmac_f32_e32 v4, v13, v10
	v_add_f32_e32 v12, v3, v0
	v_add_f32_e32 v0, v2, v4
	v_sub_f32_e32 v3, v1, v0
	v_pk_add_f32 v[6:7], v[0:1], v[2:3] neg_lo:[0,1] neg_hi:[0,1]
	v_mov_b32_e32 v5, v0
	v_pk_add_f32 v[0:1], v[6:7], v[4:5] neg_lo:[0,1] neg_hi:[0,1]
	v_cmp_eq_f32_e32 vcc, s29, v16
	v_add_f32_e32 v1, v12, v1
	v_add_f32_e32 v0, v0, v1
	;; [unrolled: 1-line block ×3, first 2 shown]
	v_mul_f32_e32 v12, v11, v1
	v_mul_f32_e32 v2, v9, v12
	v_fma_f32 v4, v12, v9, -v2
	v_fmac_f32_e32 v4, v12, v10
	v_sub_f32_e32 v3, v3, v1
	v_add_f32_e32 v9, v0, v3
	v_add_f32_e32 v0, v2, v4
	v_sub_f32_e32 v3, v1, v0
	v_pk_add_f32 v[6:7], v[0:1], v[2:3] neg_lo:[0,1] neg_hi:[0,1]
	v_mov_b32_e32 v5, v0
	v_pk_add_f32 v[0:1], v[6:7], v[4:5] neg_lo:[0,1] neg_hi:[0,1]
	s_or_b64 vcc, s[2:3], vcc
	v_add_f32_e32 v1, v9, v1
	v_add_f32_e32 v0, v0, v1
	;; [unrolled: 1-line block ×4, first 2 shown]
	v_sub_f32_e32 v2, v1, v13
	v_mul_f32_e32 v0, v11, v0
	v_sub_f32_e32 v2, v12, v2
	v_add_f32_e32 v2, v2, v0
	v_add_f32_e32 v4, v1, v2
	v_mul_f32_e32 v5, v4, v4
	v_fmamk_f32 v0, v5, 0x3e9b6dac, v30
	v_fmaak_f32 v33, v5, v0, 0x3f2aaada
	v_cvt_f32_i32_e32 v0, v8
	v_sub_f32_e32 v1, v4, v1
	v_sub_f32_e32 v1, v2, v1
	v_ldexp_f32 v6, v1, 1
	v_mul_f32_e32 v1, v4, v5
	v_ldexp_f32 v3, v4, 1
	v_pk_mul_f32 v[4:5], v[0:1], v[32:33]
	s_nop 0
	v_fma_f32 v2, v0, s31, -v4
	v_fmac_f32_e32 v2, 0xb102e308, v0
	v_pk_add_f32 v[0:1], v[4:5], v[2:3]
	s_nop 0
	v_sub_f32_e32 v3, v1, v3
	v_sub_f32_e32 v3, v5, v3
	v_add_f32_e32 v7, v6, v3
	v_mov_b32_e32 v6, v4
	v_pk_add_f32 v[4:5], v[0:1], v[4:5] neg_lo:[0,1] neg_hi:[0,1]
	v_pk_add_f32 v[8:9], v[0:1], v[6:7]
	v_mov_b32_e32 v3, v0
	v_mov_b32_e32 v5, v9
	v_pk_add_f32 v[10:11], v[2:3], v[4:5] neg_lo:[0,1] neg_hi:[0,1]
	v_pk_add_f32 v[2:3], v[2:3], v[4:5]
	v_mov_b32_e32 v6, v7
	v_mov_b32_e32 v4, v3
	v_pk_add_f32 v[12:13], v[4:5], v[0:1] neg_lo:[0,1] neg_hi:[0,1]
	v_mov_b32_e32 v2, v9
	v_mov_b32_e32 v5, v12
	v_pk_add_f32 v[14:15], v[8:9], v[4:5] neg_lo:[0,1] neg_hi:[0,1]
	v_mov_b32_e32 v8, v1
	v_mov_b32_e32 v9, v12
	;; [unrolled: 1-line block ×3, first 2 shown]
	v_pk_add_f32 v[2:3], v[2:3], v[8:9] neg_lo:[0,1] neg_hi:[0,1]
	v_mov_b32_e32 v7, v0
	v_pk_add_f32 v[0:1], v[6:7], v[2:3] neg_lo:[0,1] neg_hi:[0,1]
	v_mov_b32_e32 v14, v10
	v_pk_add_f32 v[2:3], v[14:15], v[0:1]
	s_nop 0
	v_mov_b32_e32 v6, v3
	v_pk_add_f32 v[6:7], v[2:3], v[6:7]
	s_nop 0
	v_pk_add_f32 v[4:5], v[4:5], v[6:7]
	v_mov_b32_e32 v1, v6
	v_mov_b32_e32 v3, v4
	v_pk_add_f32 v[8:9], v[2:3], v[10:11] neg_lo:[0,1] neg_hi:[0,1]
	s_nop 0
	v_sub_f32_e32 v2, v2, v8
	v_pk_add_f32 v[0:1], v[0:1], v[8:9] neg_lo:[0,1] neg_hi:[0,1]
	v_sub_f32_e32 v2, v10, v2
	v_add_f32_e32 v0, v0, v2
	v_add_f32_e32 v0, v0, v1
	;; [unrolled: 1-line block ×3, first 2 shown]
	v_cndmask_b32_e32 v91, v0, v16, vcc
.LBB113_24:                             ;   in Loop: Header=BB113_12 Depth=1
	s_or_b64 exec, exec, s[22:23]
	scratch_load_dwordx4 v[0:3], off, off offset:56 ; 16-byte Folded Reload
	s_mov_b32 s2, 0x41a00000
	s_waitcnt vmcnt(0)
	v_cvt_f32_f16_e32 v0, v1
	v_add_f32_e32 v87, s33, v0
	v_cmp_ge_f32_e32 vcc, s2, v87
	s_and_b64 s[2:3], s[80:81], vcc
	s_and_saveexec_b64 s[22:23], s[2:3]
	s_cbranch_execz .LBB113_26
; %bb.25:                               ;   in Loop: Header=BB113_12 Depth=1
	v_mul_f32_e32 v0, 0x3fb8aa3b, v87
	v_rndne_f32_e32 v1, v0
	v_sub_f32_e32 v2, v0, v1
	v_fma_f32 v0, v87, s26, -v0
	v_fmac_f32_e32 v0, 0x32a5705f, v87
	v_add_f32_e32 v0, v2, v0
	v_cvt_i32_f32_e32 v1, v1
	v_exp_f32_e32 v0, v0
	v_cmp_ngt_f32_e32 vcc, s27, v87
	v_ldexp_f32 v0, v0, v1
	s_nop 0
	v_cndmask_b32_e32 v0, 0, v0, vcc
	v_cmp_nlt_f32_e32 vcc, s28, v87
	s_nop 1
	v_cndmask_b32_e32 v16, v31, v0, vcc
	v_add_f32_e32 v2, 1.0, v16
	v_add_f32_e32 v0, -1.0, v2
	v_sub_f32_e32 v1, v0, v2
	v_add_f32_e32 v1, 1.0, v1
	v_sub_f32_e32 v0, v16, v0
	v_add_f32_e32 v3, v0, v1
	v_frexp_mant_f32_e32 v4, v2
	v_cvt_f64_f32_e32 v[0:1], v2
	v_frexp_exp_i32_f64_e32 v0, v[0:1]
	v_cmp_gt_f32_e32 vcc, s30, v4
	v_cmp_gt_f32_e64 s[2:3], s34, v16
	s_nop 0
	v_subbrev_co_u32_e32 v8, vcc, 0, v0, vcc
	v_sub_u32_e32 v0, 0, v8
	v_ldexp_f32 v1, v2, v0
	v_add_f32_e32 v2, -1.0, v1
	v_add_f32_e32 v4, 1.0, v1
	v_ldexp_f32 v0, v3, v0
	v_add_f32_e32 v3, 1.0, v2
	v_add_f32_e32 v5, -1.0, v4
	v_sub_f32_e32 v3, v1, v3
	v_sub_f32_e32 v1, v1, v5
	v_add_f32_e32 v3, v0, v3
	v_add_f32_e32 v0, v0, v1
	;; [unrolled: 1-line block ×3, first 2 shown]
	v_rcp_f32_e32 v11, v9
	v_sub_f32_e32 v1, v4, v9
	v_add_f32_e32 v10, v0, v1
	v_add_f32_e32 v1, v2, v3
	v_mul_f32_e32 v13, v1, v11
	v_sub_f32_e32 v0, v2, v1
	v_mul_f32_e32 v2, v9, v13
	v_fma_f32 v4, v13, v9, -v2
	v_fmac_f32_e32 v4, v13, v10
	v_add_f32_e32 v12, v3, v0
	v_add_f32_e32 v0, v2, v4
	v_sub_f32_e32 v3, v1, v0
	v_pk_add_f32 v[6:7], v[0:1], v[2:3] neg_lo:[0,1] neg_hi:[0,1]
	v_mov_b32_e32 v5, v0
	v_pk_add_f32 v[0:1], v[6:7], v[4:5] neg_lo:[0,1] neg_hi:[0,1]
	v_cmp_eq_f32_e32 vcc, s29, v16
	v_add_f32_e32 v1, v12, v1
	v_add_f32_e32 v0, v0, v1
	;; [unrolled: 1-line block ×3, first 2 shown]
	v_mul_f32_e32 v12, v11, v1
	v_mul_f32_e32 v2, v9, v12
	v_fma_f32 v4, v12, v9, -v2
	v_fmac_f32_e32 v4, v12, v10
	v_sub_f32_e32 v3, v3, v1
	v_add_f32_e32 v9, v0, v3
	v_add_f32_e32 v0, v2, v4
	v_sub_f32_e32 v3, v1, v0
	v_pk_add_f32 v[6:7], v[0:1], v[2:3] neg_lo:[0,1] neg_hi:[0,1]
	v_mov_b32_e32 v5, v0
	v_pk_add_f32 v[0:1], v[6:7], v[4:5] neg_lo:[0,1] neg_hi:[0,1]
	s_or_b64 vcc, s[2:3], vcc
	v_add_f32_e32 v1, v9, v1
	v_add_f32_e32 v0, v0, v1
	;; [unrolled: 1-line block ×4, first 2 shown]
	v_sub_f32_e32 v2, v1, v13
	v_mul_f32_e32 v0, v11, v0
	v_sub_f32_e32 v2, v12, v2
	v_add_f32_e32 v2, v2, v0
	v_add_f32_e32 v4, v1, v2
	v_mul_f32_e32 v5, v4, v4
	v_fmamk_f32 v0, v5, 0x3e9b6dac, v30
	v_fmaak_f32 v33, v5, v0, 0x3f2aaada
	v_cvt_f32_i32_e32 v0, v8
	v_sub_f32_e32 v1, v4, v1
	v_sub_f32_e32 v1, v2, v1
	v_ldexp_f32 v6, v1, 1
	v_mul_f32_e32 v1, v4, v5
	v_ldexp_f32 v3, v4, 1
	v_pk_mul_f32 v[4:5], v[0:1], v[32:33]
	s_nop 0
	v_fma_f32 v2, v0, s31, -v4
	v_fmac_f32_e32 v2, 0xb102e308, v0
	v_pk_add_f32 v[0:1], v[4:5], v[2:3]
	s_nop 0
	v_sub_f32_e32 v3, v1, v3
	v_sub_f32_e32 v3, v5, v3
	v_add_f32_e32 v7, v6, v3
	v_mov_b32_e32 v6, v4
	v_pk_add_f32 v[4:5], v[0:1], v[4:5] neg_lo:[0,1] neg_hi:[0,1]
	v_pk_add_f32 v[8:9], v[0:1], v[6:7]
	v_mov_b32_e32 v3, v0
	v_mov_b32_e32 v5, v9
	v_pk_add_f32 v[10:11], v[2:3], v[4:5] neg_lo:[0,1] neg_hi:[0,1]
	v_pk_add_f32 v[2:3], v[2:3], v[4:5]
	v_mov_b32_e32 v6, v7
	v_mov_b32_e32 v4, v3
	v_pk_add_f32 v[12:13], v[4:5], v[0:1] neg_lo:[0,1] neg_hi:[0,1]
	v_mov_b32_e32 v2, v9
	v_mov_b32_e32 v5, v12
	v_pk_add_f32 v[14:15], v[8:9], v[4:5] neg_lo:[0,1] neg_hi:[0,1]
	v_mov_b32_e32 v8, v1
	v_mov_b32_e32 v9, v12
	v_mov_b32_e32 v11, v3
	v_pk_add_f32 v[2:3], v[2:3], v[8:9] neg_lo:[0,1] neg_hi:[0,1]
	v_mov_b32_e32 v7, v0
	v_pk_add_f32 v[0:1], v[6:7], v[2:3] neg_lo:[0,1] neg_hi:[0,1]
	v_mov_b32_e32 v14, v10
	v_pk_add_f32 v[2:3], v[14:15], v[0:1]
	s_nop 0
	v_mov_b32_e32 v6, v3
	v_pk_add_f32 v[6:7], v[2:3], v[6:7]
	s_nop 0
	v_pk_add_f32 v[4:5], v[4:5], v[6:7]
	v_mov_b32_e32 v1, v6
	v_mov_b32_e32 v3, v4
	v_pk_add_f32 v[8:9], v[2:3], v[10:11] neg_lo:[0,1] neg_hi:[0,1]
	s_nop 0
	v_sub_f32_e32 v2, v2, v8
	v_pk_add_f32 v[0:1], v[0:1], v[8:9] neg_lo:[0,1] neg_hi:[0,1]
	v_sub_f32_e32 v2, v10, v2
	v_add_f32_e32 v0, v0, v2
	v_add_f32_e32 v0, v0, v1
	;; [unrolled: 1-line block ×3, first 2 shown]
	v_cndmask_b32_e32 v87, v0, v16, vcc
.LBB113_26:                             ;   in Loop: Header=BB113_12 Depth=1
	s_or_b64 exec, exec, s[22:23]
	scratch_load_dwordx4 v[0:3], off, off offset:56 ; 16-byte Folded Reload
	s_mov_b32 s2, 0x41a00000
	s_waitcnt vmcnt(0)
	v_cvt_f32_f16_sdwa v0, v1 dst_sel:DWORD dst_unused:UNUSED_PAD src0_sel:WORD_1
	v_add_f32_e32 v44, s33, v0
	v_cmp_ge_f32_e32 vcc, s2, v44
	s_and_b64 s[2:3], s[80:81], vcc
	s_and_saveexec_b64 s[22:23], s[2:3]
	s_cbranch_execz .LBB113_28
; %bb.27:                               ;   in Loop: Header=BB113_12 Depth=1
	v_mul_f32_e32 v0, 0x3fb8aa3b, v44
	v_rndne_f32_e32 v1, v0
	v_sub_f32_e32 v2, v0, v1
	v_fma_f32 v0, v44, s26, -v0
	v_fmac_f32_e32 v0, 0x32a5705f, v44
	v_add_f32_e32 v0, v2, v0
	v_cvt_i32_f32_e32 v1, v1
	v_exp_f32_e32 v0, v0
	v_cmp_ngt_f32_e32 vcc, s27, v44
	v_ldexp_f32 v0, v0, v1
	s_nop 0
	v_cndmask_b32_e32 v0, 0, v0, vcc
	v_cmp_nlt_f32_e32 vcc, s28, v44
	s_nop 1
	v_cndmask_b32_e32 v16, v31, v0, vcc
	v_add_f32_e32 v2, 1.0, v16
	v_add_f32_e32 v0, -1.0, v2
	v_sub_f32_e32 v1, v0, v2
	v_add_f32_e32 v1, 1.0, v1
	v_sub_f32_e32 v0, v16, v0
	v_add_f32_e32 v3, v0, v1
	v_frexp_mant_f32_e32 v4, v2
	v_cvt_f64_f32_e32 v[0:1], v2
	v_frexp_exp_i32_f64_e32 v0, v[0:1]
	v_cmp_gt_f32_e32 vcc, s30, v4
	v_cmp_gt_f32_e64 s[2:3], s34, v16
	s_nop 0
	v_subbrev_co_u32_e32 v8, vcc, 0, v0, vcc
	v_sub_u32_e32 v0, 0, v8
	v_ldexp_f32 v1, v2, v0
	v_add_f32_e32 v2, -1.0, v1
	v_add_f32_e32 v4, 1.0, v1
	v_ldexp_f32 v0, v3, v0
	v_add_f32_e32 v3, 1.0, v2
	v_add_f32_e32 v5, -1.0, v4
	v_sub_f32_e32 v3, v1, v3
	v_sub_f32_e32 v1, v1, v5
	v_add_f32_e32 v3, v0, v3
	v_add_f32_e32 v0, v0, v1
	;; [unrolled: 1-line block ×3, first 2 shown]
	v_rcp_f32_e32 v11, v9
	v_sub_f32_e32 v1, v4, v9
	v_add_f32_e32 v10, v0, v1
	v_add_f32_e32 v1, v2, v3
	v_mul_f32_e32 v13, v1, v11
	v_sub_f32_e32 v0, v2, v1
	v_mul_f32_e32 v2, v9, v13
	v_fma_f32 v4, v13, v9, -v2
	v_fmac_f32_e32 v4, v13, v10
	v_add_f32_e32 v12, v3, v0
	v_add_f32_e32 v0, v2, v4
	v_sub_f32_e32 v3, v1, v0
	v_pk_add_f32 v[6:7], v[0:1], v[2:3] neg_lo:[0,1] neg_hi:[0,1]
	v_mov_b32_e32 v5, v0
	v_pk_add_f32 v[0:1], v[6:7], v[4:5] neg_lo:[0,1] neg_hi:[0,1]
	v_cmp_eq_f32_e32 vcc, s29, v16
	v_add_f32_e32 v1, v12, v1
	v_add_f32_e32 v0, v0, v1
	;; [unrolled: 1-line block ×3, first 2 shown]
	v_mul_f32_e32 v12, v11, v1
	v_mul_f32_e32 v2, v9, v12
	v_fma_f32 v4, v12, v9, -v2
	v_fmac_f32_e32 v4, v12, v10
	v_sub_f32_e32 v3, v3, v1
	v_add_f32_e32 v9, v0, v3
	v_add_f32_e32 v0, v2, v4
	v_sub_f32_e32 v3, v1, v0
	v_pk_add_f32 v[6:7], v[0:1], v[2:3] neg_lo:[0,1] neg_hi:[0,1]
	v_mov_b32_e32 v5, v0
	v_pk_add_f32 v[0:1], v[6:7], v[4:5] neg_lo:[0,1] neg_hi:[0,1]
	s_or_b64 vcc, s[2:3], vcc
	v_add_f32_e32 v1, v9, v1
	v_add_f32_e32 v0, v0, v1
	;; [unrolled: 1-line block ×4, first 2 shown]
	v_sub_f32_e32 v2, v1, v13
	v_mul_f32_e32 v0, v11, v0
	v_sub_f32_e32 v2, v12, v2
	v_add_f32_e32 v2, v2, v0
	v_add_f32_e32 v4, v1, v2
	v_mul_f32_e32 v5, v4, v4
	v_fmamk_f32 v0, v5, 0x3e9b6dac, v30
	v_fmaak_f32 v33, v5, v0, 0x3f2aaada
	v_cvt_f32_i32_e32 v0, v8
	v_sub_f32_e32 v1, v4, v1
	v_sub_f32_e32 v1, v2, v1
	v_ldexp_f32 v6, v1, 1
	v_mul_f32_e32 v1, v4, v5
	v_ldexp_f32 v3, v4, 1
	v_pk_mul_f32 v[4:5], v[0:1], v[32:33]
	s_nop 0
	v_fma_f32 v2, v0, s31, -v4
	v_fmac_f32_e32 v2, 0xb102e308, v0
	v_pk_add_f32 v[0:1], v[4:5], v[2:3]
	s_nop 0
	v_sub_f32_e32 v3, v1, v3
	v_sub_f32_e32 v3, v5, v3
	v_add_f32_e32 v7, v6, v3
	v_mov_b32_e32 v6, v4
	v_pk_add_f32 v[4:5], v[0:1], v[4:5] neg_lo:[0,1] neg_hi:[0,1]
	v_pk_add_f32 v[8:9], v[0:1], v[6:7]
	v_mov_b32_e32 v3, v0
	v_mov_b32_e32 v5, v9
	v_pk_add_f32 v[10:11], v[2:3], v[4:5] neg_lo:[0,1] neg_hi:[0,1]
	v_pk_add_f32 v[2:3], v[2:3], v[4:5]
	v_mov_b32_e32 v6, v7
	v_mov_b32_e32 v4, v3
	v_pk_add_f32 v[12:13], v[4:5], v[0:1] neg_lo:[0,1] neg_hi:[0,1]
	v_mov_b32_e32 v2, v9
	v_mov_b32_e32 v5, v12
	v_pk_add_f32 v[14:15], v[8:9], v[4:5] neg_lo:[0,1] neg_hi:[0,1]
	v_mov_b32_e32 v8, v1
	v_mov_b32_e32 v9, v12
	;; [unrolled: 1-line block ×3, first 2 shown]
	v_pk_add_f32 v[2:3], v[2:3], v[8:9] neg_lo:[0,1] neg_hi:[0,1]
	v_mov_b32_e32 v7, v0
	v_pk_add_f32 v[0:1], v[6:7], v[2:3] neg_lo:[0,1] neg_hi:[0,1]
	v_mov_b32_e32 v14, v10
	v_pk_add_f32 v[2:3], v[14:15], v[0:1]
	s_nop 0
	v_mov_b32_e32 v6, v3
	v_pk_add_f32 v[6:7], v[2:3], v[6:7]
	s_nop 0
	v_pk_add_f32 v[4:5], v[4:5], v[6:7]
	v_mov_b32_e32 v1, v6
	v_mov_b32_e32 v3, v4
	v_pk_add_f32 v[8:9], v[2:3], v[10:11] neg_lo:[0,1] neg_hi:[0,1]
	s_nop 0
	v_sub_f32_e32 v2, v2, v8
	v_pk_add_f32 v[0:1], v[0:1], v[8:9] neg_lo:[0,1] neg_hi:[0,1]
	v_sub_f32_e32 v2, v10, v2
	v_add_f32_e32 v0, v0, v2
	v_add_f32_e32 v0, v0, v1
	;; [unrolled: 1-line block ×3, first 2 shown]
	v_cndmask_b32_e32 v44, v0, v16, vcc
.LBB113_28:                             ;   in Loop: Header=BB113_12 Depth=1
	s_or_b64 exec, exec, s[22:23]
	scratch_load_dwordx4 v[0:3], off, off offset:56 ; 16-byte Folded Reload
	s_mov_b32 s2, 0x41a00000
	s_waitcnt vmcnt(0)
	v_cvt_f32_f16_e32 v0, v2
	v_add_f32_e32 v45, s33, v0
	v_cmp_ge_f32_e32 vcc, s2, v45
	s_and_b64 s[2:3], s[80:81], vcc
	s_and_saveexec_b64 s[22:23], s[2:3]
	s_cbranch_execz .LBB113_30
; %bb.29:                               ;   in Loop: Header=BB113_12 Depth=1
	v_mul_f32_e32 v0, 0x3fb8aa3b, v45
	v_rndne_f32_e32 v1, v0
	v_sub_f32_e32 v2, v0, v1
	v_fma_f32 v0, v45, s26, -v0
	v_fmac_f32_e32 v0, 0x32a5705f, v45
	v_add_f32_e32 v0, v2, v0
	v_cvt_i32_f32_e32 v1, v1
	v_exp_f32_e32 v0, v0
	v_cmp_ngt_f32_e32 vcc, s27, v45
	v_ldexp_f32 v0, v0, v1
	s_nop 0
	v_cndmask_b32_e32 v0, 0, v0, vcc
	v_cmp_nlt_f32_e32 vcc, s28, v45
	s_nop 1
	v_cndmask_b32_e32 v16, v31, v0, vcc
	v_add_f32_e32 v2, 1.0, v16
	v_add_f32_e32 v0, -1.0, v2
	v_sub_f32_e32 v1, v0, v2
	v_add_f32_e32 v1, 1.0, v1
	v_sub_f32_e32 v0, v16, v0
	v_add_f32_e32 v3, v0, v1
	v_frexp_mant_f32_e32 v4, v2
	v_cvt_f64_f32_e32 v[0:1], v2
	v_frexp_exp_i32_f64_e32 v0, v[0:1]
	v_cmp_gt_f32_e32 vcc, s30, v4
	v_cmp_gt_f32_e64 s[2:3], s34, v16
	s_nop 0
	v_subbrev_co_u32_e32 v8, vcc, 0, v0, vcc
	v_sub_u32_e32 v0, 0, v8
	v_ldexp_f32 v1, v2, v0
	v_add_f32_e32 v2, -1.0, v1
	v_add_f32_e32 v4, 1.0, v1
	v_ldexp_f32 v0, v3, v0
	v_add_f32_e32 v3, 1.0, v2
	v_add_f32_e32 v5, -1.0, v4
	v_sub_f32_e32 v3, v1, v3
	v_sub_f32_e32 v1, v1, v5
	v_add_f32_e32 v3, v0, v3
	v_add_f32_e32 v0, v0, v1
	;; [unrolled: 1-line block ×3, first 2 shown]
	v_rcp_f32_e32 v11, v9
	v_sub_f32_e32 v1, v4, v9
	v_add_f32_e32 v10, v0, v1
	v_add_f32_e32 v1, v2, v3
	v_mul_f32_e32 v13, v1, v11
	v_sub_f32_e32 v0, v2, v1
	v_mul_f32_e32 v2, v9, v13
	v_fma_f32 v4, v13, v9, -v2
	v_fmac_f32_e32 v4, v13, v10
	v_add_f32_e32 v12, v3, v0
	v_add_f32_e32 v0, v2, v4
	v_sub_f32_e32 v3, v1, v0
	v_pk_add_f32 v[6:7], v[0:1], v[2:3] neg_lo:[0,1] neg_hi:[0,1]
	v_mov_b32_e32 v5, v0
	v_pk_add_f32 v[0:1], v[6:7], v[4:5] neg_lo:[0,1] neg_hi:[0,1]
	v_cmp_eq_f32_e32 vcc, s29, v16
	v_add_f32_e32 v1, v12, v1
	v_add_f32_e32 v0, v0, v1
	;; [unrolled: 1-line block ×3, first 2 shown]
	v_mul_f32_e32 v12, v11, v1
	v_mul_f32_e32 v2, v9, v12
	v_fma_f32 v4, v12, v9, -v2
	v_fmac_f32_e32 v4, v12, v10
	v_sub_f32_e32 v3, v3, v1
	v_add_f32_e32 v9, v0, v3
	v_add_f32_e32 v0, v2, v4
	v_sub_f32_e32 v3, v1, v0
	v_pk_add_f32 v[6:7], v[0:1], v[2:3] neg_lo:[0,1] neg_hi:[0,1]
	v_mov_b32_e32 v5, v0
	v_pk_add_f32 v[0:1], v[6:7], v[4:5] neg_lo:[0,1] neg_hi:[0,1]
	s_or_b64 vcc, s[2:3], vcc
	v_add_f32_e32 v1, v9, v1
	v_add_f32_e32 v0, v0, v1
	;; [unrolled: 1-line block ×4, first 2 shown]
	v_sub_f32_e32 v2, v1, v13
	v_mul_f32_e32 v0, v11, v0
	v_sub_f32_e32 v2, v12, v2
	v_add_f32_e32 v2, v2, v0
	v_add_f32_e32 v4, v1, v2
	v_mul_f32_e32 v5, v4, v4
	v_fmamk_f32 v0, v5, 0x3e9b6dac, v30
	v_fmaak_f32 v33, v5, v0, 0x3f2aaada
	v_cvt_f32_i32_e32 v0, v8
	v_sub_f32_e32 v1, v4, v1
	v_sub_f32_e32 v1, v2, v1
	v_ldexp_f32 v6, v1, 1
	v_mul_f32_e32 v1, v4, v5
	v_ldexp_f32 v3, v4, 1
	v_pk_mul_f32 v[4:5], v[0:1], v[32:33]
	s_nop 0
	v_fma_f32 v2, v0, s31, -v4
	v_fmac_f32_e32 v2, 0xb102e308, v0
	v_pk_add_f32 v[0:1], v[4:5], v[2:3]
	s_nop 0
	v_sub_f32_e32 v3, v1, v3
	v_sub_f32_e32 v3, v5, v3
	v_add_f32_e32 v7, v6, v3
	v_mov_b32_e32 v6, v4
	v_pk_add_f32 v[4:5], v[0:1], v[4:5] neg_lo:[0,1] neg_hi:[0,1]
	v_pk_add_f32 v[8:9], v[0:1], v[6:7]
	v_mov_b32_e32 v3, v0
	v_mov_b32_e32 v5, v9
	v_pk_add_f32 v[10:11], v[2:3], v[4:5] neg_lo:[0,1] neg_hi:[0,1]
	v_pk_add_f32 v[2:3], v[2:3], v[4:5]
	v_mov_b32_e32 v6, v7
	v_mov_b32_e32 v4, v3
	v_pk_add_f32 v[12:13], v[4:5], v[0:1] neg_lo:[0,1] neg_hi:[0,1]
	v_mov_b32_e32 v2, v9
	v_mov_b32_e32 v5, v12
	v_pk_add_f32 v[14:15], v[8:9], v[4:5] neg_lo:[0,1] neg_hi:[0,1]
	v_mov_b32_e32 v8, v1
	v_mov_b32_e32 v9, v12
	;; [unrolled: 1-line block ×3, first 2 shown]
	v_pk_add_f32 v[2:3], v[2:3], v[8:9] neg_lo:[0,1] neg_hi:[0,1]
	v_mov_b32_e32 v7, v0
	v_pk_add_f32 v[0:1], v[6:7], v[2:3] neg_lo:[0,1] neg_hi:[0,1]
	v_mov_b32_e32 v14, v10
	v_pk_add_f32 v[2:3], v[14:15], v[0:1]
	s_nop 0
	v_mov_b32_e32 v6, v3
	v_pk_add_f32 v[6:7], v[2:3], v[6:7]
	s_nop 0
	v_pk_add_f32 v[4:5], v[4:5], v[6:7]
	v_mov_b32_e32 v1, v6
	v_mov_b32_e32 v3, v4
	v_pk_add_f32 v[8:9], v[2:3], v[10:11] neg_lo:[0,1] neg_hi:[0,1]
	s_nop 0
	v_sub_f32_e32 v2, v2, v8
	v_pk_add_f32 v[0:1], v[0:1], v[8:9] neg_lo:[0,1] neg_hi:[0,1]
	v_sub_f32_e32 v2, v10, v2
	v_add_f32_e32 v0, v0, v2
	v_add_f32_e32 v0, v0, v1
	v_add_f32_e32 v0, v4, v0
	v_cndmask_b32_e32 v45, v0, v16, vcc
.LBB113_30:                             ;   in Loop: Header=BB113_12 Depth=1
	s_or_b64 exec, exec, s[22:23]
	scratch_load_dwordx4 v[0:3], off, off offset:56 ; 16-byte Folded Reload
	s_mov_b32 s2, 0x41a00000
	s_waitcnt vmcnt(0)
	v_cvt_f32_f16_sdwa v0, v2 dst_sel:DWORD dst_unused:UNUSED_PAD src0_sel:WORD_1
	v_add_f32_e32 v46, s33, v0
	v_cmp_ge_f32_e32 vcc, s2, v46
	s_and_b64 s[2:3], s[80:81], vcc
	s_and_saveexec_b64 s[22:23], s[2:3]
	s_cbranch_execz .LBB113_32
; %bb.31:                               ;   in Loop: Header=BB113_12 Depth=1
	v_mul_f32_e32 v0, 0x3fb8aa3b, v46
	v_rndne_f32_e32 v1, v0
	v_sub_f32_e32 v2, v0, v1
	v_fma_f32 v0, v46, s26, -v0
	v_fmac_f32_e32 v0, 0x32a5705f, v46
	v_add_f32_e32 v0, v2, v0
	v_cvt_i32_f32_e32 v1, v1
	v_exp_f32_e32 v0, v0
	v_cmp_ngt_f32_e32 vcc, s27, v46
	v_ldexp_f32 v0, v0, v1
	s_nop 0
	v_cndmask_b32_e32 v0, 0, v0, vcc
	v_cmp_nlt_f32_e32 vcc, s28, v46
	s_nop 1
	v_cndmask_b32_e32 v16, v31, v0, vcc
	v_add_f32_e32 v2, 1.0, v16
	v_add_f32_e32 v0, -1.0, v2
	v_sub_f32_e32 v1, v0, v2
	v_add_f32_e32 v1, 1.0, v1
	v_sub_f32_e32 v0, v16, v0
	v_add_f32_e32 v3, v0, v1
	v_frexp_mant_f32_e32 v4, v2
	v_cvt_f64_f32_e32 v[0:1], v2
	v_frexp_exp_i32_f64_e32 v0, v[0:1]
	v_cmp_gt_f32_e32 vcc, s30, v4
	v_cmp_gt_f32_e64 s[2:3], s34, v16
	s_nop 0
	v_subbrev_co_u32_e32 v8, vcc, 0, v0, vcc
	v_sub_u32_e32 v0, 0, v8
	v_ldexp_f32 v1, v2, v0
	v_add_f32_e32 v2, -1.0, v1
	v_add_f32_e32 v4, 1.0, v1
	v_ldexp_f32 v0, v3, v0
	v_add_f32_e32 v3, 1.0, v2
	v_add_f32_e32 v5, -1.0, v4
	v_sub_f32_e32 v3, v1, v3
	v_sub_f32_e32 v1, v1, v5
	v_add_f32_e32 v3, v0, v3
	v_add_f32_e32 v0, v0, v1
	;; [unrolled: 1-line block ×3, first 2 shown]
	v_rcp_f32_e32 v11, v9
	v_sub_f32_e32 v1, v4, v9
	v_add_f32_e32 v10, v0, v1
	v_add_f32_e32 v1, v2, v3
	v_mul_f32_e32 v13, v1, v11
	v_sub_f32_e32 v0, v2, v1
	v_mul_f32_e32 v2, v9, v13
	v_fma_f32 v4, v13, v9, -v2
	v_fmac_f32_e32 v4, v13, v10
	v_add_f32_e32 v12, v3, v0
	v_add_f32_e32 v0, v2, v4
	v_sub_f32_e32 v3, v1, v0
	v_pk_add_f32 v[6:7], v[0:1], v[2:3] neg_lo:[0,1] neg_hi:[0,1]
	v_mov_b32_e32 v5, v0
	v_pk_add_f32 v[0:1], v[6:7], v[4:5] neg_lo:[0,1] neg_hi:[0,1]
	v_cmp_eq_f32_e32 vcc, s29, v16
	v_add_f32_e32 v1, v12, v1
	v_add_f32_e32 v0, v0, v1
	;; [unrolled: 1-line block ×3, first 2 shown]
	v_mul_f32_e32 v12, v11, v1
	v_mul_f32_e32 v2, v9, v12
	v_fma_f32 v4, v12, v9, -v2
	v_fmac_f32_e32 v4, v12, v10
	v_sub_f32_e32 v3, v3, v1
	v_add_f32_e32 v9, v0, v3
	v_add_f32_e32 v0, v2, v4
	v_sub_f32_e32 v3, v1, v0
	v_pk_add_f32 v[6:7], v[0:1], v[2:3] neg_lo:[0,1] neg_hi:[0,1]
	v_mov_b32_e32 v5, v0
	v_pk_add_f32 v[0:1], v[6:7], v[4:5] neg_lo:[0,1] neg_hi:[0,1]
	s_or_b64 vcc, s[2:3], vcc
	v_add_f32_e32 v1, v9, v1
	v_add_f32_e32 v0, v0, v1
	v_add_f32_e32 v1, v13, v12
	v_add_f32_e32 v0, v3, v0
	v_sub_f32_e32 v2, v1, v13
	v_mul_f32_e32 v0, v11, v0
	v_sub_f32_e32 v2, v12, v2
	v_add_f32_e32 v2, v2, v0
	v_add_f32_e32 v4, v1, v2
	v_mul_f32_e32 v5, v4, v4
	v_fmamk_f32 v0, v5, 0x3e9b6dac, v30
	v_fmaak_f32 v33, v5, v0, 0x3f2aaada
	v_cvt_f32_i32_e32 v0, v8
	v_sub_f32_e32 v1, v4, v1
	v_sub_f32_e32 v1, v2, v1
	v_ldexp_f32 v6, v1, 1
	v_mul_f32_e32 v1, v4, v5
	v_ldexp_f32 v3, v4, 1
	v_pk_mul_f32 v[4:5], v[0:1], v[32:33]
	s_nop 0
	v_fma_f32 v2, v0, s31, -v4
	v_fmac_f32_e32 v2, 0xb102e308, v0
	v_pk_add_f32 v[0:1], v[4:5], v[2:3]
	s_nop 0
	v_sub_f32_e32 v3, v1, v3
	v_sub_f32_e32 v3, v5, v3
	v_add_f32_e32 v7, v6, v3
	v_mov_b32_e32 v6, v4
	v_pk_add_f32 v[4:5], v[0:1], v[4:5] neg_lo:[0,1] neg_hi:[0,1]
	v_pk_add_f32 v[8:9], v[0:1], v[6:7]
	v_mov_b32_e32 v3, v0
	v_mov_b32_e32 v5, v9
	v_pk_add_f32 v[10:11], v[2:3], v[4:5] neg_lo:[0,1] neg_hi:[0,1]
	v_pk_add_f32 v[2:3], v[2:3], v[4:5]
	v_mov_b32_e32 v6, v7
	v_mov_b32_e32 v4, v3
	v_pk_add_f32 v[12:13], v[4:5], v[0:1] neg_lo:[0,1] neg_hi:[0,1]
	v_mov_b32_e32 v2, v9
	v_mov_b32_e32 v5, v12
	v_pk_add_f32 v[14:15], v[8:9], v[4:5] neg_lo:[0,1] neg_hi:[0,1]
	v_mov_b32_e32 v8, v1
	v_mov_b32_e32 v9, v12
	;; [unrolled: 1-line block ×3, first 2 shown]
	v_pk_add_f32 v[2:3], v[2:3], v[8:9] neg_lo:[0,1] neg_hi:[0,1]
	v_mov_b32_e32 v7, v0
	v_pk_add_f32 v[0:1], v[6:7], v[2:3] neg_lo:[0,1] neg_hi:[0,1]
	v_mov_b32_e32 v14, v10
	v_pk_add_f32 v[2:3], v[14:15], v[0:1]
	s_nop 0
	v_mov_b32_e32 v6, v3
	v_pk_add_f32 v[6:7], v[2:3], v[6:7]
	s_nop 0
	v_pk_add_f32 v[4:5], v[4:5], v[6:7]
	v_mov_b32_e32 v1, v6
	v_mov_b32_e32 v3, v4
	v_pk_add_f32 v[8:9], v[2:3], v[10:11] neg_lo:[0,1] neg_hi:[0,1]
	s_nop 0
	v_sub_f32_e32 v2, v2, v8
	v_pk_add_f32 v[0:1], v[0:1], v[8:9] neg_lo:[0,1] neg_hi:[0,1]
	v_sub_f32_e32 v2, v10, v2
	v_add_f32_e32 v0, v0, v2
	v_add_f32_e32 v0, v0, v1
	;; [unrolled: 1-line block ×3, first 2 shown]
	v_cndmask_b32_e32 v46, v0, v16, vcc
.LBB113_32:                             ;   in Loop: Header=BB113_12 Depth=1
	s_or_b64 exec, exec, s[22:23]
	scratch_load_dwordx4 v[0:3], off, off offset:56 ; 16-byte Folded Reload
	s_mov_b32 s2, 0x41a00000
	s_waitcnt vmcnt(0)
	v_cvt_f32_f16_e32 v0, v3
	v_add_f32_e32 v47, s33, v0
	v_cmp_ge_f32_e32 vcc, s2, v47
	s_and_b64 s[2:3], s[80:81], vcc
	s_and_saveexec_b64 s[22:23], s[2:3]
	s_cbranch_execz .LBB113_34
; %bb.33:                               ;   in Loop: Header=BB113_12 Depth=1
	v_mul_f32_e32 v0, 0x3fb8aa3b, v47
	v_rndne_f32_e32 v1, v0
	v_sub_f32_e32 v2, v0, v1
	v_fma_f32 v0, v47, s26, -v0
	v_fmac_f32_e32 v0, 0x32a5705f, v47
	v_add_f32_e32 v0, v2, v0
	v_cvt_i32_f32_e32 v1, v1
	v_exp_f32_e32 v0, v0
	v_cmp_ngt_f32_e32 vcc, s27, v47
	v_ldexp_f32 v0, v0, v1
	s_nop 0
	v_cndmask_b32_e32 v0, 0, v0, vcc
	v_cmp_nlt_f32_e32 vcc, s28, v47
	s_nop 1
	v_cndmask_b32_e32 v16, v31, v0, vcc
	v_add_f32_e32 v2, 1.0, v16
	v_add_f32_e32 v0, -1.0, v2
	v_sub_f32_e32 v1, v0, v2
	v_add_f32_e32 v1, 1.0, v1
	v_sub_f32_e32 v0, v16, v0
	v_add_f32_e32 v3, v0, v1
	v_frexp_mant_f32_e32 v4, v2
	v_cvt_f64_f32_e32 v[0:1], v2
	v_frexp_exp_i32_f64_e32 v0, v[0:1]
	v_cmp_gt_f32_e32 vcc, s30, v4
	v_cmp_gt_f32_e64 s[2:3], s34, v16
	s_nop 0
	v_subbrev_co_u32_e32 v8, vcc, 0, v0, vcc
	v_sub_u32_e32 v0, 0, v8
	v_ldexp_f32 v1, v2, v0
	v_add_f32_e32 v2, -1.0, v1
	v_add_f32_e32 v4, 1.0, v1
	v_ldexp_f32 v0, v3, v0
	v_add_f32_e32 v3, 1.0, v2
	v_add_f32_e32 v5, -1.0, v4
	v_sub_f32_e32 v3, v1, v3
	v_sub_f32_e32 v1, v1, v5
	v_add_f32_e32 v3, v0, v3
	v_add_f32_e32 v0, v0, v1
	;; [unrolled: 1-line block ×3, first 2 shown]
	v_rcp_f32_e32 v11, v9
	v_sub_f32_e32 v1, v4, v9
	v_add_f32_e32 v10, v0, v1
	v_add_f32_e32 v1, v2, v3
	v_mul_f32_e32 v13, v1, v11
	v_sub_f32_e32 v0, v2, v1
	v_mul_f32_e32 v2, v9, v13
	v_fma_f32 v4, v13, v9, -v2
	v_fmac_f32_e32 v4, v13, v10
	v_add_f32_e32 v12, v3, v0
	v_add_f32_e32 v0, v2, v4
	v_sub_f32_e32 v3, v1, v0
	v_pk_add_f32 v[6:7], v[0:1], v[2:3] neg_lo:[0,1] neg_hi:[0,1]
	v_mov_b32_e32 v5, v0
	v_pk_add_f32 v[0:1], v[6:7], v[4:5] neg_lo:[0,1] neg_hi:[0,1]
	v_cmp_eq_f32_e32 vcc, s29, v16
	v_add_f32_e32 v1, v12, v1
	v_add_f32_e32 v0, v0, v1
	;; [unrolled: 1-line block ×3, first 2 shown]
	v_mul_f32_e32 v12, v11, v1
	v_mul_f32_e32 v2, v9, v12
	v_fma_f32 v4, v12, v9, -v2
	v_fmac_f32_e32 v4, v12, v10
	v_sub_f32_e32 v3, v3, v1
	v_add_f32_e32 v9, v0, v3
	v_add_f32_e32 v0, v2, v4
	v_sub_f32_e32 v3, v1, v0
	v_pk_add_f32 v[6:7], v[0:1], v[2:3] neg_lo:[0,1] neg_hi:[0,1]
	v_mov_b32_e32 v5, v0
	v_pk_add_f32 v[0:1], v[6:7], v[4:5] neg_lo:[0,1] neg_hi:[0,1]
	s_or_b64 vcc, s[2:3], vcc
	v_add_f32_e32 v1, v9, v1
	v_add_f32_e32 v0, v0, v1
	;; [unrolled: 1-line block ×4, first 2 shown]
	v_sub_f32_e32 v2, v1, v13
	v_mul_f32_e32 v0, v11, v0
	v_sub_f32_e32 v2, v12, v2
	v_add_f32_e32 v2, v2, v0
	v_add_f32_e32 v4, v1, v2
	v_mul_f32_e32 v5, v4, v4
	v_fmamk_f32 v0, v5, 0x3e9b6dac, v30
	v_fmaak_f32 v33, v5, v0, 0x3f2aaada
	v_cvt_f32_i32_e32 v0, v8
	v_sub_f32_e32 v1, v4, v1
	v_sub_f32_e32 v1, v2, v1
	v_ldexp_f32 v6, v1, 1
	v_mul_f32_e32 v1, v4, v5
	v_ldexp_f32 v3, v4, 1
	v_pk_mul_f32 v[4:5], v[0:1], v[32:33]
	s_nop 0
	v_fma_f32 v2, v0, s31, -v4
	v_fmac_f32_e32 v2, 0xb102e308, v0
	v_pk_add_f32 v[0:1], v[4:5], v[2:3]
	s_nop 0
	v_sub_f32_e32 v3, v1, v3
	v_sub_f32_e32 v3, v5, v3
	v_add_f32_e32 v7, v6, v3
	v_mov_b32_e32 v6, v4
	v_pk_add_f32 v[4:5], v[0:1], v[4:5] neg_lo:[0,1] neg_hi:[0,1]
	v_pk_add_f32 v[8:9], v[0:1], v[6:7]
	v_mov_b32_e32 v3, v0
	v_mov_b32_e32 v5, v9
	v_pk_add_f32 v[10:11], v[2:3], v[4:5] neg_lo:[0,1] neg_hi:[0,1]
	v_pk_add_f32 v[2:3], v[2:3], v[4:5]
	v_mov_b32_e32 v6, v7
	v_mov_b32_e32 v4, v3
	v_pk_add_f32 v[12:13], v[4:5], v[0:1] neg_lo:[0,1] neg_hi:[0,1]
	v_mov_b32_e32 v2, v9
	v_mov_b32_e32 v5, v12
	v_pk_add_f32 v[14:15], v[8:9], v[4:5] neg_lo:[0,1] neg_hi:[0,1]
	v_mov_b32_e32 v8, v1
	v_mov_b32_e32 v9, v12
	;; [unrolled: 1-line block ×3, first 2 shown]
	v_pk_add_f32 v[2:3], v[2:3], v[8:9] neg_lo:[0,1] neg_hi:[0,1]
	v_mov_b32_e32 v7, v0
	v_pk_add_f32 v[0:1], v[6:7], v[2:3] neg_lo:[0,1] neg_hi:[0,1]
	v_mov_b32_e32 v14, v10
	v_pk_add_f32 v[2:3], v[14:15], v[0:1]
	s_nop 0
	v_mov_b32_e32 v6, v3
	v_pk_add_f32 v[6:7], v[2:3], v[6:7]
	s_nop 0
	v_pk_add_f32 v[4:5], v[4:5], v[6:7]
	v_mov_b32_e32 v1, v6
	v_mov_b32_e32 v3, v4
	v_pk_add_f32 v[8:9], v[2:3], v[10:11] neg_lo:[0,1] neg_hi:[0,1]
	s_nop 0
	v_sub_f32_e32 v2, v2, v8
	v_pk_add_f32 v[0:1], v[0:1], v[8:9] neg_lo:[0,1] neg_hi:[0,1]
	v_sub_f32_e32 v2, v10, v2
	v_add_f32_e32 v0, v0, v2
	v_add_f32_e32 v0, v0, v1
	;; [unrolled: 1-line block ×3, first 2 shown]
	v_cndmask_b32_e32 v47, v0, v16, vcc
.LBB113_34:                             ;   in Loop: Header=BB113_12 Depth=1
	s_or_b64 exec, exec, s[22:23]
	scratch_load_dwordx4 v[0:3], off, off offset:56 ; 16-byte Folded Reload
	s_mov_b32 s2, 0x41a00000
	s_waitcnt vmcnt(0)
	v_cvt_f32_f16_sdwa v0, v3 dst_sel:DWORD dst_unused:UNUSED_PAD src0_sel:WORD_1
	v_add_f32_e32 v48, s33, v0
	v_cmp_ge_f32_e32 vcc, s2, v48
	s_and_b64 s[2:3], s[80:81], vcc
	s_and_saveexec_b64 s[22:23], s[2:3]
	s_cbranch_execz .LBB113_36
; %bb.35:                               ;   in Loop: Header=BB113_12 Depth=1
	v_mul_f32_e32 v0, 0x3fb8aa3b, v48
	v_rndne_f32_e32 v1, v0
	v_sub_f32_e32 v2, v0, v1
	v_fma_f32 v0, v48, s26, -v0
	v_fmac_f32_e32 v0, 0x32a5705f, v48
	v_add_f32_e32 v0, v2, v0
	v_cvt_i32_f32_e32 v1, v1
	v_exp_f32_e32 v0, v0
	v_cmp_ngt_f32_e32 vcc, s27, v48
	v_ldexp_f32 v0, v0, v1
	s_nop 0
	v_cndmask_b32_e32 v0, 0, v0, vcc
	v_cmp_nlt_f32_e32 vcc, s28, v48
	s_nop 1
	v_cndmask_b32_e32 v16, v31, v0, vcc
	v_add_f32_e32 v2, 1.0, v16
	v_add_f32_e32 v0, -1.0, v2
	v_sub_f32_e32 v1, v0, v2
	v_add_f32_e32 v1, 1.0, v1
	v_sub_f32_e32 v0, v16, v0
	v_add_f32_e32 v3, v0, v1
	v_frexp_mant_f32_e32 v4, v2
	v_cvt_f64_f32_e32 v[0:1], v2
	v_frexp_exp_i32_f64_e32 v0, v[0:1]
	v_cmp_gt_f32_e32 vcc, s30, v4
	v_cmp_gt_f32_e64 s[2:3], s34, v16
	s_nop 0
	v_subbrev_co_u32_e32 v8, vcc, 0, v0, vcc
	v_sub_u32_e32 v0, 0, v8
	v_ldexp_f32 v1, v2, v0
	v_add_f32_e32 v2, -1.0, v1
	v_add_f32_e32 v4, 1.0, v1
	v_ldexp_f32 v0, v3, v0
	v_add_f32_e32 v3, 1.0, v2
	v_add_f32_e32 v5, -1.0, v4
	v_sub_f32_e32 v3, v1, v3
	v_sub_f32_e32 v1, v1, v5
	v_add_f32_e32 v3, v0, v3
	v_add_f32_e32 v0, v0, v1
	;; [unrolled: 1-line block ×3, first 2 shown]
	v_rcp_f32_e32 v11, v9
	v_sub_f32_e32 v1, v4, v9
	v_add_f32_e32 v10, v0, v1
	v_add_f32_e32 v1, v2, v3
	v_mul_f32_e32 v13, v1, v11
	v_sub_f32_e32 v0, v2, v1
	v_mul_f32_e32 v2, v9, v13
	v_fma_f32 v4, v13, v9, -v2
	v_fmac_f32_e32 v4, v13, v10
	v_add_f32_e32 v12, v3, v0
	v_add_f32_e32 v0, v2, v4
	v_sub_f32_e32 v3, v1, v0
	v_pk_add_f32 v[6:7], v[0:1], v[2:3] neg_lo:[0,1] neg_hi:[0,1]
	v_mov_b32_e32 v5, v0
	v_pk_add_f32 v[0:1], v[6:7], v[4:5] neg_lo:[0,1] neg_hi:[0,1]
	v_cmp_eq_f32_e32 vcc, s29, v16
	v_add_f32_e32 v1, v12, v1
	v_add_f32_e32 v0, v0, v1
	;; [unrolled: 1-line block ×3, first 2 shown]
	v_mul_f32_e32 v12, v11, v1
	v_mul_f32_e32 v2, v9, v12
	v_fma_f32 v4, v12, v9, -v2
	v_fmac_f32_e32 v4, v12, v10
	v_sub_f32_e32 v3, v3, v1
	v_add_f32_e32 v9, v0, v3
	v_add_f32_e32 v0, v2, v4
	v_sub_f32_e32 v3, v1, v0
	v_pk_add_f32 v[6:7], v[0:1], v[2:3] neg_lo:[0,1] neg_hi:[0,1]
	v_mov_b32_e32 v5, v0
	v_pk_add_f32 v[0:1], v[6:7], v[4:5] neg_lo:[0,1] neg_hi:[0,1]
	s_or_b64 vcc, s[2:3], vcc
	v_add_f32_e32 v1, v9, v1
	v_add_f32_e32 v0, v0, v1
	v_add_f32_e32 v1, v13, v12
	v_add_f32_e32 v0, v3, v0
	v_sub_f32_e32 v2, v1, v13
	v_mul_f32_e32 v0, v11, v0
	v_sub_f32_e32 v2, v12, v2
	v_add_f32_e32 v2, v2, v0
	v_add_f32_e32 v4, v1, v2
	v_mul_f32_e32 v5, v4, v4
	v_fmamk_f32 v0, v5, 0x3e9b6dac, v30
	v_fmaak_f32 v33, v5, v0, 0x3f2aaada
	v_cvt_f32_i32_e32 v0, v8
	v_sub_f32_e32 v1, v4, v1
	v_sub_f32_e32 v1, v2, v1
	v_ldexp_f32 v6, v1, 1
	v_mul_f32_e32 v1, v4, v5
	v_ldexp_f32 v3, v4, 1
	v_pk_mul_f32 v[4:5], v[0:1], v[32:33]
	s_nop 0
	v_fma_f32 v2, v0, s31, -v4
	v_fmac_f32_e32 v2, 0xb102e308, v0
	v_pk_add_f32 v[0:1], v[4:5], v[2:3]
	s_nop 0
	v_sub_f32_e32 v3, v1, v3
	v_sub_f32_e32 v3, v5, v3
	v_add_f32_e32 v7, v6, v3
	v_mov_b32_e32 v6, v4
	v_pk_add_f32 v[4:5], v[0:1], v[4:5] neg_lo:[0,1] neg_hi:[0,1]
	v_pk_add_f32 v[8:9], v[0:1], v[6:7]
	v_mov_b32_e32 v3, v0
	v_mov_b32_e32 v5, v9
	v_pk_add_f32 v[10:11], v[2:3], v[4:5] neg_lo:[0,1] neg_hi:[0,1]
	v_pk_add_f32 v[2:3], v[2:3], v[4:5]
	v_mov_b32_e32 v6, v7
	v_mov_b32_e32 v4, v3
	v_pk_add_f32 v[12:13], v[4:5], v[0:1] neg_lo:[0,1] neg_hi:[0,1]
	v_mov_b32_e32 v2, v9
	v_mov_b32_e32 v5, v12
	v_pk_add_f32 v[14:15], v[8:9], v[4:5] neg_lo:[0,1] neg_hi:[0,1]
	v_mov_b32_e32 v8, v1
	v_mov_b32_e32 v9, v12
	;; [unrolled: 1-line block ×3, first 2 shown]
	v_pk_add_f32 v[2:3], v[2:3], v[8:9] neg_lo:[0,1] neg_hi:[0,1]
	v_mov_b32_e32 v7, v0
	v_pk_add_f32 v[0:1], v[6:7], v[2:3] neg_lo:[0,1] neg_hi:[0,1]
	v_mov_b32_e32 v14, v10
	v_pk_add_f32 v[2:3], v[14:15], v[0:1]
	s_nop 0
	v_mov_b32_e32 v6, v3
	v_pk_add_f32 v[6:7], v[2:3], v[6:7]
	s_nop 0
	v_pk_add_f32 v[4:5], v[4:5], v[6:7]
	v_mov_b32_e32 v1, v6
	v_mov_b32_e32 v3, v4
	v_pk_add_f32 v[8:9], v[2:3], v[10:11] neg_lo:[0,1] neg_hi:[0,1]
	s_nop 0
	v_sub_f32_e32 v2, v2, v8
	v_pk_add_f32 v[0:1], v[0:1], v[8:9] neg_lo:[0,1] neg_hi:[0,1]
	v_sub_f32_e32 v2, v10, v2
	v_add_f32_e32 v0, v0, v2
	v_add_f32_e32 v0, v0, v1
	;; [unrolled: 1-line block ×3, first 2 shown]
	v_cndmask_b32_e32 v48, v0, v16, vcc
.LBB113_36:                             ;   in Loop: Header=BB113_12 Depth=1
	s_or_b64 exec, exec, s[22:23]
	s_waitcnt lgkmcnt(0)
	v_cvt_f32_f16_e32 v0, v38
	s_mov_b32 s2, 0x41a00000
	v_add_f32_e32 v49, s33, v0
	v_cmp_ge_f32_e32 vcc, s2, v49
	s_and_b64 s[2:3], s[80:81], vcc
	s_and_saveexec_b64 s[22:23], s[2:3]
	s_cbranch_execz .LBB113_38
; %bb.37:                               ;   in Loop: Header=BB113_12 Depth=1
	v_mul_f32_e32 v0, 0x3fb8aa3b, v49
	v_rndne_f32_e32 v1, v0
	v_sub_f32_e32 v2, v0, v1
	v_fma_f32 v0, v49, s26, -v0
	v_fmac_f32_e32 v0, 0x32a5705f, v49
	v_add_f32_e32 v0, v2, v0
	v_cvt_i32_f32_e32 v1, v1
	v_exp_f32_e32 v0, v0
	v_cmp_ngt_f32_e32 vcc, s27, v49
	v_ldexp_f32 v0, v0, v1
	s_nop 0
	v_cndmask_b32_e32 v0, 0, v0, vcc
	v_cmp_nlt_f32_e32 vcc, s28, v49
	s_nop 1
	v_cndmask_b32_e32 v16, v31, v0, vcc
	v_add_f32_e32 v2, 1.0, v16
	v_add_f32_e32 v0, -1.0, v2
	v_sub_f32_e32 v1, v0, v2
	v_add_f32_e32 v1, 1.0, v1
	v_sub_f32_e32 v0, v16, v0
	v_add_f32_e32 v3, v0, v1
	v_frexp_mant_f32_e32 v4, v2
	v_cvt_f64_f32_e32 v[0:1], v2
	v_frexp_exp_i32_f64_e32 v0, v[0:1]
	v_cmp_gt_f32_e32 vcc, s30, v4
	v_cmp_gt_f32_e64 s[2:3], s34, v16
	s_nop 0
	v_subbrev_co_u32_e32 v8, vcc, 0, v0, vcc
	v_sub_u32_e32 v0, 0, v8
	v_ldexp_f32 v1, v2, v0
	v_add_f32_e32 v2, -1.0, v1
	v_add_f32_e32 v4, 1.0, v1
	v_ldexp_f32 v0, v3, v0
	v_add_f32_e32 v3, 1.0, v2
	v_add_f32_e32 v5, -1.0, v4
	v_sub_f32_e32 v3, v1, v3
	v_sub_f32_e32 v1, v1, v5
	v_add_f32_e32 v3, v0, v3
	v_add_f32_e32 v0, v0, v1
	;; [unrolled: 1-line block ×3, first 2 shown]
	v_rcp_f32_e32 v11, v9
	v_sub_f32_e32 v1, v4, v9
	v_add_f32_e32 v10, v0, v1
	v_add_f32_e32 v1, v2, v3
	v_mul_f32_e32 v13, v1, v11
	v_sub_f32_e32 v0, v2, v1
	v_mul_f32_e32 v2, v9, v13
	v_fma_f32 v4, v13, v9, -v2
	v_fmac_f32_e32 v4, v13, v10
	v_add_f32_e32 v12, v3, v0
	v_add_f32_e32 v0, v2, v4
	v_sub_f32_e32 v3, v1, v0
	v_pk_add_f32 v[6:7], v[0:1], v[2:3] neg_lo:[0,1] neg_hi:[0,1]
	v_mov_b32_e32 v5, v0
	v_pk_add_f32 v[0:1], v[6:7], v[4:5] neg_lo:[0,1] neg_hi:[0,1]
	v_cmp_eq_f32_e32 vcc, s29, v16
	v_add_f32_e32 v1, v12, v1
	v_add_f32_e32 v0, v0, v1
	;; [unrolled: 1-line block ×3, first 2 shown]
	v_mul_f32_e32 v12, v11, v1
	v_mul_f32_e32 v2, v9, v12
	v_fma_f32 v4, v12, v9, -v2
	v_fmac_f32_e32 v4, v12, v10
	v_sub_f32_e32 v3, v3, v1
	v_add_f32_e32 v9, v0, v3
	v_add_f32_e32 v0, v2, v4
	v_sub_f32_e32 v3, v1, v0
	v_pk_add_f32 v[6:7], v[0:1], v[2:3] neg_lo:[0,1] neg_hi:[0,1]
	v_mov_b32_e32 v5, v0
	v_pk_add_f32 v[0:1], v[6:7], v[4:5] neg_lo:[0,1] neg_hi:[0,1]
	s_or_b64 vcc, s[2:3], vcc
	v_add_f32_e32 v1, v9, v1
	v_add_f32_e32 v0, v0, v1
	;; [unrolled: 1-line block ×4, first 2 shown]
	v_sub_f32_e32 v2, v1, v13
	v_mul_f32_e32 v0, v11, v0
	v_sub_f32_e32 v2, v12, v2
	v_add_f32_e32 v2, v2, v0
	v_add_f32_e32 v4, v1, v2
	v_mul_f32_e32 v5, v4, v4
	v_fmamk_f32 v0, v5, 0x3e9b6dac, v30
	v_fmaak_f32 v33, v5, v0, 0x3f2aaada
	v_cvt_f32_i32_e32 v0, v8
	v_sub_f32_e32 v1, v4, v1
	v_sub_f32_e32 v1, v2, v1
	v_ldexp_f32 v6, v1, 1
	v_mul_f32_e32 v1, v4, v5
	v_ldexp_f32 v3, v4, 1
	v_pk_mul_f32 v[4:5], v[0:1], v[32:33]
	s_nop 0
	v_fma_f32 v2, v0, s31, -v4
	v_fmac_f32_e32 v2, 0xb102e308, v0
	v_pk_add_f32 v[0:1], v[4:5], v[2:3]
	s_nop 0
	v_sub_f32_e32 v3, v1, v3
	v_sub_f32_e32 v3, v5, v3
	v_add_f32_e32 v7, v6, v3
	v_mov_b32_e32 v6, v4
	v_pk_add_f32 v[4:5], v[0:1], v[4:5] neg_lo:[0,1] neg_hi:[0,1]
	v_pk_add_f32 v[8:9], v[0:1], v[6:7]
	v_mov_b32_e32 v3, v0
	v_mov_b32_e32 v5, v9
	v_pk_add_f32 v[10:11], v[2:3], v[4:5] neg_lo:[0,1] neg_hi:[0,1]
	v_pk_add_f32 v[2:3], v[2:3], v[4:5]
	v_mov_b32_e32 v6, v7
	v_mov_b32_e32 v4, v3
	v_pk_add_f32 v[12:13], v[4:5], v[0:1] neg_lo:[0,1] neg_hi:[0,1]
	v_mov_b32_e32 v2, v9
	v_mov_b32_e32 v5, v12
	v_pk_add_f32 v[14:15], v[8:9], v[4:5] neg_lo:[0,1] neg_hi:[0,1]
	v_mov_b32_e32 v8, v1
	v_mov_b32_e32 v9, v12
	;; [unrolled: 1-line block ×3, first 2 shown]
	v_pk_add_f32 v[2:3], v[2:3], v[8:9] neg_lo:[0,1] neg_hi:[0,1]
	v_mov_b32_e32 v7, v0
	v_pk_add_f32 v[0:1], v[6:7], v[2:3] neg_lo:[0,1] neg_hi:[0,1]
	v_mov_b32_e32 v14, v10
	v_pk_add_f32 v[2:3], v[14:15], v[0:1]
	s_nop 0
	v_mov_b32_e32 v6, v3
	v_pk_add_f32 v[6:7], v[2:3], v[6:7]
	s_nop 0
	v_pk_add_f32 v[4:5], v[4:5], v[6:7]
	v_mov_b32_e32 v1, v6
	v_mov_b32_e32 v3, v4
	v_pk_add_f32 v[8:9], v[2:3], v[10:11] neg_lo:[0,1] neg_hi:[0,1]
	s_nop 0
	v_sub_f32_e32 v2, v2, v8
	v_pk_add_f32 v[0:1], v[0:1], v[8:9] neg_lo:[0,1] neg_hi:[0,1]
	v_sub_f32_e32 v2, v10, v2
	v_add_f32_e32 v0, v0, v2
	v_add_f32_e32 v0, v0, v1
	;; [unrolled: 1-line block ×3, first 2 shown]
	v_cndmask_b32_e32 v49, v0, v16, vcc
.LBB113_38:                             ;   in Loop: Header=BB113_12 Depth=1
	s_or_b64 exec, exec, s[22:23]
	v_cvt_f32_f16_sdwa v0, v38 dst_sel:DWORD dst_unused:UNUSED_PAD src0_sel:WORD_1
	s_mov_b32 s2, 0x41a00000
	v_add_f32_e32 v92, s33, v0
	v_cmp_ge_f32_e32 vcc, s2, v92
	s_and_b64 s[2:3], s[80:81], vcc
	s_and_saveexec_b64 s[22:23], s[2:3]
	s_cbranch_execz .LBB113_40
; %bb.39:                               ;   in Loop: Header=BB113_12 Depth=1
	v_mul_f32_e32 v0, 0x3fb8aa3b, v92
	v_rndne_f32_e32 v1, v0
	v_sub_f32_e32 v2, v0, v1
	v_fma_f32 v0, v92, s26, -v0
	v_fmac_f32_e32 v0, 0x32a5705f, v92
	v_add_f32_e32 v0, v2, v0
	v_cvt_i32_f32_e32 v1, v1
	v_exp_f32_e32 v0, v0
	v_cmp_ngt_f32_e32 vcc, s27, v92
	v_ldexp_f32 v0, v0, v1
	s_nop 0
	v_cndmask_b32_e32 v0, 0, v0, vcc
	v_cmp_nlt_f32_e32 vcc, s28, v92
	s_nop 1
	v_cndmask_b32_e32 v16, v31, v0, vcc
	v_add_f32_e32 v2, 1.0, v16
	v_add_f32_e32 v0, -1.0, v2
	v_sub_f32_e32 v1, v0, v2
	v_add_f32_e32 v1, 1.0, v1
	v_sub_f32_e32 v0, v16, v0
	v_add_f32_e32 v3, v0, v1
	v_frexp_mant_f32_e32 v4, v2
	v_cvt_f64_f32_e32 v[0:1], v2
	v_frexp_exp_i32_f64_e32 v0, v[0:1]
	v_cmp_gt_f32_e32 vcc, s30, v4
	v_cmp_gt_f32_e64 s[2:3], s34, v16
	s_nop 0
	v_subbrev_co_u32_e32 v8, vcc, 0, v0, vcc
	v_sub_u32_e32 v0, 0, v8
	v_ldexp_f32 v1, v2, v0
	v_add_f32_e32 v2, -1.0, v1
	v_add_f32_e32 v4, 1.0, v1
	v_ldexp_f32 v0, v3, v0
	v_add_f32_e32 v3, 1.0, v2
	v_add_f32_e32 v5, -1.0, v4
	v_sub_f32_e32 v3, v1, v3
	v_sub_f32_e32 v1, v1, v5
	v_add_f32_e32 v3, v0, v3
	v_add_f32_e32 v0, v0, v1
	;; [unrolled: 1-line block ×3, first 2 shown]
	v_rcp_f32_e32 v11, v9
	v_sub_f32_e32 v1, v4, v9
	v_add_f32_e32 v10, v0, v1
	v_add_f32_e32 v1, v2, v3
	v_mul_f32_e32 v13, v1, v11
	v_sub_f32_e32 v0, v2, v1
	v_mul_f32_e32 v2, v9, v13
	v_fma_f32 v4, v13, v9, -v2
	v_fmac_f32_e32 v4, v13, v10
	v_add_f32_e32 v12, v3, v0
	v_add_f32_e32 v0, v2, v4
	v_sub_f32_e32 v3, v1, v0
	v_pk_add_f32 v[6:7], v[0:1], v[2:3] neg_lo:[0,1] neg_hi:[0,1]
	v_mov_b32_e32 v5, v0
	v_pk_add_f32 v[0:1], v[6:7], v[4:5] neg_lo:[0,1] neg_hi:[0,1]
	v_cmp_eq_f32_e32 vcc, s29, v16
	v_add_f32_e32 v1, v12, v1
	v_add_f32_e32 v0, v0, v1
	;; [unrolled: 1-line block ×3, first 2 shown]
	v_mul_f32_e32 v12, v11, v1
	v_mul_f32_e32 v2, v9, v12
	v_fma_f32 v4, v12, v9, -v2
	v_fmac_f32_e32 v4, v12, v10
	v_sub_f32_e32 v3, v3, v1
	v_add_f32_e32 v9, v0, v3
	v_add_f32_e32 v0, v2, v4
	v_sub_f32_e32 v3, v1, v0
	v_pk_add_f32 v[6:7], v[0:1], v[2:3] neg_lo:[0,1] neg_hi:[0,1]
	v_mov_b32_e32 v5, v0
	v_pk_add_f32 v[0:1], v[6:7], v[4:5] neg_lo:[0,1] neg_hi:[0,1]
	s_or_b64 vcc, s[2:3], vcc
	v_add_f32_e32 v1, v9, v1
	v_add_f32_e32 v0, v0, v1
	v_add_f32_e32 v1, v13, v12
	v_add_f32_e32 v0, v3, v0
	v_sub_f32_e32 v2, v1, v13
	v_mul_f32_e32 v0, v11, v0
	v_sub_f32_e32 v2, v12, v2
	v_add_f32_e32 v2, v2, v0
	v_add_f32_e32 v4, v1, v2
	v_mul_f32_e32 v5, v4, v4
	v_fmamk_f32 v0, v5, 0x3e9b6dac, v30
	v_fmaak_f32 v33, v5, v0, 0x3f2aaada
	v_cvt_f32_i32_e32 v0, v8
	v_sub_f32_e32 v1, v4, v1
	v_sub_f32_e32 v1, v2, v1
	v_ldexp_f32 v6, v1, 1
	v_mul_f32_e32 v1, v4, v5
	v_ldexp_f32 v3, v4, 1
	v_pk_mul_f32 v[4:5], v[0:1], v[32:33]
	s_nop 0
	v_fma_f32 v2, v0, s31, -v4
	v_fmac_f32_e32 v2, 0xb102e308, v0
	v_pk_add_f32 v[0:1], v[4:5], v[2:3]
	s_nop 0
	v_sub_f32_e32 v3, v1, v3
	v_sub_f32_e32 v3, v5, v3
	v_add_f32_e32 v7, v6, v3
	v_mov_b32_e32 v6, v4
	v_pk_add_f32 v[4:5], v[0:1], v[4:5] neg_lo:[0,1] neg_hi:[0,1]
	v_pk_add_f32 v[8:9], v[0:1], v[6:7]
	v_mov_b32_e32 v3, v0
	v_mov_b32_e32 v5, v9
	v_pk_add_f32 v[10:11], v[2:3], v[4:5] neg_lo:[0,1] neg_hi:[0,1]
	v_pk_add_f32 v[2:3], v[2:3], v[4:5]
	v_mov_b32_e32 v6, v7
	v_mov_b32_e32 v4, v3
	v_pk_add_f32 v[12:13], v[4:5], v[0:1] neg_lo:[0,1] neg_hi:[0,1]
	v_mov_b32_e32 v2, v9
	v_mov_b32_e32 v5, v12
	v_pk_add_f32 v[14:15], v[8:9], v[4:5] neg_lo:[0,1] neg_hi:[0,1]
	v_mov_b32_e32 v8, v1
	v_mov_b32_e32 v9, v12
	;; [unrolled: 1-line block ×3, first 2 shown]
	v_pk_add_f32 v[2:3], v[2:3], v[8:9] neg_lo:[0,1] neg_hi:[0,1]
	v_mov_b32_e32 v7, v0
	v_pk_add_f32 v[0:1], v[6:7], v[2:3] neg_lo:[0,1] neg_hi:[0,1]
	v_mov_b32_e32 v14, v10
	v_pk_add_f32 v[2:3], v[14:15], v[0:1]
	s_nop 0
	v_mov_b32_e32 v6, v3
	v_pk_add_f32 v[6:7], v[2:3], v[6:7]
	s_nop 0
	v_pk_add_f32 v[4:5], v[4:5], v[6:7]
	v_mov_b32_e32 v1, v6
	v_mov_b32_e32 v3, v4
	v_pk_add_f32 v[8:9], v[2:3], v[10:11] neg_lo:[0,1] neg_hi:[0,1]
	s_nop 0
	v_sub_f32_e32 v2, v2, v8
	v_pk_add_f32 v[0:1], v[0:1], v[8:9] neg_lo:[0,1] neg_hi:[0,1]
	v_sub_f32_e32 v2, v10, v2
	v_add_f32_e32 v0, v0, v2
	v_add_f32_e32 v0, v0, v1
	;; [unrolled: 1-line block ×3, first 2 shown]
	v_cndmask_b32_e32 v92, v0, v16, vcc
.LBB113_40:                             ;   in Loop: Header=BB113_12 Depth=1
	s_or_b64 exec, exec, s[22:23]
	v_cvt_f32_f16_e32 v0, v39
	s_mov_b32 s2, 0x41a00000
	v_add_f32_e32 v85, s33, v0
	v_cmp_ge_f32_e32 vcc, s2, v85
	s_and_b64 s[2:3], s[80:81], vcc
	s_and_saveexec_b64 s[22:23], s[2:3]
	s_cbranch_execz .LBB113_42
; %bb.41:                               ;   in Loop: Header=BB113_12 Depth=1
	v_mul_f32_e32 v0, 0x3fb8aa3b, v85
	v_rndne_f32_e32 v1, v0
	v_sub_f32_e32 v2, v0, v1
	v_fma_f32 v0, v85, s26, -v0
	v_fmac_f32_e32 v0, 0x32a5705f, v85
	v_add_f32_e32 v0, v2, v0
	v_cvt_i32_f32_e32 v1, v1
	v_exp_f32_e32 v0, v0
	v_cmp_ngt_f32_e32 vcc, s27, v85
	v_ldexp_f32 v0, v0, v1
	s_nop 0
	v_cndmask_b32_e32 v0, 0, v0, vcc
	v_cmp_nlt_f32_e32 vcc, s28, v85
	s_nop 1
	v_cndmask_b32_e32 v16, v31, v0, vcc
	v_add_f32_e32 v2, 1.0, v16
	v_add_f32_e32 v0, -1.0, v2
	v_sub_f32_e32 v1, v0, v2
	v_add_f32_e32 v1, 1.0, v1
	v_sub_f32_e32 v0, v16, v0
	v_add_f32_e32 v3, v0, v1
	v_frexp_mant_f32_e32 v4, v2
	v_cvt_f64_f32_e32 v[0:1], v2
	v_frexp_exp_i32_f64_e32 v0, v[0:1]
	v_cmp_gt_f32_e32 vcc, s30, v4
	v_cmp_gt_f32_e64 s[2:3], s34, v16
	s_nop 0
	v_subbrev_co_u32_e32 v8, vcc, 0, v0, vcc
	v_sub_u32_e32 v0, 0, v8
	v_ldexp_f32 v1, v2, v0
	v_add_f32_e32 v2, -1.0, v1
	v_add_f32_e32 v4, 1.0, v1
	v_ldexp_f32 v0, v3, v0
	v_add_f32_e32 v3, 1.0, v2
	v_add_f32_e32 v5, -1.0, v4
	v_sub_f32_e32 v3, v1, v3
	v_sub_f32_e32 v1, v1, v5
	v_add_f32_e32 v3, v0, v3
	v_add_f32_e32 v0, v0, v1
	;; [unrolled: 1-line block ×3, first 2 shown]
	v_rcp_f32_e32 v11, v9
	v_sub_f32_e32 v1, v4, v9
	v_add_f32_e32 v10, v0, v1
	v_add_f32_e32 v1, v2, v3
	v_mul_f32_e32 v13, v1, v11
	v_sub_f32_e32 v0, v2, v1
	v_mul_f32_e32 v2, v9, v13
	v_fma_f32 v4, v13, v9, -v2
	v_fmac_f32_e32 v4, v13, v10
	v_add_f32_e32 v12, v3, v0
	v_add_f32_e32 v0, v2, v4
	v_sub_f32_e32 v3, v1, v0
	v_pk_add_f32 v[6:7], v[0:1], v[2:3] neg_lo:[0,1] neg_hi:[0,1]
	v_mov_b32_e32 v5, v0
	v_pk_add_f32 v[0:1], v[6:7], v[4:5] neg_lo:[0,1] neg_hi:[0,1]
	v_cmp_eq_f32_e32 vcc, s29, v16
	v_add_f32_e32 v1, v12, v1
	v_add_f32_e32 v0, v0, v1
	;; [unrolled: 1-line block ×3, first 2 shown]
	v_mul_f32_e32 v12, v11, v1
	v_mul_f32_e32 v2, v9, v12
	v_fma_f32 v4, v12, v9, -v2
	v_fmac_f32_e32 v4, v12, v10
	v_sub_f32_e32 v3, v3, v1
	v_add_f32_e32 v9, v0, v3
	v_add_f32_e32 v0, v2, v4
	v_sub_f32_e32 v3, v1, v0
	v_pk_add_f32 v[6:7], v[0:1], v[2:3] neg_lo:[0,1] neg_hi:[0,1]
	v_mov_b32_e32 v5, v0
	v_pk_add_f32 v[0:1], v[6:7], v[4:5] neg_lo:[0,1] neg_hi:[0,1]
	s_or_b64 vcc, s[2:3], vcc
	v_add_f32_e32 v1, v9, v1
	v_add_f32_e32 v0, v0, v1
	;; [unrolled: 1-line block ×4, first 2 shown]
	v_sub_f32_e32 v2, v1, v13
	v_mul_f32_e32 v0, v11, v0
	v_sub_f32_e32 v2, v12, v2
	v_add_f32_e32 v2, v2, v0
	v_add_f32_e32 v4, v1, v2
	v_mul_f32_e32 v5, v4, v4
	v_fmamk_f32 v0, v5, 0x3e9b6dac, v30
	v_fmaak_f32 v33, v5, v0, 0x3f2aaada
	v_cvt_f32_i32_e32 v0, v8
	v_sub_f32_e32 v1, v4, v1
	v_sub_f32_e32 v1, v2, v1
	v_ldexp_f32 v6, v1, 1
	v_mul_f32_e32 v1, v4, v5
	v_ldexp_f32 v3, v4, 1
	v_pk_mul_f32 v[4:5], v[0:1], v[32:33]
	s_nop 0
	v_fma_f32 v2, v0, s31, -v4
	v_fmac_f32_e32 v2, 0xb102e308, v0
	v_pk_add_f32 v[0:1], v[4:5], v[2:3]
	s_nop 0
	v_sub_f32_e32 v3, v1, v3
	v_sub_f32_e32 v3, v5, v3
	v_add_f32_e32 v7, v6, v3
	v_mov_b32_e32 v6, v4
	v_pk_add_f32 v[4:5], v[0:1], v[4:5] neg_lo:[0,1] neg_hi:[0,1]
	v_pk_add_f32 v[8:9], v[0:1], v[6:7]
	v_mov_b32_e32 v3, v0
	v_mov_b32_e32 v5, v9
	v_pk_add_f32 v[10:11], v[2:3], v[4:5] neg_lo:[0,1] neg_hi:[0,1]
	v_pk_add_f32 v[2:3], v[2:3], v[4:5]
	v_mov_b32_e32 v6, v7
	v_mov_b32_e32 v4, v3
	v_pk_add_f32 v[12:13], v[4:5], v[0:1] neg_lo:[0,1] neg_hi:[0,1]
	v_mov_b32_e32 v2, v9
	v_mov_b32_e32 v5, v12
	v_pk_add_f32 v[14:15], v[8:9], v[4:5] neg_lo:[0,1] neg_hi:[0,1]
	v_mov_b32_e32 v8, v1
	v_mov_b32_e32 v9, v12
	;; [unrolled: 1-line block ×3, first 2 shown]
	v_pk_add_f32 v[2:3], v[2:3], v[8:9] neg_lo:[0,1] neg_hi:[0,1]
	v_mov_b32_e32 v7, v0
	v_pk_add_f32 v[0:1], v[6:7], v[2:3] neg_lo:[0,1] neg_hi:[0,1]
	v_mov_b32_e32 v14, v10
	v_pk_add_f32 v[2:3], v[14:15], v[0:1]
	s_nop 0
	v_mov_b32_e32 v6, v3
	v_pk_add_f32 v[6:7], v[2:3], v[6:7]
	s_nop 0
	v_pk_add_f32 v[4:5], v[4:5], v[6:7]
	v_mov_b32_e32 v1, v6
	v_mov_b32_e32 v3, v4
	v_pk_add_f32 v[8:9], v[2:3], v[10:11] neg_lo:[0,1] neg_hi:[0,1]
	s_nop 0
	v_sub_f32_e32 v2, v2, v8
	v_pk_add_f32 v[0:1], v[0:1], v[8:9] neg_lo:[0,1] neg_hi:[0,1]
	v_sub_f32_e32 v2, v10, v2
	v_add_f32_e32 v0, v0, v2
	v_add_f32_e32 v0, v0, v1
	;; [unrolled: 1-line block ×3, first 2 shown]
	v_cndmask_b32_e32 v85, v0, v16, vcc
.LBB113_42:                             ;   in Loop: Header=BB113_12 Depth=1
	s_or_b64 exec, exec, s[22:23]
	v_cvt_f32_f16_sdwa v0, v39 dst_sel:DWORD dst_unused:UNUSED_PAD src0_sel:WORD_1
	s_mov_b32 s2, 0x41a00000
	v_add_f32_e32 v86, s33, v0
	v_cmp_ge_f32_e32 vcc, s2, v86
	s_and_b64 s[2:3], s[80:81], vcc
	s_and_saveexec_b64 s[22:23], s[2:3]
	s_cbranch_execz .LBB113_44
; %bb.43:                               ;   in Loop: Header=BB113_12 Depth=1
	v_mul_f32_e32 v0, 0x3fb8aa3b, v86
	v_rndne_f32_e32 v1, v0
	v_sub_f32_e32 v2, v0, v1
	v_fma_f32 v0, v86, s26, -v0
	v_fmac_f32_e32 v0, 0x32a5705f, v86
	v_add_f32_e32 v0, v2, v0
	v_cvt_i32_f32_e32 v1, v1
	v_exp_f32_e32 v0, v0
	v_cmp_ngt_f32_e32 vcc, s27, v86
	v_ldexp_f32 v0, v0, v1
	s_nop 0
	v_cndmask_b32_e32 v0, 0, v0, vcc
	v_cmp_nlt_f32_e32 vcc, s28, v86
	s_nop 1
	v_cndmask_b32_e32 v16, v31, v0, vcc
	v_add_f32_e32 v2, 1.0, v16
	v_add_f32_e32 v0, -1.0, v2
	v_sub_f32_e32 v1, v0, v2
	v_add_f32_e32 v1, 1.0, v1
	v_sub_f32_e32 v0, v16, v0
	v_add_f32_e32 v3, v0, v1
	v_frexp_mant_f32_e32 v4, v2
	v_cvt_f64_f32_e32 v[0:1], v2
	v_frexp_exp_i32_f64_e32 v0, v[0:1]
	v_cmp_gt_f32_e32 vcc, s30, v4
	v_cmp_gt_f32_e64 s[2:3], s34, v16
	s_nop 0
	v_subbrev_co_u32_e32 v8, vcc, 0, v0, vcc
	v_sub_u32_e32 v0, 0, v8
	v_ldexp_f32 v1, v2, v0
	v_add_f32_e32 v2, -1.0, v1
	v_add_f32_e32 v4, 1.0, v1
	v_ldexp_f32 v0, v3, v0
	v_add_f32_e32 v3, 1.0, v2
	v_add_f32_e32 v5, -1.0, v4
	v_sub_f32_e32 v3, v1, v3
	v_sub_f32_e32 v1, v1, v5
	v_add_f32_e32 v3, v0, v3
	v_add_f32_e32 v0, v0, v1
	;; [unrolled: 1-line block ×3, first 2 shown]
	v_rcp_f32_e32 v11, v9
	v_sub_f32_e32 v1, v4, v9
	v_add_f32_e32 v10, v0, v1
	v_add_f32_e32 v1, v2, v3
	v_mul_f32_e32 v13, v1, v11
	v_sub_f32_e32 v0, v2, v1
	v_mul_f32_e32 v2, v9, v13
	v_fma_f32 v4, v13, v9, -v2
	v_fmac_f32_e32 v4, v13, v10
	v_add_f32_e32 v12, v3, v0
	v_add_f32_e32 v0, v2, v4
	v_sub_f32_e32 v3, v1, v0
	v_pk_add_f32 v[6:7], v[0:1], v[2:3] neg_lo:[0,1] neg_hi:[0,1]
	v_mov_b32_e32 v5, v0
	v_pk_add_f32 v[0:1], v[6:7], v[4:5] neg_lo:[0,1] neg_hi:[0,1]
	v_cmp_eq_f32_e32 vcc, s29, v16
	v_add_f32_e32 v1, v12, v1
	v_add_f32_e32 v0, v0, v1
	;; [unrolled: 1-line block ×3, first 2 shown]
	v_mul_f32_e32 v12, v11, v1
	v_mul_f32_e32 v2, v9, v12
	v_fma_f32 v4, v12, v9, -v2
	v_fmac_f32_e32 v4, v12, v10
	v_sub_f32_e32 v3, v3, v1
	v_add_f32_e32 v9, v0, v3
	v_add_f32_e32 v0, v2, v4
	v_sub_f32_e32 v3, v1, v0
	v_pk_add_f32 v[6:7], v[0:1], v[2:3] neg_lo:[0,1] neg_hi:[0,1]
	v_mov_b32_e32 v5, v0
	v_pk_add_f32 v[0:1], v[6:7], v[4:5] neg_lo:[0,1] neg_hi:[0,1]
	s_or_b64 vcc, s[2:3], vcc
	v_add_f32_e32 v1, v9, v1
	v_add_f32_e32 v0, v0, v1
	;; [unrolled: 1-line block ×4, first 2 shown]
	v_sub_f32_e32 v2, v1, v13
	v_mul_f32_e32 v0, v11, v0
	v_sub_f32_e32 v2, v12, v2
	v_add_f32_e32 v2, v2, v0
	v_add_f32_e32 v4, v1, v2
	v_mul_f32_e32 v5, v4, v4
	v_fmamk_f32 v0, v5, 0x3e9b6dac, v30
	v_fmaak_f32 v33, v5, v0, 0x3f2aaada
	v_cvt_f32_i32_e32 v0, v8
	v_sub_f32_e32 v1, v4, v1
	v_sub_f32_e32 v1, v2, v1
	v_ldexp_f32 v6, v1, 1
	v_mul_f32_e32 v1, v4, v5
	v_ldexp_f32 v3, v4, 1
	v_pk_mul_f32 v[4:5], v[0:1], v[32:33]
	s_nop 0
	v_fma_f32 v2, v0, s31, -v4
	v_fmac_f32_e32 v2, 0xb102e308, v0
	v_pk_add_f32 v[0:1], v[4:5], v[2:3]
	s_nop 0
	v_sub_f32_e32 v3, v1, v3
	v_sub_f32_e32 v3, v5, v3
	v_add_f32_e32 v7, v6, v3
	v_mov_b32_e32 v6, v4
	v_pk_add_f32 v[4:5], v[0:1], v[4:5] neg_lo:[0,1] neg_hi:[0,1]
	v_pk_add_f32 v[8:9], v[0:1], v[6:7]
	v_mov_b32_e32 v3, v0
	v_mov_b32_e32 v5, v9
	v_pk_add_f32 v[10:11], v[2:3], v[4:5] neg_lo:[0,1] neg_hi:[0,1]
	v_pk_add_f32 v[2:3], v[2:3], v[4:5]
	v_mov_b32_e32 v6, v7
	v_mov_b32_e32 v4, v3
	v_pk_add_f32 v[12:13], v[4:5], v[0:1] neg_lo:[0,1] neg_hi:[0,1]
	v_mov_b32_e32 v2, v9
	v_mov_b32_e32 v5, v12
	v_pk_add_f32 v[14:15], v[8:9], v[4:5] neg_lo:[0,1] neg_hi:[0,1]
	v_mov_b32_e32 v8, v1
	v_mov_b32_e32 v9, v12
	v_mov_b32_e32 v11, v3
	v_pk_add_f32 v[2:3], v[2:3], v[8:9] neg_lo:[0,1] neg_hi:[0,1]
	v_mov_b32_e32 v7, v0
	v_pk_add_f32 v[0:1], v[6:7], v[2:3] neg_lo:[0,1] neg_hi:[0,1]
	v_mov_b32_e32 v14, v10
	v_pk_add_f32 v[2:3], v[14:15], v[0:1]
	s_nop 0
	v_mov_b32_e32 v6, v3
	v_pk_add_f32 v[6:7], v[2:3], v[6:7]
	s_nop 0
	v_pk_add_f32 v[4:5], v[4:5], v[6:7]
	v_mov_b32_e32 v1, v6
	v_mov_b32_e32 v3, v4
	v_pk_add_f32 v[8:9], v[2:3], v[10:11] neg_lo:[0,1] neg_hi:[0,1]
	s_nop 0
	v_sub_f32_e32 v2, v2, v8
	v_pk_add_f32 v[0:1], v[0:1], v[8:9] neg_lo:[0,1] neg_hi:[0,1]
	v_sub_f32_e32 v2, v10, v2
	v_add_f32_e32 v0, v0, v2
	v_add_f32_e32 v0, v0, v1
	;; [unrolled: 1-line block ×3, first 2 shown]
	v_cndmask_b32_e32 v86, v0, v16, vcc
.LBB113_44:                             ;   in Loop: Header=BB113_12 Depth=1
	s_or_b64 exec, exec, s[22:23]
	v_cvt_f32_f16_e32 v0, v40
	s_mov_b32 s2, 0x41a00000
	v_add_f32_e32 v6, s33, v0
	v_cmp_ge_f32_e32 vcc, s2, v6
	s_and_b64 s[2:3], s[80:81], vcc
	s_and_saveexec_b64 s[22:23], s[2:3]
	s_cbranch_execz .LBB113_46
; %bb.45:                               ;   in Loop: Header=BB113_12 Depth=1
	v_mul_f32_e32 v0, 0x3fb8aa3b, v6
	v_rndne_f32_e32 v1, v0
	v_sub_f32_e32 v2, v0, v1
	v_fma_f32 v0, v6, s26, -v0
	v_fmac_f32_e32 v0, 0x32a5705f, v6
	v_add_f32_e32 v0, v2, v0
	v_cvt_i32_f32_e32 v1, v1
	v_exp_f32_e32 v0, v0
	v_cmp_ngt_f32_e32 vcc, s27, v6
	v_ldexp_f32 v0, v0, v1
	s_nop 0
	v_cndmask_b32_e32 v0, 0, v0, vcc
	v_cmp_nlt_f32_e32 vcc, s28, v6
	s_nop 1
	v_cndmask_b32_e32 v16, v31, v0, vcc
	v_add_f32_e32 v2, 1.0, v16
	v_add_f32_e32 v0, -1.0, v2
	v_sub_f32_e32 v1, v0, v2
	v_add_f32_e32 v1, 1.0, v1
	v_sub_f32_e32 v0, v16, v0
	v_add_f32_e32 v3, v0, v1
	v_frexp_mant_f32_e32 v4, v2
	v_cvt_f64_f32_e32 v[0:1], v2
	v_frexp_exp_i32_f64_e32 v0, v[0:1]
	v_cmp_gt_f32_e32 vcc, s30, v4
	v_cmp_gt_f32_e64 s[2:3], s34, v16
	s_nop 0
	v_subbrev_co_u32_e32 v8, vcc, 0, v0, vcc
	v_sub_u32_e32 v0, 0, v8
	v_ldexp_f32 v1, v2, v0
	v_add_f32_e32 v2, -1.0, v1
	v_add_f32_e32 v4, 1.0, v1
	v_ldexp_f32 v0, v3, v0
	v_add_f32_e32 v3, 1.0, v2
	v_add_f32_e32 v5, -1.0, v4
	v_sub_f32_e32 v3, v1, v3
	v_sub_f32_e32 v1, v1, v5
	v_add_f32_e32 v3, v0, v3
	v_add_f32_e32 v0, v0, v1
	;; [unrolled: 1-line block ×3, first 2 shown]
	v_rcp_f32_e32 v11, v9
	v_sub_f32_e32 v1, v4, v9
	v_add_f32_e32 v10, v0, v1
	v_add_f32_e32 v1, v2, v3
	v_mul_f32_e32 v13, v1, v11
	v_sub_f32_e32 v0, v2, v1
	v_mul_f32_e32 v2, v9, v13
	v_fma_f32 v4, v13, v9, -v2
	v_fmac_f32_e32 v4, v13, v10
	v_add_f32_e32 v12, v3, v0
	v_add_f32_e32 v0, v2, v4
	v_sub_f32_e32 v3, v1, v0
	v_pk_add_f32 v[6:7], v[0:1], v[2:3] neg_lo:[0,1] neg_hi:[0,1]
	v_mov_b32_e32 v5, v0
	v_pk_add_f32 v[0:1], v[6:7], v[4:5] neg_lo:[0,1] neg_hi:[0,1]
	v_cmp_eq_f32_e32 vcc, s29, v16
	v_add_f32_e32 v1, v12, v1
	v_add_f32_e32 v0, v0, v1
	;; [unrolled: 1-line block ×3, first 2 shown]
	v_mul_f32_e32 v12, v11, v1
	v_mul_f32_e32 v2, v9, v12
	v_fma_f32 v4, v12, v9, -v2
	v_fmac_f32_e32 v4, v12, v10
	v_sub_f32_e32 v3, v3, v1
	v_add_f32_e32 v9, v0, v3
	v_add_f32_e32 v0, v2, v4
	v_sub_f32_e32 v3, v1, v0
	v_pk_add_f32 v[6:7], v[0:1], v[2:3] neg_lo:[0,1] neg_hi:[0,1]
	v_mov_b32_e32 v5, v0
	v_pk_add_f32 v[0:1], v[6:7], v[4:5] neg_lo:[0,1] neg_hi:[0,1]
	s_or_b64 vcc, s[2:3], vcc
	v_add_f32_e32 v1, v9, v1
	v_add_f32_e32 v0, v0, v1
	;; [unrolled: 1-line block ×4, first 2 shown]
	v_sub_f32_e32 v2, v1, v13
	v_mul_f32_e32 v0, v11, v0
	v_sub_f32_e32 v2, v12, v2
	v_add_f32_e32 v2, v2, v0
	v_add_f32_e32 v4, v1, v2
	v_mul_f32_e32 v5, v4, v4
	v_fmamk_f32 v0, v5, 0x3e9b6dac, v30
	v_fmaak_f32 v33, v5, v0, 0x3f2aaada
	v_cvt_f32_i32_e32 v0, v8
	v_sub_f32_e32 v1, v4, v1
	v_sub_f32_e32 v1, v2, v1
	v_ldexp_f32 v6, v1, 1
	v_mul_f32_e32 v1, v4, v5
	v_ldexp_f32 v3, v4, 1
	v_pk_mul_f32 v[4:5], v[0:1], v[32:33]
	s_nop 0
	v_fma_f32 v2, v0, s31, -v4
	v_fmac_f32_e32 v2, 0xb102e308, v0
	v_pk_add_f32 v[0:1], v[4:5], v[2:3]
	s_nop 0
	v_sub_f32_e32 v3, v1, v3
	v_sub_f32_e32 v3, v5, v3
	v_add_f32_e32 v7, v6, v3
	v_mov_b32_e32 v6, v4
	v_pk_add_f32 v[4:5], v[0:1], v[4:5] neg_lo:[0,1] neg_hi:[0,1]
	v_pk_add_f32 v[8:9], v[0:1], v[6:7]
	v_mov_b32_e32 v3, v0
	v_mov_b32_e32 v5, v9
	v_pk_add_f32 v[10:11], v[2:3], v[4:5] neg_lo:[0,1] neg_hi:[0,1]
	v_pk_add_f32 v[2:3], v[2:3], v[4:5]
	v_mov_b32_e32 v6, v7
	v_mov_b32_e32 v4, v3
	v_pk_add_f32 v[12:13], v[4:5], v[0:1] neg_lo:[0,1] neg_hi:[0,1]
	v_mov_b32_e32 v2, v9
	v_mov_b32_e32 v5, v12
	v_pk_add_f32 v[14:15], v[8:9], v[4:5] neg_lo:[0,1] neg_hi:[0,1]
	v_mov_b32_e32 v8, v1
	v_mov_b32_e32 v9, v12
	;; [unrolled: 1-line block ×3, first 2 shown]
	v_pk_add_f32 v[2:3], v[2:3], v[8:9] neg_lo:[0,1] neg_hi:[0,1]
	v_mov_b32_e32 v7, v0
	v_pk_add_f32 v[0:1], v[6:7], v[2:3] neg_lo:[0,1] neg_hi:[0,1]
	v_mov_b32_e32 v14, v10
	v_pk_add_f32 v[2:3], v[14:15], v[0:1]
	s_nop 0
	v_mov_b32_e32 v6, v3
	v_pk_add_f32 v[6:7], v[2:3], v[6:7]
	s_nop 0
	v_pk_add_f32 v[4:5], v[4:5], v[6:7]
	v_mov_b32_e32 v1, v6
	v_mov_b32_e32 v3, v4
	v_pk_add_f32 v[8:9], v[2:3], v[10:11] neg_lo:[0,1] neg_hi:[0,1]
	s_nop 0
	v_sub_f32_e32 v2, v2, v8
	v_pk_add_f32 v[0:1], v[0:1], v[8:9] neg_lo:[0,1] neg_hi:[0,1]
	v_sub_f32_e32 v2, v10, v2
	v_add_f32_e32 v0, v0, v2
	v_add_f32_e32 v0, v0, v1
	;; [unrolled: 1-line block ×3, first 2 shown]
	v_cndmask_b32_e32 v6, v0, v16, vcc
.LBB113_46:                             ;   in Loop: Header=BB113_12 Depth=1
	s_or_b64 exec, exec, s[22:23]
	v_cvt_f32_f16_sdwa v0, v40 dst_sel:DWORD dst_unused:UNUSED_PAD src0_sel:WORD_1
	s_mov_b32 s2, 0x41a00000
	v_add_f32_e32 v7, s33, v0
	v_cmp_ge_f32_e32 vcc, s2, v7
	s_and_b64 s[2:3], s[80:81], vcc
	s_and_saveexec_b64 s[22:23], s[2:3]
	s_cbranch_execz .LBB113_48
; %bb.47:                               ;   in Loop: Header=BB113_12 Depth=1
	v_mul_f32_e32 v0, 0x3fb8aa3b, v7
	v_rndne_f32_e32 v1, v0
	v_sub_f32_e32 v2, v0, v1
	v_fma_f32 v0, v7, s26, -v0
	v_fmac_f32_e32 v0, 0x32a5705f, v7
	v_add_f32_e32 v0, v2, v0
	v_cvt_i32_f32_e32 v1, v1
	v_exp_f32_e32 v0, v0
	v_cmp_ngt_f32_e32 vcc, s27, v7
	v_ldexp_f32 v0, v0, v1
	s_nop 0
	v_cndmask_b32_e32 v0, 0, v0, vcc
	v_cmp_nlt_f32_e32 vcc, s28, v7
	s_nop 1
	v_cndmask_b32_e32 v7, v31, v0, vcc
	v_add_f32_e32 v2, 1.0, v7
	v_add_f32_e32 v0, -1.0, v2
	v_sub_f32_e32 v1, v0, v2
	v_add_f32_e32 v1, 1.0, v1
	v_sub_f32_e32 v0, v7, v0
	v_add_f32_e32 v3, v0, v1
	v_frexp_mant_f32_e32 v4, v2
	v_cvt_f64_f32_e32 v[0:1], v2
	v_frexp_exp_i32_f64_e32 v0, v[0:1]
	v_cmp_gt_f32_e32 vcc, s30, v4
	v_cmp_gt_f32_e64 s[2:3], s34, v7
	s_nop 0
	v_subbrev_co_u32_e32 v10, vcc, 0, v0, vcc
	v_sub_u32_e32 v0, 0, v10
	v_ldexp_f32 v1, v2, v0
	v_add_f32_e32 v2, -1.0, v1
	v_add_f32_e32 v4, 1.0, v1
	v_ldexp_f32 v0, v3, v0
	v_add_f32_e32 v3, 1.0, v2
	v_add_f32_e32 v5, -1.0, v4
	v_sub_f32_e32 v3, v1, v3
	v_sub_f32_e32 v1, v1, v5
	v_add_f32_e32 v3, v0, v3
	v_add_f32_e32 v0, v0, v1
	;; [unrolled: 1-line block ×3, first 2 shown]
	v_rcp_f32_e32 v13, v11
	v_sub_f32_e32 v1, v4, v11
	v_add_f32_e32 v12, v0, v1
	v_add_f32_e32 v1, v2, v3
	v_mul_f32_e32 v15, v1, v13
	v_sub_f32_e32 v0, v2, v1
	v_mul_f32_e32 v2, v11, v15
	v_fma_f32 v4, v15, v11, -v2
	v_fmac_f32_e32 v4, v15, v12
	v_add_f32_e32 v14, v3, v0
	v_add_f32_e32 v0, v2, v4
	v_sub_f32_e32 v3, v1, v0
	v_pk_add_f32 v[8:9], v[0:1], v[2:3] neg_lo:[0,1] neg_hi:[0,1]
	v_mov_b32_e32 v5, v0
	v_pk_add_f32 v[0:1], v[8:9], v[4:5] neg_lo:[0,1] neg_hi:[0,1]
	v_cmp_eq_f32_e32 vcc, s29, v7
	v_add_f32_e32 v1, v14, v1
	v_add_f32_e32 v0, v0, v1
	;; [unrolled: 1-line block ×3, first 2 shown]
	v_mul_f32_e32 v14, v13, v1
	v_mul_f32_e32 v2, v11, v14
	v_fma_f32 v4, v14, v11, -v2
	v_fmac_f32_e32 v4, v14, v12
	v_sub_f32_e32 v3, v3, v1
	v_add_f32_e32 v11, v0, v3
	v_add_f32_e32 v0, v2, v4
	v_sub_f32_e32 v3, v1, v0
	v_pk_add_f32 v[8:9], v[0:1], v[2:3] neg_lo:[0,1] neg_hi:[0,1]
	v_mov_b32_e32 v5, v0
	v_pk_add_f32 v[0:1], v[8:9], v[4:5] neg_lo:[0,1] neg_hi:[0,1]
	s_or_b64 vcc, s[2:3], vcc
	v_add_f32_e32 v1, v11, v1
	v_add_f32_e32 v0, v0, v1
	;; [unrolled: 1-line block ×4, first 2 shown]
	v_sub_f32_e32 v2, v1, v15
	v_mul_f32_e32 v0, v13, v0
	v_sub_f32_e32 v2, v14, v2
	v_add_f32_e32 v2, v2, v0
	v_add_f32_e32 v4, v1, v2
	v_mul_f32_e32 v5, v4, v4
	v_fmamk_f32 v0, v5, 0x3e9b6dac, v30
	v_fmaak_f32 v33, v5, v0, 0x3f2aaada
	v_cvt_f32_i32_e32 v0, v10
	v_sub_f32_e32 v1, v4, v1
	v_sub_f32_e32 v1, v2, v1
	v_ldexp_f32 v8, v1, 1
	v_mul_f32_e32 v1, v4, v5
	v_ldexp_f32 v3, v4, 1
	v_pk_mul_f32 v[4:5], v[0:1], v[32:33]
	s_nop 0
	v_fma_f32 v2, v0, s31, -v4
	v_fmac_f32_e32 v2, 0xb102e308, v0
	v_pk_add_f32 v[0:1], v[4:5], v[2:3]
	s_nop 0
	v_sub_f32_e32 v3, v1, v3
	v_sub_f32_e32 v3, v5, v3
	v_add_f32_e32 v9, v8, v3
	v_mov_b32_e32 v8, v4
	v_pk_add_f32 v[4:5], v[0:1], v[4:5] neg_lo:[0,1] neg_hi:[0,1]
	v_pk_add_f32 v[10:11], v[0:1], v[8:9]
	v_mov_b32_e32 v3, v0
	v_mov_b32_e32 v5, v11
	v_pk_add_f32 v[12:13], v[2:3], v[4:5] neg_lo:[0,1] neg_hi:[0,1]
	v_pk_add_f32 v[2:3], v[2:3], v[4:5]
	v_mov_b32_e32 v8, v9
	v_mov_b32_e32 v4, v3
	v_pk_add_f32 v[14:15], v[4:5], v[0:1] neg_lo:[0,1] neg_hi:[0,1]
	v_mov_b32_e32 v2, v11
	v_mov_b32_e32 v5, v14
	v_pk_add_f32 v[16:17], v[10:11], v[4:5] neg_lo:[0,1] neg_hi:[0,1]
	v_mov_b32_e32 v10, v1
	v_mov_b32_e32 v11, v14
	;; [unrolled: 1-line block ×3, first 2 shown]
	v_pk_add_f32 v[2:3], v[2:3], v[10:11] neg_lo:[0,1] neg_hi:[0,1]
	v_mov_b32_e32 v9, v0
	v_pk_add_f32 v[0:1], v[8:9], v[2:3] neg_lo:[0,1] neg_hi:[0,1]
	v_mov_b32_e32 v16, v12
	v_pk_add_f32 v[2:3], v[16:17], v[0:1]
	s_nop 0
	v_mov_b32_e32 v8, v3
	v_pk_add_f32 v[8:9], v[2:3], v[8:9]
	s_nop 0
	v_pk_add_f32 v[4:5], v[4:5], v[8:9]
	v_mov_b32_e32 v1, v8
	v_mov_b32_e32 v3, v4
	v_pk_add_f32 v[10:11], v[2:3], v[12:13] neg_lo:[0,1] neg_hi:[0,1]
	s_nop 0
	v_sub_f32_e32 v2, v2, v10
	v_pk_add_f32 v[0:1], v[0:1], v[10:11] neg_lo:[0,1] neg_hi:[0,1]
	v_sub_f32_e32 v2, v12, v2
	v_add_f32_e32 v0, v0, v2
	v_add_f32_e32 v0, v0, v1
	;; [unrolled: 1-line block ×3, first 2 shown]
	v_cndmask_b32_e32 v7, v0, v7, vcc
.LBB113_48:                             ;   in Loop: Header=BB113_12 Depth=1
	s_or_b64 exec, exec, s[22:23]
	v_cvt_f32_f16_e32 v0, v41
	s_mov_b32 s2, 0x41a00000
	v_add_f32_e32 v8, s33, v0
	v_cmp_ge_f32_e32 vcc, s2, v8
	s_and_b64 s[2:3], s[80:81], vcc
	s_and_saveexec_b64 s[22:23], s[2:3]
	s_cbranch_execz .LBB113_50
; %bb.49:                               ;   in Loop: Header=BB113_12 Depth=1
	v_mul_f32_e32 v0, 0x3fb8aa3b, v8
	v_rndne_f32_e32 v1, v0
	v_sub_f32_e32 v2, v0, v1
	v_fma_f32 v0, v8, s26, -v0
	v_fmac_f32_e32 v0, 0x32a5705f, v8
	v_add_f32_e32 v0, v2, v0
	v_cvt_i32_f32_e32 v1, v1
	v_exp_f32_e32 v0, v0
	v_cmp_ngt_f32_e32 vcc, s27, v8
	v_ldexp_f32 v0, v0, v1
	s_nop 0
	v_cndmask_b32_e32 v0, 0, v0, vcc
	v_cmp_nlt_f32_e32 vcc, s28, v8
	s_nop 1
	v_cndmask_b32_e32 v18, v31, v0, vcc
	v_add_f32_e32 v2, 1.0, v18
	v_add_f32_e32 v0, -1.0, v2
	v_sub_f32_e32 v1, v0, v2
	v_add_f32_e32 v1, 1.0, v1
	v_sub_f32_e32 v0, v18, v0
	v_add_f32_e32 v3, v0, v1
	v_frexp_mant_f32_e32 v4, v2
	v_cvt_f64_f32_e32 v[0:1], v2
	v_frexp_exp_i32_f64_e32 v0, v[0:1]
	v_cmp_gt_f32_e32 vcc, s30, v4
	v_cmp_gt_f32_e64 s[2:3], s34, v18
	s_nop 0
	v_subbrev_co_u32_e32 v10, vcc, 0, v0, vcc
	v_sub_u32_e32 v0, 0, v10
	v_ldexp_f32 v1, v2, v0
	v_add_f32_e32 v2, -1.0, v1
	v_add_f32_e32 v4, 1.0, v1
	v_ldexp_f32 v0, v3, v0
	v_add_f32_e32 v3, 1.0, v2
	v_add_f32_e32 v5, -1.0, v4
	v_sub_f32_e32 v3, v1, v3
	v_sub_f32_e32 v1, v1, v5
	v_add_f32_e32 v3, v0, v3
	v_add_f32_e32 v0, v0, v1
	;; [unrolled: 1-line block ×3, first 2 shown]
	v_rcp_f32_e32 v13, v11
	v_sub_f32_e32 v1, v4, v11
	v_add_f32_e32 v12, v0, v1
	v_add_f32_e32 v1, v2, v3
	v_mul_f32_e32 v15, v1, v13
	v_sub_f32_e32 v0, v2, v1
	v_mul_f32_e32 v2, v11, v15
	v_fma_f32 v4, v15, v11, -v2
	v_fmac_f32_e32 v4, v15, v12
	v_add_f32_e32 v14, v3, v0
	v_add_f32_e32 v0, v2, v4
	v_sub_f32_e32 v3, v1, v0
	v_pk_add_f32 v[8:9], v[0:1], v[2:3] neg_lo:[0,1] neg_hi:[0,1]
	v_mov_b32_e32 v5, v0
	v_pk_add_f32 v[0:1], v[8:9], v[4:5] neg_lo:[0,1] neg_hi:[0,1]
	v_cmp_eq_f32_e32 vcc, s29, v18
	v_add_f32_e32 v1, v14, v1
	v_add_f32_e32 v0, v0, v1
	;; [unrolled: 1-line block ×3, first 2 shown]
	v_mul_f32_e32 v14, v13, v1
	v_mul_f32_e32 v2, v11, v14
	v_fma_f32 v4, v14, v11, -v2
	v_fmac_f32_e32 v4, v14, v12
	v_sub_f32_e32 v3, v3, v1
	v_add_f32_e32 v11, v0, v3
	v_add_f32_e32 v0, v2, v4
	v_sub_f32_e32 v3, v1, v0
	v_pk_add_f32 v[8:9], v[0:1], v[2:3] neg_lo:[0,1] neg_hi:[0,1]
	v_mov_b32_e32 v5, v0
	v_pk_add_f32 v[0:1], v[8:9], v[4:5] neg_lo:[0,1] neg_hi:[0,1]
	s_or_b64 vcc, s[2:3], vcc
	v_add_f32_e32 v1, v11, v1
	v_add_f32_e32 v0, v0, v1
	;; [unrolled: 1-line block ×4, first 2 shown]
	v_sub_f32_e32 v2, v1, v15
	v_mul_f32_e32 v0, v13, v0
	v_sub_f32_e32 v2, v14, v2
	v_add_f32_e32 v2, v2, v0
	v_add_f32_e32 v4, v1, v2
	v_mul_f32_e32 v5, v4, v4
	v_fmamk_f32 v0, v5, 0x3e9b6dac, v30
	v_fmaak_f32 v33, v5, v0, 0x3f2aaada
	v_cvt_f32_i32_e32 v0, v10
	v_sub_f32_e32 v1, v4, v1
	v_sub_f32_e32 v1, v2, v1
	v_ldexp_f32 v8, v1, 1
	v_mul_f32_e32 v1, v4, v5
	v_ldexp_f32 v3, v4, 1
	v_pk_mul_f32 v[4:5], v[0:1], v[32:33]
	s_nop 0
	v_fma_f32 v2, v0, s31, -v4
	v_fmac_f32_e32 v2, 0xb102e308, v0
	v_pk_add_f32 v[0:1], v[4:5], v[2:3]
	s_nop 0
	v_sub_f32_e32 v3, v1, v3
	v_sub_f32_e32 v3, v5, v3
	v_add_f32_e32 v9, v8, v3
	v_mov_b32_e32 v8, v4
	v_pk_add_f32 v[4:5], v[0:1], v[4:5] neg_lo:[0,1] neg_hi:[0,1]
	v_pk_add_f32 v[10:11], v[0:1], v[8:9]
	v_mov_b32_e32 v3, v0
	v_mov_b32_e32 v5, v11
	v_pk_add_f32 v[12:13], v[2:3], v[4:5] neg_lo:[0,1] neg_hi:[0,1]
	v_pk_add_f32 v[2:3], v[2:3], v[4:5]
	v_mov_b32_e32 v8, v9
	v_mov_b32_e32 v4, v3
	v_pk_add_f32 v[14:15], v[4:5], v[0:1] neg_lo:[0,1] neg_hi:[0,1]
	v_mov_b32_e32 v2, v11
	v_mov_b32_e32 v5, v14
	v_pk_add_f32 v[16:17], v[10:11], v[4:5] neg_lo:[0,1] neg_hi:[0,1]
	v_mov_b32_e32 v10, v1
	v_mov_b32_e32 v11, v14
	;; [unrolled: 1-line block ×3, first 2 shown]
	v_pk_add_f32 v[2:3], v[2:3], v[10:11] neg_lo:[0,1] neg_hi:[0,1]
	v_mov_b32_e32 v9, v0
	v_pk_add_f32 v[0:1], v[8:9], v[2:3] neg_lo:[0,1] neg_hi:[0,1]
	v_mov_b32_e32 v16, v12
	v_pk_add_f32 v[2:3], v[16:17], v[0:1]
	s_nop 0
	v_mov_b32_e32 v8, v3
	v_pk_add_f32 v[8:9], v[2:3], v[8:9]
	s_nop 0
	v_pk_add_f32 v[4:5], v[4:5], v[8:9]
	v_mov_b32_e32 v1, v8
	v_mov_b32_e32 v3, v4
	v_pk_add_f32 v[10:11], v[2:3], v[12:13] neg_lo:[0,1] neg_hi:[0,1]
	s_nop 0
	v_sub_f32_e32 v2, v2, v10
	v_pk_add_f32 v[0:1], v[0:1], v[10:11] neg_lo:[0,1] neg_hi:[0,1]
	v_sub_f32_e32 v2, v12, v2
	v_add_f32_e32 v0, v0, v2
	v_add_f32_e32 v0, v0, v1
	;; [unrolled: 1-line block ×3, first 2 shown]
	v_cndmask_b32_e32 v8, v0, v18, vcc
.LBB113_50:                             ;   in Loop: Header=BB113_12 Depth=1
	s_or_b64 exec, exec, s[22:23]
	v_cvt_f32_f16_sdwa v0, v41 dst_sel:DWORD dst_unused:UNUSED_PAD src0_sel:WORD_1
	s_mov_b32 s2, 0x41a00000
	v_add_f32_e32 v9, s33, v0
	v_cmp_ge_f32_e32 vcc, s2, v9
	s_and_b64 s[2:3], s[80:81], vcc
	s_and_saveexec_b64 s[22:23], s[2:3]
	s_cbranch_execz .LBB113_52
; %bb.51:                               ;   in Loop: Header=BB113_12 Depth=1
	v_mul_f32_e32 v0, 0x3fb8aa3b, v9
	v_rndne_f32_e32 v1, v0
	v_sub_f32_e32 v2, v0, v1
	v_fma_f32 v0, v9, s26, -v0
	v_fmac_f32_e32 v0, 0x32a5705f, v9
	v_add_f32_e32 v0, v2, v0
	v_cvt_i32_f32_e32 v1, v1
	v_exp_f32_e32 v0, v0
	v_cmp_ngt_f32_e32 vcc, s27, v9
	v_ldexp_f32 v0, v0, v1
	s_nop 0
	v_cndmask_b32_e32 v0, 0, v0, vcc
	v_cmp_nlt_f32_e32 vcc, s28, v9
	s_nop 1
	v_cndmask_b32_e32 v9, v31, v0, vcc
	v_add_f32_e32 v2, 1.0, v9
	v_add_f32_e32 v0, -1.0, v2
	v_sub_f32_e32 v1, v0, v2
	v_add_f32_e32 v1, 1.0, v1
	v_sub_f32_e32 v0, v9, v0
	v_add_f32_e32 v3, v0, v1
	v_frexp_mant_f32_e32 v4, v2
	v_cvt_f64_f32_e32 v[0:1], v2
	v_frexp_exp_i32_f64_e32 v0, v[0:1]
	v_cmp_gt_f32_e32 vcc, s30, v4
	v_cmp_gt_f32_e64 s[2:3], s34, v9
	s_nop 0
	v_subbrev_co_u32_e32 v12, vcc, 0, v0, vcc
	v_sub_u32_e32 v0, 0, v12
	v_ldexp_f32 v1, v2, v0
	v_add_f32_e32 v2, -1.0, v1
	v_add_f32_e32 v4, 1.0, v1
	v_ldexp_f32 v0, v3, v0
	v_add_f32_e32 v3, 1.0, v2
	v_add_f32_e32 v5, -1.0, v4
	v_sub_f32_e32 v3, v1, v3
	v_sub_f32_e32 v1, v1, v5
	v_add_f32_e32 v3, v0, v3
	v_add_f32_e32 v0, v0, v1
	;; [unrolled: 1-line block ×3, first 2 shown]
	v_rcp_f32_e32 v15, v13
	v_sub_f32_e32 v1, v4, v13
	v_add_f32_e32 v14, v0, v1
	v_add_f32_e32 v1, v2, v3
	v_mul_f32_e32 v17, v1, v15
	v_sub_f32_e32 v0, v2, v1
	v_mul_f32_e32 v2, v13, v17
	v_fma_f32 v4, v17, v13, -v2
	v_fmac_f32_e32 v4, v17, v14
	v_add_f32_e32 v16, v3, v0
	v_add_f32_e32 v0, v2, v4
	v_sub_f32_e32 v3, v1, v0
	v_pk_add_f32 v[10:11], v[0:1], v[2:3] neg_lo:[0,1] neg_hi:[0,1]
	v_mov_b32_e32 v5, v0
	v_pk_add_f32 v[0:1], v[10:11], v[4:5] neg_lo:[0,1] neg_hi:[0,1]
	v_cmp_eq_f32_e32 vcc, s29, v9
	v_add_f32_e32 v1, v16, v1
	v_add_f32_e32 v0, v0, v1
	;; [unrolled: 1-line block ×3, first 2 shown]
	v_mul_f32_e32 v16, v15, v1
	v_mul_f32_e32 v2, v13, v16
	v_fma_f32 v4, v16, v13, -v2
	v_fmac_f32_e32 v4, v16, v14
	v_sub_f32_e32 v3, v3, v1
	v_add_f32_e32 v13, v0, v3
	v_add_f32_e32 v0, v2, v4
	v_sub_f32_e32 v3, v1, v0
	v_pk_add_f32 v[10:11], v[0:1], v[2:3] neg_lo:[0,1] neg_hi:[0,1]
	v_mov_b32_e32 v5, v0
	v_pk_add_f32 v[0:1], v[10:11], v[4:5] neg_lo:[0,1] neg_hi:[0,1]
	s_or_b64 vcc, s[2:3], vcc
	v_add_f32_e32 v1, v13, v1
	v_add_f32_e32 v0, v0, v1
	v_add_f32_e32 v1, v17, v16
	v_add_f32_e32 v0, v3, v0
	v_sub_f32_e32 v2, v1, v17
	v_mul_f32_e32 v0, v15, v0
	v_sub_f32_e32 v2, v16, v2
	v_add_f32_e32 v2, v2, v0
	v_add_f32_e32 v4, v1, v2
	v_mul_f32_e32 v5, v4, v4
	v_fmamk_f32 v0, v5, 0x3e9b6dac, v30
	v_fmaak_f32 v33, v5, v0, 0x3f2aaada
	v_cvt_f32_i32_e32 v0, v12
	v_sub_f32_e32 v1, v4, v1
	v_sub_f32_e32 v1, v2, v1
	v_ldexp_f32 v10, v1, 1
	v_mul_f32_e32 v1, v4, v5
	v_ldexp_f32 v3, v4, 1
	v_pk_mul_f32 v[4:5], v[0:1], v[32:33]
	s_nop 0
	v_fma_f32 v2, v0, s31, -v4
	v_fmac_f32_e32 v2, 0xb102e308, v0
	v_pk_add_f32 v[0:1], v[4:5], v[2:3]
	s_nop 0
	v_sub_f32_e32 v3, v1, v3
	v_sub_f32_e32 v3, v5, v3
	v_add_f32_e32 v11, v10, v3
	v_mov_b32_e32 v10, v4
	v_pk_add_f32 v[4:5], v[0:1], v[4:5] neg_lo:[0,1] neg_hi:[0,1]
	v_pk_add_f32 v[12:13], v[0:1], v[10:11]
	v_mov_b32_e32 v3, v0
	v_mov_b32_e32 v5, v13
	v_pk_add_f32 v[14:15], v[2:3], v[4:5] neg_lo:[0,1] neg_hi:[0,1]
	v_pk_add_f32 v[2:3], v[2:3], v[4:5]
	v_mov_b32_e32 v10, v11
	v_mov_b32_e32 v4, v3
	v_pk_add_f32 v[16:17], v[4:5], v[0:1] neg_lo:[0,1] neg_hi:[0,1]
	v_mov_b32_e32 v2, v13
	v_mov_b32_e32 v5, v16
	v_pk_add_f32 v[18:19], v[12:13], v[4:5] neg_lo:[0,1] neg_hi:[0,1]
	v_mov_b32_e32 v12, v1
	v_mov_b32_e32 v13, v16
	;; [unrolled: 1-line block ×3, first 2 shown]
	v_pk_add_f32 v[2:3], v[2:3], v[12:13] neg_lo:[0,1] neg_hi:[0,1]
	v_mov_b32_e32 v11, v0
	v_pk_add_f32 v[0:1], v[10:11], v[2:3] neg_lo:[0,1] neg_hi:[0,1]
	v_mov_b32_e32 v18, v14
	v_pk_add_f32 v[2:3], v[18:19], v[0:1]
	s_nop 0
	v_mov_b32_e32 v10, v3
	v_pk_add_f32 v[10:11], v[2:3], v[10:11]
	s_nop 0
	v_pk_add_f32 v[4:5], v[4:5], v[10:11]
	v_mov_b32_e32 v1, v10
	v_mov_b32_e32 v3, v4
	v_pk_add_f32 v[12:13], v[2:3], v[14:15] neg_lo:[0,1] neg_hi:[0,1]
	s_nop 0
	v_sub_f32_e32 v2, v2, v12
	v_pk_add_f32 v[0:1], v[0:1], v[12:13] neg_lo:[0,1] neg_hi:[0,1]
	v_sub_f32_e32 v2, v14, v2
	v_add_f32_e32 v0, v0, v2
	v_add_f32_e32 v0, v0, v1
	;; [unrolled: 1-line block ×3, first 2 shown]
	v_cndmask_b32_e32 v9, v0, v9, vcc
.LBB113_52:                             ;   in Loop: Header=BB113_12 Depth=1
	s_or_b64 exec, exec, s[22:23]
	scratch_load_dwordx4 v[14:17], off, off offset:72 ; 16-byte Folded Reload
	scratch_load_dwordx4 v[20:23], off, off offset:88 ; 16-byte Folded Reload
	v_readlane_b32 s22, v95, 0
	v_readlane_b32 s23, v95, 1
	s_lshl_b32 s2, s83, 10
	s_and_b64 vcc, exec, s[22:23]
	s_waitcnt lgkmcnt(0)
	; wave barrier
	s_waitcnt vmcnt(1)
	v_cvt_f32_f16_e32 v2, v17
	v_cvt_f32_f16_sdwa v3, v16 dst_sel:DWORD dst_unused:UNUSED_PAD src0_sel:WORD_1
	v_cvt_f32_f16_e32 v4, v16
	v_cvt_f32_f16_sdwa v13, v17 dst_sel:DWORD dst_unused:UNUSED_PAD src0_sel:WORD_1
	v_cvt_f32_f16_sdwa v5, v15 dst_sel:DWORD dst_unused:UNUSED_PAD src0_sel:WORD_1
	v_cvt_f32_f16_e32 v10, v15
	v_cvt_f32_f16_sdwa v11, v14 dst_sel:DWORD dst_unused:UNUSED_PAD src0_sel:WORD_1
	v_cvt_f32_f16_e32 v12, v14
	s_waitcnt vmcnt(0)
	v_cvt_f32_f16_sdwa v14, v23 dst_sel:DWORD dst_unused:UNUSED_PAD src0_sel:WORD_1
	v_cvt_f32_f16_e32 v15, v23
	v_cvt_f32_f16_sdwa v16, v22 dst_sel:DWORD dst_unused:UNUSED_PAD src0_sel:WORD_1
	v_cvt_f32_f16_e32 v17, v22
	;; [unrolled: 2-line block ×4, first 2 shown]
	v_mul_f32_e32 v52, s98, v2
	v_mul_f32_e32 v1, s98, v3
	;; [unrolled: 1-line block ×16, first 2 shown]
	s_cbranch_vccz .LBB113_81
; %bb.53:                               ;   in Loop: Header=BB113_12 Depth=1
	v_mul_f32_e32 v2, v8, v2
	scratch_store_dwordx4 off, v[38:41], off offset:144 ; 16-byte Folded Spill
	scratch_store_dwordx2 off, v[32:33], off offset:136 ; 8-byte Folded Spill
	scratch_store_dword off, v2, off offset:16 ; 4-byte Folded Spill
	v_mul_f32_e32 v2, v7, v3
	scratch_store_dword off, v2, off offset:20 ; 4-byte Folded Spill
	v_mul_f32_e32 v2, v6, v4
	;; [unrolled: 2-line block ×6, first 2 shown]
	scratch_store_dword off, v2, off offset:40 ; 4-byte Folded Spill
	scratch_load_dword v2, off, off offset:184 ; 4-byte Folded Reload
	v_readlane_b32 s88, v95, 2
	s_sub_i32 s3, s88, s2
	s_cmp_lg_u32 s83, 0
	v_readlane_b32 s22, v95, 5
	s_cselect_b64 s[74:75], -1, 0
	s_cmp_eq_u32 s83, s22
	s_cselect_b64 s[86:87], -1, 0
	v_readlane_b32 s89, v95, 3
	s_mov_b32 s78, 0
	v_mul_f32_e32 v13, v9, v13
	v_lshl_add_u64 v[66:67], s[62:63], 0, v[42:43]
	v_lshl_add_u64 v[68:69], s[66:67], 0, v[42:43]
	v_mul_f32_e32 v21, v48, v14
	v_mul_f32_e32 v22, v47, v15
	;; [unrolled: 1-line block ×8, first 2 shown]
	s_mov_b32 s88, s78
	s_mov_b32 s90, s78
	;; [unrolled: 1-line block ×3, first 2 shown]
	v_readlane_b32 s82, v95, 10
	scratch_store_dword off, v13, off offset:12 ; 4-byte Folded Spill
	s_waitcnt vmcnt(1)
	v_cmp_gt_u32_e32 vcc, s3, v2
	scratch_load_dword v2, off, off offset:188 ; 4-byte Folded Reload
	s_or_b64 s[22:23], s[84:85], vcc
	s_waitcnt vmcnt(0)
	v_cmp_gt_u32_e32 vcc, s3, v2
	scratch_load_dword v2, off, off offset:192 ; 4-byte Folded Reload
	s_or_b64 s[24:25], s[84:85], vcc
	;; [unrolled: 4-line block ×15, first 2 shown]
	s_waitcnt vmcnt(0)
	v_cmp_gt_u32_e32 vcc, s3, v2
	s_or_b64 s[54:55], s[84:85], vcc
	s_mov_b32 s3, s89
	s_branch .LBB113_55
.LBB113_54:                             ;   in Loop: Header=BB113_55 Depth=2
	s_or_b64 exec, exec, s[94:95]
	v_mul_f32_e32 v18, v82, v18
	v_fma_f32 v19, v82, v19, v34
	v_cndmask_b32_e64 v34, v19, v34, s[20:21]
	v_cndmask_b32_e64 v18, v18, v82, s[20:21]
	s_waitcnt lgkmcnt(0)
	v_fmac_f32_e32 v34, v80, v18
	v_fmac_f32_e32 v35, v34, v50
	;; [unrolled: 1-line block ×16, first 2 shown]
	v_cvt_f32_f16_sdwa v3, v30 dst_sel:DWORD dst_unused:UNUSED_PAD src0_sel:WORD_1
	v_cvt_f32_f16_sdwa v5, v31 dst_sel:DWORD dst_unused:UNUSED_PAD src0_sel:WORD_1
	v_cvt_f32_f16_e32 v2, v30
	v_cvt_f32_f16_e32 v4, v31
	v_cvt_f32_f16_sdwa v11, v32 dst_sel:DWORD dst_unused:UNUSED_PAD src0_sel:WORD_1
	v_cvt_f32_f16_sdwa v13, v33 dst_sel:DWORD dst_unused:UNUSED_PAD src0_sel:WORD_1
	v_cvt_f32_f16_e32 v10, v32
	v_cvt_f32_f16_e32 v12, v33
	;; [unrolled: 4-line block ×4, first 2 shown]
	s_add_i32 s82, s82, 8
	s_add_i32 s3, s3, -1
	s_add_i32 s92, s92, s99
	s_add_i32 s90, s90, s68
	;; [unrolled: 1-line block ×4, first 2 shown]
	v_pk_fma_f32 v[64:65], v[36:37], v[4:5], v[64:65]
	v_pk_fma_f32 v[62:63], v[34:35], v[2:3], v[62:63]
	;; [unrolled: 1-line block ×7, first 2 shown]
	s_cmp_eq_u32 s3, 0
	v_pk_fma_f32 v[0:1], v[74:75], v[18:19], v[0:1]
	s_cbranch_scc1 .LBB113_80
.LBB113_55:                             ;   Parent Loop BB113_12 Depth=1
                                        ; =>  This Inner Loop Header: Depth=2
	s_lshl_b64 s[94:95], s[78:79], 2
	s_add_u32 s94, s60, s94
	s_mov_b32 s89, s79
	s_addc_u32 s95, s76, s95
	v_lshl_add_u64 v[4:5], s[88:89], 1, v[66:67]
	global_load_dword v2, v43, s[94:95]
	global_load_dwordx4 v[10:13], v[4:5], off
	scratch_load_dword v3, off, off         ; 4-byte Folded Reload
	s_mov_b32 s91, s79
	s_andn2_b64 vcc, exec, s[74:75]
	s_waitcnt vmcnt(0)
	ds_write_b128 v3, v[10:13]
	global_load_dwordx4 v[10:13], v[4:5], off offset:1024
	s_nop 0
	scratch_load_dword v4, off, off offset:4 ; 4-byte Folded Reload
	s_waitcnt vmcnt(0)
	ds_write_b128 v4, v[10:13] offset:1024
	; wave barrier
	scratch_load_dword v14, off, off offset:8 ; 4-byte Folded Reload
	v_lshl_add_u64 v[4:5], s[90:91], 1, v[68:69]
	s_waitcnt vmcnt(0)
	ds_read_b128 v[38:41], v14
	ds_read_b128 v[34:37], v14 offset:16
	global_load_dwordx4 v[10:13], v[4:5], off
	s_waitcnt vmcnt(0)
	ds_write_b128 v3, v[10:13] offset:2112
	global_load_dwordx4 v[10:13], v[4:5], off offset:1024
	scratch_load_dword v3, off, off offset:44 ; 4-byte Folded Reload
	s_waitcnt vmcnt(0)
	ds_write_b128 v3, v[10:13] offset:1024
	; wave barrier
	scratch_load_dword v3, off, off offset:48 ; 4-byte Folded Reload
	ds_read_b128 v[30:33], v14 offset:2112
	s_waitcnt vmcnt(0)
	ds_read_b128 v[26:29], v3 offset:16
	s_cbranch_vccnz .LBB113_57
; %bb.56:                               ;   in Loop: Header=BB113_55 Depth=2
	v_mov_b32_e32 v3, s82
	ds_read_b64 v[70:71], v3
	s_cbranch_execz .LBB113_58
	s_branch .LBB113_61
.LBB113_57:                             ;   in Loop: Header=BB113_55 Depth=2
                                        ; implicit-def: $vgpr71
.LBB113_58:                             ;   in Loop: Header=BB113_55 Depth=2
	s_andn2_b64 vcc, exec, s[58:59]
	s_waitcnt lgkmcnt(0)
	v_mov_b32_e32 v71, 0
	s_cbranch_vccnz .LBB113_60
; %bb.59:                               ;   in Loop: Header=BB113_55 Depth=2
	s_mov_b32 s93, s79
	s_lshl_b64 s[94:95], s[92:93], 2
	s_add_u32 s94, s65, s94
	s_addc_u32 s95, s69, s95
	global_load_dword v71, v43, s[94:95]
.LBB113_60:                             ;   in Loop: Header=BB113_55 Depth=2
	v_mov_b32_e32 v70, 1.0
.LBB113_61:                             ;   in Loop: Header=BB113_55 Depth=2
	v_mul_f32_e32 v16, 0x3fb8aa3b, v2
	v_mul_f32_e32 v17, v16, v90
	v_cmp_gt_f32_e32 vcc, s77, v17
	s_waitcnt lgkmcnt(4)
	v_cvt_f32_f16_e32 v14, v34
	v_cvt_f32_f16_sdwa v15, v34 dst_sel:DWORD dst_unused:UNUSED_PAD src0_sel:WORD_1
	v_cndmask_b32_e32 v17, 0, v94, vcc
	v_fmac_f32_e32 v17, v16, v90
	v_exp_f32_e32 v34, v17
	v_cvt_f32_f16_e32 v18, v35
	v_cvt_f32_f16_sdwa v19, v35 dst_sel:DWORD dst_unused:UNUSED_PAD src0_sel:WORD_1
	v_cndmask_b32_e32 v35, 1.0, v89, vcc
	v_cvt_f32_f16_e32 v2, v38
	v_mul_f32_e32 v35, v34, v35
	v_mul_f32_e32 v34, v16, v91
	v_cmp_gt_f32_e32 vcc, s77, v34
	v_cvt_f32_f16_sdwa v3, v38 dst_sel:DWORD dst_unused:UNUSED_PAD src0_sel:WORD_1
	v_cvt_f32_f16_e32 v4, v39
	v_cndmask_b32_e32 v34, 0, v94, vcc
	v_fmac_f32_e32 v34, v16, v91
	v_cvt_f32_f16_e32 v74, v36
	v_cvt_f32_f16_sdwa v75, v36 dst_sel:DWORD dst_unused:UNUSED_PAD src0_sel:WORD_1
	v_mul_f32_e32 v2, v88, v2
	v_exp_f32_e32 v36, v34
	v_cndmask_b32_e64 v82, 1.0, v35, s[22:23]
	v_mul_f32_e32 v35, v16, v87
	v_cndmask_b32_e64 v34, 0, v2, s[22:23]
	v_cndmask_b32_e32 v2, 1.0, v89, vcc
	v_cmp_gt_f32_e32 vcc, s77, v35
	v_mul_f32_e32 v3, v83, v3
	v_mul_f32_e32 v2, v36, v2
	v_cndmask_b32_e32 v35, 0, v94, vcc
	v_fmac_f32_e32 v35, v16, v87
	v_exp_f32_e32 v36, v35
	v_cndmask_b32_e64 v35, 0, v3, s[24:25]
	v_mul_f32_e32 v3, v93, v4
	v_mul_f32_e32 v4, v16, v44
	v_cndmask_b32_e64 v50, 1.0, v2, s[24:25]
	v_cndmask_b32_e32 v2, 1.0, v89, vcc
	v_cmp_gt_f32_e32 vcc, s77, v4
	v_cvt_f32_f16_sdwa v5, v39 dst_sel:DWORD dst_unused:UNUSED_PAD src0_sel:WORD_1
	v_mul_f32_e32 v2, v36, v2
	v_cndmask_b32_e32 v4, 0, v94, vcc
	v_fmac_f32_e32 v4, v16, v44
	v_exp_f32_e32 v4, v4
	v_cndmask_b32_e64 v36, 0, v3, s[26:27]
	v_cndmask_b32_e32 v3, 1.0, v89, vcc
	v_cvt_f32_f16_e32 v10, v40
	v_mul_f32_e32 v3, v4, v3
	v_mul_f32_e32 v4, v25, v5
	;; [unrolled: 1-line block ×3, first 2 shown]
	v_cmp_gt_f32_e32 vcc, s77, v5
	v_cvt_f32_f16_e32 v78, v37
	v_cvt_f32_f16_sdwa v17, v37 dst_sel:DWORD dst_unused:UNUSED_PAD src0_sel:WORD_1
	v_cndmask_b32_e32 v5, 0, v94, vcc
	v_fmac_f32_e32 v5, v16, v45
	v_exp_f32_e32 v5, v5
	v_cndmask_b32_e64 v37, 0, v4, s[28:29]
	v_cndmask_b32_e32 v4, 1.0, v89, vcc
	v_cvt_f32_f16_sdwa v11, v40 dst_sel:DWORD dst_unused:UNUSED_PAD src0_sel:WORD_1
	v_mul_f32_e32 v4, v5, v4
	v_mul_f32_e32 v5, v24, v10
	;; [unrolled: 1-line block ×3, first 2 shown]
	v_cmp_gt_f32_e32 vcc, s77, v10
	v_cndmask_b32_e64 v38, 0, v5, s[30:31]
	v_cvt_f32_f16_e32 v12, v41
	v_cndmask_b32_e32 v10, 0, v94, vcc
	v_fmac_f32_e32 v10, v16, v46
	v_exp_f32_e32 v10, v10
	v_cndmask_b32_e32 v5, 1.0, v89, vcc
	v_cvt_f32_f16_sdwa v13, v41 dst_sel:DWORD dst_unused:UNUSED_PAD src0_sel:WORD_1
	v_cndmask_b32_e64 v2, 1.0, v2, s[26:27]
	v_mul_f32_e32 v5, v10, v5
	v_mul_f32_e32 v10, v23, v11
	;; [unrolled: 1-line block ×3, first 2 shown]
	v_cmp_gt_f32_e32 vcc, s77, v11
	v_cndmask_b32_e64 v39, 0, v10, s[34:35]
	v_cndmask_b32_e64 v3, 1.0, v3, s[28:29]
	v_cndmask_b32_e32 v11, 0, v94, vcc
	v_fmac_f32_e32 v11, v16, v47
	v_exp_f32_e32 v11, v11
	v_cndmask_b32_e32 v10, 1.0, v89, vcc
	v_cndmask_b32_e64 v4, 1.0, v4, s[30:31]
	v_cndmask_b32_e64 v5, 1.0, v5, s[34:35]
	v_mul_f32_e32 v10, v11, v10
	v_mul_f32_e32 v11, v22, v12
	;; [unrolled: 1-line block ×3, first 2 shown]
	v_cmp_gt_f32_e32 vcc, s77, v12
	v_cndmask_b32_e64 v40, 0, v11, s[36:37]
	v_cndmask_b32_e64 v10, 1.0, v10, s[36:37]
	v_cndmask_b32_e32 v12, 0, v94, vcc
	v_fmac_f32_e32 v12, v16, v48
	v_exp_f32_e32 v12, v12
	v_cndmask_b32_e32 v11, 1.0, v89, vcc
	v_mul_f32_e32 v11, v12, v11
	v_mul_f32_e32 v12, v21, v13
	;; [unrolled: 1-line block ×3, first 2 shown]
	v_cmp_gt_f32_e32 vcc, s77, v13
	v_cndmask_b32_e64 v41, 0, v12, s[38:39]
	v_cndmask_b32_e64 v11, 1.0, v11, s[38:39]
	v_cndmask_b32_e32 v13, 0, v94, vcc
	v_fmac_f32_e32 v13, v16, v49
	v_exp_f32_e32 v13, v13
	v_cndmask_b32_e32 v12, 1.0, v89, vcc
	v_mul_f32_e32 v12, v13, v12
	scratch_load_dword v13, off, off offset:40 ; 4-byte Folded Reload
	v_cndmask_b32_e64 v12, 1.0, v12, s[40:41]
	s_waitcnt vmcnt(0)
	v_mul_f32_e32 v13, v13, v14
	v_mul_f32_e32 v14, v16, v92
	v_cmp_gt_f32_e32 vcc, s77, v14
	v_cndmask_b32_e64 v72, 0, v13, s[40:41]
	s_nop 0
	v_cndmask_b32_e32 v14, 0, v94, vcc
	v_fmac_f32_e32 v14, v16, v92
	v_exp_f32_e32 v14, v14
	v_cndmask_b32_e32 v13, 1.0, v89, vcc
	v_mul_f32_e32 v13, v14, v13
	scratch_load_dword v14, off, off offset:36 ; 4-byte Folded Reload
	v_cndmask_b32_e64 v13, 1.0, v13, s[42:43]
	s_waitcnt vmcnt(0)
	v_mul_f32_e32 v14, v14, v15
	v_mul_f32_e32 v15, v16, v85
	v_cmp_gt_f32_e32 vcc, s77, v15
	v_cndmask_b32_e64 v73, 0, v14, s[42:43]
	s_nop 0
	v_cndmask_b32_e32 v15, 0, v94, vcc
	v_fmac_f32_e32 v15, v16, v85
	v_exp_f32_e32 v15, v15
	v_cndmask_b32_e32 v14, 1.0, v89, vcc
	v_mul_f32_e32 v14, v15, v14
	scratch_load_dword v15, off, off offset:32 ; 4-byte Folded Reload
	v_cndmask_b32_e64 v84, 1.0, v14, s[44:45]
	s_waitcnt vmcnt(0)
	v_mul_f32_e32 v15, v15, v18
	v_cndmask_b32_e64 v76, 0, v15, s[44:45]
	scratch_load_dword v15, off, off offset:28 ; 4-byte Folded Reload
	v_mul_f32_e32 v18, v16, v86
	v_cmp_gt_f32_e32 vcc, s77, v18
	s_waitcnt vmcnt(0)
	v_mul_f32_e32 v15, v15, v19
	v_cndmask_b32_e64 v77, 0, v15, s[46:47]
	scratch_load_dword v15, off, off offset:24 ; 4-byte Folded Reload
	v_cndmask_b32_e32 v18, 0, v94, vcc
	v_fmac_f32_e32 v18, v16, v86
	v_exp_f32_e32 v18, v18
	v_cndmask_b32_e32 v14, 1.0, v89, vcc
	v_mul_f32_e32 v19, v16, v8
	v_mul_f32_e32 v14, v18, v14
	;; [unrolled: 1-line block ×3, first 2 shown]
	v_cmp_gt_f32_e32 vcc, s77, v18
	v_cndmask_b32_e64 v51, 1.0, v14, s[46:47]
	s_waitcnt vmcnt(0)
	v_mul_f32_e32 v15, v15, v74
	v_cndmask_b32_e32 v18, 0, v94, vcc
	v_fmac_f32_e32 v18, v16, v6
	v_exp_f32_e32 v18, v18
	v_cndmask_b32_e32 v14, 1.0, v89, vcc
	v_cndmask_b32_e64 v74, 0, v15, s[48:49]
	v_mul_f32_e32 v14, v18, v14
	v_mul_f32_e32 v18, v16, v7
	v_cmp_gt_f32_e32 vcc, s77, v18
	v_cndmask_b32_e64 v14, 1.0, v14, s[48:49]
	s_nop 0
	v_cndmask_b32_e32 v18, 0, v94, vcc
	v_fmac_f32_e32 v18, v16, v7
	v_exp_f32_e32 v18, v18
	v_cndmask_b32_e32 v15, 1.0, v89, vcc
	v_cmp_gt_f32_e32 vcc, s77, v19
	v_mul_f32_e32 v15, v18, v15
	scratch_load_dword v18, off, off offset:20 ; 4-byte Folded Reload
	v_cndmask_b32_e32 v19, 0, v94, vcc
	v_fmac_f32_e32 v19, v16, v8
	v_exp_f32_e32 v19, v19
	v_cndmask_b32_e64 v15, 1.0, v15, s[50:51]
	s_waitcnt vmcnt(0)
	v_mul_f32_e32 v18, v18, v75
	v_cndmask_b32_e64 v75, 0, v18, s[50:51]
	v_cndmask_b32_e32 v18, 1.0, v89, vcc
	v_mul_f32_e32 v18, v19, v18
	scratch_load_dword v19, off, off offset:16 ; 4-byte Folded Reload
	s_waitcnt vmcnt(0)
	v_mul_f32_e32 v19, v19, v78
	v_mul_f32_e32 v78, v16, v9
	v_cmp_gt_f32_e32 vcc, s77, v78
	s_nop 1
	v_cndmask_b32_e32 v78, 0, v94, vcc
	v_fmac_f32_e32 v78, v16, v9
	v_exp_f32_e32 v79, v78
	v_cndmask_b32_e64 v78, 0, v19, s[52:53]
	scratch_load_dword v19, off, off offset:12 ; 4-byte Folded Reload
	v_cndmask_b32_e64 v16, 1.0, v18, s[52:53]
	v_cndmask_b32_e32 v18, 1.0, v89, vcc
	v_mul_f32_e32 v18, v79, v18
	s_waitcnt vmcnt(0)
	v_mul_f32_e32 v17, v19, v17
	v_cndmask_b32_e64 v79, 0, v17, s[54:55]
	v_cndmask_b32_e64 v17, 1.0, v18, s[54:55]
	v_mul_f32_e32 v18, v50, v82
	v_fma_f32 v19, v50, v34, v35
	v_mul_f32_e32 v18, v18, v2
	v_fma_f32 v19, v19, v2, v36
	;; [unrolled: 2-line block ×15, first 2 shown]
	s_nop 0
	v_mov_b32_dpp v19, v80 row_shr:1 row_mask:0xf bank_mask:0xf
	v_mov_b32_dpp v18, v20 row_shr:1 row_mask:0xf bank_mask:0xf
	s_and_saveexec_b64 s[94:95], s[4:5]
; %bb.62:                               ;   in Loop: Header=BB113_55 Depth=2
	v_mul_f32_e32 v19, v80, v19
	v_fmac_f32_e32 v20, v80, v18
	v_mov_b32_e32 v80, v19
; %bb.63:                               ;   in Loop: Header=BB113_55 Depth=2
	s_or_b64 exec, exec, s[94:95]
	s_nop 0
	v_mov_b32_dpp v18, v80 row_shr:2 row_mask:0xf bank_mask:0xf
	v_mov_b32_dpp v19, v20 row_shr:2 row_mask:0xf bank_mask:0xf
	s_and_saveexec_b64 s[94:95], s[6:7]
; %bb.64:                               ;   in Loop: Header=BB113_55 Depth=2
	v_fmac_f32_e32 v20, v80, v19
	v_mul_f32_e32 v80, v80, v18
; %bb.65:                               ;   in Loop: Header=BB113_55 Depth=2
	s_or_b64 exec, exec, s[94:95]
	s_nop 0
	v_mov_b32_dpp v18, v80 row_shr:4 row_mask:0xf bank_mask:0xf
	v_mov_b32_dpp v19, v20 row_shr:4 row_mask:0xf bank_mask:0xf
	s_and_saveexec_b64 s[94:95], s[8:9]
; %bb.66:                               ;   in Loop: Header=BB113_55 Depth=2
	v_fmac_f32_e32 v20, v80, v19
	v_mul_f32_e32 v80, v80, v18
	;; [unrolled: 9-line block ×3, first 2 shown]
; %bb.69:                               ;   in Loop: Header=BB113_55 Depth=2
	s_or_b64 exec, exec, s[94:95]
	s_nop 0
	v_mov_b32_dpp v18, v80 row_bcast:15 row_mask:0xf bank_mask:0xf
	v_mov_b32_dpp v19, v20 row_bcast:15 row_mask:0xf bank_mask:0xf
	s_and_saveexec_b64 s[94:95], s[12:13]
; %bb.70:                               ;   in Loop: Header=BB113_55 Depth=2
	v_fmac_f32_e32 v20, v80, v19
	v_mul_f32_e32 v80, v80, v18
; %bb.71:                               ;   in Loop: Header=BB113_55 Depth=2
	s_or_b64 exec, exec, s[94:95]
	s_nop 0
	v_mov_b32_dpp v18, v80 row_bcast:31 row_mask:0xf bank_mask:0xf
	v_mov_b32_dpp v19, v20 row_bcast:31 row_mask:0xf bank_mask:0xf
	v_mov_b32_e32 v81, v20
	v_mul_f32_e32 v18, v80, v18
	v_fmac_f32_e32 v81, v80, v19
	v_cndmask_b32_e64 v80, v80, v18, s[14:15]
	v_cndmask_b32_e64 v81, v20, v81, s[14:15]
	s_and_saveexec_b64 s[94:95], s[16:17]
	s_cbranch_execz .LBB113_73
; %bb.72:                               ;   in Loop: Header=BB113_55 Depth=2
	ds_write_b64 v43, v[80:81] offset:4224
.LBB113_73:                             ;   in Loop: Header=BB113_55 Depth=2
	s_or_b64 exec, exec, s[94:95]
	scratch_load_dword v19, off, off offset:52 ; 4-byte Folded Reload
	s_waitcnt lgkmcnt(0)
	; wave barrier
	s_waitcnt vmcnt(0) lgkmcnt(0)
	ds_bpermute_b32 v18, v19, v80
	ds_bpermute_b32 v19, v19, v81
	v_mov_b32_e32 v81, v71
	s_and_saveexec_b64 s[94:95], s[18:19]
	s_cbranch_execz .LBB113_77
; %bb.74:                               ;   in Loop: Header=BB113_55 Depth=2
	ds_read_b64 v[80:81], v43 offset:4224
	s_and_saveexec_b64 s[96:97], s[20:21]
	s_cbranch_execz .LBB113_76
; %bb.75:                               ;   in Loop: Header=BB113_55 Depth=2
	ds_write_b64 v43, v[70:71] offset:4224
.LBB113_76:                             ;   in Loop: Header=BB113_55 Depth=2
	s_or_b64 exec, exec, s[96:97]
	s_waitcnt lgkmcnt(0)
	v_fmac_f32_e32 v81, v71, v80
	v_mul_f32_e32 v70, v70, v80
	v_mov_b32_e32 v71, v81
.LBB113_77:                             ;   in Loop: Header=BB113_55 Depth=2
	s_or_b64 exec, exec, s[94:95]
	s_waitcnt lgkmcnt(0)
	; wave barrier
	s_waitcnt lgkmcnt(0)
	ds_read_b32 v80, v43 offset:4228
	s_and_saveexec_b64 s[94:95], s[20:21]
	s_cbranch_execz .LBB113_54
; %bb.78:                               ;   in Loop: Header=BB113_55 Depth=2
	v_mov_b32_e32 v20, s82
	s_andn2_b64 vcc, exec, s[86:87]
	ds_write_b64 v20, v[70:71]
	s_cbranch_vccnz .LBB113_54
; %bb.79:                               ;   in Loop: Header=BB113_55 Depth=2
	s_mov_b32 s93, s79
	s_lshl_b64 s[96:97], s[92:93], 2
	s_add_u32 s96, s65, s96
	s_addc_u32 s97, s69, s97
	global_store_dword v43, v81, s[96:97]
	s_branch .LBB113_54
.LBB113_80:                             ;   in Loop: Header=BB113_12 Depth=1
	scratch_load_dwordx2 v[32:33], off, off offset:136 ; 8-byte Folded Reload
	scratch_load_dwordx4 v[38:41], off, off offset:144 ; 16-byte Folded Reload
	s_mov_b32 s26, 0x3fb8aa3b
	s_mov_b32 s27, 0xc2ce8ed0
	;; [unrolled: 1-line block ×7, first 2 shown]
	v_mov_b32_e32 v30, 0x3ecc95a3
.LBB113_81:                             ;   in Loop: Header=BB113_12 Depth=1
	v_cvt_f16_f32_e32 v2, v62
	v_cvt_f16_f32_e32 v6, v63
	s_waitcnt lgkmcnt(0)
	; wave barrier
	v_cvt_f16_f32_e32 v3, v64
	v_pack_b32_f16 v2, v2, v6
	scratch_load_dword v6, off, off offset:8 ; 4-byte Folded Reload
	v_cvt_f16_f32_e32 v7, v65
	v_cvt_f16_f32_e32 v4, v58
	;; [unrolled: 1-line block ×13, first 2 shown]
	v_pack_b32_f16 v5, v5, v9
	v_pack_b32_f16 v4, v4, v8
	;; [unrolled: 1-line block ×3, first 2 shown]
	s_mov_b32 s3, s79
	s_lshl_b64 s[22:23], s[2:3], 1
	s_waitcnt vmcnt(0)
	ds_write_b128 v6, v[2:5]
	v_pack_b32_f16 v5, v16, v17
	v_pack_b32_f16 v4, v14, v15
	;; [unrolled: 1-line block ×4, first 2 shown]
	ds_write_b128 v6, v[2:5] offset:16
	; wave barrier
	scratch_load_dword v2, off, off         ; 4-byte Folded Reload
	scratch_load_dword v6, off, off offset:4 ; 4-byte Folded Reload
	scratch_load_dwordx2 v[10:11], off, off offset:160 ; 8-byte Folded Reload
	s_waitcnt vmcnt(2)
	ds_read_b128 v[2:5], v2
	s_waitcnt vmcnt(1)
	ds_read_b128 v[6:9], v6 offset:1024
	s_waitcnt vmcnt(0)
	v_lshl_add_u64 v[10:11], v[10:11], 0, s[22:23]
	s_waitcnt lgkmcnt(1)
	v_lshrrev_b32_e32 v14, 16, v5
	global_store_short v[10:11], v2, off
	v_alignbit_b32 v12, v3, v2, 16
	v_alignbit_b32 v2, v5, v4, 16
	;; [unrolled: 1-line block ×3, first 2 shown]
	global_store_short v[10:11], v14, off offset:14
	global_store_dword v[10:11], v2, off offset:10
	global_store_dwordx2 v[10:11], v[12:13], off offset:2
	s_waitcnt lgkmcnt(0)
	global_store_dwordx4 v[10:11], v[6:9], off offset:1024
	s_waitcnt lgkmcnt(0)
	; wave barrier
	scratch_load_dwordx2 v[2:3], off, off offset:168 ; 8-byte Folded Reload
	s_waitcnt vmcnt(0)
	v_lshl_add_u64 v[26:27], v[2:3], 0, s[22:23]
	s_mov_b64 s[22:23], exec
	scratch_load_dwordx4 v[6:9], off, off offset:120 ; 16-byte Folded Reload
	v_readlane_b32 s24, v95, 6
	v_readlane_b32 s25, v95, 7
	s_and_b64 s[24:25], s[22:23], s[24:25]
	s_mov_b64 exec, s[24:25]
	s_cbranch_execz .LBB113_83
; %bb.82:                               ;   in Loop: Header=BB113_12 Depth=1
	global_load_dwordx4 v[6:9], v[26:27], off
.LBB113_83:                             ;   in Loop: Header=BB113_12 Depth=1
	s_or_b64 exec, exec, s[22:23]
	s_mov_b64 s[22:23], exec
	scratch_load_dwordx4 v[2:5], off, off offset:104 ; 16-byte Folded Reload
	v_readlane_b32 s24, v95, 8
	v_readlane_b32 s25, v95, 9
	s_and_b64 s[24:25], s[22:23], s[24:25]
	s_mov_b64 exec, s[24:25]
	s_cbranch_execz .LBB113_11
; %bb.84:                               ;   in Loop: Header=BB113_12 Depth=1
	global_load_dwordx4 v[2:5], v[26:27], off offset:1024
	s_branch .LBB113_11
.LBB113_85:
	s_endpgm
	.section	.rodata,"a",@progbits
	.p2align	6, 0x0
	.amdhsa_kernel _Z25selective_scan_fwd_kernelI32Selective_Scan_fwd_kernel_traitsILi64ELi16ELi1ELb1ELb1ELb1ELb1ELb0EN3c104HalfEffEEv13SSMParamsBase
		.amdhsa_group_segment_fixed_size 0
		.amdhsa_private_segment_fixed_size 252
		.amdhsa_kernarg_size 248
		.amdhsa_user_sgpr_count 2
		.amdhsa_user_sgpr_dispatch_ptr 0
		.amdhsa_user_sgpr_queue_ptr 0
		.amdhsa_user_sgpr_kernarg_segment_ptr 1
		.amdhsa_user_sgpr_dispatch_id 0
		.amdhsa_user_sgpr_kernarg_preload_length 0
		.amdhsa_user_sgpr_kernarg_preload_offset 0
		.amdhsa_user_sgpr_private_segment_size 0
		.amdhsa_uses_dynamic_stack 0
		.amdhsa_enable_private_segment 1
		.amdhsa_system_sgpr_workgroup_id_x 1
		.amdhsa_system_sgpr_workgroup_id_y 1
		.amdhsa_system_sgpr_workgroup_id_z 0
		.amdhsa_system_sgpr_workgroup_info 0
		.amdhsa_system_vgpr_workitem_id 0
		.amdhsa_next_free_vgpr 96
		.amdhsa_next_free_sgpr 100
		.amdhsa_accum_offset 96
		.amdhsa_reserve_vcc 1
		.amdhsa_float_round_mode_32 0
		.amdhsa_float_round_mode_16_64 0
		.amdhsa_float_denorm_mode_32 3
		.amdhsa_float_denorm_mode_16_64 3
		.amdhsa_dx10_clamp 1
		.amdhsa_ieee_mode 1
		.amdhsa_fp16_overflow 0
		.amdhsa_tg_split 0
		.amdhsa_exception_fp_ieee_invalid_op 0
		.amdhsa_exception_fp_denorm_src 0
		.amdhsa_exception_fp_ieee_div_zero 0
		.amdhsa_exception_fp_ieee_overflow 0
		.amdhsa_exception_fp_ieee_underflow 0
		.amdhsa_exception_fp_ieee_inexact 0
		.amdhsa_exception_int_div_zero 0
	.end_amdhsa_kernel
	.section	.text._Z25selective_scan_fwd_kernelI32Selective_Scan_fwd_kernel_traitsILi64ELi16ELi1ELb1ELb1ELb1ELb1ELb0EN3c104HalfEffEEv13SSMParamsBase,"axG",@progbits,_Z25selective_scan_fwd_kernelI32Selective_Scan_fwd_kernel_traitsILi64ELi16ELi1ELb1ELb1ELb1ELb1ELb0EN3c104HalfEffEEv13SSMParamsBase,comdat
.Lfunc_end113:
	.size	_Z25selective_scan_fwd_kernelI32Selective_Scan_fwd_kernel_traitsILi64ELi16ELi1ELb1ELb1ELb1ELb1ELb0EN3c104HalfEffEEv13SSMParamsBase, .Lfunc_end113-_Z25selective_scan_fwd_kernelI32Selective_Scan_fwd_kernel_traitsILi64ELi16ELi1ELb1ELb1ELb1ELb1ELb0EN3c104HalfEffEEv13SSMParamsBase
                                        ; -- End function
	.section	.AMDGPU.csdata,"",@progbits
; Kernel info:
; codeLenInByte = 19936
; NumSgprs: 106
; NumVgprs: 96
; NumAgprs: 0
; TotalNumVgprs: 96
; ScratchSize: 252
; MemoryBound: 1
; FloatMode: 240
; IeeeMode: 1
; LDSByteSize: 0 bytes/workgroup (compile time only)
; SGPRBlocks: 13
; VGPRBlocks: 11
; NumSGPRsForWavesPerEU: 106
; NumVGPRsForWavesPerEU: 96
; AccumOffset: 96
; Occupancy: 5
; WaveLimiterHint : 1
; COMPUTE_PGM_RSRC2:SCRATCH_EN: 1
; COMPUTE_PGM_RSRC2:USER_SGPR: 2
; COMPUTE_PGM_RSRC2:TRAP_HANDLER: 0
; COMPUTE_PGM_RSRC2:TGID_X_EN: 1
; COMPUTE_PGM_RSRC2:TGID_Y_EN: 1
; COMPUTE_PGM_RSRC2:TGID_Z_EN: 0
; COMPUTE_PGM_RSRC2:TIDIG_COMP_CNT: 0
; COMPUTE_PGM_RSRC3_GFX90A:ACCUM_OFFSET: 23
; COMPUTE_PGM_RSRC3_GFX90A:TG_SPLIT: 0
	.section	.text._Z25selective_scan_fwd_kernelI32Selective_Scan_fwd_kernel_traitsILi64ELi16ELi1ELb1ELb1ELb1ELb0ELb1EN3c104HalfEffEEv13SSMParamsBase,"axG",@progbits,_Z25selective_scan_fwd_kernelI32Selective_Scan_fwd_kernel_traitsILi64ELi16ELi1ELb1ELb1ELb1ELb0ELb1EN3c104HalfEffEEv13SSMParamsBase,comdat
	.protected	_Z25selective_scan_fwd_kernelI32Selective_Scan_fwd_kernel_traitsILi64ELi16ELi1ELb1ELb1ELb1ELb0ELb1EN3c104HalfEffEEv13SSMParamsBase ; -- Begin function _Z25selective_scan_fwd_kernelI32Selective_Scan_fwd_kernel_traitsILi64ELi16ELi1ELb1ELb1ELb1ELb0ELb1EN3c104HalfEffEEv13SSMParamsBase
	.globl	_Z25selective_scan_fwd_kernelI32Selective_Scan_fwd_kernel_traitsILi64ELi16ELi1ELb1ELb1ELb1ELb0ELb1EN3c104HalfEffEEv13SSMParamsBase
	.p2align	8
	.type	_Z25selective_scan_fwd_kernelI32Selective_Scan_fwd_kernel_traitsILi64ELi16ELi1ELb1ELb1ELb1ELb0ELb1EN3c104HalfEffEEv13SSMParamsBase,@function
_Z25selective_scan_fwd_kernelI32Selective_Scan_fwd_kernel_traitsILi64ELi16ELi1ELb1ELb1ELb1ELb0ELb1EN3c104HalfEffEEv13SSMParamsBase: ; @_Z25selective_scan_fwd_kernelI32Selective_Scan_fwd_kernel_traitsILi64ELi16ELi1ELb1ELb1ELb1ELb0ELb1EN3c104HalfEffEEv13SSMParamsBase
; %bb.0:
	s_load_dword s27, s[0:1], 0x18
	s_load_dwordx4 s[4:7], s[0:1], 0xe0
	s_load_dwordx2 s[10:11], s[0:1], 0xf0
	s_mov_b32 s20, s3
	s_ashr_i32 s3, s2, 31
	s_waitcnt lgkmcnt(0)
	s_abs_i32 s26, s27
	v_cvt_f32_u32_e32 v1, s26
	s_lshl_b64 s[8:9], s[2:3], 2
	s_add_u32 s24, s4, s8
	s_addc_u32 s25, s5, s9
	v_rcp_iflag_f32_e32 v1, v1
	s_cmp_eq_u64 s[10:11], 0
                                        ; implicit-def: $vgpr95 : SGPR spill to VGPR lane
	v_mul_f32_e32 v1, 0x4f7ffffe, v1
	v_cvt_u32_f32_e32 v1, v1
	s_nop 0
	v_readfirstlane_b32 s28, v1
	s_cbranch_scc1 .LBB114_2
; %bb.1:
	s_add_u32 s4, s10, s2
	s_addc_u32 s5, s11, s3
	v_mov_b32_e32 v1, 0
	global_load_ubyte v1, v1, s[4:5]
	s_waitcnt vmcnt(0)
	v_and_b32_e32 v1, 1, v1
	v_cmp_eq_u32_e64 s[4:5], 1, v1
	s_branch .LBB114_3
.LBB114_2:
	s_mov_b64 s[4:5], 0
.LBB114_3:
	s_nop 0
	v_writelane_b32 v95, s4, 0
	s_cmp_eq_u64 s[6:7], 0
	s_nop 0
	v_writelane_b32 v95, s5, 1
	s_load_dwordx2 s[4:5], s[0:1], 0x20
	s_cbranch_scc1 .LBB114_5
; %bb.4:
	s_add_u32 s2, s6, s8
	s_addc_u32 s3, s7, s9
	s_load_dword s2, s[2:3], 0x0
	s_waitcnt lgkmcnt(0)
	s_ashr_i32 s3, s2, 31
.LBB114_5:
	s_waitcnt lgkmcnt(0)
	s_cmp_eq_u64 s[4:5], s[2:3]
	s_cbranch_scc1 .LBB114_234
; %bb.6:
	s_load_dwordx16 s[4:19], s[0:1], 0x88
	s_load_dwordx2 s[22:23], s[24:25], 0x0
	s_mov_b32 s3, 0
	v_writelane_b32 v95, s3, 2
	v_writelane_b32 v95, s3, 3
	s_waitcnt lgkmcnt(0)
	s_cmp_eq_u64 s[10:11], 0
	s_cbranch_scc1 .LBB114_8
; %bb.7:
	s_ashr_i32 s21, s20, 31
	s_lshl_b64 s[24:25], s[20:21], 2
	s_add_u32 s10, s10, s24
	s_addc_u32 s11, s11, s25
	s_load_dword s3, s[10:11], 0x0
	s_waitcnt lgkmcnt(0)
	v_writelane_b32 v95, s3, 3
.LBB114_8:
	s_cmp_eq_u64 s[16:17], 0
	s_cbranch_scc1 .LBB114_10
; %bb.9:
	s_ashr_i32 s21, s20, 31
	s_lshl_b64 s[10:11], s[20:21], 2
	s_add_u32 s10, s16, s10
	s_addc_u32 s11, s17, s11
	s_load_dword s3, s[10:11], 0x0
	s_waitcnt lgkmcnt(0)
	v_writelane_b32 v95, s3, 2
.LBB114_10:
	s_sub_i32 s29, s23, s22
	s_cmp_lt_i32 s29, 1
	s_cbranch_scc1 .LBB114_234
; %bb.11:
	v_mbcnt_lo_u32_b32 v1, -1, 0
	v_mbcnt_hi_u32_b32 v20, -1, v1
	s_sub_i32 s3, 0, s26
	v_lshrrev_b32_e32 v1, 5, v20
	s_mul_i32 s3, s3, s28
	v_and_b32_e32 v1, 2, v1
	s_mul_hi_u32 s3, s28, s3
	v_add_u32_e32 v1, v1, v20
	s_abs_i32 s21, s20
	s_add_i32 s28, s28, s3
	v_add_u32_e32 v2, 64, v20
	v_lshl_add_u32 v1, v1, 1, 0
	s_load_dwordx8 s[36:43], s[0:1], 0x2c
	s_load_dwordx2 s[10:11], s[0:1], 0x5c
	s_load_dwordx4 s[44:47], s[0:1], 0x4c
	s_load_dwordx4 s[48:51], s[0:1], 0x7c
	s_load_dwordx2 s[24:25], s[0:1], 0x6c
	s_load_dwordx2 s[16:17], s[0:1], 0xc8
	s_mul_hi_u32 s3, s21, s28
	s_load_dword s28, s[0:1], 0xc
	s_load_dword s23, s[0:1], 0x28
	scratch_store_dword off, v1, off offset:4 ; 4-byte Folded Spill
	scratch_store_dword off, v2, off offset:180 ; 4-byte Folded Spill
	v_lshrrev_b32_e32 v1, 5, v2
	s_ashr_i32 s0, s20, 31
	s_ashr_i32 s1, s27, 31
	v_and_b32_e32 v1, 6, v1
	s_xor_b32 s0, s0, s1
	s_mul_i32 s1, s3, s26
	v_add_lshl_u32 v1, v1, v20, 1
	s_sub_i32 s1, s21, s1
	v_or_b32_e32 v3, 0x80, v20
	v_add_u32_e32 v2, 0, v1
	s_add_i32 s21, s3, 1
	s_sub_i32 s27, s1, s26
	scratch_store_dword off, v2, off offset:8 ; 4-byte Folded Spill
	scratch_store_dword off, v3, off offset:184 ; 4-byte Folded Spill
	v_lshrrev_b32_e32 v2, 5, v3
	s_cmp_ge_u32 s1, s26
	v_and_b32_e32 v2, 6, v2
	s_cselect_b32 s3, s21, s3
	v_add_lshl_u32 v2, v2, v20, 1
	s_cselect_b32 s1, s27, s1
	s_add_i32 s21, s3, 1
	v_add_u32_e32 v4, 0xc0, v20
	v_add_u32_e32 v3, 0, v2
	s_cmp_ge_u32 s1, s26
	scratch_store_dword off, v3, off offset:12 ; 4-byte Folded Spill
	scratch_store_dword off, v4, off offset:188 ; 4-byte Folded Spill
	v_lshrrev_b32_e32 v3, 5, v4
	s_cselect_b32 s1, s21, s3
	v_and_b32_e32 v3, 14, v3
	s_xor_b32 s1, s1, s0
	s_waitcnt lgkmcnt(0)
	s_mul_i32 s92, s22, s46
	s_mov_b32 s93, 0
	v_add_lshl_u32 v3, v3, v20, 1
	s_sub_i32 s3, s1, s0
	s_lshl_b64 s[0:1], s[92:93], 1
	v_or_b32_e32 v5, 0x100, v20
	v_add_u32_e32 v4, 0, v3
	s_add_u32 s12, s12, s0
	s_mul_i32 s92, s47, s20
	scratch_store_dword off, v4, off offset:16 ; 4-byte Folded Spill
	scratch_store_dword off, v5, off offset:192 ; 4-byte Folded Spill
	v_lshrrev_b32_e32 v4, 5, v5
	s_addc_u32 s13, s13, s1
	s_lshl_b64 s[0:1], s[92:93], 1
	v_and_b32_e32 v4, 10, v4
	s_add_u32 s26, s12, s0
	s_mul_i32 s92, s22, s10
	v_add_lshl_u32 v4, v4, v20, 1
	s_addc_u32 s27, s13, s1
	s_lshl_b64 s[0:1], s[92:93], 1
	v_add_u32_e32 v6, 0x140, v20
	v_add_u32_e32 v5, 0, v4
	s_add_u32 s10, s14, s0
	s_mul_i32 s92, s11, s20
	scratch_store_dword off, v5, off offset:20 ; 4-byte Folded Spill
	scratch_store_dword off, v6, off offset:196 ; 4-byte Folded Spill
	v_lshrrev_b32_e32 v5, 5, v6
	s_addc_u32 s12, s15, s1
	s_lshl_b64 s[0:1], s[92:93], 1
	v_and_b32_e32 v5, 14, v5
	s_add_u32 s0, s10, s0
	v_add_lshl_u32 v5, v5, v20, 1
	s_addc_u32 s1, s12, s1
	v_or_b32_e32 v7, 0x180, v20
	v_add_u32_e32 v6, 0, v5
	v_writelane_b32 v95, s0, 4
	s_mul_i32 s92, s36, s20
	scratch_store_dword off, v6, off offset:24 ; 4-byte Folded Spill
	scratch_store_dword off, v7, off offset:200 ; 4-byte Folded Spill
	v_lshrrev_b32_e32 v6, 5, v7
	v_writelane_b32 v95, s1, 5
	s_lshl_b64 s[0:1], s[92:93], 2
	v_and_b32_e32 v6, 14, v6
	s_add_u32 s99, s4, s0
	v_add_lshl_u32 v6, v6, v20, 1
	s_addc_u32 s0, s5, s1
	s_mul_i32 s92, s22, s38
	v_add_u32_e32 v8, 0x1c0, v20
	v_add_u32_e32 v7, 0, v6
	v_writelane_b32 v95, s0, 6
	s_lshl_b64 s[0:1], s[92:93], 1
	scratch_store_dword off, v7, off offset:28 ; 4-byte Folded Spill
	scratch_store_dword off, v8, off offset:204 ; 4-byte Folded Spill
	v_lshrrev_b32_e32 v7, 5, v8
	s_add_u32 s4, s6, s0
	s_mul_i32 s92, s3, s41
	v_and_b32_e32 v7, 30, v7
	s_addc_u32 s5, s7, s1
	s_lshl_b64 s[0:1], s[92:93], 1
	v_add_lshl_u32 v7, v7, v20, 1
	s_add_u32 s0, s4, s0
	v_or_b32_e32 v9, 0x200, v20
	v_add_u32_e32 v8, 0, v7
	s_addc_u32 s1, s5, s1
	scratch_store_dword off, v8, off offset:32 ; 4-byte Folded Spill
	scratch_store_dword off, v9, off offset:208 ; 4-byte Folded Spill
	v_lshrrev_b32_e32 v8, 5, v9
	v_writelane_b32 v95, s0, 7
	v_and_b32_e32 v8, 18, v8
	v_add_lshl_u32 v8, v8, v20, 1
	v_writelane_b32 v95, s1, 8
	v_writelane_b32 v95, s36, 9
	v_add_u32_e32 v10, 0x240, v20
	v_add_u32_e32 v9, 0, v8
	v_writelane_b32 v95, s37, 10
	scratch_store_dword off, v9, off offset:36 ; 4-byte Folded Spill
	scratch_store_dword off, v10, off offset:212 ; 4-byte Folded Spill
	v_lshrrev_b32_e32 v9, 5, v10
	v_writelane_b32 v95, s38, 11
	v_and_b32_e32 v9, 22, v9
	v_writelane_b32 v95, s39, 12
	v_add_lshl_u32 v9, v9, v20, 1
	v_writelane_b32 v95, s40, 13
	v_or_b32_e32 v11, 0x280, v20
	v_add_u32_e32 v10, 0, v9
	v_writelane_b32 v95, s41, 14
	scratch_store_dword off, v10, off offset:40 ; 4-byte Folded Spill
	scratch_store_dword off, v11, off offset:216 ; 4-byte Folded Spill
	v_lshrrev_b32_e32 v10, 5, v11
	v_writelane_b32 v95, s42, 15
	s_mul_i32 s92, s22, s42
	v_and_b32_e32 v10, 22, v10
	v_writelane_b32 v95, s43, 16
	s_lshl_b64 s[0:1], s[92:93], 1
	v_add_lshl_u32 v10, v10, v20, 1
	s_add_u32 s4, s8, s0
	v_writelane_b32 v95, s44, 17
	s_mul_i32 s92, s3, s45
	v_add_u32_e32 v12, 0x2c0, v20
	v_add_u32_e32 v11, 0, v10
	s_addc_u32 s5, s9, s1
	v_writelane_b32 v95, s45, 18
	s_lshl_b64 s[0:1], s[92:93], 1
	scratch_store_dword off, v11, off offset:44 ; 4-byte Folded Spill
	scratch_store_dword off, v12, off offset:220 ; 4-byte Folded Spill
	v_lshrrev_b32_e32 v11, 5, v12
	v_writelane_b32 v95, s46, 19
	s_add_u32 s0, s4, s0
	v_and_b32_e32 v11, 30, v11
	v_writelane_b32 v95, s47, 20
	s_addc_u32 s1, s5, s1
	v_add_lshl_u32 v11, v11, v20, 1
	v_writelane_b32 v95, s0, 21
	v_or_b32_e32 v13, 0x300, v20
	v_add_u32_e32 v12, 0, v11
	v_writelane_b32 v95, s1, 22
	s_mul_i32 s92, s2, s48
	scratch_store_dword off, v12, off offset:48 ; 4-byte Folded Spill
	scratch_store_dword off, v13, off offset:224 ; 4-byte Folded Spill
	v_lshrrev_b32_e32 v12, 5, v13
	s_lshl_b64 s[0:1], s[92:93], 2
	v_writelane_b32 v95, s48, 23
	v_and_b32_e32 v12, 26, v12
	s_add_u32 s2, s16, s0
	v_writelane_b32 v95, s49, 24
	s_mul_i32 s92, s49, s20
	v_add_lshl_u32 v12, v12, v20, 1
	s_addc_u32 s3, s17, s1
	v_writelane_b32 v95, s50, 25
	s_lshl_b64 s[0:1], s[92:93], 2
	v_add_u32_e32 v14, 0x340, v20
	v_add_u32_e32 v13, 0, v12
	v_writelane_b32 v95, s51, 26
	s_add_u32 s0, s2, s0
	scratch_store_dword off, v13, off offset:52 ; 4-byte Folded Spill
	scratch_store_dword off, v14, off offset:228 ; 4-byte Folded Spill
	v_lshrrev_b32_e32 v13, 5, v14
	v_writelane_b32 v95, s0, 27
	s_addc_u32 s0, s3, s1
	v_and_b32_e32 v13, 30, v13
	v_writelane_b32 v95, s0, 28
	s_add_i32 s0, s29, 0x7ff
	v_add_lshl_u32 v13, v13, v20, 1
	s_lshr_b32 s1, s0, 11
	v_or_b32_e32 v15, 0x380, v20
	v_add_u32_e32 v14, 0, v13
	scratch_store_dword off, v14, off offset:56 ; 4-byte Folded Spill
	scratch_store_dword off, v15, off offset:232 ; 4-byte Folded Spill
	v_lshrrev_b32_e32 v14, 5, v15
	s_bitcmp1_b32 s23, 0
	v_and_b32_e32 v14, 30, v14
	s_cselect_b64 s[4:5], -1, 0
	s_cmp_gt_i32 s28, 0
	v_add_lshl_u32 v14, v14, v20, 1
	s_cselect_b64 s[2:3], -1, 0
	s_add_i32 s0, 0, 0x840
	v_add_u32_e32 v15, 0, v14
	v_add_u32_e32 v1, s0, v1
	;; [unrolled: 1-line block ×3, first 2 shown]
	scratch_store_dword off, v15, off offset:60 ; 4-byte Folded Spill
	scratch_store_dword off, v16, off offset:236 ; 4-byte Folded Spill
	;; [unrolled: 1-line block ×3, first 2 shown]
	v_add_u32_e32 v1, s0, v2
	scratch_store_dword off, v1, off offset:100 ; 4-byte Folded Spill
	v_add_u32_e32 v1, s0, v3
	scratch_store_dword off, v1, off offset:104 ; 4-byte Folded Spill
	;; [unrolled: 2-line block ×7, first 2 shown]
	v_add_u32_e32 v1, s0, v9
	v_lshrrev_b32_e32 v15, 5, v16
	scratch_store_dword off, v1, off offset:128 ; 4-byte Folded Spill
	v_add_u32_e32 v1, s0, v10
	v_and_b32_e32 v15, 62, v15
	scratch_store_dword off, v1, off offset:132 ; 4-byte Folded Spill
	v_add_u32_e32 v1, s0, v11
	v_add_lshl_u32 v15, v15, v20, 1
	scratch_store_dword off, v1, off offset:136 ; 4-byte Folded Spill
	v_add_u32_e32 v1, s0, v12
	v_add_u32_e32 v16, 0, v15
	v_lshrrev_b32_e32 v18, 1, v20
	scratch_store_dword off, v1, off offset:140 ; 4-byte Folded Spill
	v_add_u32_e32 v1, s0, v13
	scratch_store_dword off, v16, off offset:64 ; 4-byte Folded Spill
	v_lshlrev_b32_e32 v16, 4, v20
	v_and_b32_e32 v18, 62, v18
	scratch_store_dword off, v1, off offset:144 ; 4-byte Folded Spill
	v_add_u32_e32 v1, s0, v14
	v_add_lshl_u32 v16, v18, v16, 1
	v_writelane_b32 v95, s28, 29
	scratch_store_dword off, v1, off offset:148 ; 4-byte Folded Spill
	v_add_u32_e32 v1, s0, v15
	v_writelane_b32 v95, s2, 30
	scratch_store_dword off, v1, off offset:152 ; 4-byte Folded Spill
	v_add_u32_e32 v1, s0, v16
	s_and_b32 s0, s29, 0x3ff
	v_writelane_b32 v95, s3, 31
	s_cmp_eq_u32 s0, 0
	v_writelane_b32 v95, s29, 32
	s_cselect_b64 s[2:3], -1, 0
	scratch_store_dword off, v1, off offset:156 ; 4-byte Folded Spill
	v_writelane_b32 v95, s2, 33
	v_and_b32_e32 v1, 15, v20
	v_cmp_lt_u32_e64 s[6:7], 7, v1
	v_writelane_b32 v95, s3, 34
	v_cmp_ne_u32_e64 s[2:3], 0, v1
	s_add_i32 s0, s1, -1
	s_mul_i32 s92, s22, s24
	v_writelane_b32 v95, s2, 35
	v_and_b32_e32 v2, 64, v20
	v_lshlrev_b32_e32 v19, 4, v0
	v_writelane_b32 v95, s3, 36
	v_cmp_lt_u32_e64 s[2:3], 1, v1
	v_cmp_gt_u32_e64 s[14:15], 64, v0
	v_cmp_eq_u32_e64 s[16:17], 0, v0
	v_writelane_b32 v95, s2, 37
	v_add_u32_e32 v18, 0, v16
	v_mov_b32_e32 v17, 0
	v_writelane_b32 v95, s3, 38
	v_cmp_lt_u32_e64 s[2:3], 3, v1
	v_writelane_b32 v95, s6, 39
	v_and_b32_e32 v1, 16, v20
	scratch_store_dword off, v18, off       ; 4-byte Folded Spill
	v_writelane_b32 v95, s7, 40
	v_cmp_ne_u32_e64 s[6:7], 0, v1
	v_add_u32_e32 v1, -1, v20
	v_cmp_lt_i32_e32 vcc, v1, v2
	v_writelane_b32 v95, s6, 41
	v_lshlrev_b32_e32 v16, 1, v20
	v_cndmask_b32_e32 v1, v1, v20, vcc
	v_writelane_b32 v95, s7, 42
	v_writelane_b32 v95, s1, 43
	v_writelane_b32 v95, s0, 44
	s_lshl_b64 s[0:1], s[92:93], 1
	s_add_u32 s18, s18, s0
	s_addc_u32 s19, s19, s1
	v_cmp_eq_u32_e64 s[0:1], 63, v0
	v_lshlrev_b32_e32 v1, 2, v1
	v_mov_b32_e32 v0, v20
	scratch_store_dwordx2 off, v[0:1], off offset:172 ; 8-byte Folded Spill
	v_or_b32_e32 v0, 1, v19
	scratch_store_dword off, v0, off offset:252 ; 4-byte Folded Spill
	v_or_b32_e32 v0, 2, v19
	scratch_store_dword off, v0, off offset:256 ; 4-byte Folded Spill
	v_or_b32_e32 v0, 3, v19
	scratch_store_dword off, v0, off offset:260 ; 4-byte Folded Spill
	v_or_b32_e32 v0, 4, v19
	scratch_store_dword off, v0, off offset:264 ; 4-byte Folded Spill
	v_or_b32_e32 v0, 5, v19
	scratch_store_dword off, v0, off offset:268 ; 4-byte Folded Spill
	v_or_b32_e32 v0, 6, v19
	scratch_store_dword off, v0, off offset:272 ; 4-byte Folded Spill
                                        ; implicit-def: $vgpr0
	v_writelane_b32 v95, s0, 45
	v_or_b32_e32 v0, 7, v19
	scratch_store_dword off, v0, off offset:276 ; 4-byte Folded Spill
	v_or_b32_e32 v0, 8, v19
	s_mul_i32 s92, s25, s20
	scratch_store_dword off, v0, off offset:280 ; 4-byte Folded Spill
	v_or_b32_e32 v0, 9, v19
	v_writelane_b32 v95, s1, 46
	s_lshl_b64 s[0:1], s[92:93], 1
	scratch_store_dword off, v0, off offset:284 ; 4-byte Folded Spill
	v_or_b32_e32 v0, 10, v19
	s_add_u32 s0, s18, s0
	scratch_store_dword off, v0, off offset:288 ; 4-byte Folded Spill
	v_or_b32_e32 v0, 11, v19
	s_addc_u32 s1, s19, s1
	s_add_i32 s18, 0, 0x1088
	scratch_store_dword off, v0, off offset:292 ; 4-byte Folded Spill
	v_or_b32_e32 v0, 12, v19
	v_writelane_b32 v95, s18, 47
	scratch_store_dword off, v0, off offset:296 ; 4-byte Folded Spill
	v_or_b32_e32 v0, 13, v19
	scratch_store_dword off, v0, off offset:300 ; 4-byte Folded Spill
	v_or_b32_e32 v0, 14, v19
	v_writelane_b32 v95, s99, 48
	scratch_store_dword off, v1, off offset:160 ; 4-byte Folded Spill
	scratch_store_dword off, v0, off offset:304 ; 4-byte Folded Spill
	;; [unrolled: 1-line block ×3, first 2 shown]
	v_or_b32_e32 v0, 15, v19
	v_writelane_b32 v95, s4, 49
	v_cmp_lt_u32_e64 s[12:13], 31, v20
	s_mov_b32 s6, 0x41a00000
	s_mov_b32 s7, 0x3fb8aa3b
	;; [unrolled: 1-line block ×10, first 2 shown]
	scratch_store_dword off, v0, off offset:308 ; 4-byte Folded Spill
	v_mov_b32_e32 v40, 0x3ecc95a3
	v_mov_b32_e32 v41, 0x7f800000
	;; [unrolled: 1-line block ×4, first 2 shown]
	v_lshl_add_u64 v[0:1], s[0:1], 0, v[16:17]
	v_mov_b32_e32 v42, 0x3f317218
	v_writelane_b32 v95, s5, 50
	scratch_store_dwordx2 off, v[0:1], off offset:240 ; 8-byte Folded Spill
	s_branch .LBB114_13
.LBB114_12:                             ;   in Loop: Header=BB114_13 Depth=1
	s_or_b64 exec, exec, s[18:19]
	v_readlane_b32 s0, v95, 4
	v_readlane_b32 s1, v95, 5
	s_add_u32 s0, s0, 0x800
	s_addc_u32 s1, s1, 0
	v_writelane_b32 v95, s0, 4
	s_nop 1
	v_writelane_b32 v95, s1, 5
	s_nop 0
	v_readlane_b32 s26, v95, 54
	v_readlane_b32 s27, v95, 55
	s_add_u32 s26, s26, 0x800
	s_addc_u32 s27, s27, 0
	v_readlane_b32 s0, v95, 7
	v_readlane_b32 s1, v95, 8
	s_add_u32 s0, s0, 0x800
	s_addc_u32 s1, s1, 0
	v_writelane_b32 v95, s0, 7
	s_nop 1
	v_writelane_b32 v95, s1, 8
	s_nop 0
	v_readlane_b32 s0, v95, 21
	v_readlane_b32 s1, v95, 22
	s_add_u32 s0, s0, 0x800
	s_addc_u32 s1, s1, 0
	v_writelane_b32 v95, s0, 21
	s_nop 1
	v_writelane_b32 v95, s1, 22
	s_nop 0
	v_readlane_b32 s18, v95, 51
	s_add_i32 s18, s18, 1
	v_readlane_b32 s0, v95, 43
	s_cmp_eq_u32 s18, s0
	s_cbranch_scc1 .LBB114_234
.LBB114_13:                             ; =>This Loop Header: Depth=1
                                        ;     Child Loop BB114_110 Depth 2
	s_waitcnt lgkmcnt(0)
	; wave barrier
	s_waitcnt vmcnt(63) expcnt(7) lgkmcnt(15)
	scratch_load_dwordx2 v[0:1], off, off offset:172 ; 8-byte Folded Reload
	s_lshl_b32 s20, s18, 10
	v_writelane_b32 v95, s18, 51
	s_mov_b32 s18, s20
	v_readlane_b32 s0, v95, 32
	v_writelane_b32 v95, s18, 52
	s_sub_i32 s82, s0, s20
	s_waitcnt vmcnt(0) lgkmcnt(0)
	v_mov_b32_e32 v2, v0
	v_writelane_b32 v95, s19, 53
	v_lshlrev_b32_e32 v16, 1, v2
	v_writelane_b32 v95, s26, 54
	v_cmp_gt_u32_e64 s[18:19], s82, v2
	v_mov_b32_e32 v2, 0
	v_writelane_b32 v95, s27, 55
	v_lshl_add_u64 v[0:1], s[26:27], 0, v[16:17]
	s_and_saveexec_b64 s[20:21], s[18:19]
	s_cbranch_execz .LBB114_15
; %bb.14:                               ;   in Loop: Header=BB114_13 Depth=1
	global_load_ushort v2, v[0:1], off
.LBB114_15:                             ;   in Loop: Header=BB114_13 Depth=1
	s_or_b64 exec, exec, s[20:21]
	scratch_load_dword v3, off, off offset:180 ; 4-byte Folded Reload
	v_mov_b32_e32 v4, 0
	s_waitcnt vmcnt(0)
	v_cmp_gt_u32_e64 s[20:21], s82, v3
	v_mov_b32_e32 v3, 0
	s_and_saveexec_b64 s[22:23], s[20:21]
	s_cbranch_execz .LBB114_17
; %bb.16:                               ;   in Loop: Header=BB114_13 Depth=1
	global_load_ushort v4, v[0:1], off offset:128
.LBB114_17:                             ;   in Loop: Header=BB114_13 Depth=1
	s_or_b64 exec, exec, s[22:23]
	scratch_load_dword v5, off, off offset:184 ; 4-byte Folded Reload
	s_waitcnt vmcnt(0)
	v_cmp_gt_u32_e64 s[22:23], s82, v5
	s_and_saveexec_b64 s[24:25], s[22:23]
	s_cbranch_execz .LBB114_19
; %bb.18:                               ;   in Loop: Header=BB114_13 Depth=1
	global_load_ushort v3, v[0:1], off offset:256
.LBB114_19:                             ;   in Loop: Header=BB114_13 Depth=1
	s_or_b64 exec, exec, s[24:25]
	scratch_load_dword v5, off, off offset:188 ; 4-byte Folded Reload
	v_mov_b32_e32 v6, 0
	s_waitcnt vmcnt(0)
	v_cmp_gt_u32_e64 s[24:25], s82, v5
	v_mov_b32_e32 v5, 0
	s_and_saveexec_b64 s[26:27], s[24:25]
	s_cbranch_execz .LBB114_21
; %bb.20:                               ;   in Loop: Header=BB114_13 Depth=1
	global_load_ushort v6, v[0:1], off offset:384
.LBB114_21:                             ;   in Loop: Header=BB114_13 Depth=1
	s_or_b64 exec, exec, s[26:27]
	scratch_load_dword v7, off, off offset:192 ; 4-byte Folded Reload
	s_waitcnt vmcnt(0)
	v_cmp_gt_u32_e64 s[26:27], s82, v7
	s_and_saveexec_b64 s[28:29], s[26:27]
	s_cbranch_execz .LBB114_23
; %bb.22:                               ;   in Loop: Header=BB114_13 Depth=1
	global_load_ushort v5, v[0:1], off offset:512
.LBB114_23:                             ;   in Loop: Header=BB114_13 Depth=1
	;; [unrolled: 20-line block ×4, first 2 shown]
	s_or_b64 exec, exec, s[38:39]
	scratch_load_dword v10, off, off offset:212 ; 4-byte Folded Reload
	v_mov_b32_e32 v12, 0
	v_mov_b32_e32 v13, 0
	s_waitcnt vmcnt(0)
	v_cmp_gt_u32_e64 s[38:39], s82, v10
	s_and_saveexec_b64 s[40:41], s[38:39]
	s_cbranch_execz .LBB114_33
; %bb.32:                               ;   in Loop: Header=BB114_13 Depth=1
	global_load_ushort v13, v[0:1], off offset:1152
.LBB114_33:                             ;   in Loop: Header=BB114_13 Depth=1
	s_or_b64 exec, exec, s[40:41]
	scratch_load_dword v10, off, off offset:216 ; 4-byte Folded Reload
	s_waitcnt vmcnt(0)
	v_cmp_gt_u32_e64 s[40:41], s82, v10
	s_and_saveexec_b64 s[42:43], s[40:41]
	s_cbranch_execz .LBB114_35
; %bb.34:                               ;   in Loop: Header=BB114_13 Depth=1
	global_load_ushort v12, v[0:1], off offset:1280
.LBB114_35:                             ;   in Loop: Header=BB114_13 Depth=1
	s_or_b64 exec, exec, s[42:43]
	scratch_load_dword v10, off, off offset:220 ; 4-byte Folded Reload
	v_mov_b32_e32 v14, 0
	v_mov_b32_e32 v15, 0
	s_waitcnt vmcnt(0)
	v_cmp_gt_u32_e64 s[42:43], s82, v10
	s_and_saveexec_b64 s[44:45], s[42:43]
	s_cbranch_execz .LBB114_37
; %bb.36:                               ;   in Loop: Header=BB114_13 Depth=1
	global_load_ushort v15, v[0:1], off offset:1408
.LBB114_37:                             ;   in Loop: Header=BB114_13 Depth=1
	s_or_b64 exec, exec, s[44:45]
	scratch_load_dword v10, off, off offset:224 ; 4-byte Folded Reload
	s_waitcnt vmcnt(0)
	v_cmp_gt_u32_e64 s[44:45], s82, v10
	s_and_saveexec_b64 s[46:47], s[44:45]
	s_cbranch_execz .LBB114_39
; %bb.38:                               ;   in Loop: Header=BB114_13 Depth=1
	global_load_ushort v14, v[0:1], off offset:1536
.LBB114_39:                             ;   in Loop: Header=BB114_13 Depth=1
	;; [unrolled: 20-line block ×3, first 2 shown]
	s_or_b64 exec, exec, s[50:51]
	scratch_load_dword v10, off, off offset:236 ; 4-byte Folded Reload
	v_mov_b32_e32 v20, 0
	s_waitcnt vmcnt(0)
	v_cmp_gt_u32_e64 s[50:51], s82, v10
	v_mov_b32_e32 v10, 0
	s_and_saveexec_b64 s[52:53], s[50:51]
	s_cbranch_execz .LBB114_45
; %bb.44:                               ;   in Loop: Header=BB114_13 Depth=1
	global_load_ushort v20, v[0:1], off offset:1920
.LBB114_45:                             ;   in Loop: Header=BB114_13 Depth=1
	s_or_b64 exec, exec, s[52:53]
	scratch_load_dword v0, off, off offset:4 ; 4-byte Folded Reload
	v_readlane_b32 s0, v95, 4
	v_readlane_b32 s1, v95, 5
	s_waitcnt vmcnt(0)
	ds_write_b16 v0, v2
	scratch_load_dword v0, off, off offset:8 ; 4-byte Folded Reload
	s_waitcnt vmcnt(0)
	ds_write_b16 v0, v4 offset:128
	scratch_load_dword v0, off, off offset:12 ; 4-byte Folded Reload
	s_waitcnt vmcnt(0)
	ds_write_b16 v0, v3 offset:256
	;; [unrolled: 3-line block ×8, first 2 shown]
	scratch_load_dword v0, off, off offset:40 ; 4-byte Folded Reload
	v_lshl_add_u64 v[8:9], s[0:1], 0, v[16:17]
	s_waitcnt vmcnt(0)
	ds_write_b16 v0, v13 offset:1152
	scratch_load_dword v0, off, off offset:44 ; 4-byte Folded Reload
	s_waitcnt vmcnt(0)
	ds_write_b16 v0, v12 offset:1280
	scratch_load_dword v0, off, off offset:48 ; 4-byte Folded Reload
	;; [unrolled: 3-line block ×6, first 2 shown]
	s_waitcnt vmcnt(0)
	ds_write_b16 v0, v20 offset:1920
	; wave barrier
	scratch_load_dword v4, off, off         ; 4-byte Folded Reload
	s_waitcnt vmcnt(0)
	ds_read_b128 v[0:3], v4
	ds_read_b128 v[4:7], v4 offset:16
	s_waitcnt lgkmcnt(0)
	; wave barrier
	s_waitcnt lgkmcnt(0)
	s_and_saveexec_b64 s[52:53], s[18:19]
	s_cbranch_execz .LBB114_47
; %bb.46:                               ;   in Loop: Header=BB114_13 Depth=1
	global_load_ushort v10, v[8:9], off
.LBB114_47:                             ;   in Loop: Header=BB114_13 Depth=1
	s_or_b64 exec, exec, s[52:53]
	v_mov_b32_e32 v11, 0
	v_mov_b32_e32 v12, 0
	s_and_saveexec_b64 s[52:53], s[20:21]
	s_cbranch_execz .LBB114_49
; %bb.48:                               ;   in Loop: Header=BB114_13 Depth=1
	global_load_ushort v12, v[8:9], off offset:128
.LBB114_49:                             ;   in Loop: Header=BB114_13 Depth=1
	s_or_b64 exec, exec, s[52:53]
	s_and_saveexec_b64 s[52:53], s[22:23]
	s_cbranch_execz .LBB114_51
; %bb.50:                               ;   in Loop: Header=BB114_13 Depth=1
	global_load_ushort v11, v[8:9], off offset:256
.LBB114_51:                             ;   in Loop: Header=BB114_13 Depth=1
	s_or_b64 exec, exec, s[52:53]
	v_mov_b32_e32 v13, 0
	v_mov_b32_e32 v14, 0
	s_and_saveexec_b64 s[52:53], s[24:25]
	s_cbranch_execz .LBB114_53
; %bb.52:                               ;   in Loop: Header=BB114_13 Depth=1
	global_load_ushort v14, v[8:9], off offset:384
.LBB114_53:                             ;   in Loop: Header=BB114_13 Depth=1
	s_or_b64 exec, exec, s[52:53]
	s_and_saveexec_b64 s[52:53], s[26:27]
	s_cbranch_execz .LBB114_55
; %bb.54:                               ;   in Loop: Header=BB114_13 Depth=1
	global_load_ushort v13, v[8:9], off offset:512
.LBB114_55:                             ;   in Loop: Header=BB114_13 Depth=1
	;; [unrolled: 14-line block ×6, first 2 shown]
	s_or_b64 exec, exec, s[52:53]
	v_mov_b32_e32 v25, 0
	v_mov_b32_e32 v26, 0
	s_and_saveexec_b64 s[52:53], s[46:47]
	s_cbranch_execnz .LBB114_216
; %bb.72:                               ;   in Loop: Header=BB114_13 Depth=1
	s_or_b64 exec, exec, s[52:53]
	s_and_saveexec_b64 s[52:53], s[48:49]
	s_cbranch_execnz .LBB114_217
.LBB114_73:                             ;   in Loop: Header=BB114_13 Depth=1
	s_or_b64 exec, exec, s[52:53]
	v_mov_b32_e32 v27, 0
	s_and_saveexec_b64 s[52:53], s[50:51]
	s_cbranch_execz .LBB114_75
.LBB114_74:                             ;   in Loop: Header=BB114_13 Depth=1
	global_load_ushort v27, v[8:9], off offset:1920
.LBB114_75:                             ;   in Loop: Header=BB114_13 Depth=1
	s_or_b64 exec, exec, s[52:53]
	scratch_load_dword v8, off, off offset:4 ; 4-byte Folded Reload
	v_readlane_b32 s0, v95, 2
	s_waitcnt vmcnt(0)
	ds_write_b16 v8, v10
	scratch_load_dword v8, off, off offset:8 ; 4-byte Folded Reload
	s_waitcnt vmcnt(0)
	ds_write_b16 v8, v12 offset:128
	scratch_load_dword v8, off, off offset:12 ; 4-byte Folded Reload
	s_waitcnt vmcnt(0)
	ds_write_b16 v8, v11 offset:256
	;; [unrolled: 3-line block ×15, first 2 shown]
	; wave barrier
	scratch_load_dword v8, off, off         ; 4-byte Folded Reload
	s_waitcnt vmcnt(0)
	ds_read_b128 v[12:15], v8
	ds_read_b128 v[8:11], v8 offset:16
	s_waitcnt lgkmcnt(1)
	v_cvt_f32_f16_e32 v18, v12
	v_add_f32_e32 v70, s0, v18
	v_cmp_ge_f32_e32 vcc, s6, v70
	s_and_b64 s[0:1], s[4:5], vcc
	s_and_saveexec_b64 s[54:55], s[0:1]
	s_cbranch_execz .LBB114_77
; %bb.76:                               ;   in Loop: Header=BB114_13 Depth=1
	v_mul_f32_e32 v18, 0x3fb8aa3b, v70
	v_rndne_f32_e32 v19, v18
	v_sub_f32_e32 v20, v18, v19
	v_fma_f32 v18, v70, s7, -v18
	v_fmac_f32_e32 v18, 0x32a5705f, v70
	v_add_f32_e32 v18, v20, v18
	v_cvt_i32_f32_e32 v19, v19
	v_exp_f32_e32 v18, v18
	v_cmp_ngt_f32_e32 vcc, s8, v70
	v_ldexp_f32 v18, v18, v19
	s_nop 0
	v_cndmask_b32_e32 v18, 0, v18, vcc
	v_cmp_nlt_f32_e32 vcc, s9, v70
	s_nop 1
	v_cndmask_b32_e32 v34, v41, v18, vcc
	v_add_f32_e32 v20, 1.0, v34
	v_add_f32_e32 v18, -1.0, v20
	v_sub_f32_e32 v19, v18, v20
	v_add_f32_e32 v19, 1.0, v19
	v_sub_f32_e32 v18, v34, v18
	v_add_f32_e32 v21, v18, v19
	v_frexp_mant_f32_e32 v22, v20
	v_cvt_f64_f32_e32 v[18:19], v20
	v_frexp_exp_i32_f64_e32 v18, v[18:19]
	v_cmp_gt_f32_e32 vcc, s11, v22
	v_cmp_gt_f32_e64 s[52:53], s57, v34
	s_nop 0
	v_subbrev_co_u32_e32 v26, vcc, 0, v18, vcc
	v_sub_u32_e32 v18, 0, v26
	v_ldexp_f32 v19, v20, v18
	v_add_f32_e32 v20, -1.0, v19
	v_add_f32_e32 v22, 1.0, v19
	v_ldexp_f32 v18, v21, v18
	v_add_f32_e32 v21, 1.0, v20
	v_add_f32_e32 v23, -1.0, v22
	v_sub_f32_e32 v21, v19, v21
	v_sub_f32_e32 v19, v19, v23
	v_add_f32_e32 v21, v18, v21
	v_add_f32_e32 v18, v18, v19
	;; [unrolled: 1-line block ×3, first 2 shown]
	v_rcp_f32_e32 v29, v27
	v_sub_f32_e32 v19, v22, v27
	v_add_f32_e32 v28, v18, v19
	v_add_f32_e32 v19, v20, v21
	v_mul_f32_e32 v31, v19, v29
	v_sub_f32_e32 v18, v20, v19
	v_mul_f32_e32 v20, v27, v31
	v_fma_f32 v22, v31, v27, -v20
	v_fmac_f32_e32 v22, v31, v28
	v_add_f32_e32 v30, v21, v18
	v_add_f32_e32 v18, v20, v22
	v_sub_f32_e32 v21, v19, v18
	v_pk_add_f32 v[24:25], v[18:19], v[20:21] neg_lo:[0,1] neg_hi:[0,1]
	v_mov_b32_e32 v23, v18
	v_pk_add_f32 v[18:19], v[24:25], v[22:23] neg_lo:[0,1] neg_hi:[0,1]
	v_cmp_eq_f32_e32 vcc, s10, v34
	v_add_f32_e32 v19, v30, v19
	v_add_f32_e32 v18, v18, v19
	;; [unrolled: 1-line block ×3, first 2 shown]
	v_mul_f32_e32 v30, v29, v19
	v_mul_f32_e32 v20, v27, v30
	v_fma_f32 v22, v30, v27, -v20
	v_fmac_f32_e32 v22, v30, v28
	v_sub_f32_e32 v21, v21, v19
	v_add_f32_e32 v27, v18, v21
	v_add_f32_e32 v18, v20, v22
	v_sub_f32_e32 v21, v19, v18
	v_pk_add_f32 v[24:25], v[18:19], v[20:21] neg_lo:[0,1] neg_hi:[0,1]
	v_mov_b32_e32 v23, v18
	v_pk_add_f32 v[18:19], v[24:25], v[22:23] neg_lo:[0,1] neg_hi:[0,1]
	s_or_b64 vcc, s[52:53], vcc
	v_add_f32_e32 v19, v27, v19
	v_add_f32_e32 v18, v18, v19
	;; [unrolled: 1-line block ×4, first 2 shown]
	v_sub_f32_e32 v20, v19, v31
	v_mul_f32_e32 v18, v29, v18
	v_sub_f32_e32 v20, v30, v20
	v_add_f32_e32 v20, v20, v18
	v_add_f32_e32 v22, v19, v20
	v_mul_f32_e32 v23, v22, v22
	v_fmamk_f32 v18, v23, 0x3e9b6dac, v40
	v_fmaak_f32 v43, v23, v18, 0x3f2aaada
	v_cvt_f32_i32_e32 v18, v26
	v_sub_f32_e32 v19, v22, v19
	v_sub_f32_e32 v19, v20, v19
	v_ldexp_f32 v24, v19, 1
	v_mul_f32_e32 v19, v22, v23
	v_ldexp_f32 v21, v22, 1
	v_pk_mul_f32 v[22:23], v[18:19], v[42:43]
	s_nop 0
	v_fma_f32 v20, v18, s56, -v22
	v_fmac_f32_e32 v20, 0xb102e308, v18
	v_pk_add_f32 v[18:19], v[22:23], v[20:21]
	s_nop 0
	v_sub_f32_e32 v21, v19, v21
	v_sub_f32_e32 v21, v23, v21
	v_add_f32_e32 v25, v24, v21
	v_mov_b32_e32 v24, v22
	v_pk_add_f32 v[22:23], v[18:19], v[22:23] neg_lo:[0,1] neg_hi:[0,1]
	v_pk_add_f32 v[26:27], v[18:19], v[24:25]
	v_mov_b32_e32 v21, v18
	v_mov_b32_e32 v23, v27
	v_pk_add_f32 v[28:29], v[20:21], v[22:23] neg_lo:[0,1] neg_hi:[0,1]
	v_pk_add_f32 v[20:21], v[20:21], v[22:23]
	v_mov_b32_e32 v24, v25
	v_mov_b32_e32 v22, v21
	v_pk_add_f32 v[30:31], v[22:23], v[18:19] neg_lo:[0,1] neg_hi:[0,1]
	v_mov_b32_e32 v20, v27
	v_mov_b32_e32 v23, v30
	v_pk_add_f32 v[32:33], v[26:27], v[22:23] neg_lo:[0,1] neg_hi:[0,1]
	v_mov_b32_e32 v26, v19
	v_mov_b32_e32 v27, v30
	;; [unrolled: 1-line block ×3, first 2 shown]
	v_pk_add_f32 v[20:21], v[20:21], v[26:27] neg_lo:[0,1] neg_hi:[0,1]
	v_mov_b32_e32 v25, v18
	v_pk_add_f32 v[18:19], v[24:25], v[20:21] neg_lo:[0,1] neg_hi:[0,1]
	v_mov_b32_e32 v32, v28
	v_pk_add_f32 v[20:21], v[32:33], v[18:19]
	s_nop 0
	v_mov_b32_e32 v24, v21
	v_pk_add_f32 v[24:25], v[20:21], v[24:25]
	s_nop 0
	v_pk_add_f32 v[22:23], v[22:23], v[24:25]
	v_mov_b32_e32 v19, v24
	v_mov_b32_e32 v21, v22
	v_pk_add_f32 v[26:27], v[20:21], v[28:29] neg_lo:[0,1] neg_hi:[0,1]
	s_nop 0
	v_sub_f32_e32 v20, v20, v26
	v_pk_add_f32 v[18:19], v[18:19], v[26:27] neg_lo:[0,1] neg_hi:[0,1]
	v_sub_f32_e32 v20, v28, v20
	v_add_f32_e32 v18, v18, v20
	v_add_f32_e32 v18, v18, v19
	;; [unrolled: 1-line block ×3, first 2 shown]
	v_cndmask_b32_e32 v70, v18, v34, vcc
.LBB114_77:                             ;   in Loop: Header=BB114_13 Depth=1
	s_or_b64 exec, exec, s[54:55]
	v_cvt_f32_f16_sdwa v12, v12 dst_sel:DWORD dst_unused:UNUSED_PAD src0_sel:WORD_1
	v_readlane_b32 s0, v95, 2
	s_nop 1
	v_add_f32_e32 v19, s0, v12
	v_cmp_ge_f32_e32 vcc, s6, v19
	s_and_b64 s[0:1], s[4:5], vcc
	s_and_saveexec_b64 s[54:55], s[0:1]
	s_cbranch_execz .LBB114_79
; %bb.78:                               ;   in Loop: Header=BB114_13 Depth=1
	v_mul_f32_e32 v12, 0x3fb8aa3b, v19
	v_rndne_f32_e32 v18, v12
	v_sub_f32_e32 v20, v12, v18
	v_fma_f32 v12, v19, s7, -v12
	v_fmac_f32_e32 v12, 0x32a5705f, v19
	v_add_f32_e32 v12, v20, v12
	v_cvt_i32_f32_e32 v18, v18
	v_exp_f32_e32 v12, v12
	v_cmp_ngt_f32_e32 vcc, s8, v19
	v_ldexp_f32 v12, v12, v18
	s_nop 0
	v_cndmask_b32_e32 v12, 0, v12, vcc
	v_cmp_nlt_f32_e32 vcc, s9, v19
	s_nop 1
	v_cndmask_b32_e32 v32, v41, v12, vcc
	v_add_f32_e32 v12, 1.0, v32
	v_add_f32_e32 v18, -1.0, v12
	v_sub_f32_e32 v19, v18, v12
	v_add_f32_e32 v19, 1.0, v19
	v_sub_f32_e32 v18, v32, v18
	v_add_f32_e32 v20, v18, v19
	v_frexp_mant_f32_e32 v21, v12
	v_cvt_f64_f32_e32 v[18:19], v12
	v_frexp_exp_i32_f64_e32 v18, v[18:19]
	v_cmp_gt_f32_e32 vcc, s11, v21
	v_cmp_gt_f32_e64 s[52:53], s57, v32
	s_nop 0
	v_subbrev_co_u32_e32 v26, vcc, 0, v18, vcc
	v_sub_u32_e32 v18, 0, v26
	v_ldexp_f32 v12, v12, v18
	v_ldexp_f32 v18, v20, v18
	v_add_f32_e32 v20, -1.0, v12
	v_add_f32_e32 v19, 1.0, v20
	v_sub_f32_e32 v19, v12, v19
	v_add_f32_e32 v21, v18, v19
	v_add_f32_e32 v19, 1.0, v12
	v_add_f32_e32 v22, -1.0, v19
	v_sub_f32_e32 v12, v12, v22
	v_add_f32_e32 v12, v18, v12
	v_add_f32_e32 v27, v19, v12
	v_rcp_f32_e32 v28, v27
	v_sub_f32_e32 v18, v19, v27
	v_add_f32_e32 v19, v20, v21
	v_add_f32_e32 v12, v12, v18
	v_mul_f32_e32 v30, v19, v28
	v_sub_f32_e32 v18, v20, v19
	v_mul_f32_e32 v20, v27, v30
	v_fma_f32 v22, v30, v27, -v20
	v_fmac_f32_e32 v22, v30, v12
	v_add_f32_e32 v29, v21, v18
	v_add_f32_e32 v18, v20, v22
	v_sub_f32_e32 v21, v19, v18
	v_pk_add_f32 v[24:25], v[18:19], v[20:21] neg_lo:[0,1] neg_hi:[0,1]
	v_mov_b32_e32 v23, v18
	v_pk_add_f32 v[18:19], v[24:25], v[22:23] neg_lo:[0,1] neg_hi:[0,1]
	v_cmp_eq_f32_e32 vcc, s10, v32
	v_add_f32_e32 v19, v29, v19
	v_add_f32_e32 v18, v18, v19
	;; [unrolled: 1-line block ×3, first 2 shown]
	v_mul_f32_e32 v29, v28, v19
	v_mul_f32_e32 v20, v27, v29
	v_fma_f32 v22, v29, v27, -v20
	v_fmac_f32_e32 v22, v29, v12
	v_sub_f32_e32 v12, v21, v19
	v_add_f32_e32 v12, v18, v12
	v_add_f32_e32 v18, v20, v22
	v_sub_f32_e32 v21, v19, v18
	v_pk_add_f32 v[24:25], v[18:19], v[20:21] neg_lo:[0,1] neg_hi:[0,1]
	v_mov_b32_e32 v23, v18
	v_pk_add_f32 v[18:19], v[24:25], v[22:23] neg_lo:[0,1] neg_hi:[0,1]
	s_or_b64 vcc, s[52:53], vcc
	v_add_f32_e32 v12, v12, v19
	v_add_f32_e32 v12, v18, v12
	;; [unrolled: 1-line block ×4, first 2 shown]
	v_sub_f32_e32 v18, v19, v30
	v_mul_f32_e32 v12, v28, v12
	v_sub_f32_e32 v18, v29, v18
	v_add_f32_e32 v12, v18, v12
	v_add_f32_e32 v20, v19, v12
	v_mul_f32_e32 v22, v20, v20
	v_fmamk_f32 v18, v22, 0x3e9b6dac, v40
	v_fmaak_f32 v43, v22, v18, 0x3f2aaada
	v_cvt_f32_i32_e32 v18, v26
	v_sub_f32_e32 v19, v20, v19
	v_sub_f32_e32 v12, v12, v19
	v_mul_f32_e32 v19, v20, v22
	v_pk_mul_f32 v[22:23], v[18:19], v[42:43]
	v_ldexp_f32 v21, v20, 1
	v_fma_f32 v20, v18, s56, -v22
	v_fmac_f32_e32 v20, 0xb102e308, v18
	v_pk_add_f32 v[18:19], v[22:23], v[20:21]
	v_ldexp_f32 v12, v12, 1
	v_sub_f32_e32 v21, v19, v21
	v_sub_f32_e32 v21, v23, v21
	v_add_f32_e32 v25, v12, v21
	v_mov_b32_e32 v24, v22
	v_pk_add_f32 v[22:23], v[18:19], v[22:23] neg_lo:[0,1] neg_hi:[0,1]
	v_pk_add_f32 v[26:27], v[18:19], v[24:25]
	v_mov_b32_e32 v21, v18
	v_mov_b32_e32 v23, v27
	v_pk_add_f32 v[28:29], v[20:21], v[22:23] neg_lo:[0,1] neg_hi:[0,1]
	v_pk_add_f32 v[20:21], v[20:21], v[22:23]
	s_nop 0
	v_mov_b32_e32 v12, v21
	v_pk_add_f32 v[22:23], v[12:13], v[18:19] neg_lo:[0,1] neg_hi:[0,1]
	v_mov_b32_e32 v20, v27
	v_mov_b32_e32 v23, v22
	v_pk_add_f32 v[30:31], v[26:27], v[22:23] neg_lo:[0,1] neg_hi:[0,1]
	v_mov_b32_e32 v26, v19
	v_mov_b32_e32 v27, v22
	;; [unrolled: 1-line block ×3, first 2 shown]
	v_pk_add_f32 v[20:21], v[20:21], v[26:27] neg_lo:[0,1] neg_hi:[0,1]
	v_mov_b32_e32 v22, v25
	v_mov_b32_e32 v23, v18
	v_pk_add_f32 v[18:19], v[22:23], v[20:21] neg_lo:[0,1] neg_hi:[0,1]
	v_mov_b32_e32 v30, v28
	v_pk_add_f32 v[20:21], v[30:31], v[18:19]
	s_nop 0
	v_mov_b32_e32 v22, v21
	v_pk_add_f32 v[22:23], v[20:21], v[22:23]
	s_nop 0
	v_pk_add_f32 v[24:25], v[12:13], v[22:23]
	v_mov_b32_e32 v19, v22
	v_mov_b32_e32 v21, v24
	v_pk_add_f32 v[26:27], v[20:21], v[28:29] neg_lo:[0,1] neg_hi:[0,1]
	s_nop 0
	v_sub_f32_e32 v12, v20, v26
	v_pk_add_f32 v[18:19], v[18:19], v[26:27] neg_lo:[0,1] neg_hi:[0,1]
	v_sub_f32_e32 v12, v28, v12
	v_add_f32_e32 v12, v18, v12
	v_add_f32_e32 v12, v12, v19
	;; [unrolled: 1-line block ×3, first 2 shown]
	v_cndmask_b32_e32 v19, v12, v32, vcc
.LBB114_79:                             ;   in Loop: Header=BB114_13 Depth=1
	s_or_b64 exec, exec, s[54:55]
	v_cvt_f32_f16_e32 v12, v13
	v_readlane_b32 s0, v95, 2
	s_nop 1
	v_add_f32_e32 v20, s0, v12
	v_cmp_ge_f32_e32 vcc, s6, v20
	s_and_b64 s[0:1], s[4:5], vcc
	s_and_saveexec_b64 s[54:55], s[0:1]
	s_cbranch_execz .LBB114_81
; %bb.80:                               ;   in Loop: Header=BB114_13 Depth=1
	v_mul_f32_e32 v12, 0x3fb8aa3b, v20
	v_rndne_f32_e32 v18, v12
	v_sub_f32_e32 v21, v12, v18
	v_fma_f32 v12, v20, s7, -v12
	v_fmac_f32_e32 v12, 0x32a5705f, v20
	v_add_f32_e32 v12, v21, v12
	v_cvt_i32_f32_e32 v18, v18
	v_exp_f32_e32 v12, v12
	v_cmp_ngt_f32_e32 vcc, s8, v20
	v_ldexp_f32 v12, v12, v18
	s_nop 0
	v_cndmask_b32_e32 v12, 0, v12, vcc
	v_cmp_nlt_f32_e32 vcc, s9, v20
	s_nop 1
	v_cndmask_b32_e32 v34, v41, v12, vcc
	v_add_f32_e32 v12, 1.0, v34
	v_add_f32_e32 v18, -1.0, v12
	v_sub_f32_e32 v20, v18, v12
	v_add_f32_e32 v20, 1.0, v20
	v_sub_f32_e32 v18, v34, v18
	v_add_f32_e32 v18, v18, v20
	v_frexp_mant_f32_e32 v22, v12
	v_cvt_f64_f32_e32 v[20:21], v12
	v_frexp_exp_i32_f64_e32 v20, v[20:21]
	v_cmp_gt_f32_e32 vcc, s11, v22
	v_cmp_gt_f32_e64 s[52:53], s57, v34
	s_nop 0
	v_subbrev_co_u32_e32 v28, vcc, 0, v20, vcc
	v_sub_u32_e32 v20, 0, v28
	v_ldexp_f32 v12, v12, v20
	v_ldexp_f32 v18, v18, v20
	v_add_f32_e32 v20, -1.0, v12
	v_add_f32_e32 v21, 1.0, v20
	v_sub_f32_e32 v21, v12, v21
	v_add_f32_e32 v22, v18, v21
	v_add_f32_e32 v21, 1.0, v12
	v_add_f32_e32 v23, -1.0, v21
	v_sub_f32_e32 v12, v12, v23
	v_add_f32_e32 v12, v18, v12
	v_add_f32_e32 v18, v21, v12
	v_rcp_f32_e32 v29, v18
	v_sub_f32_e32 v21, v21, v18
	v_add_f32_e32 v12, v12, v21
	v_add_f32_e32 v21, v20, v22
	v_sub_f32_e32 v20, v20, v21
	v_mul_f32_e32 v31, v21, v29
	v_add_f32_e32 v30, v22, v20
	v_mul_f32_e32 v22, v18, v31
	v_fma_f32 v24, v31, v18, -v22
	v_fmac_f32_e32 v24, v31, v12
	v_add_f32_e32 v20, v22, v24
	v_sub_f32_e32 v23, v21, v20
	v_pk_add_f32 v[26:27], v[20:21], v[22:23] neg_lo:[0,1] neg_hi:[0,1]
	v_mov_b32_e32 v25, v20
	v_pk_add_f32 v[20:21], v[26:27], v[24:25] neg_lo:[0,1] neg_hi:[0,1]
	v_cmp_eq_f32_e32 vcc, s10, v34
	v_add_f32_e32 v21, v30, v21
	v_add_f32_e32 v20, v20, v21
	;; [unrolled: 1-line block ×3, first 2 shown]
	v_mul_f32_e32 v30, v29, v21
	v_mul_f32_e32 v22, v18, v30
	v_fma_f32 v24, v30, v18, -v22
	v_fmac_f32_e32 v24, v30, v12
	v_sub_f32_e32 v12, v23, v21
	v_add_f32_e32 v12, v20, v12
	v_add_f32_e32 v20, v22, v24
	v_sub_f32_e32 v23, v21, v20
	v_pk_add_f32 v[26:27], v[20:21], v[22:23] neg_lo:[0,1] neg_hi:[0,1]
	v_mov_b32_e32 v25, v20
	v_pk_add_f32 v[20:21], v[26:27], v[24:25] neg_lo:[0,1] neg_hi:[0,1]
	v_add_f32_e32 v18, v31, v30
	v_add_f32_e32 v12, v12, v21
	;; [unrolled: 1-line block ×4, first 2 shown]
	v_sub_f32_e32 v20, v18, v31
	v_mul_f32_e32 v12, v29, v12
	v_sub_f32_e32 v20, v30, v20
	v_add_f32_e32 v12, v20, v12
	v_add_f32_e32 v21, v18, v12
	v_mul_f32_e32 v22, v21, v21
	v_fmamk_f32 v20, v22, 0x3e9b6dac, v40
	v_fmaak_f32 v43, v22, v20, 0x3f2aaada
	v_cvt_f32_i32_e32 v20, v28
	v_sub_f32_e32 v18, v21, v18
	v_ldexp_f32 v23, v21, 1
	v_mul_f32_e32 v21, v21, v22
	v_pk_mul_f32 v[24:25], v[20:21], v[42:43]
	v_sub_f32_e32 v12, v12, v18
	v_fma_f32 v22, v20, s56, -v24
	v_fmac_f32_e32 v22, 0xb102e308, v20
	v_pk_add_f32 v[20:21], v[24:25], v[22:23]
	v_ldexp_f32 v12, v12, 1
	v_sub_f32_e32 v18, v21, v23
	v_sub_f32_e32 v18, v25, v18
	v_add_f32_e32 v27, v12, v18
	v_mov_b32_e32 v26, v24
	v_pk_add_f32 v[24:25], v[20:21], v[24:25] neg_lo:[0,1] neg_hi:[0,1]
	v_pk_add_f32 v[28:29], v[20:21], v[26:27]
	v_mov_b32_e32 v23, v20
	v_mov_b32_e32 v25, v29
	v_pk_add_f32 v[30:31], v[22:23], v[24:25] neg_lo:[0,1] neg_hi:[0,1]
	v_pk_add_f32 v[22:23], v[22:23], v[24:25]
	s_or_b64 vcc, s[52:53], vcc
	v_mov_b32_e32 v12, v23
	v_pk_add_f32 v[24:25], v[12:13], v[20:21] neg_lo:[0,1] neg_hi:[0,1]
	v_mov_b32_e32 v22, v29
	v_mov_b32_e32 v25, v24
	v_pk_add_f32 v[32:33], v[28:29], v[24:25] neg_lo:[0,1] neg_hi:[0,1]
	v_mov_b32_e32 v28, v21
	v_mov_b32_e32 v29, v24
	;; [unrolled: 1-line block ×3, first 2 shown]
	v_pk_add_f32 v[22:23], v[22:23], v[28:29] neg_lo:[0,1] neg_hi:[0,1]
	v_mov_b32_e32 v24, v27
	v_mov_b32_e32 v25, v20
	v_pk_add_f32 v[20:21], v[24:25], v[22:23] neg_lo:[0,1] neg_hi:[0,1]
	v_mov_b32_e32 v32, v30
	v_pk_add_f32 v[22:23], v[32:33], v[20:21]
	s_nop 0
	v_mov_b32_e32 v18, v23
	v_pk_add_f32 v[24:25], v[22:23], v[18:19]
	s_nop 0
	v_pk_add_f32 v[26:27], v[12:13], v[24:25]
	v_mov_b32_e32 v21, v24
	v_mov_b32_e32 v23, v26
	v_pk_add_f32 v[28:29], v[22:23], v[30:31] neg_lo:[0,1] neg_hi:[0,1]
	s_nop 0
	v_sub_f32_e32 v12, v22, v28
	v_pk_add_f32 v[20:21], v[20:21], v[28:29] neg_lo:[0,1] neg_hi:[0,1]
	v_sub_f32_e32 v12, v30, v12
	v_add_f32_e32 v12, v20, v12
	v_add_f32_e32 v12, v12, v21
	;; [unrolled: 1-line block ×3, first 2 shown]
	v_cndmask_b32_e32 v20, v12, v34, vcc
.LBB114_81:                             ;   in Loop: Header=BB114_13 Depth=1
	s_or_b64 exec, exec, s[54:55]
	v_cvt_f32_f16_sdwa v12, v13 dst_sel:DWORD dst_unused:UNUSED_PAD src0_sel:WORD_1
	v_readlane_b32 s0, v95, 2
	s_nop 1
	v_add_f32_e32 v21, s0, v12
	v_cmp_ge_f32_e32 vcc, s6, v21
	s_and_b64 s[0:1], s[4:5], vcc
	s_and_saveexec_b64 s[54:55], s[0:1]
	s_cbranch_execz .LBB114_83
; %bb.82:                               ;   in Loop: Header=BB114_13 Depth=1
	v_mul_f32_e32 v12, 0x3fb8aa3b, v21
	v_rndne_f32_e32 v13, v12
	v_sub_f32_e32 v18, v12, v13
	v_fma_f32 v12, v21, s7, -v12
	v_fmac_f32_e32 v12, 0x32a5705f, v21
	v_add_f32_e32 v12, v18, v12
	v_cvt_i32_f32_e32 v13, v13
	v_exp_f32_e32 v12, v12
	v_cmp_ngt_f32_e32 vcc, s8, v21
	v_ldexp_f32 v12, v12, v13
	s_nop 0
	v_cndmask_b32_e32 v12, 0, v12, vcc
	v_cmp_nlt_f32_e32 vcc, s9, v21
	s_nop 1
	v_cndmask_b32_e32 v34, v41, v12, vcc
	v_add_f32_e32 v18, 1.0, v34
	v_add_f32_e32 v12, -1.0, v18
	v_sub_f32_e32 v13, v12, v18
	v_add_f32_e32 v13, 1.0, v13
	v_sub_f32_e32 v12, v34, v12
	v_add_f32_e32 v21, v12, v13
	v_frexp_mant_f32_e32 v22, v18
	v_cvt_f64_f32_e32 v[12:13], v18
	v_frexp_exp_i32_f64_e32 v12, v[12:13]
	v_cmp_gt_f32_e32 vcc, s11, v22
	v_cmp_gt_f32_e64 s[52:53], s57, v34
	s_nop 0
	v_subbrev_co_u32_e32 v28, vcc, 0, v12, vcc
	v_sub_u32_e32 v12, 0, v28
	v_ldexp_f32 v13, v18, v12
	v_add_f32_e32 v18, -1.0, v13
	v_add_f32_e32 v22, 1.0, v13
	v_ldexp_f32 v12, v21, v12
	v_add_f32_e32 v21, 1.0, v18
	v_add_f32_e32 v23, -1.0, v22
	v_sub_f32_e32 v21, v13, v21
	v_sub_f32_e32 v13, v13, v23
	v_add_f32_e32 v21, v12, v21
	v_add_f32_e32 v12, v12, v13
	;; [unrolled: 1-line block ×3, first 2 shown]
	v_rcp_f32_e32 v31, v29
	v_sub_f32_e32 v13, v22, v29
	v_add_f32_e32 v30, v12, v13
	v_add_f32_e32 v13, v18, v21
	v_sub_f32_e32 v12, v18, v13
	v_add_f32_e32 v18, v21, v12
	v_mul_f32_e32 v21, v13, v31
	v_mul_f32_e32 v22, v29, v21
	v_fma_f32 v24, v21, v29, -v22
	v_fmac_f32_e32 v24, v21, v30
	v_add_f32_e32 v12, v22, v24
	v_sub_f32_e32 v23, v13, v12
	v_pk_add_f32 v[26:27], v[12:13], v[22:23] neg_lo:[0,1] neg_hi:[0,1]
	v_mov_b32_e32 v25, v12
	v_pk_add_f32 v[12:13], v[26:27], v[24:25] neg_lo:[0,1] neg_hi:[0,1]
	v_cmp_eq_f32_e32 vcc, s10, v34
	v_add_f32_e32 v13, v18, v13
	v_add_f32_e32 v12, v12, v13
	;; [unrolled: 1-line block ×3, first 2 shown]
	v_mul_f32_e32 v18, v31, v13
	v_mul_f32_e32 v22, v29, v18
	v_fma_f32 v24, v18, v29, -v22
	v_fmac_f32_e32 v24, v18, v30
	v_sub_f32_e32 v23, v23, v13
	v_add_f32_e32 v29, v12, v23
	v_add_f32_e32 v12, v22, v24
	v_sub_f32_e32 v23, v13, v12
	v_pk_add_f32 v[26:27], v[12:13], v[22:23] neg_lo:[0,1] neg_hi:[0,1]
	v_mov_b32_e32 v25, v12
	v_pk_add_f32 v[12:13], v[26:27], v[24:25] neg_lo:[0,1] neg_hi:[0,1]
	s_or_b64 vcc, s[52:53], vcc
	v_add_f32_e32 v13, v29, v13
	v_add_f32_e32 v12, v12, v13
	;; [unrolled: 1-line block ×4, first 2 shown]
	v_sub_f32_e32 v21, v13, v21
	v_mul_f32_e32 v12, v31, v12
	v_sub_f32_e32 v18, v18, v21
	v_add_f32_e32 v18, v18, v12
	v_add_f32_e32 v21, v13, v18
	v_mul_f32_e32 v22, v21, v21
	v_fmamk_f32 v12, v22, 0x3e9b6dac, v40
	v_fmaak_f32 v43, v22, v12, 0x3f2aaada
	v_cvt_f32_i32_e32 v12, v28
	v_sub_f32_e32 v13, v21, v13
	v_sub_f32_e32 v13, v18, v13
	v_ldexp_f32 v18, v13, 1
	v_mul_f32_e32 v13, v21, v22
	v_pk_mul_f32 v[24:25], v[12:13], v[42:43]
	v_ldexp_f32 v23, v21, 1
	v_fma_f32 v22, v12, s56, -v24
	v_fmac_f32_e32 v22, 0xb102e308, v12
	v_pk_add_f32 v[12:13], v[24:25], v[22:23]
	v_mov_b32_e32 v26, v24
	v_sub_f32_e32 v21, v13, v23
	v_sub_f32_e32 v21, v25, v21
	v_add_f32_e32 v27, v18, v21
	v_pk_add_f32 v[24:25], v[12:13], v[24:25] neg_lo:[0,1] neg_hi:[0,1]
	v_pk_add_f32 v[28:29], v[12:13], v[26:27]
	v_mov_b32_e32 v23, v12
	v_mov_b32_e32 v25, v29
	v_pk_add_f32 v[30:31], v[22:23], v[24:25] neg_lo:[0,1] neg_hi:[0,1]
	v_pk_add_f32 v[22:23], v[22:23], v[24:25]
	s_nop 0
	v_mov_b32_e32 v18, v23
	v_pk_add_f32 v[24:25], v[18:19], v[12:13] neg_lo:[0,1] neg_hi:[0,1]
	v_mov_b32_e32 v22, v29
	v_mov_b32_e32 v21, v24
	v_pk_add_f32 v[32:33], v[28:29], v[20:21] neg_lo:[0,1] neg_hi:[0,1]
	v_mov_b32_e32 v28, v13
	v_mov_b32_e32 v29, v24
	;; [unrolled: 1-line block ×3, first 2 shown]
	v_pk_add_f32 v[22:23], v[22:23], v[28:29] neg_lo:[0,1] neg_hi:[0,1]
	v_mov_b32_e32 v24, v27
	v_mov_b32_e32 v25, v12
	v_pk_add_f32 v[12:13], v[24:25], v[22:23] neg_lo:[0,1] neg_hi:[0,1]
	v_mov_b32_e32 v32, v30
	v_pk_add_f32 v[22:23], v[32:33], v[12:13]
	s_nop 0
	v_mov_b32_e32 v24, v23
	v_pk_add_f32 v[24:25], v[22:23], v[24:25]
	s_nop 0
	v_pk_add_f32 v[26:27], v[18:19], v[24:25]
	v_mov_b32_e32 v13, v24
	v_mov_b32_e32 v23, v26
	v_pk_add_f32 v[28:29], v[22:23], v[30:31] neg_lo:[0,1] neg_hi:[0,1]
	s_nop 0
	v_sub_f32_e32 v18, v22, v28
	v_pk_add_f32 v[12:13], v[12:13], v[28:29] neg_lo:[0,1] neg_hi:[0,1]
	v_sub_f32_e32 v18, v30, v18
	v_add_f32_e32 v12, v12, v18
	v_add_f32_e32 v12, v12, v13
	;; [unrolled: 1-line block ×3, first 2 shown]
	v_cndmask_b32_e32 v21, v12, v34, vcc
.LBB114_83:                             ;   in Loop: Header=BB114_13 Depth=1
	s_or_b64 exec, exec, s[54:55]
	v_cvt_f32_f16_e32 v12, v14
	v_readlane_b32 s0, v95, 2
	s_nop 1
	v_add_f32_e32 v18, s0, v12
	v_cmp_ge_f32_e32 vcc, s6, v18
	s_and_b64 s[0:1], s[4:5], vcc
	s_and_saveexec_b64 s[54:55], s[0:1]
	s_cbranch_execz .LBB114_85
; %bb.84:                               ;   in Loop: Header=BB114_13 Depth=1
	v_mul_f32_e32 v12, 0x3fb8aa3b, v18
	v_rndne_f32_e32 v13, v12
	v_sub_f32_e32 v22, v12, v13
	v_fma_f32 v12, v18, s7, -v12
	v_fmac_f32_e32 v12, 0x32a5705f, v18
	v_add_f32_e32 v12, v22, v12
	v_cvt_i32_f32_e32 v13, v13
	v_exp_f32_e32 v12, v12
	v_cmp_ngt_f32_e32 vcc, s8, v18
	v_ldexp_f32 v12, v12, v13
	s_nop 0
	v_cndmask_b32_e32 v12, 0, v12, vcc
	v_cmp_nlt_f32_e32 vcc, s9, v18
	s_nop 1
	v_cndmask_b32_e32 v34, v41, v12, vcc
	v_add_f32_e32 v18, 1.0, v34
	v_add_f32_e32 v12, -1.0, v18
	v_sub_f32_e32 v13, v12, v18
	v_add_f32_e32 v13, 1.0, v13
	v_sub_f32_e32 v12, v34, v12
	v_add_f32_e32 v22, v12, v13
	v_frexp_mant_f32_e32 v23, v18
	v_cvt_f64_f32_e32 v[12:13], v18
	v_frexp_exp_i32_f64_e32 v12, v[12:13]
	v_cmp_gt_f32_e32 vcc, s11, v23
	v_cmp_gt_f32_e64 s[52:53], s57, v34
	s_nop 0
	v_subbrev_co_u32_e32 v28, vcc, 0, v12, vcc
	v_sub_u32_e32 v12, 0, v28
	v_ldexp_f32 v13, v18, v12
	v_add_f32_e32 v18, -1.0, v13
	v_add_f32_e32 v23, 1.0, v13
	v_ldexp_f32 v12, v22, v12
	v_add_f32_e32 v22, 1.0, v18
	v_add_f32_e32 v24, -1.0, v23
	v_sub_f32_e32 v22, v13, v22
	v_sub_f32_e32 v13, v13, v24
	v_add_f32_e32 v22, v12, v22
	v_add_f32_e32 v12, v12, v13
	;; [unrolled: 1-line block ×3, first 2 shown]
	v_rcp_f32_e32 v31, v29
	v_sub_f32_e32 v13, v23, v29
	v_add_f32_e32 v30, v12, v13
	v_add_f32_e32 v13, v18, v22
	v_sub_f32_e32 v12, v18, v13
	v_mul_f32_e32 v32, v13, v31
	v_add_f32_e32 v18, v22, v12
	v_mul_f32_e32 v22, v29, v32
	v_fma_f32 v24, v32, v29, -v22
	v_fmac_f32_e32 v24, v32, v30
	v_add_f32_e32 v12, v22, v24
	v_sub_f32_e32 v23, v13, v12
	v_pk_add_f32 v[26:27], v[12:13], v[22:23] neg_lo:[0,1] neg_hi:[0,1]
	v_mov_b32_e32 v25, v12
	v_pk_add_f32 v[12:13], v[26:27], v[24:25] neg_lo:[0,1] neg_hi:[0,1]
	v_cmp_eq_f32_e32 vcc, s10, v34
	v_add_f32_e32 v13, v18, v13
	v_add_f32_e32 v12, v12, v13
	;; [unrolled: 1-line block ×3, first 2 shown]
	v_mul_f32_e32 v18, v31, v13
	v_mul_f32_e32 v22, v29, v18
	v_fma_f32 v24, v18, v29, -v22
	v_fmac_f32_e32 v24, v18, v30
	v_sub_f32_e32 v23, v23, v13
	v_add_f32_e32 v29, v12, v23
	v_add_f32_e32 v12, v22, v24
	v_sub_f32_e32 v23, v13, v12
	v_pk_add_f32 v[26:27], v[12:13], v[22:23] neg_lo:[0,1] neg_hi:[0,1]
	v_mov_b32_e32 v25, v12
	v_pk_add_f32 v[12:13], v[26:27], v[24:25] neg_lo:[0,1] neg_hi:[0,1]
	s_or_b64 vcc, s[52:53], vcc
	v_add_f32_e32 v13, v29, v13
	v_add_f32_e32 v12, v12, v13
	;; [unrolled: 1-line block ×4, first 2 shown]
	v_sub_f32_e32 v22, v13, v32
	v_mul_f32_e32 v12, v31, v12
	v_sub_f32_e32 v18, v18, v22
	v_add_f32_e32 v18, v18, v12
	v_add_f32_e32 v22, v13, v18
	v_mul_f32_e32 v24, v22, v22
	v_fmamk_f32 v12, v24, 0x3e9b6dac, v40
	v_fmaak_f32 v43, v24, v12, 0x3f2aaada
	v_cvt_f32_i32_e32 v12, v28
	v_sub_f32_e32 v13, v22, v13
	v_sub_f32_e32 v13, v18, v13
	v_ldexp_f32 v18, v13, 1
	v_mul_f32_e32 v13, v22, v24
	v_pk_mul_f32 v[24:25], v[12:13], v[42:43]
	v_ldexp_f32 v23, v22, 1
	v_fma_f32 v22, v12, s56, -v24
	v_fmac_f32_e32 v22, 0xb102e308, v12
	v_pk_add_f32 v[12:13], v[24:25], v[22:23]
	v_mov_b32_e32 v26, v24
	v_sub_f32_e32 v23, v13, v23
	v_sub_f32_e32 v23, v25, v23
	v_add_f32_e32 v27, v18, v23
	v_pk_add_f32 v[24:25], v[12:13], v[24:25] neg_lo:[0,1] neg_hi:[0,1]
	v_pk_add_f32 v[28:29], v[12:13], v[26:27]
	v_mov_b32_e32 v23, v12
	v_mov_b32_e32 v25, v29
	v_pk_add_f32 v[30:31], v[22:23], v[24:25] neg_lo:[0,1] neg_hi:[0,1]
	v_pk_add_f32 v[22:23], v[22:23], v[24:25]
	s_nop 0
	v_mov_b32_e32 v18, v23
	v_pk_add_f32 v[24:25], v[18:19], v[12:13] neg_lo:[0,1] neg_hi:[0,1]
	v_mov_b32_e32 v22, v29
	v_mov_b32_e32 v25, v24
	v_pk_add_f32 v[32:33], v[28:29], v[24:25] neg_lo:[0,1] neg_hi:[0,1]
	v_mov_b32_e32 v28, v13
	v_mov_b32_e32 v29, v24
	;; [unrolled: 1-line block ×3, first 2 shown]
	v_pk_add_f32 v[22:23], v[22:23], v[28:29] neg_lo:[0,1] neg_hi:[0,1]
	v_mov_b32_e32 v24, v27
	v_mov_b32_e32 v25, v12
	v_pk_add_f32 v[12:13], v[24:25], v[22:23] neg_lo:[0,1] neg_hi:[0,1]
	v_mov_b32_e32 v32, v30
	v_pk_add_f32 v[22:23], v[32:33], v[12:13]
	s_nop 0
	v_mov_b32_e32 v24, v23
	v_pk_add_f32 v[24:25], v[22:23], v[24:25]
	s_nop 0
	v_pk_add_f32 v[26:27], v[18:19], v[24:25]
	v_mov_b32_e32 v13, v24
	v_mov_b32_e32 v23, v26
	v_pk_add_f32 v[28:29], v[22:23], v[30:31] neg_lo:[0,1] neg_hi:[0,1]
	s_nop 0
	v_sub_f32_e32 v18, v22, v28
	v_pk_add_f32 v[12:13], v[12:13], v[28:29] neg_lo:[0,1] neg_hi:[0,1]
	v_sub_f32_e32 v18, v30, v18
	v_add_f32_e32 v12, v12, v18
	v_add_f32_e32 v12, v12, v13
	;; [unrolled: 1-line block ×3, first 2 shown]
	v_cndmask_b32_e32 v18, v12, v34, vcc
.LBB114_85:                             ;   in Loop: Header=BB114_13 Depth=1
	s_or_b64 exec, exec, s[54:55]
	v_cvt_f32_f16_sdwa v12, v14 dst_sel:DWORD dst_unused:UNUSED_PAD src0_sel:WORD_1
	v_readlane_b32 s0, v95, 2
	s_nop 1
	v_add_f32_e32 v66, s0, v12
	v_cmp_ge_f32_e32 vcc, s6, v66
	s_and_b64 s[0:1], s[4:5], vcc
	s_and_saveexec_b64 s[54:55], s[0:1]
	s_cbranch_execz .LBB114_87
; %bb.86:                               ;   in Loop: Header=BB114_13 Depth=1
	v_mul_f32_e32 v12, 0x3fb8aa3b, v66
	v_rndne_f32_e32 v13, v12
	v_sub_f32_e32 v14, v12, v13
	v_fma_f32 v12, v66, s7, -v12
	v_fmac_f32_e32 v12, 0x32a5705f, v66
	v_add_f32_e32 v12, v14, v12
	v_cvt_i32_f32_e32 v13, v13
	v_exp_f32_e32 v12, v12
	v_cmp_ngt_f32_e32 vcc, s8, v66
	v_ldexp_f32 v12, v12, v13
	s_nop 0
	v_cndmask_b32_e32 v12, 0, v12, vcc
	v_cmp_nlt_f32_e32 vcc, s9, v66
	s_nop 1
	v_cndmask_b32_e32 v34, v41, v12, vcc
	v_add_f32_e32 v14, 1.0, v34
	v_add_f32_e32 v12, -1.0, v14
	v_sub_f32_e32 v13, v12, v14
	v_add_f32_e32 v13, 1.0, v13
	v_sub_f32_e32 v12, v34, v12
	v_add_f32_e32 v22, v12, v13
	v_frexp_mant_f32_e32 v23, v14
	v_cvt_f64_f32_e32 v[12:13], v14
	v_frexp_exp_i32_f64_e32 v12, v[12:13]
	v_cmp_gt_f32_e32 vcc, s11, v23
	v_cmp_gt_f32_e64 s[52:53], s57, v34
	s_nop 0
	v_subbrev_co_u32_e32 v28, vcc, 0, v12, vcc
	v_sub_u32_e32 v12, 0, v28
	v_ldexp_f32 v13, v14, v12
	v_add_f32_e32 v14, -1.0, v13
	v_add_f32_e32 v23, 1.0, v13
	v_ldexp_f32 v12, v22, v12
	v_add_f32_e32 v22, 1.0, v14
	v_add_f32_e32 v24, -1.0, v23
	v_sub_f32_e32 v22, v13, v22
	v_sub_f32_e32 v13, v13, v24
	v_add_f32_e32 v22, v12, v22
	v_add_f32_e32 v12, v12, v13
	;; [unrolled: 1-line block ×3, first 2 shown]
	v_rcp_f32_e32 v31, v29
	v_sub_f32_e32 v13, v23, v29
	v_add_f32_e32 v30, v12, v13
	v_add_f32_e32 v13, v14, v22
	v_sub_f32_e32 v12, v14, v13
	v_mul_f32_e32 v32, v13, v31
	v_add_f32_e32 v14, v22, v12
	v_mul_f32_e32 v22, v29, v32
	v_fma_f32 v24, v32, v29, -v22
	v_fmac_f32_e32 v24, v32, v30
	v_add_f32_e32 v12, v22, v24
	v_sub_f32_e32 v23, v13, v12
	v_pk_add_f32 v[26:27], v[12:13], v[22:23] neg_lo:[0,1] neg_hi:[0,1]
	v_mov_b32_e32 v25, v12
	v_pk_add_f32 v[12:13], v[26:27], v[24:25] neg_lo:[0,1] neg_hi:[0,1]
	v_cmp_eq_f32_e32 vcc, s10, v34
	v_add_f32_e32 v13, v14, v13
	v_add_f32_e32 v12, v12, v13
	;; [unrolled: 1-line block ×3, first 2 shown]
	v_mul_f32_e32 v14, v31, v13
	v_mul_f32_e32 v22, v29, v14
	v_fma_f32 v24, v14, v29, -v22
	v_fmac_f32_e32 v24, v14, v30
	v_sub_f32_e32 v23, v23, v13
	v_add_f32_e32 v29, v12, v23
	v_add_f32_e32 v12, v22, v24
	v_sub_f32_e32 v23, v13, v12
	v_pk_add_f32 v[26:27], v[12:13], v[22:23] neg_lo:[0,1] neg_hi:[0,1]
	v_mov_b32_e32 v25, v12
	v_pk_add_f32 v[12:13], v[26:27], v[24:25] neg_lo:[0,1] neg_hi:[0,1]
	s_or_b64 vcc, s[52:53], vcc
	v_add_f32_e32 v13, v29, v13
	v_add_f32_e32 v12, v12, v13
	;; [unrolled: 1-line block ×4, first 2 shown]
	v_sub_f32_e32 v22, v13, v32
	v_mul_f32_e32 v12, v31, v12
	v_sub_f32_e32 v14, v14, v22
	v_add_f32_e32 v14, v14, v12
	v_add_f32_e32 v22, v13, v14
	v_mul_f32_e32 v24, v22, v22
	v_fmamk_f32 v12, v24, 0x3e9b6dac, v40
	v_fmaak_f32 v43, v24, v12, 0x3f2aaada
	v_cvt_f32_i32_e32 v12, v28
	v_sub_f32_e32 v13, v22, v13
	v_sub_f32_e32 v13, v14, v13
	v_ldexp_f32 v14, v13, 1
	v_mul_f32_e32 v13, v22, v24
	v_pk_mul_f32 v[24:25], v[12:13], v[42:43]
	v_ldexp_f32 v23, v22, 1
	v_fma_f32 v22, v12, s56, -v24
	v_fmac_f32_e32 v22, 0xb102e308, v12
	v_pk_add_f32 v[12:13], v[24:25], v[22:23]
	v_mov_b32_e32 v26, v24
	v_sub_f32_e32 v23, v13, v23
	v_sub_f32_e32 v23, v25, v23
	v_add_f32_e32 v27, v14, v23
	v_pk_add_f32 v[24:25], v[12:13], v[24:25] neg_lo:[0,1] neg_hi:[0,1]
	v_pk_add_f32 v[28:29], v[12:13], v[26:27]
	v_mov_b32_e32 v23, v12
	v_mov_b32_e32 v25, v29
	v_pk_add_f32 v[30:31], v[22:23], v[24:25] neg_lo:[0,1] neg_hi:[0,1]
	v_pk_add_f32 v[22:23], v[22:23], v[24:25]
	s_nop 0
	v_mov_b32_e32 v14, v23
	v_pk_add_f32 v[24:25], v[14:15], v[12:13] neg_lo:[0,1] neg_hi:[0,1]
	v_mov_b32_e32 v22, v29
	v_mov_b32_e32 v25, v24
	v_pk_add_f32 v[32:33], v[28:29], v[24:25] neg_lo:[0,1] neg_hi:[0,1]
	v_mov_b32_e32 v28, v13
	v_mov_b32_e32 v29, v24
	;; [unrolled: 1-line block ×3, first 2 shown]
	v_pk_add_f32 v[22:23], v[22:23], v[28:29] neg_lo:[0,1] neg_hi:[0,1]
	v_mov_b32_e32 v24, v27
	v_mov_b32_e32 v25, v12
	v_pk_add_f32 v[12:13], v[24:25], v[22:23] neg_lo:[0,1] neg_hi:[0,1]
	v_mov_b32_e32 v32, v30
	v_pk_add_f32 v[22:23], v[32:33], v[12:13]
	s_nop 0
	v_mov_b32_e32 v24, v23
	v_pk_add_f32 v[24:25], v[22:23], v[24:25]
	s_nop 0
	v_pk_add_f32 v[26:27], v[14:15], v[24:25]
	v_mov_b32_e32 v13, v24
	v_mov_b32_e32 v23, v26
	v_pk_add_f32 v[28:29], v[22:23], v[30:31] neg_lo:[0,1] neg_hi:[0,1]
	s_nop 0
	v_sub_f32_e32 v14, v22, v28
	v_pk_add_f32 v[12:13], v[12:13], v[28:29] neg_lo:[0,1] neg_hi:[0,1]
	v_sub_f32_e32 v14, v30, v14
	v_add_f32_e32 v12, v12, v14
	v_add_f32_e32 v12, v12, v13
	;; [unrolled: 1-line block ×3, first 2 shown]
	v_cndmask_b32_e32 v66, v12, v34, vcc
.LBB114_87:                             ;   in Loop: Header=BB114_13 Depth=1
	s_or_b64 exec, exec, s[54:55]
	v_cvt_f32_f16_e32 v12, v15
	v_readlane_b32 s0, v95, 2
	s_nop 1
	v_add_f32_e32 v67, s0, v12
	v_cmp_ge_f32_e32 vcc, s6, v67
	s_and_b64 s[0:1], s[4:5], vcc
	s_and_saveexec_b64 s[54:55], s[0:1]
	s_cbranch_execz .LBB114_89
; %bb.88:                               ;   in Loop: Header=BB114_13 Depth=1
	v_mul_f32_e32 v12, 0x3fb8aa3b, v67
	v_rndne_f32_e32 v13, v12
	v_sub_f32_e32 v14, v12, v13
	v_fma_f32 v12, v67, s7, -v12
	v_fmac_f32_e32 v12, 0x32a5705f, v67
	v_add_f32_e32 v12, v14, v12
	v_cvt_i32_f32_e32 v13, v13
	v_exp_f32_e32 v12, v12
	v_cmp_ngt_f32_e32 vcc, s8, v67
	v_ldexp_f32 v12, v12, v13
	s_nop 0
	v_cndmask_b32_e32 v12, 0, v12, vcc
	v_cmp_nlt_f32_e32 vcc, s9, v67
	s_nop 1
	v_cndmask_b32_e32 v34, v41, v12, vcc
	v_add_f32_e32 v14, 1.0, v34
	v_add_f32_e32 v12, -1.0, v14
	v_sub_f32_e32 v13, v12, v14
	v_add_f32_e32 v13, 1.0, v13
	v_sub_f32_e32 v12, v34, v12
	v_add_f32_e32 v22, v12, v13
	v_frexp_mant_f32_e32 v23, v14
	v_cvt_f64_f32_e32 v[12:13], v14
	v_frexp_exp_i32_f64_e32 v12, v[12:13]
	v_cmp_gt_f32_e32 vcc, s11, v23
	v_cmp_gt_f32_e64 s[52:53], s57, v34
	s_nop 0
	v_subbrev_co_u32_e32 v28, vcc, 0, v12, vcc
	v_sub_u32_e32 v12, 0, v28
	v_ldexp_f32 v13, v14, v12
	v_add_f32_e32 v14, -1.0, v13
	v_add_f32_e32 v23, 1.0, v13
	v_ldexp_f32 v12, v22, v12
	v_add_f32_e32 v22, 1.0, v14
	v_add_f32_e32 v24, -1.0, v23
	v_sub_f32_e32 v22, v13, v22
	v_sub_f32_e32 v13, v13, v24
	v_add_f32_e32 v22, v12, v22
	v_add_f32_e32 v12, v12, v13
	;; [unrolled: 1-line block ×3, first 2 shown]
	v_rcp_f32_e32 v31, v29
	v_sub_f32_e32 v13, v23, v29
	v_add_f32_e32 v30, v12, v13
	v_add_f32_e32 v13, v14, v22
	v_sub_f32_e32 v12, v14, v13
	v_mul_f32_e32 v32, v13, v31
	v_add_f32_e32 v14, v22, v12
	v_mul_f32_e32 v22, v29, v32
	v_fma_f32 v24, v32, v29, -v22
	v_fmac_f32_e32 v24, v32, v30
	v_add_f32_e32 v12, v22, v24
	v_sub_f32_e32 v23, v13, v12
	v_pk_add_f32 v[26:27], v[12:13], v[22:23] neg_lo:[0,1] neg_hi:[0,1]
	v_mov_b32_e32 v25, v12
	v_pk_add_f32 v[12:13], v[26:27], v[24:25] neg_lo:[0,1] neg_hi:[0,1]
	v_cmp_eq_f32_e32 vcc, s10, v34
	v_add_f32_e32 v13, v14, v13
	v_add_f32_e32 v12, v12, v13
	;; [unrolled: 1-line block ×3, first 2 shown]
	v_mul_f32_e32 v14, v31, v13
	v_mul_f32_e32 v22, v29, v14
	v_fma_f32 v24, v14, v29, -v22
	v_fmac_f32_e32 v24, v14, v30
	v_sub_f32_e32 v23, v23, v13
	v_add_f32_e32 v29, v12, v23
	v_add_f32_e32 v12, v22, v24
	v_sub_f32_e32 v23, v13, v12
	v_pk_add_f32 v[26:27], v[12:13], v[22:23] neg_lo:[0,1] neg_hi:[0,1]
	v_mov_b32_e32 v25, v12
	v_pk_add_f32 v[12:13], v[26:27], v[24:25] neg_lo:[0,1] neg_hi:[0,1]
	s_or_b64 vcc, s[52:53], vcc
	v_add_f32_e32 v13, v29, v13
	v_add_f32_e32 v12, v12, v13
	;; [unrolled: 1-line block ×4, first 2 shown]
	v_sub_f32_e32 v22, v13, v32
	v_mul_f32_e32 v12, v31, v12
	v_sub_f32_e32 v14, v14, v22
	v_add_f32_e32 v14, v14, v12
	v_add_f32_e32 v22, v13, v14
	v_mul_f32_e32 v24, v22, v22
	v_fmamk_f32 v12, v24, 0x3e9b6dac, v40
	v_fmaak_f32 v43, v24, v12, 0x3f2aaada
	v_cvt_f32_i32_e32 v12, v28
	v_sub_f32_e32 v13, v22, v13
	v_sub_f32_e32 v13, v14, v13
	v_ldexp_f32 v14, v13, 1
	v_mul_f32_e32 v13, v22, v24
	v_pk_mul_f32 v[24:25], v[12:13], v[42:43]
	v_ldexp_f32 v23, v22, 1
	v_fma_f32 v22, v12, s56, -v24
	v_fmac_f32_e32 v22, 0xb102e308, v12
	v_pk_add_f32 v[12:13], v[24:25], v[22:23]
	v_mov_b32_e32 v26, v24
	v_sub_f32_e32 v23, v13, v23
	v_sub_f32_e32 v23, v25, v23
	v_add_f32_e32 v27, v14, v23
	v_pk_add_f32 v[24:25], v[12:13], v[24:25] neg_lo:[0,1] neg_hi:[0,1]
	v_pk_add_f32 v[28:29], v[12:13], v[26:27]
	v_mov_b32_e32 v23, v12
	v_mov_b32_e32 v25, v29
	v_pk_add_f32 v[30:31], v[22:23], v[24:25] neg_lo:[0,1] neg_hi:[0,1]
	v_pk_add_f32 v[22:23], v[22:23], v[24:25]
	s_nop 0
	v_mov_b32_e32 v14, v23
	v_pk_add_f32 v[24:25], v[14:15], v[12:13] neg_lo:[0,1] neg_hi:[0,1]
	v_mov_b32_e32 v22, v29
	v_mov_b32_e32 v25, v24
	v_pk_add_f32 v[32:33], v[28:29], v[24:25] neg_lo:[0,1] neg_hi:[0,1]
	v_mov_b32_e32 v28, v13
	v_mov_b32_e32 v29, v24
	;; [unrolled: 1-line block ×3, first 2 shown]
	v_pk_add_f32 v[22:23], v[22:23], v[28:29] neg_lo:[0,1] neg_hi:[0,1]
	v_mov_b32_e32 v24, v27
	v_mov_b32_e32 v25, v12
	v_pk_add_f32 v[12:13], v[24:25], v[22:23] neg_lo:[0,1] neg_hi:[0,1]
	v_mov_b32_e32 v32, v30
	v_pk_add_f32 v[22:23], v[32:33], v[12:13]
	s_nop 0
	v_mov_b32_e32 v24, v23
	v_pk_add_f32 v[24:25], v[22:23], v[24:25]
	s_nop 0
	v_pk_add_f32 v[26:27], v[14:15], v[24:25]
	v_mov_b32_e32 v13, v24
	v_mov_b32_e32 v23, v26
	v_pk_add_f32 v[28:29], v[22:23], v[30:31] neg_lo:[0,1] neg_hi:[0,1]
	s_nop 0
	v_sub_f32_e32 v14, v22, v28
	v_pk_add_f32 v[12:13], v[12:13], v[28:29] neg_lo:[0,1] neg_hi:[0,1]
	v_sub_f32_e32 v14, v30, v14
	v_add_f32_e32 v12, v12, v14
	v_add_f32_e32 v12, v12, v13
	;; [unrolled: 1-line block ×3, first 2 shown]
	v_cndmask_b32_e32 v67, v12, v34, vcc
.LBB114_89:                             ;   in Loop: Header=BB114_13 Depth=1
	s_or_b64 exec, exec, s[54:55]
	v_cvt_f32_f16_sdwa v12, v15 dst_sel:DWORD dst_unused:UNUSED_PAD src0_sel:WORD_1
	v_readlane_b32 s0, v95, 2
	s_nop 1
	v_add_f32_e32 v88, s0, v12
	v_cmp_ge_f32_e32 vcc, s6, v88
	s_and_b64 s[0:1], s[4:5], vcc
	s_and_saveexec_b64 s[54:55], s[0:1]
	s_cbranch_execz .LBB114_91
; %bb.90:                               ;   in Loop: Header=BB114_13 Depth=1
	v_mul_f32_e32 v12, 0x3fb8aa3b, v88
	v_rndne_f32_e32 v13, v12
	v_sub_f32_e32 v14, v12, v13
	v_fma_f32 v12, v88, s7, -v12
	v_fmac_f32_e32 v12, 0x32a5705f, v88
	v_add_f32_e32 v12, v14, v12
	v_cvt_i32_f32_e32 v13, v13
	v_exp_f32_e32 v12, v12
	v_cmp_ngt_f32_e32 vcc, s8, v88
	v_ldexp_f32 v12, v12, v13
	s_nop 0
	v_cndmask_b32_e32 v12, 0, v12, vcc
	v_cmp_nlt_f32_e32 vcc, s9, v88
	s_nop 1
	v_cndmask_b32_e32 v34, v41, v12, vcc
	v_add_f32_e32 v14, 1.0, v34
	v_add_f32_e32 v12, -1.0, v14
	v_sub_f32_e32 v13, v12, v14
	v_add_f32_e32 v13, 1.0, v13
	v_sub_f32_e32 v12, v34, v12
	v_add_f32_e32 v15, v12, v13
	v_frexp_mant_f32_e32 v22, v14
	v_cvt_f64_f32_e32 v[12:13], v14
	v_frexp_exp_i32_f64_e32 v12, v[12:13]
	v_cmp_gt_f32_e32 vcc, s11, v22
	v_cmp_gt_f32_e64 s[52:53], s57, v34
	s_nop 0
	v_subbrev_co_u32_e32 v26, vcc, 0, v12, vcc
	v_sub_u32_e32 v12, 0, v26
	v_ldexp_f32 v13, v14, v12
	v_add_f32_e32 v14, -1.0, v13
	v_add_f32_e32 v22, 1.0, v13
	v_ldexp_f32 v12, v15, v12
	v_add_f32_e32 v15, 1.0, v14
	v_add_f32_e32 v23, -1.0, v22
	v_sub_f32_e32 v15, v13, v15
	v_sub_f32_e32 v13, v13, v23
	v_add_f32_e32 v15, v12, v15
	v_add_f32_e32 v12, v12, v13
	v_add_f32_e32 v27, v22, v12
	v_rcp_f32_e32 v29, v27
	v_sub_f32_e32 v13, v22, v27
	v_add_f32_e32 v28, v12, v13
	v_add_f32_e32 v13, v14, v15
	v_mul_f32_e32 v31, v13, v29
	v_sub_f32_e32 v12, v14, v13
	v_mul_f32_e32 v14, v27, v31
	v_fma_f32 v22, v31, v27, -v14
	v_fmac_f32_e32 v22, v31, v28
	v_add_f32_e32 v30, v15, v12
	v_add_f32_e32 v12, v14, v22
	v_sub_f32_e32 v15, v13, v12
	v_pk_add_f32 v[24:25], v[12:13], v[14:15] neg_lo:[0,1] neg_hi:[0,1]
	v_mov_b32_e32 v23, v12
	v_pk_add_f32 v[12:13], v[24:25], v[22:23] neg_lo:[0,1] neg_hi:[0,1]
	v_cmp_eq_f32_e32 vcc, s10, v34
	v_add_f32_e32 v13, v30, v13
	v_add_f32_e32 v12, v12, v13
	;; [unrolled: 1-line block ×3, first 2 shown]
	v_mul_f32_e32 v30, v29, v13
	v_mul_f32_e32 v14, v27, v30
	v_fma_f32 v22, v30, v27, -v14
	v_fmac_f32_e32 v22, v30, v28
	v_sub_f32_e32 v15, v15, v13
	v_add_f32_e32 v27, v12, v15
	v_add_f32_e32 v12, v14, v22
	v_sub_f32_e32 v15, v13, v12
	v_pk_add_f32 v[24:25], v[12:13], v[14:15] neg_lo:[0,1] neg_hi:[0,1]
	v_mov_b32_e32 v23, v12
	v_pk_add_f32 v[12:13], v[24:25], v[22:23] neg_lo:[0,1] neg_hi:[0,1]
	s_or_b64 vcc, s[52:53], vcc
	v_add_f32_e32 v13, v27, v13
	v_add_f32_e32 v12, v12, v13
	;; [unrolled: 1-line block ×4, first 2 shown]
	v_sub_f32_e32 v14, v13, v31
	v_mul_f32_e32 v12, v29, v12
	v_sub_f32_e32 v14, v30, v14
	v_add_f32_e32 v14, v14, v12
	v_add_f32_e32 v22, v13, v14
	v_mul_f32_e32 v23, v22, v22
	v_fmamk_f32 v12, v23, 0x3e9b6dac, v40
	v_fmaak_f32 v43, v23, v12, 0x3f2aaada
	v_cvt_f32_i32_e32 v12, v26
	v_sub_f32_e32 v13, v22, v13
	v_sub_f32_e32 v13, v14, v13
	v_ldexp_f32 v24, v13, 1
	v_mul_f32_e32 v13, v22, v23
	v_ldexp_f32 v15, v22, 1
	v_pk_mul_f32 v[22:23], v[12:13], v[42:43]
	s_nop 0
	v_fma_f32 v14, v12, s56, -v22
	v_fmac_f32_e32 v14, 0xb102e308, v12
	v_pk_add_f32 v[12:13], v[22:23], v[14:15]
	s_nop 0
	v_sub_f32_e32 v15, v13, v15
	v_sub_f32_e32 v15, v23, v15
	v_add_f32_e32 v25, v24, v15
	v_mov_b32_e32 v24, v22
	v_pk_add_f32 v[22:23], v[12:13], v[22:23] neg_lo:[0,1] neg_hi:[0,1]
	v_pk_add_f32 v[26:27], v[12:13], v[24:25]
	v_mov_b32_e32 v15, v12
	v_mov_b32_e32 v23, v27
	v_pk_add_f32 v[28:29], v[14:15], v[22:23] neg_lo:[0,1] neg_hi:[0,1]
	v_pk_add_f32 v[14:15], v[14:15], v[22:23]
	v_mov_b32_e32 v24, v25
	v_mov_b32_e32 v22, v15
	v_pk_add_f32 v[30:31], v[22:23], v[12:13] neg_lo:[0,1] neg_hi:[0,1]
	v_mov_b32_e32 v14, v27
	v_mov_b32_e32 v23, v30
	v_pk_add_f32 v[32:33], v[26:27], v[22:23] neg_lo:[0,1] neg_hi:[0,1]
	v_mov_b32_e32 v26, v13
	v_mov_b32_e32 v27, v30
	;; [unrolled: 1-line block ×3, first 2 shown]
	v_pk_add_f32 v[14:15], v[14:15], v[26:27] neg_lo:[0,1] neg_hi:[0,1]
	v_mov_b32_e32 v25, v12
	v_pk_add_f32 v[12:13], v[24:25], v[14:15] neg_lo:[0,1] neg_hi:[0,1]
	v_mov_b32_e32 v32, v28
	v_pk_add_f32 v[14:15], v[32:33], v[12:13]
	s_nop 0
	v_mov_b32_e32 v24, v15
	v_pk_add_f32 v[24:25], v[14:15], v[24:25]
	s_nop 0
	v_pk_add_f32 v[22:23], v[22:23], v[24:25]
	v_mov_b32_e32 v13, v24
	v_mov_b32_e32 v15, v22
	v_pk_add_f32 v[26:27], v[14:15], v[28:29] neg_lo:[0,1] neg_hi:[0,1]
	s_nop 0
	v_sub_f32_e32 v14, v14, v26
	v_pk_add_f32 v[12:13], v[12:13], v[26:27] neg_lo:[0,1] neg_hi:[0,1]
	v_sub_f32_e32 v14, v28, v14
	v_add_f32_e32 v12, v12, v14
	v_add_f32_e32 v12, v12, v13
	;; [unrolled: 1-line block ×3, first 2 shown]
	v_cndmask_b32_e32 v88, v12, v34, vcc
.LBB114_91:                             ;   in Loop: Header=BB114_13 Depth=1
	s_or_b64 exec, exec, s[54:55]
	s_waitcnt lgkmcnt(0)
	v_cvt_f32_f16_e32 v12, v8
	v_readlane_b32 s0, v95, 2
	s_nop 1
	v_add_f32_e32 v89, s0, v12
	v_cmp_ge_f32_e32 vcc, s6, v89
	s_and_b64 s[0:1], s[4:5], vcc
	s_and_saveexec_b64 s[54:55], s[0:1]
	s_cbranch_execz .LBB114_93
; %bb.92:                               ;   in Loop: Header=BB114_13 Depth=1
	v_mul_f32_e32 v12, 0x3fb8aa3b, v89
	v_rndne_f32_e32 v13, v12
	v_sub_f32_e32 v14, v12, v13
	v_fma_f32 v12, v89, s7, -v12
	v_fmac_f32_e32 v12, 0x32a5705f, v89
	v_add_f32_e32 v12, v14, v12
	v_cvt_i32_f32_e32 v13, v13
	v_exp_f32_e32 v12, v12
	v_cmp_ngt_f32_e32 vcc, s8, v89
	v_ldexp_f32 v12, v12, v13
	s_nop 0
	v_cndmask_b32_e32 v12, 0, v12, vcc
	v_cmp_nlt_f32_e32 vcc, s9, v89
	s_nop 1
	v_cndmask_b32_e32 v34, v41, v12, vcc
	v_add_f32_e32 v14, 1.0, v34
	v_add_f32_e32 v12, -1.0, v14
	v_sub_f32_e32 v13, v12, v14
	v_add_f32_e32 v13, 1.0, v13
	v_sub_f32_e32 v12, v34, v12
	v_add_f32_e32 v15, v12, v13
	v_frexp_mant_f32_e32 v22, v14
	v_cvt_f64_f32_e32 v[12:13], v14
	v_frexp_exp_i32_f64_e32 v12, v[12:13]
	v_cmp_gt_f32_e32 vcc, s11, v22
	v_cmp_gt_f32_e64 s[52:53], s57, v34
	s_nop 0
	v_subbrev_co_u32_e32 v26, vcc, 0, v12, vcc
	v_sub_u32_e32 v12, 0, v26
	v_ldexp_f32 v13, v14, v12
	v_add_f32_e32 v14, -1.0, v13
	v_add_f32_e32 v22, 1.0, v13
	v_ldexp_f32 v12, v15, v12
	v_add_f32_e32 v15, 1.0, v14
	v_add_f32_e32 v23, -1.0, v22
	v_sub_f32_e32 v15, v13, v15
	v_sub_f32_e32 v13, v13, v23
	v_add_f32_e32 v15, v12, v15
	v_add_f32_e32 v12, v12, v13
	;; [unrolled: 1-line block ×3, first 2 shown]
	v_rcp_f32_e32 v29, v27
	v_sub_f32_e32 v13, v22, v27
	v_add_f32_e32 v28, v12, v13
	v_add_f32_e32 v13, v14, v15
	v_mul_f32_e32 v31, v13, v29
	v_sub_f32_e32 v12, v14, v13
	v_mul_f32_e32 v14, v27, v31
	v_fma_f32 v22, v31, v27, -v14
	v_fmac_f32_e32 v22, v31, v28
	v_add_f32_e32 v30, v15, v12
	v_add_f32_e32 v12, v14, v22
	v_sub_f32_e32 v15, v13, v12
	v_pk_add_f32 v[24:25], v[12:13], v[14:15] neg_lo:[0,1] neg_hi:[0,1]
	v_mov_b32_e32 v23, v12
	v_pk_add_f32 v[12:13], v[24:25], v[22:23] neg_lo:[0,1] neg_hi:[0,1]
	v_cmp_eq_f32_e32 vcc, s10, v34
	v_add_f32_e32 v13, v30, v13
	v_add_f32_e32 v12, v12, v13
	;; [unrolled: 1-line block ×3, first 2 shown]
	v_mul_f32_e32 v30, v29, v13
	v_mul_f32_e32 v14, v27, v30
	v_fma_f32 v22, v30, v27, -v14
	v_fmac_f32_e32 v22, v30, v28
	v_sub_f32_e32 v15, v15, v13
	v_add_f32_e32 v27, v12, v15
	v_add_f32_e32 v12, v14, v22
	v_sub_f32_e32 v15, v13, v12
	v_pk_add_f32 v[24:25], v[12:13], v[14:15] neg_lo:[0,1] neg_hi:[0,1]
	v_mov_b32_e32 v23, v12
	v_pk_add_f32 v[12:13], v[24:25], v[22:23] neg_lo:[0,1] neg_hi:[0,1]
	s_or_b64 vcc, s[52:53], vcc
	v_add_f32_e32 v13, v27, v13
	v_add_f32_e32 v12, v12, v13
	;; [unrolled: 1-line block ×4, first 2 shown]
	v_sub_f32_e32 v14, v13, v31
	v_mul_f32_e32 v12, v29, v12
	v_sub_f32_e32 v14, v30, v14
	v_add_f32_e32 v14, v14, v12
	v_add_f32_e32 v22, v13, v14
	v_mul_f32_e32 v23, v22, v22
	v_fmamk_f32 v12, v23, 0x3e9b6dac, v40
	v_fmaak_f32 v43, v23, v12, 0x3f2aaada
	v_cvt_f32_i32_e32 v12, v26
	v_sub_f32_e32 v13, v22, v13
	v_sub_f32_e32 v13, v14, v13
	v_ldexp_f32 v24, v13, 1
	v_mul_f32_e32 v13, v22, v23
	v_ldexp_f32 v15, v22, 1
	v_pk_mul_f32 v[22:23], v[12:13], v[42:43]
	s_nop 0
	v_fma_f32 v14, v12, s56, -v22
	v_fmac_f32_e32 v14, 0xb102e308, v12
	v_pk_add_f32 v[12:13], v[22:23], v[14:15]
	s_nop 0
	v_sub_f32_e32 v15, v13, v15
	v_sub_f32_e32 v15, v23, v15
	v_add_f32_e32 v25, v24, v15
	v_mov_b32_e32 v24, v22
	v_pk_add_f32 v[22:23], v[12:13], v[22:23] neg_lo:[0,1] neg_hi:[0,1]
	v_pk_add_f32 v[26:27], v[12:13], v[24:25]
	v_mov_b32_e32 v15, v12
	v_mov_b32_e32 v23, v27
	v_pk_add_f32 v[28:29], v[14:15], v[22:23] neg_lo:[0,1] neg_hi:[0,1]
	v_pk_add_f32 v[14:15], v[14:15], v[22:23]
	v_mov_b32_e32 v24, v25
	v_mov_b32_e32 v22, v15
	v_pk_add_f32 v[30:31], v[22:23], v[12:13] neg_lo:[0,1] neg_hi:[0,1]
	v_mov_b32_e32 v14, v27
	v_mov_b32_e32 v23, v30
	v_pk_add_f32 v[32:33], v[26:27], v[22:23] neg_lo:[0,1] neg_hi:[0,1]
	v_mov_b32_e32 v26, v13
	v_mov_b32_e32 v27, v30
	;; [unrolled: 1-line block ×3, first 2 shown]
	v_pk_add_f32 v[14:15], v[14:15], v[26:27] neg_lo:[0,1] neg_hi:[0,1]
	v_mov_b32_e32 v25, v12
	v_pk_add_f32 v[12:13], v[24:25], v[14:15] neg_lo:[0,1] neg_hi:[0,1]
	v_mov_b32_e32 v32, v28
	v_pk_add_f32 v[14:15], v[32:33], v[12:13]
	s_nop 0
	v_mov_b32_e32 v24, v15
	v_pk_add_f32 v[24:25], v[14:15], v[24:25]
	s_nop 0
	v_pk_add_f32 v[22:23], v[22:23], v[24:25]
	v_mov_b32_e32 v13, v24
	v_mov_b32_e32 v15, v22
	v_pk_add_f32 v[26:27], v[14:15], v[28:29] neg_lo:[0,1] neg_hi:[0,1]
	s_nop 0
	v_sub_f32_e32 v14, v14, v26
	v_pk_add_f32 v[12:13], v[12:13], v[26:27] neg_lo:[0,1] neg_hi:[0,1]
	v_sub_f32_e32 v14, v28, v14
	v_add_f32_e32 v12, v12, v14
	v_add_f32_e32 v12, v12, v13
	;; [unrolled: 1-line block ×3, first 2 shown]
	v_cndmask_b32_e32 v89, v12, v34, vcc
.LBB114_93:                             ;   in Loop: Header=BB114_13 Depth=1
	s_or_b64 exec, exec, s[54:55]
	v_cvt_f32_f16_sdwa v8, v8 dst_sel:DWORD dst_unused:UNUSED_PAD src0_sel:WORD_1
	v_readlane_b32 s0, v95, 2
	s_nop 1
	v_add_f32_e32 v90, s0, v8
	v_cmp_ge_f32_e32 vcc, s6, v90
	s_and_b64 s[0:1], s[4:5], vcc
	s_and_saveexec_b64 s[54:55], s[0:1]
	s_cbranch_execz .LBB114_95
; %bb.94:                               ;   in Loop: Header=BB114_13 Depth=1
	v_mul_f32_e32 v8, 0x3fb8aa3b, v90
	v_rndne_f32_e32 v12, v8
	v_sub_f32_e32 v13, v8, v12
	v_fma_f32 v8, v90, s7, -v8
	v_fmac_f32_e32 v8, 0x32a5705f, v90
	v_add_f32_e32 v8, v13, v8
	v_cvt_i32_f32_e32 v12, v12
	v_exp_f32_e32 v8, v8
	v_cmp_ngt_f32_e32 vcc, s8, v90
	v_ldexp_f32 v8, v8, v12
	s_nop 0
	v_cndmask_b32_e32 v8, 0, v8, vcc
	v_cmp_nlt_f32_e32 vcc, s9, v90
	s_nop 1
	v_cndmask_b32_e32 v32, v41, v8, vcc
	v_add_f32_e32 v8, 1.0, v32
	v_add_f32_e32 v12, -1.0, v8
	v_sub_f32_e32 v13, v12, v8
	v_add_f32_e32 v13, 1.0, v13
	v_sub_f32_e32 v12, v32, v12
	v_add_f32_e32 v14, v12, v13
	v_frexp_mant_f32_e32 v15, v8
	v_cvt_f64_f32_e32 v[12:13], v8
	v_frexp_exp_i32_f64_e32 v12, v[12:13]
	v_cmp_gt_f32_e32 vcc, s11, v15
	v_cmp_gt_f32_e64 s[52:53], s57, v32
	s_nop 0
	v_subbrev_co_u32_e32 v26, vcc, 0, v12, vcc
	v_sub_u32_e32 v12, 0, v26
	v_ldexp_f32 v8, v8, v12
	v_ldexp_f32 v12, v14, v12
	v_add_f32_e32 v14, -1.0, v8
	v_add_f32_e32 v13, 1.0, v14
	v_sub_f32_e32 v13, v8, v13
	v_add_f32_e32 v15, v12, v13
	v_add_f32_e32 v13, 1.0, v8
	v_add_f32_e32 v22, -1.0, v13
	v_sub_f32_e32 v8, v8, v22
	v_add_f32_e32 v8, v12, v8
	v_add_f32_e32 v27, v13, v8
	v_rcp_f32_e32 v28, v27
	v_sub_f32_e32 v12, v13, v27
	v_add_f32_e32 v13, v14, v15
	v_add_f32_e32 v8, v8, v12
	v_mul_f32_e32 v30, v13, v28
	v_sub_f32_e32 v12, v14, v13
	v_mul_f32_e32 v14, v27, v30
	v_fma_f32 v22, v30, v27, -v14
	v_fmac_f32_e32 v22, v30, v8
	v_add_f32_e32 v29, v15, v12
	v_add_f32_e32 v12, v14, v22
	v_sub_f32_e32 v15, v13, v12
	v_pk_add_f32 v[24:25], v[12:13], v[14:15] neg_lo:[0,1] neg_hi:[0,1]
	v_mov_b32_e32 v23, v12
	v_pk_add_f32 v[12:13], v[24:25], v[22:23] neg_lo:[0,1] neg_hi:[0,1]
	v_cmp_eq_f32_e32 vcc, s10, v32
	v_add_f32_e32 v13, v29, v13
	v_add_f32_e32 v12, v12, v13
	;; [unrolled: 1-line block ×3, first 2 shown]
	v_mul_f32_e32 v29, v28, v13
	v_mul_f32_e32 v14, v27, v29
	v_fma_f32 v22, v29, v27, -v14
	v_fmac_f32_e32 v22, v29, v8
	v_sub_f32_e32 v8, v15, v13
	v_add_f32_e32 v8, v12, v8
	v_add_f32_e32 v12, v14, v22
	v_sub_f32_e32 v15, v13, v12
	v_pk_add_f32 v[24:25], v[12:13], v[14:15] neg_lo:[0,1] neg_hi:[0,1]
	v_mov_b32_e32 v23, v12
	v_pk_add_f32 v[12:13], v[24:25], v[22:23] neg_lo:[0,1] neg_hi:[0,1]
	s_or_b64 vcc, s[52:53], vcc
	v_add_f32_e32 v8, v8, v13
	v_add_f32_e32 v8, v12, v8
	;; [unrolled: 1-line block ×4, first 2 shown]
	v_sub_f32_e32 v12, v13, v30
	v_mul_f32_e32 v8, v28, v8
	v_sub_f32_e32 v12, v29, v12
	v_add_f32_e32 v8, v12, v8
	v_add_f32_e32 v14, v13, v8
	v_mul_f32_e32 v22, v14, v14
	v_fmamk_f32 v12, v22, 0x3e9b6dac, v40
	v_fmaak_f32 v43, v22, v12, 0x3f2aaada
	v_cvt_f32_i32_e32 v12, v26
	v_sub_f32_e32 v13, v14, v13
	v_sub_f32_e32 v8, v8, v13
	v_mul_f32_e32 v13, v14, v22
	v_pk_mul_f32 v[22:23], v[12:13], v[42:43]
	v_ldexp_f32 v15, v14, 1
	v_fma_f32 v14, v12, s56, -v22
	v_fmac_f32_e32 v14, 0xb102e308, v12
	v_pk_add_f32 v[12:13], v[22:23], v[14:15]
	v_ldexp_f32 v8, v8, 1
	v_sub_f32_e32 v15, v13, v15
	v_sub_f32_e32 v15, v23, v15
	v_add_f32_e32 v25, v8, v15
	v_mov_b32_e32 v24, v22
	v_pk_add_f32 v[22:23], v[12:13], v[22:23] neg_lo:[0,1] neg_hi:[0,1]
	v_pk_add_f32 v[26:27], v[12:13], v[24:25]
	v_mov_b32_e32 v15, v12
	v_mov_b32_e32 v23, v27
	v_pk_add_f32 v[28:29], v[14:15], v[22:23] neg_lo:[0,1] neg_hi:[0,1]
	v_pk_add_f32 v[14:15], v[14:15], v[22:23]
	s_nop 0
	v_mov_b32_e32 v8, v15
	v_pk_add_f32 v[22:23], v[8:9], v[12:13] neg_lo:[0,1] neg_hi:[0,1]
	v_mov_b32_e32 v14, v27
	v_mov_b32_e32 v23, v22
	v_pk_add_f32 v[30:31], v[26:27], v[22:23] neg_lo:[0,1] neg_hi:[0,1]
	v_mov_b32_e32 v26, v13
	v_mov_b32_e32 v27, v22
	;; [unrolled: 1-line block ×3, first 2 shown]
	v_pk_add_f32 v[14:15], v[14:15], v[26:27] neg_lo:[0,1] neg_hi:[0,1]
	v_mov_b32_e32 v22, v25
	v_mov_b32_e32 v23, v12
	v_pk_add_f32 v[12:13], v[22:23], v[14:15] neg_lo:[0,1] neg_hi:[0,1]
	v_mov_b32_e32 v30, v28
	v_pk_add_f32 v[14:15], v[30:31], v[12:13]
	s_nop 0
	v_mov_b32_e32 v22, v15
	v_pk_add_f32 v[22:23], v[14:15], v[22:23]
	s_nop 0
	v_pk_add_f32 v[24:25], v[8:9], v[22:23]
	v_mov_b32_e32 v13, v22
	v_mov_b32_e32 v15, v24
	v_pk_add_f32 v[26:27], v[14:15], v[28:29] neg_lo:[0,1] neg_hi:[0,1]
	s_nop 0
	v_sub_f32_e32 v8, v14, v26
	v_pk_add_f32 v[12:13], v[12:13], v[26:27] neg_lo:[0,1] neg_hi:[0,1]
	v_sub_f32_e32 v8, v28, v8
	v_add_f32_e32 v8, v12, v8
	v_add_f32_e32 v8, v8, v13
	;; [unrolled: 1-line block ×3, first 2 shown]
	v_cndmask_b32_e32 v90, v8, v32, vcc
.LBB114_95:                             ;   in Loop: Header=BB114_13 Depth=1
	s_or_b64 exec, exec, s[54:55]
	v_cvt_f32_f16_e32 v8, v9
	v_readlane_b32 s0, v95, 2
	s_nop 1
	v_add_f32_e32 v91, s0, v8
	v_cmp_ge_f32_e32 vcc, s6, v91
	s_and_b64 s[0:1], s[4:5], vcc
	s_and_saveexec_b64 s[54:55], s[0:1]
	s_cbranch_execz .LBB114_97
; %bb.96:                               ;   in Loop: Header=BB114_13 Depth=1
	v_mul_f32_e32 v8, 0x3fb8aa3b, v91
	v_rndne_f32_e32 v12, v8
	v_sub_f32_e32 v13, v8, v12
	v_fma_f32 v8, v91, s7, -v8
	v_fmac_f32_e32 v8, 0x32a5705f, v91
	v_add_f32_e32 v8, v13, v8
	v_cvt_i32_f32_e32 v12, v12
	v_exp_f32_e32 v8, v8
	v_cmp_ngt_f32_e32 vcc, s8, v91
	v_ldexp_f32 v8, v8, v12
	s_nop 0
	v_cndmask_b32_e32 v8, 0, v8, vcc
	v_cmp_nlt_f32_e32 vcc, s9, v91
	s_nop 1
	v_cndmask_b32_e32 v32, v41, v8, vcc
	v_add_f32_e32 v8, 1.0, v32
	v_add_f32_e32 v12, -1.0, v8
	v_sub_f32_e32 v13, v12, v8
	v_add_f32_e32 v13, 1.0, v13
	v_sub_f32_e32 v12, v32, v12
	v_add_f32_e32 v14, v12, v13
	v_frexp_mant_f32_e32 v15, v8
	v_cvt_f64_f32_e32 v[12:13], v8
	v_frexp_exp_i32_f64_e32 v12, v[12:13]
	v_cmp_gt_f32_e32 vcc, s11, v15
	v_cmp_gt_f32_e64 s[52:53], s57, v32
	s_nop 0
	v_subbrev_co_u32_e32 v26, vcc, 0, v12, vcc
	v_sub_u32_e32 v12, 0, v26
	v_ldexp_f32 v8, v8, v12
	v_ldexp_f32 v12, v14, v12
	v_add_f32_e32 v14, -1.0, v8
	v_add_f32_e32 v13, 1.0, v14
	v_sub_f32_e32 v13, v8, v13
	v_add_f32_e32 v15, v12, v13
	v_add_f32_e32 v13, 1.0, v8
	v_add_f32_e32 v22, -1.0, v13
	v_sub_f32_e32 v8, v8, v22
	v_add_f32_e32 v8, v12, v8
	v_add_f32_e32 v27, v13, v8
	v_rcp_f32_e32 v28, v27
	v_sub_f32_e32 v12, v13, v27
	v_add_f32_e32 v13, v14, v15
	v_add_f32_e32 v8, v8, v12
	v_mul_f32_e32 v30, v13, v28
	v_sub_f32_e32 v12, v14, v13
	v_mul_f32_e32 v14, v27, v30
	v_fma_f32 v22, v30, v27, -v14
	v_fmac_f32_e32 v22, v30, v8
	v_add_f32_e32 v29, v15, v12
	v_add_f32_e32 v12, v14, v22
	v_sub_f32_e32 v15, v13, v12
	v_pk_add_f32 v[24:25], v[12:13], v[14:15] neg_lo:[0,1] neg_hi:[0,1]
	v_mov_b32_e32 v23, v12
	v_pk_add_f32 v[12:13], v[24:25], v[22:23] neg_lo:[0,1] neg_hi:[0,1]
	v_cmp_eq_f32_e32 vcc, s10, v32
	v_add_f32_e32 v13, v29, v13
	v_add_f32_e32 v12, v12, v13
	;; [unrolled: 1-line block ×3, first 2 shown]
	v_mul_f32_e32 v29, v28, v13
	v_mul_f32_e32 v14, v27, v29
	v_fma_f32 v22, v29, v27, -v14
	v_fmac_f32_e32 v22, v29, v8
	v_sub_f32_e32 v8, v15, v13
	v_add_f32_e32 v8, v12, v8
	v_add_f32_e32 v12, v14, v22
	v_sub_f32_e32 v15, v13, v12
	v_pk_add_f32 v[24:25], v[12:13], v[14:15] neg_lo:[0,1] neg_hi:[0,1]
	v_mov_b32_e32 v23, v12
	v_pk_add_f32 v[12:13], v[24:25], v[22:23] neg_lo:[0,1] neg_hi:[0,1]
	s_or_b64 vcc, s[52:53], vcc
	v_add_f32_e32 v8, v8, v13
	v_add_f32_e32 v8, v12, v8
	;; [unrolled: 1-line block ×4, first 2 shown]
	v_sub_f32_e32 v12, v13, v30
	v_mul_f32_e32 v8, v28, v8
	v_sub_f32_e32 v12, v29, v12
	v_add_f32_e32 v8, v12, v8
	v_add_f32_e32 v14, v13, v8
	v_mul_f32_e32 v22, v14, v14
	v_fmamk_f32 v12, v22, 0x3e9b6dac, v40
	v_fmaak_f32 v43, v22, v12, 0x3f2aaada
	v_cvt_f32_i32_e32 v12, v26
	v_sub_f32_e32 v13, v14, v13
	v_sub_f32_e32 v8, v8, v13
	v_mul_f32_e32 v13, v14, v22
	v_pk_mul_f32 v[22:23], v[12:13], v[42:43]
	v_ldexp_f32 v15, v14, 1
	v_fma_f32 v14, v12, s56, -v22
	v_fmac_f32_e32 v14, 0xb102e308, v12
	v_pk_add_f32 v[12:13], v[22:23], v[14:15]
	v_ldexp_f32 v8, v8, 1
	v_sub_f32_e32 v15, v13, v15
	v_sub_f32_e32 v15, v23, v15
	v_add_f32_e32 v25, v8, v15
	v_mov_b32_e32 v24, v22
	v_pk_add_f32 v[22:23], v[12:13], v[22:23] neg_lo:[0,1] neg_hi:[0,1]
	v_pk_add_f32 v[26:27], v[12:13], v[24:25]
	v_mov_b32_e32 v15, v12
	v_mov_b32_e32 v23, v27
	v_pk_add_f32 v[28:29], v[14:15], v[22:23] neg_lo:[0,1] neg_hi:[0,1]
	v_pk_add_f32 v[14:15], v[14:15], v[22:23]
	s_nop 0
	v_mov_b32_e32 v8, v15
	v_pk_add_f32 v[22:23], v[8:9], v[12:13] neg_lo:[0,1] neg_hi:[0,1]
	v_mov_b32_e32 v14, v27
	v_mov_b32_e32 v23, v22
	v_pk_add_f32 v[30:31], v[26:27], v[22:23] neg_lo:[0,1] neg_hi:[0,1]
	v_mov_b32_e32 v26, v13
	v_mov_b32_e32 v27, v22
	;; [unrolled: 1-line block ×3, first 2 shown]
	v_pk_add_f32 v[14:15], v[14:15], v[26:27] neg_lo:[0,1] neg_hi:[0,1]
	v_mov_b32_e32 v22, v25
	v_mov_b32_e32 v23, v12
	v_pk_add_f32 v[12:13], v[22:23], v[14:15] neg_lo:[0,1] neg_hi:[0,1]
	v_mov_b32_e32 v30, v28
	v_pk_add_f32 v[14:15], v[30:31], v[12:13]
	s_nop 0
	v_mov_b32_e32 v22, v15
	v_pk_add_f32 v[22:23], v[14:15], v[22:23]
	s_nop 0
	v_pk_add_f32 v[24:25], v[8:9], v[22:23]
	v_mov_b32_e32 v13, v22
	v_mov_b32_e32 v15, v24
	v_pk_add_f32 v[26:27], v[14:15], v[28:29] neg_lo:[0,1] neg_hi:[0,1]
	s_nop 0
	v_sub_f32_e32 v8, v14, v26
	v_pk_add_f32 v[12:13], v[12:13], v[26:27] neg_lo:[0,1] neg_hi:[0,1]
	v_sub_f32_e32 v8, v28, v8
	v_add_f32_e32 v8, v12, v8
	v_add_f32_e32 v8, v8, v13
	;; [unrolled: 1-line block ×3, first 2 shown]
	v_cndmask_b32_e32 v91, v8, v32, vcc
.LBB114_97:                             ;   in Loop: Header=BB114_13 Depth=1
	s_or_b64 exec, exec, s[54:55]
	v_cvt_f32_f16_sdwa v8, v9 dst_sel:DWORD dst_unused:UNUSED_PAD src0_sel:WORD_1
	v_readlane_b32 s0, v95, 2
	s_nop 1
	v_add_f32_e32 v92, s0, v8
	v_cmp_ge_f32_e32 vcc, s6, v92
	s_and_b64 s[0:1], s[4:5], vcc
	s_and_saveexec_b64 s[54:55], s[0:1]
	s_cbranch_execz .LBB114_99
; %bb.98:                               ;   in Loop: Header=BB114_13 Depth=1
	v_mul_f32_e32 v8, 0x3fb8aa3b, v92
	v_rndne_f32_e32 v9, v8
	v_sub_f32_e32 v12, v8, v9
	v_fma_f32 v8, v92, s7, -v8
	v_fmac_f32_e32 v8, 0x32a5705f, v92
	v_add_f32_e32 v8, v12, v8
	v_cvt_i32_f32_e32 v9, v9
	v_exp_f32_e32 v8, v8
	v_cmp_ngt_f32_e32 vcc, s8, v92
	v_ldexp_f32 v8, v8, v9
	s_nop 0
	v_cndmask_b32_e32 v8, 0, v8, vcc
	v_cmp_nlt_f32_e32 vcc, s9, v92
	s_nop 1
	v_cndmask_b32_e32 v32, v41, v8, vcc
	v_add_f32_e32 v12, 1.0, v32
	v_add_f32_e32 v8, -1.0, v12
	v_sub_f32_e32 v9, v8, v12
	v_add_f32_e32 v9, 1.0, v9
	v_sub_f32_e32 v8, v32, v8
	v_add_f32_e32 v13, v8, v9
	v_frexp_mant_f32_e32 v14, v12
	v_cvt_f64_f32_e32 v[8:9], v12
	v_frexp_exp_i32_f64_e32 v8, v[8:9]
	v_cmp_gt_f32_e32 vcc, s11, v14
	v_cmp_gt_f32_e64 s[52:53], s57, v32
	s_nop 0
	v_subbrev_co_u32_e32 v24, vcc, 0, v8, vcc
	v_sub_u32_e32 v8, 0, v24
	v_ldexp_f32 v9, v12, v8
	v_add_f32_e32 v12, -1.0, v9
	v_add_f32_e32 v14, 1.0, v9
	v_ldexp_f32 v8, v13, v8
	v_add_f32_e32 v13, 1.0, v12
	v_add_f32_e32 v15, -1.0, v14
	v_sub_f32_e32 v13, v9, v13
	v_sub_f32_e32 v9, v9, v15
	v_add_f32_e32 v13, v8, v13
	v_add_f32_e32 v8, v8, v9
	;; [unrolled: 1-line block ×3, first 2 shown]
	v_rcp_f32_e32 v27, v25
	v_sub_f32_e32 v9, v14, v25
	v_add_f32_e32 v26, v8, v9
	v_add_f32_e32 v9, v12, v13
	v_mul_f32_e32 v29, v9, v27
	v_sub_f32_e32 v8, v12, v9
	v_mul_f32_e32 v12, v25, v29
	v_fma_f32 v14, v29, v25, -v12
	v_fmac_f32_e32 v14, v29, v26
	v_add_f32_e32 v28, v13, v8
	v_add_f32_e32 v8, v12, v14
	v_sub_f32_e32 v13, v9, v8
	v_pk_add_f32 v[22:23], v[8:9], v[12:13] neg_lo:[0,1] neg_hi:[0,1]
	v_mov_b32_e32 v15, v8
	v_pk_add_f32 v[8:9], v[22:23], v[14:15] neg_lo:[0,1] neg_hi:[0,1]
	v_cmp_eq_f32_e32 vcc, s10, v32
	v_add_f32_e32 v9, v28, v9
	v_add_f32_e32 v8, v8, v9
	;; [unrolled: 1-line block ×3, first 2 shown]
	v_mul_f32_e32 v28, v27, v9
	v_mul_f32_e32 v12, v25, v28
	v_fma_f32 v14, v28, v25, -v12
	v_fmac_f32_e32 v14, v28, v26
	v_sub_f32_e32 v13, v13, v9
	v_add_f32_e32 v25, v8, v13
	v_add_f32_e32 v8, v12, v14
	v_sub_f32_e32 v13, v9, v8
	v_pk_add_f32 v[22:23], v[8:9], v[12:13] neg_lo:[0,1] neg_hi:[0,1]
	v_mov_b32_e32 v15, v8
	v_pk_add_f32 v[8:9], v[22:23], v[14:15] neg_lo:[0,1] neg_hi:[0,1]
	s_or_b64 vcc, s[52:53], vcc
	v_add_f32_e32 v9, v25, v9
	v_add_f32_e32 v8, v8, v9
	;; [unrolled: 1-line block ×4, first 2 shown]
	v_sub_f32_e32 v12, v9, v29
	v_mul_f32_e32 v8, v27, v8
	v_sub_f32_e32 v12, v28, v12
	v_add_f32_e32 v12, v12, v8
	v_add_f32_e32 v14, v9, v12
	v_mul_f32_e32 v15, v14, v14
	v_fmamk_f32 v8, v15, 0x3e9b6dac, v40
	v_fmaak_f32 v43, v15, v8, 0x3f2aaada
	v_cvt_f32_i32_e32 v8, v24
	v_sub_f32_e32 v9, v14, v9
	v_sub_f32_e32 v9, v12, v9
	v_ldexp_f32 v22, v9, 1
	v_mul_f32_e32 v9, v14, v15
	v_ldexp_f32 v13, v14, 1
	v_pk_mul_f32 v[14:15], v[8:9], v[42:43]
	s_nop 0
	v_fma_f32 v12, v8, s56, -v14
	v_fmac_f32_e32 v12, 0xb102e308, v8
	v_pk_add_f32 v[8:9], v[14:15], v[12:13]
	s_nop 0
	v_sub_f32_e32 v13, v9, v13
	v_sub_f32_e32 v13, v15, v13
	v_add_f32_e32 v23, v22, v13
	v_mov_b32_e32 v22, v14
	v_pk_add_f32 v[14:15], v[8:9], v[14:15] neg_lo:[0,1] neg_hi:[0,1]
	v_pk_add_f32 v[24:25], v[8:9], v[22:23]
	v_mov_b32_e32 v13, v8
	v_mov_b32_e32 v15, v25
	v_pk_add_f32 v[26:27], v[12:13], v[14:15] neg_lo:[0,1] neg_hi:[0,1]
	v_pk_add_f32 v[12:13], v[12:13], v[14:15]
	v_mov_b32_e32 v22, v23
	v_mov_b32_e32 v14, v13
	v_pk_add_f32 v[28:29], v[14:15], v[8:9] neg_lo:[0,1] neg_hi:[0,1]
	v_mov_b32_e32 v12, v25
	v_mov_b32_e32 v15, v28
	v_pk_add_f32 v[30:31], v[24:25], v[14:15] neg_lo:[0,1] neg_hi:[0,1]
	v_mov_b32_e32 v24, v9
	v_mov_b32_e32 v25, v28
	;; [unrolled: 1-line block ×3, first 2 shown]
	v_pk_add_f32 v[12:13], v[12:13], v[24:25] neg_lo:[0,1] neg_hi:[0,1]
	v_mov_b32_e32 v23, v8
	v_pk_add_f32 v[8:9], v[22:23], v[12:13] neg_lo:[0,1] neg_hi:[0,1]
	v_mov_b32_e32 v30, v26
	v_pk_add_f32 v[12:13], v[30:31], v[8:9]
	s_nop 0
	v_mov_b32_e32 v22, v13
	v_pk_add_f32 v[22:23], v[12:13], v[22:23]
	s_nop 0
	v_pk_add_f32 v[14:15], v[14:15], v[22:23]
	v_mov_b32_e32 v9, v22
	v_mov_b32_e32 v13, v14
	v_pk_add_f32 v[24:25], v[12:13], v[26:27] neg_lo:[0,1] neg_hi:[0,1]
	s_nop 0
	v_sub_f32_e32 v12, v12, v24
	v_pk_add_f32 v[8:9], v[8:9], v[24:25] neg_lo:[0,1] neg_hi:[0,1]
	v_sub_f32_e32 v12, v26, v12
	v_add_f32_e32 v8, v8, v12
	v_add_f32_e32 v8, v8, v9
	;; [unrolled: 1-line block ×3, first 2 shown]
	v_cndmask_b32_e32 v92, v8, v32, vcc
.LBB114_99:                             ;   in Loop: Header=BB114_13 Depth=1
	s_or_b64 exec, exec, s[54:55]
	v_cvt_f32_f16_e32 v8, v10
	v_readlane_b32 s0, v95, 2
	s_nop 1
	v_add_f32_e32 v93, s0, v8
	v_cmp_ge_f32_e32 vcc, s6, v93
	s_and_b64 s[0:1], s[4:5], vcc
	s_and_saveexec_b64 s[54:55], s[0:1]
	s_cbranch_execz .LBB114_101
; %bb.100:                              ;   in Loop: Header=BB114_13 Depth=1
	v_mul_f32_e32 v8, 0x3fb8aa3b, v93
	v_rndne_f32_e32 v9, v8
	v_sub_f32_e32 v12, v8, v9
	v_fma_f32 v8, v93, s7, -v8
	v_fmac_f32_e32 v8, 0x32a5705f, v93
	v_add_f32_e32 v8, v12, v8
	v_cvt_i32_f32_e32 v9, v9
	v_exp_f32_e32 v8, v8
	v_cmp_ngt_f32_e32 vcc, s8, v93
	v_ldexp_f32 v8, v8, v9
	s_nop 0
	v_cndmask_b32_e32 v8, 0, v8, vcc
	v_cmp_nlt_f32_e32 vcc, s9, v93
	s_nop 1
	v_cndmask_b32_e32 v32, v41, v8, vcc
	v_add_f32_e32 v12, 1.0, v32
	v_add_f32_e32 v8, -1.0, v12
	v_sub_f32_e32 v9, v8, v12
	v_add_f32_e32 v9, 1.0, v9
	v_sub_f32_e32 v8, v32, v8
	v_add_f32_e32 v13, v8, v9
	v_frexp_mant_f32_e32 v14, v12
	v_cvt_f64_f32_e32 v[8:9], v12
	v_frexp_exp_i32_f64_e32 v8, v[8:9]
	v_cmp_gt_f32_e32 vcc, s11, v14
	v_cmp_gt_f32_e64 s[52:53], s57, v32
	s_nop 0
	v_subbrev_co_u32_e32 v24, vcc, 0, v8, vcc
	v_sub_u32_e32 v8, 0, v24
	v_ldexp_f32 v9, v12, v8
	v_add_f32_e32 v12, -1.0, v9
	v_add_f32_e32 v14, 1.0, v9
	v_ldexp_f32 v8, v13, v8
	v_add_f32_e32 v13, 1.0, v12
	v_add_f32_e32 v15, -1.0, v14
	v_sub_f32_e32 v13, v9, v13
	v_sub_f32_e32 v9, v9, v15
	v_add_f32_e32 v13, v8, v13
	v_add_f32_e32 v8, v8, v9
	v_add_f32_e32 v25, v14, v8
	v_rcp_f32_e32 v27, v25
	v_sub_f32_e32 v9, v14, v25
	v_add_f32_e32 v26, v8, v9
	v_add_f32_e32 v9, v12, v13
	v_mul_f32_e32 v29, v9, v27
	v_sub_f32_e32 v8, v12, v9
	v_mul_f32_e32 v12, v25, v29
	v_fma_f32 v14, v29, v25, -v12
	v_fmac_f32_e32 v14, v29, v26
	v_add_f32_e32 v28, v13, v8
	v_add_f32_e32 v8, v12, v14
	v_sub_f32_e32 v13, v9, v8
	v_pk_add_f32 v[22:23], v[8:9], v[12:13] neg_lo:[0,1] neg_hi:[0,1]
	v_mov_b32_e32 v15, v8
	v_pk_add_f32 v[8:9], v[22:23], v[14:15] neg_lo:[0,1] neg_hi:[0,1]
	v_cmp_eq_f32_e32 vcc, s10, v32
	v_add_f32_e32 v9, v28, v9
	v_add_f32_e32 v8, v8, v9
	;; [unrolled: 1-line block ×3, first 2 shown]
	v_mul_f32_e32 v28, v27, v9
	v_mul_f32_e32 v12, v25, v28
	v_fma_f32 v14, v28, v25, -v12
	v_fmac_f32_e32 v14, v28, v26
	v_sub_f32_e32 v13, v13, v9
	v_add_f32_e32 v25, v8, v13
	v_add_f32_e32 v8, v12, v14
	v_sub_f32_e32 v13, v9, v8
	v_pk_add_f32 v[22:23], v[8:9], v[12:13] neg_lo:[0,1] neg_hi:[0,1]
	v_mov_b32_e32 v15, v8
	v_pk_add_f32 v[8:9], v[22:23], v[14:15] neg_lo:[0,1] neg_hi:[0,1]
	s_or_b64 vcc, s[52:53], vcc
	v_add_f32_e32 v9, v25, v9
	v_add_f32_e32 v8, v8, v9
	v_add_f32_e32 v9, v29, v28
	v_add_f32_e32 v8, v13, v8
	v_sub_f32_e32 v12, v9, v29
	v_mul_f32_e32 v8, v27, v8
	v_sub_f32_e32 v12, v28, v12
	v_add_f32_e32 v12, v12, v8
	v_add_f32_e32 v14, v9, v12
	v_mul_f32_e32 v15, v14, v14
	v_fmamk_f32 v8, v15, 0x3e9b6dac, v40
	v_fmaak_f32 v43, v15, v8, 0x3f2aaada
	v_cvt_f32_i32_e32 v8, v24
	v_sub_f32_e32 v9, v14, v9
	v_sub_f32_e32 v9, v12, v9
	v_ldexp_f32 v22, v9, 1
	v_mul_f32_e32 v9, v14, v15
	v_ldexp_f32 v13, v14, 1
	v_pk_mul_f32 v[14:15], v[8:9], v[42:43]
	s_nop 0
	v_fma_f32 v12, v8, s56, -v14
	v_fmac_f32_e32 v12, 0xb102e308, v8
	v_pk_add_f32 v[8:9], v[14:15], v[12:13]
	s_nop 0
	v_sub_f32_e32 v13, v9, v13
	v_sub_f32_e32 v13, v15, v13
	v_add_f32_e32 v23, v22, v13
	v_mov_b32_e32 v22, v14
	v_pk_add_f32 v[14:15], v[8:9], v[14:15] neg_lo:[0,1] neg_hi:[0,1]
	v_pk_add_f32 v[24:25], v[8:9], v[22:23]
	v_mov_b32_e32 v13, v8
	v_mov_b32_e32 v15, v25
	v_pk_add_f32 v[26:27], v[12:13], v[14:15] neg_lo:[0,1] neg_hi:[0,1]
	v_pk_add_f32 v[12:13], v[12:13], v[14:15]
	v_mov_b32_e32 v22, v23
	v_mov_b32_e32 v14, v13
	v_pk_add_f32 v[28:29], v[14:15], v[8:9] neg_lo:[0,1] neg_hi:[0,1]
	v_mov_b32_e32 v12, v25
	v_mov_b32_e32 v15, v28
	v_pk_add_f32 v[30:31], v[24:25], v[14:15] neg_lo:[0,1] neg_hi:[0,1]
	v_mov_b32_e32 v24, v9
	v_mov_b32_e32 v25, v28
	;; [unrolled: 1-line block ×3, first 2 shown]
	v_pk_add_f32 v[12:13], v[12:13], v[24:25] neg_lo:[0,1] neg_hi:[0,1]
	v_mov_b32_e32 v23, v8
	v_pk_add_f32 v[8:9], v[22:23], v[12:13] neg_lo:[0,1] neg_hi:[0,1]
	v_mov_b32_e32 v30, v26
	v_pk_add_f32 v[12:13], v[30:31], v[8:9]
	s_nop 0
	v_mov_b32_e32 v22, v13
	v_pk_add_f32 v[22:23], v[12:13], v[22:23]
	s_nop 0
	v_pk_add_f32 v[14:15], v[14:15], v[22:23]
	v_mov_b32_e32 v9, v22
	v_mov_b32_e32 v13, v14
	v_pk_add_f32 v[24:25], v[12:13], v[26:27] neg_lo:[0,1] neg_hi:[0,1]
	s_nop 0
	v_sub_f32_e32 v12, v12, v24
	v_pk_add_f32 v[8:9], v[8:9], v[24:25] neg_lo:[0,1] neg_hi:[0,1]
	v_sub_f32_e32 v12, v26, v12
	v_add_f32_e32 v8, v8, v12
	v_add_f32_e32 v8, v8, v9
	;; [unrolled: 1-line block ×3, first 2 shown]
	v_cndmask_b32_e32 v93, v8, v32, vcc
.LBB114_101:                            ;   in Loop: Header=BB114_13 Depth=1
	s_or_b64 exec, exec, s[54:55]
	v_cvt_f32_f16_sdwa v8, v10 dst_sel:DWORD dst_unused:UNUSED_PAD src0_sel:WORD_1
	v_readlane_b32 s0, v95, 2
	s_nop 1
	v_add_f32_e32 v94, s0, v8
	v_cmp_ge_f32_e32 vcc, s6, v94
	s_and_b64 s[0:1], s[4:5], vcc
	s_and_saveexec_b64 s[54:55], s[0:1]
	s_cbranch_execz .LBB114_103
; %bb.102:                              ;   in Loop: Header=BB114_13 Depth=1
	v_mul_f32_e32 v8, 0x3fb8aa3b, v94
	v_rndne_f32_e32 v9, v8
	v_sub_f32_e32 v10, v8, v9
	v_fma_f32 v8, v94, s7, -v8
	v_fmac_f32_e32 v8, 0x32a5705f, v94
	v_add_f32_e32 v8, v10, v8
	v_cvt_i32_f32_e32 v9, v9
	v_exp_f32_e32 v8, v8
	v_cmp_ngt_f32_e32 vcc, s8, v94
	v_ldexp_f32 v8, v8, v9
	s_nop 0
	v_cndmask_b32_e32 v8, 0, v8, vcc
	v_cmp_nlt_f32_e32 vcc, s9, v94
	s_nop 1
	v_cndmask_b32_e32 v30, v41, v8, vcc
	v_add_f32_e32 v10, 1.0, v30
	v_add_f32_e32 v8, -1.0, v10
	v_sub_f32_e32 v9, v8, v10
	v_add_f32_e32 v9, 1.0, v9
	v_sub_f32_e32 v8, v30, v8
	v_add_f32_e32 v12, v8, v9
	v_frexp_mant_f32_e32 v13, v10
	v_cvt_f64_f32_e32 v[8:9], v10
	v_frexp_exp_i32_f64_e32 v8, v[8:9]
	v_cmp_gt_f32_e32 vcc, s11, v13
	v_cmp_gt_f32_e64 s[52:53], s57, v30
	s_nop 0
	v_subbrev_co_u32_e32 v24, vcc, 0, v8, vcc
	v_sub_u32_e32 v8, 0, v24
	v_ldexp_f32 v9, v10, v8
	v_add_f32_e32 v10, -1.0, v9
	v_add_f32_e32 v13, 1.0, v9
	v_ldexp_f32 v8, v12, v8
	v_add_f32_e32 v12, 1.0, v10
	v_add_f32_e32 v14, -1.0, v13
	v_sub_f32_e32 v12, v9, v12
	v_sub_f32_e32 v9, v9, v14
	v_add_f32_e32 v12, v8, v12
	v_add_f32_e32 v8, v8, v9
	;; [unrolled: 1-line block ×3, first 2 shown]
	v_rcp_f32_e32 v27, v25
	v_sub_f32_e32 v9, v13, v25
	v_add_f32_e32 v26, v8, v9
	v_add_f32_e32 v9, v10, v12
	v_sub_f32_e32 v8, v10, v9
	v_mul_f32_e32 v28, v9, v27
	v_add_f32_e32 v10, v12, v8
	v_mul_f32_e32 v12, v25, v28
	v_fma_f32 v14, v28, v25, -v12
	v_fmac_f32_e32 v14, v28, v26
	v_add_f32_e32 v8, v12, v14
	v_sub_f32_e32 v13, v9, v8
	v_pk_add_f32 v[22:23], v[8:9], v[12:13] neg_lo:[0,1] neg_hi:[0,1]
	v_mov_b32_e32 v15, v8
	v_pk_add_f32 v[8:9], v[22:23], v[14:15] neg_lo:[0,1] neg_hi:[0,1]
	v_cmp_eq_f32_e32 vcc, s10, v30
	v_add_f32_e32 v9, v10, v9
	v_add_f32_e32 v8, v8, v9
	v_add_f32_e32 v9, v13, v8
	v_mul_f32_e32 v10, v27, v9
	v_mul_f32_e32 v12, v25, v10
	v_fma_f32 v14, v10, v25, -v12
	v_fmac_f32_e32 v14, v10, v26
	v_sub_f32_e32 v13, v13, v9
	v_add_f32_e32 v25, v8, v13
	v_add_f32_e32 v8, v12, v14
	v_sub_f32_e32 v13, v9, v8
	v_pk_add_f32 v[22:23], v[8:9], v[12:13] neg_lo:[0,1] neg_hi:[0,1]
	v_mov_b32_e32 v15, v8
	v_pk_add_f32 v[8:9], v[22:23], v[14:15] neg_lo:[0,1] neg_hi:[0,1]
	s_or_b64 vcc, s[52:53], vcc
	v_add_f32_e32 v9, v25, v9
	v_add_f32_e32 v8, v8, v9
	v_add_f32_e32 v9, v28, v10
	v_add_f32_e32 v8, v13, v8
	v_sub_f32_e32 v12, v9, v28
	v_mul_f32_e32 v8, v27, v8
	v_sub_f32_e32 v10, v10, v12
	v_add_f32_e32 v10, v10, v8
	v_add_f32_e32 v12, v9, v10
	v_mul_f32_e32 v14, v12, v12
	v_fmamk_f32 v8, v14, 0x3e9b6dac, v40
	v_fmaak_f32 v43, v14, v8, 0x3f2aaada
	v_cvt_f32_i32_e32 v8, v24
	v_sub_f32_e32 v9, v12, v9
	v_sub_f32_e32 v9, v10, v9
	v_ldexp_f32 v10, v9, 1
	v_mul_f32_e32 v9, v12, v14
	v_pk_mul_f32 v[14:15], v[8:9], v[42:43]
	v_ldexp_f32 v13, v12, 1
	v_fma_f32 v12, v8, s56, -v14
	v_fmac_f32_e32 v12, 0xb102e308, v8
	v_pk_add_f32 v[8:9], v[14:15], v[12:13]
	v_mov_b32_e32 v22, v14
	v_sub_f32_e32 v13, v9, v13
	v_sub_f32_e32 v13, v15, v13
	v_add_f32_e32 v23, v10, v13
	v_pk_add_f32 v[14:15], v[8:9], v[14:15] neg_lo:[0,1] neg_hi:[0,1]
	v_pk_add_f32 v[24:25], v[8:9], v[22:23]
	v_mov_b32_e32 v13, v8
	v_mov_b32_e32 v15, v25
	v_pk_add_f32 v[26:27], v[12:13], v[14:15] neg_lo:[0,1] neg_hi:[0,1]
	v_pk_add_f32 v[12:13], v[12:13], v[14:15]
	s_nop 0
	v_mov_b32_e32 v10, v13
	v_pk_add_f32 v[14:15], v[10:11], v[8:9] neg_lo:[0,1] neg_hi:[0,1]
	v_mov_b32_e32 v12, v25
	v_mov_b32_e32 v15, v14
	v_pk_add_f32 v[28:29], v[24:25], v[14:15] neg_lo:[0,1] neg_hi:[0,1]
	v_mov_b32_e32 v24, v9
	v_mov_b32_e32 v25, v14
	v_mov_b32_e32 v27, v13
	v_pk_add_f32 v[12:13], v[12:13], v[24:25] neg_lo:[0,1] neg_hi:[0,1]
	v_mov_b32_e32 v14, v23
	v_mov_b32_e32 v15, v8
	v_pk_add_f32 v[8:9], v[14:15], v[12:13] neg_lo:[0,1] neg_hi:[0,1]
	v_mov_b32_e32 v28, v26
	v_pk_add_f32 v[12:13], v[28:29], v[8:9]
	s_nop 0
	v_mov_b32_e32 v14, v13
	v_pk_add_f32 v[14:15], v[12:13], v[14:15]
	s_nop 0
	v_pk_add_f32 v[22:23], v[10:11], v[14:15]
	v_mov_b32_e32 v9, v14
	v_mov_b32_e32 v13, v22
	v_pk_add_f32 v[24:25], v[12:13], v[26:27] neg_lo:[0,1] neg_hi:[0,1]
	s_nop 0
	v_sub_f32_e32 v10, v12, v24
	v_pk_add_f32 v[8:9], v[8:9], v[24:25] neg_lo:[0,1] neg_hi:[0,1]
	v_sub_f32_e32 v10, v26, v10
	v_add_f32_e32 v8, v8, v10
	v_add_f32_e32 v8, v8, v9
	;; [unrolled: 1-line block ×3, first 2 shown]
	v_cndmask_b32_e32 v94, v8, v30, vcc
.LBB114_103:                            ;   in Loop: Header=BB114_13 Depth=1
	s_or_b64 exec, exec, s[54:55]
	v_cvt_f32_f16_e32 v8, v11
	v_readlane_b32 s0, v95, 2
	s_nop 1
	v_add_f32_e32 v56, s0, v8
	v_cmp_ge_f32_e32 vcc, s6, v56
	s_and_b64 s[0:1], s[4:5], vcc
	s_and_saveexec_b64 s[54:55], s[0:1]
	s_cbranch_execz .LBB114_105
; %bb.104:                              ;   in Loop: Header=BB114_13 Depth=1
	v_mul_f32_e32 v8, 0x3fb8aa3b, v56
	v_rndne_f32_e32 v9, v8
	v_sub_f32_e32 v10, v8, v9
	v_fma_f32 v8, v56, s7, -v8
	v_fmac_f32_e32 v8, 0x32a5705f, v56
	v_add_f32_e32 v8, v10, v8
	v_cvt_i32_f32_e32 v9, v9
	v_exp_f32_e32 v8, v8
	v_cmp_ngt_f32_e32 vcc, s8, v56
	v_ldexp_f32 v8, v8, v9
	s_nop 0
	v_cndmask_b32_e32 v8, 0, v8, vcc
	v_cmp_nlt_f32_e32 vcc, s9, v56
	s_nop 1
	v_cndmask_b32_e32 v30, v41, v8, vcc
	v_add_f32_e32 v10, 1.0, v30
	v_add_f32_e32 v8, -1.0, v10
	v_sub_f32_e32 v9, v8, v10
	v_add_f32_e32 v9, 1.0, v9
	v_sub_f32_e32 v8, v30, v8
	v_add_f32_e32 v12, v8, v9
	v_frexp_mant_f32_e32 v13, v10
	v_cvt_f64_f32_e32 v[8:9], v10
	v_frexp_exp_i32_f64_e32 v8, v[8:9]
	v_cmp_gt_f32_e32 vcc, s11, v13
	v_cmp_gt_f32_e64 s[52:53], s57, v30
	s_nop 0
	v_subbrev_co_u32_e32 v24, vcc, 0, v8, vcc
	v_sub_u32_e32 v8, 0, v24
	v_ldexp_f32 v9, v10, v8
	v_add_f32_e32 v10, -1.0, v9
	v_add_f32_e32 v13, 1.0, v9
	v_ldexp_f32 v8, v12, v8
	v_add_f32_e32 v12, 1.0, v10
	v_add_f32_e32 v14, -1.0, v13
	v_sub_f32_e32 v12, v9, v12
	v_sub_f32_e32 v9, v9, v14
	v_add_f32_e32 v12, v8, v12
	v_add_f32_e32 v8, v8, v9
	;; [unrolled: 1-line block ×3, first 2 shown]
	v_rcp_f32_e32 v27, v25
	v_sub_f32_e32 v9, v13, v25
	v_add_f32_e32 v26, v8, v9
	v_add_f32_e32 v9, v10, v12
	v_sub_f32_e32 v8, v10, v9
	v_mul_f32_e32 v28, v9, v27
	v_add_f32_e32 v10, v12, v8
	v_mul_f32_e32 v12, v25, v28
	v_fma_f32 v14, v28, v25, -v12
	v_fmac_f32_e32 v14, v28, v26
	v_add_f32_e32 v8, v12, v14
	v_sub_f32_e32 v13, v9, v8
	v_pk_add_f32 v[22:23], v[8:9], v[12:13] neg_lo:[0,1] neg_hi:[0,1]
	v_mov_b32_e32 v15, v8
	v_pk_add_f32 v[8:9], v[22:23], v[14:15] neg_lo:[0,1] neg_hi:[0,1]
	v_cmp_eq_f32_e32 vcc, s10, v30
	v_add_f32_e32 v9, v10, v9
	v_add_f32_e32 v8, v8, v9
	;; [unrolled: 1-line block ×3, first 2 shown]
	v_mul_f32_e32 v10, v27, v9
	v_mul_f32_e32 v12, v25, v10
	v_fma_f32 v14, v10, v25, -v12
	v_fmac_f32_e32 v14, v10, v26
	v_sub_f32_e32 v13, v13, v9
	v_add_f32_e32 v25, v8, v13
	v_add_f32_e32 v8, v12, v14
	v_sub_f32_e32 v13, v9, v8
	v_pk_add_f32 v[22:23], v[8:9], v[12:13] neg_lo:[0,1] neg_hi:[0,1]
	v_mov_b32_e32 v15, v8
	v_pk_add_f32 v[8:9], v[22:23], v[14:15] neg_lo:[0,1] neg_hi:[0,1]
	s_or_b64 vcc, s[52:53], vcc
	v_add_f32_e32 v9, v25, v9
	v_add_f32_e32 v8, v8, v9
	;; [unrolled: 1-line block ×4, first 2 shown]
	v_sub_f32_e32 v12, v9, v28
	v_mul_f32_e32 v8, v27, v8
	v_sub_f32_e32 v10, v10, v12
	v_add_f32_e32 v10, v10, v8
	v_add_f32_e32 v12, v9, v10
	v_mul_f32_e32 v14, v12, v12
	v_fmamk_f32 v8, v14, 0x3e9b6dac, v40
	v_fmaak_f32 v43, v14, v8, 0x3f2aaada
	v_cvt_f32_i32_e32 v8, v24
	v_sub_f32_e32 v9, v12, v9
	v_sub_f32_e32 v9, v10, v9
	v_ldexp_f32 v10, v9, 1
	v_mul_f32_e32 v9, v12, v14
	v_pk_mul_f32 v[14:15], v[8:9], v[42:43]
	v_ldexp_f32 v13, v12, 1
	v_fma_f32 v12, v8, s56, -v14
	v_fmac_f32_e32 v12, 0xb102e308, v8
	v_pk_add_f32 v[8:9], v[14:15], v[12:13]
	v_mov_b32_e32 v22, v14
	v_sub_f32_e32 v13, v9, v13
	v_sub_f32_e32 v13, v15, v13
	v_add_f32_e32 v23, v10, v13
	v_pk_add_f32 v[14:15], v[8:9], v[14:15] neg_lo:[0,1] neg_hi:[0,1]
	v_pk_add_f32 v[24:25], v[8:9], v[22:23]
	v_mov_b32_e32 v13, v8
	v_mov_b32_e32 v15, v25
	v_pk_add_f32 v[26:27], v[12:13], v[14:15] neg_lo:[0,1] neg_hi:[0,1]
	v_pk_add_f32 v[12:13], v[12:13], v[14:15]
	s_nop 0
	v_mov_b32_e32 v10, v13
	v_pk_add_f32 v[14:15], v[10:11], v[8:9] neg_lo:[0,1] neg_hi:[0,1]
	v_mov_b32_e32 v12, v25
	v_mov_b32_e32 v15, v14
	v_pk_add_f32 v[28:29], v[24:25], v[14:15] neg_lo:[0,1] neg_hi:[0,1]
	v_mov_b32_e32 v24, v9
	v_mov_b32_e32 v25, v14
	;; [unrolled: 1-line block ×3, first 2 shown]
	v_pk_add_f32 v[12:13], v[12:13], v[24:25] neg_lo:[0,1] neg_hi:[0,1]
	v_mov_b32_e32 v14, v23
	v_mov_b32_e32 v15, v8
	v_pk_add_f32 v[8:9], v[14:15], v[12:13] neg_lo:[0,1] neg_hi:[0,1]
	v_mov_b32_e32 v28, v26
	v_pk_add_f32 v[12:13], v[28:29], v[8:9]
	s_nop 0
	v_mov_b32_e32 v14, v13
	v_pk_add_f32 v[14:15], v[12:13], v[14:15]
	s_nop 0
	v_pk_add_f32 v[22:23], v[10:11], v[14:15]
	v_mov_b32_e32 v9, v14
	v_mov_b32_e32 v13, v22
	v_pk_add_f32 v[24:25], v[12:13], v[26:27] neg_lo:[0,1] neg_hi:[0,1]
	s_nop 0
	v_sub_f32_e32 v10, v12, v24
	v_pk_add_f32 v[8:9], v[8:9], v[24:25] neg_lo:[0,1] neg_hi:[0,1]
	v_sub_f32_e32 v10, v26, v10
	v_add_f32_e32 v8, v8, v10
	v_add_f32_e32 v8, v8, v9
	;; [unrolled: 1-line block ×3, first 2 shown]
	v_cndmask_b32_e32 v56, v8, v30, vcc
.LBB114_105:                            ;   in Loop: Header=BB114_13 Depth=1
	s_or_b64 exec, exec, s[54:55]
	v_cvt_f32_f16_sdwa v8, v11 dst_sel:DWORD dst_unused:UNUSED_PAD src0_sel:WORD_1
	v_readlane_b32 s0, v95, 2
	s_nop 1
	v_add_f32_e32 v23, s0, v8
	v_cmp_ge_f32_e32 vcc, s6, v23
	s_and_b64 s[0:1], s[4:5], vcc
	s_and_saveexec_b64 s[54:55], s[0:1]
	s_cbranch_execz .LBB114_107
; %bb.106:                              ;   in Loop: Header=BB114_13 Depth=1
	v_mul_f32_e32 v8, 0x3fb8aa3b, v23
	v_rndne_f32_e32 v9, v8
	v_sub_f32_e32 v10, v8, v9
	v_fma_f32 v8, v23, s7, -v8
	v_fmac_f32_e32 v8, 0x32a5705f, v23
	v_add_f32_e32 v8, v10, v8
	v_cvt_i32_f32_e32 v9, v9
	v_exp_f32_e32 v8, v8
	v_cmp_ngt_f32_e32 vcc, s8, v23
	v_ldexp_f32 v8, v8, v9
	s_nop 0
	v_cndmask_b32_e32 v8, 0, v8, vcc
	v_cmp_nlt_f32_e32 vcc, s9, v23
	s_nop 1
	v_cndmask_b32_e32 v30, v41, v8, vcc
	v_add_f32_e32 v10, 1.0, v30
	v_add_f32_e32 v8, -1.0, v10
	v_sub_f32_e32 v9, v8, v10
	v_add_f32_e32 v9, 1.0, v9
	v_sub_f32_e32 v8, v30, v8
	v_add_f32_e32 v11, v8, v9
	v_frexp_mant_f32_e32 v12, v10
	v_cvt_f64_f32_e32 v[8:9], v10
	v_frexp_exp_i32_f64_e32 v8, v[8:9]
	v_cmp_gt_f32_e32 vcc, s11, v12
	v_cmp_gt_f32_e64 s[52:53], s57, v30
	s_nop 0
	v_subbrev_co_u32_e32 v22, vcc, 0, v8, vcc
	v_sub_u32_e32 v8, 0, v22
	v_ldexp_f32 v9, v10, v8
	v_add_f32_e32 v10, -1.0, v9
	v_add_f32_e32 v12, 1.0, v9
	v_ldexp_f32 v8, v11, v8
	v_add_f32_e32 v11, 1.0, v10
	v_add_f32_e32 v13, -1.0, v12
	v_sub_f32_e32 v11, v9, v11
	v_sub_f32_e32 v9, v9, v13
	v_add_f32_e32 v11, v8, v11
	v_add_f32_e32 v8, v8, v9
	;; [unrolled: 1-line block ×3, first 2 shown]
	v_rcp_f32_e32 v25, v23
	v_sub_f32_e32 v9, v12, v23
	v_add_f32_e32 v24, v8, v9
	v_add_f32_e32 v9, v10, v11
	v_mul_f32_e32 v27, v9, v25
	v_sub_f32_e32 v8, v10, v9
	v_mul_f32_e32 v10, v23, v27
	v_fma_f32 v12, v27, v23, -v10
	v_fmac_f32_e32 v12, v27, v24
	v_add_f32_e32 v26, v11, v8
	v_add_f32_e32 v8, v10, v12
	v_sub_f32_e32 v11, v9, v8
	v_pk_add_f32 v[14:15], v[8:9], v[10:11] neg_lo:[0,1] neg_hi:[0,1]
	v_mov_b32_e32 v13, v8
	v_pk_add_f32 v[8:9], v[14:15], v[12:13] neg_lo:[0,1] neg_hi:[0,1]
	v_cmp_eq_f32_e32 vcc, s10, v30
	v_add_f32_e32 v9, v26, v9
	v_add_f32_e32 v8, v8, v9
	;; [unrolled: 1-line block ×3, first 2 shown]
	v_mul_f32_e32 v26, v25, v9
	v_mul_f32_e32 v10, v23, v26
	v_fma_f32 v12, v26, v23, -v10
	v_fmac_f32_e32 v12, v26, v24
	v_sub_f32_e32 v11, v11, v9
	v_add_f32_e32 v23, v8, v11
	v_add_f32_e32 v8, v10, v12
	v_sub_f32_e32 v11, v9, v8
	v_pk_add_f32 v[14:15], v[8:9], v[10:11] neg_lo:[0,1] neg_hi:[0,1]
	v_mov_b32_e32 v13, v8
	v_pk_add_f32 v[8:9], v[14:15], v[12:13] neg_lo:[0,1] neg_hi:[0,1]
	s_or_b64 vcc, s[52:53], vcc
	v_add_f32_e32 v9, v23, v9
	v_add_f32_e32 v8, v8, v9
	;; [unrolled: 1-line block ×4, first 2 shown]
	v_sub_f32_e32 v10, v9, v27
	v_mul_f32_e32 v8, v25, v8
	v_sub_f32_e32 v10, v26, v10
	v_add_f32_e32 v10, v10, v8
	v_add_f32_e32 v12, v9, v10
	v_mul_f32_e32 v13, v12, v12
	v_fmamk_f32 v8, v13, 0x3e9b6dac, v40
	v_fmaak_f32 v43, v13, v8, 0x3f2aaada
	v_cvt_f32_i32_e32 v8, v22
	v_sub_f32_e32 v9, v12, v9
	v_sub_f32_e32 v9, v10, v9
	v_ldexp_f32 v14, v9, 1
	v_mul_f32_e32 v9, v12, v13
	v_ldexp_f32 v11, v12, 1
	v_pk_mul_f32 v[12:13], v[8:9], v[42:43]
	s_nop 0
	v_fma_f32 v10, v8, s56, -v12
	v_fmac_f32_e32 v10, 0xb102e308, v8
	v_pk_add_f32 v[8:9], v[12:13], v[10:11]
	s_nop 0
	v_sub_f32_e32 v11, v9, v11
	v_sub_f32_e32 v11, v13, v11
	v_add_f32_e32 v15, v14, v11
	v_mov_b32_e32 v14, v12
	v_pk_add_f32 v[12:13], v[8:9], v[12:13] neg_lo:[0,1] neg_hi:[0,1]
	v_pk_add_f32 v[22:23], v[8:9], v[14:15]
	v_mov_b32_e32 v11, v8
	v_mov_b32_e32 v13, v23
	v_pk_add_f32 v[24:25], v[10:11], v[12:13] neg_lo:[0,1] neg_hi:[0,1]
	v_pk_add_f32 v[10:11], v[10:11], v[12:13]
	v_mov_b32_e32 v14, v15
	v_mov_b32_e32 v12, v11
	v_pk_add_f32 v[26:27], v[12:13], v[8:9] neg_lo:[0,1] neg_hi:[0,1]
	v_mov_b32_e32 v10, v23
	v_mov_b32_e32 v13, v26
	v_pk_add_f32 v[28:29], v[22:23], v[12:13] neg_lo:[0,1] neg_hi:[0,1]
	v_mov_b32_e32 v22, v9
	v_mov_b32_e32 v23, v26
	;; [unrolled: 1-line block ×3, first 2 shown]
	v_pk_add_f32 v[10:11], v[10:11], v[22:23] neg_lo:[0,1] neg_hi:[0,1]
	v_mov_b32_e32 v15, v8
	v_pk_add_f32 v[8:9], v[14:15], v[10:11] neg_lo:[0,1] neg_hi:[0,1]
	v_mov_b32_e32 v28, v24
	v_pk_add_f32 v[10:11], v[28:29], v[8:9]
	s_nop 0
	v_mov_b32_e32 v14, v11
	v_pk_add_f32 v[14:15], v[10:11], v[14:15]
	s_nop 0
	v_pk_add_f32 v[12:13], v[12:13], v[14:15]
	v_mov_b32_e32 v9, v14
	v_mov_b32_e32 v11, v12
	v_pk_add_f32 v[22:23], v[10:11], v[24:25] neg_lo:[0,1] neg_hi:[0,1]
	s_nop 0
	v_sub_f32_e32 v10, v10, v22
	v_pk_add_f32 v[8:9], v[8:9], v[22:23] neg_lo:[0,1] neg_hi:[0,1]
	v_sub_f32_e32 v10, v24, v10
	v_add_f32_e32 v8, v8, v10
	v_add_f32_e32 v8, v8, v9
	;; [unrolled: 1-line block ×3, first 2 shown]
	v_cndmask_b32_e32 v23, v8, v30, vcc
.LBB114_107:                            ;   in Loop: Header=BB114_13 Depth=1
	s_or_b64 exec, exec, s[54:55]
	v_cvt_f32_f16_e32 v8, v7
	v_cvt_f32_f16_sdwa v9, v6 dst_sel:DWORD dst_unused:UNUSED_PAD src0_sel:WORD_1
	v_cvt_f32_f16_e32 v6, v6
	v_cvt_f32_f16_sdwa v11, v7 dst_sel:DWORD dst_unused:UNUSED_PAD src0_sel:WORD_1
	v_cvt_f32_f16_sdwa v7, v5 dst_sel:DWORD dst_unused:UNUSED_PAD src0_sel:WORD_1
	v_cvt_f32_f16_e32 v5, v5
	v_cvt_f32_f16_sdwa v10, v4 dst_sel:DWORD dst_unused:UNUSED_PAD src0_sel:WORD_1
	v_cvt_f32_f16_e32 v4, v4
	;; [unrolled: 2-line block ×6, first 2 shown]
	v_readlane_b32 s0, v95, 3
	s_waitcnt lgkmcnt(0)
	; wave barrier
	s_nop 0
	v_mul_f32_e32 v24, s0, v8
	v_mul_f32_e32 v27, s0, v9
	;; [unrolled: 1-line block ×16, first 2 shown]
	v_readlane_b32 s0, v95, 30
	v_readlane_b32 s1, v95, 31
	s_and_b64 vcc, exec, s[0:1]
	s_cbranch_vccz .LBB114_200
; %bb.108:                              ;   in Loop: Header=BB114_13 Depth=1
	v_mul_f32_e32 v78, v70, v0
	scratch_load_dword v0, off, off offset:248 ; 4-byte Folded Reload
	v_readlane_b32 s0, v95, 7
	v_readlane_b32 s1, v95, 8
	scratch_store_dwordx2 off, v[42:43], off offset:164 ; 8-byte Folded Spill
	v_mul_f32_e32 v8, v56, v8
	v_lshl_add_u64 v[40:41], s[0:1], 0, v[16:17]
	v_readlane_b32 s0, v95, 21
	v_readlane_b32 s1, v95, 22
	v_mul_f32_e32 v6, v93, v6
	v_mul_f32_e32 v5, v91, v5
	v_lshl_add_u64 v[42:43], s[0:1], 0, v[16:17]
	v_readlane_b32 s1, v95, 51
	s_cmp_lg_u32 s1, 0
	v_readlane_b32 s0, v95, 44
	s_cselect_b64 s[86:87], -1, 0
	s_cmp_eq_u32 s1, s0
	v_readlane_b32 s0, v95, 33
	v_readlane_b32 s1, v95, 34
	s_cselect_b64 s[90:91], -1, 0
	s_mov_b32 s92, 0
	v_mul_f32_e32 v11, v23, v11
	scratch_store_dword off, v8, off offset:72 ; 4-byte Folded Spill
	v_mul_f32_e32 v8, v94, v9
	scratch_store_dword off, v6, off offset:80 ; 4-byte Folded Spill
	;; [unrolled: 2-line block ×3, first 2 shown]
	v_mul_f32_e32 v5, v90, v10
	v_mul_f32_e32 v63, v89, v4
	;; [unrolled: 1-line block ×9, first 2 shown]
	s_mov_b32 s96, s92
	s_mov_b32 s94, s92
	;; [unrolled: 1-line block ×3, first 2 shown]
	scratch_store_dword off, v11, off offset:68 ; 4-byte Folded Spill
	scratch_store_dword off, v8, off offset:76 ; 4-byte Folded Spill
	;; [unrolled: 1-line block ×4, first 2 shown]
	s_waitcnt vmcnt(8)
	v_cmp_gt_u32_e32 vcc, s82, v0
	scratch_load_dword v0, off, off offset:252 ; 4-byte Folded Reload
	s_or_b64 s[52:53], s[0:1], vcc
	s_waitcnt vmcnt(0)
	v_cmp_gt_u32_e32 vcc, s82, v0
	scratch_load_dword v0, off, off offset:256 ; 4-byte Folded Reload
	s_or_b64 s[54:55], s[0:1], vcc
	;; [unrolled: 4-line block ×15, first 2 shown]
	s_waitcnt vmcnt(0)
	v_cmp_gt_u32_e32 vcc, s82, v0
	s_or_b64 s[82:83], s[0:1], vcc
	v_readlane_b32 s0, v95, 29
	v_readlane_b32 s1, v95, 47
	s_branch .LBB114_110
.LBB114_109:                            ;   in Loop: Header=BB114_110 Depth=2
	s_or_b64 exec, exec, s[84:85]
	v_mul_f32_e32 v44, v79, v60
	v_fma_f32 v45, v79, v61, v8
	v_cndmask_b32_e64 v8, v45, v8, s[16:17]
	v_cndmask_b32_e64 v44, v44, v79, s[16:17]
	s_waitcnt lgkmcnt(0)
	v_fmac_f32_e32 v8, v54, v44
	v_fmac_f32_e32 v9, v8, v80
	;; [unrolled: 1-line block ×13, first 2 shown]
	v_readlane_b32 s4, v95, 23
	v_fmac_f32_e32 v47, v46, v16
	v_readlane_b32 s5, v95, 24
	v_readlane_b32 s6, v95, 25
	v_readlane_b32 s7, v95, 26
	v_fmac_f32_e32 v52, v47, v58
	s_add_i32 s98, s98, s6
	v_readlane_b32 s4, v95, 17
	v_fmac_f32_e32 v53, v52, v59
	v_cvt_f32_f16_sdwa v45, v4 dst_sel:DWORD dst_unused:UNUSED_PAD src0_sel:WORD_1
	v_cvt_f32_f16_sdwa v55, v5 dst_sel:DWORD dst_unused:UNUSED_PAD src0_sel:WORD_1
	v_cvt_f32_f16_e32 v44, v4
	v_cvt_f32_f16_e32 v54, v5
	v_cvt_f32_f16_sdwa v5, v6 dst_sel:DWORD dst_unused:UNUSED_PAD src0_sel:WORD_1
	v_cvt_f32_f16_sdwa v59, v7 dst_sel:DWORD dst_unused:UNUSED_PAD src0_sel:WORD_1
	v_cvt_f32_f16_e32 v4, v6
	v_cvt_f32_f16_e32 v58, v7
	;; [unrolled: 4-line block ×4, first 2 shown]
	v_readlane_b32 s5, v95, 18
	v_readlane_b32 s6, v95, 19
	v_readlane_b32 s7, v95, 20
	s_add_i32 s94, s94, s4
	v_readlane_b32 s4, v95, 9
	v_readlane_b32 s5, v95, 10
	v_readlane_b32 s8, v95, 13
	s_add_i32 s1, s1, 8
	s_add_i32 s0, s0, -1
	s_add_i32 s96, s96, s8
	s_add_i32 s92, s92, s5
	v_pk_fma_f32 v[36:37], v[10:11], v[54:55], v[36:37]
	v_pk_fma_f32 v[38:39], v[8:9], v[44:45], v[38:39]
	;; [unrolled: 1-line block ×7, first 2 shown]
	s_cmp_eq_u32 s0, 0
	v_pk_fma_f32 v[26:27], v[46:47], v[0:1], v[26:27]
	v_readlane_b32 s6, v95, 11
	v_readlane_b32 s7, v95, 12
	;; [unrolled: 1-line block ×5, first 2 shown]
	s_cbranch_scc1 .LBB114_199
.LBB114_110:                            ;   Parent Loop BB114_13 Depth=1
                                        ; =>  This Inner Loop Header: Depth=2
	s_lshl_b64 s[84:85], s[92:93], 2
	s_add_u32 s84, s99, s84
	v_readlane_b32 s4, v95, 6
	s_addc_u32 s85, s4, s85
	global_load_dword v46, v17, s[84:85]
	s_mov_b32 s97, s93
	v_lshl_add_u64 v[0:1], s[96:97], 1, v[40:41]
	v_mov_b32_e32 v2, 0
	v_mov_b32_e32 v3, 0
	s_and_saveexec_b64 s[84:85], s[18:19]
	s_cbranch_execnz .LBB114_146
; %bb.111:                              ;   in Loop: Header=BB114_110 Depth=2
	s_or_b64 exec, exec, s[84:85]
	s_and_saveexec_b64 s[84:85], s[20:21]
	s_cbranch_execnz .LBB114_147
.LBB114_112:                            ;   in Loop: Header=BB114_110 Depth=2
	s_or_b64 exec, exec, s[84:85]
	v_mov_b32_e32 v4, 0
	s_and_saveexec_b64 s[84:85], s[22:23]
	s_cbranch_execnz .LBB114_148
.LBB114_113:                            ;   in Loop: Header=BB114_110 Depth=2
	s_or_b64 exec, exec, s[84:85]
	s_and_saveexec_b64 s[84:85], s[24:25]
	s_cbranch_execnz .LBB114_149
.LBB114_114:                            ;   in Loop: Header=BB114_110 Depth=2
	s_or_b64 exec, exec, s[84:85]
	v_mov_b32_e32 v5, 0
	s_and_saveexec_b64 s[84:85], s[26:27]
	s_cbranch_execnz .LBB114_150
.LBB114_115:                            ;   in Loop: Header=BB114_110 Depth=2
	s_or_b64 exec, exec, s[84:85]
	s_and_saveexec_b64 s[84:85], s[28:29]
	s_cbranch_execnz .LBB114_151
.LBB114_116:                            ;   in Loop: Header=BB114_110 Depth=2
	s_or_b64 exec, exec, s[84:85]
	v_mov_b32_e32 v6, 0
	s_and_saveexec_b64 s[84:85], s[30:31]
	s_cbranch_execnz .LBB114_152
.LBB114_117:                            ;   in Loop: Header=BB114_110 Depth=2
	s_or_b64 exec, exec, s[84:85]
	s_and_saveexec_b64 s[84:85], s[34:35]
	s_cbranch_execnz .LBB114_153
.LBB114_118:                            ;   in Loop: Header=BB114_110 Depth=2
	s_or_b64 exec, exec, s[84:85]
	v_mov_b32_e32 v7, 0
	s_and_saveexec_b64 s[84:85], s[36:37]
	s_cbranch_execnz .LBB114_154
.LBB114_119:                            ;   in Loop: Header=BB114_110 Depth=2
	s_or_b64 exec, exec, s[84:85]
	s_and_saveexec_b64 s[84:85], s[38:39]
	s_cbranch_execnz .LBB114_155
.LBB114_120:                            ;   in Loop: Header=BB114_110 Depth=2
	s_or_b64 exec, exec, s[84:85]
	v_mov_b32_e32 v8, 0
	s_and_saveexec_b64 s[84:85], s[40:41]
	s_cbranch_execnz .LBB114_156
.LBB114_121:                            ;   in Loop: Header=BB114_110 Depth=2
	s_or_b64 exec, exec, s[84:85]
	s_and_saveexec_b64 s[84:85], s[42:43]
	s_cbranch_execnz .LBB114_157
.LBB114_122:                            ;   in Loop: Header=BB114_110 Depth=2
	s_or_b64 exec, exec, s[84:85]
	v_mov_b32_e32 v9, 0
	s_and_saveexec_b64 s[84:85], s[44:45]
	s_cbranch_execnz .LBB114_158
.LBB114_123:                            ;   in Loop: Header=BB114_110 Depth=2
	s_or_b64 exec, exec, s[84:85]
	s_and_saveexec_b64 s[84:85], s[46:47]
	s_cbranch_execnz .LBB114_159
.LBB114_124:                            ;   in Loop: Header=BB114_110 Depth=2
	s_or_b64 exec, exec, s[84:85]
	v_mov_b32_e32 v10, 0
	s_and_saveexec_b64 s[84:85], s[48:49]
	s_cbranch_execnz .LBB114_160
.LBB114_125:                            ;   in Loop: Header=BB114_110 Depth=2
	s_or_b64 exec, exec, s[84:85]
	s_and_saveexec_b64 s[84:85], s[50:51]
	s_cbranch_execz .LBB114_127
.LBB114_126:                            ;   in Loop: Header=BB114_110 Depth=2
	global_load_ushort v0, v[0:1], off offset:1920
	s_waitcnt vmcnt(0)
	v_lshl_or_b32 v10, v0, 16, v10
.LBB114_127:                            ;   in Loop: Header=BB114_110 Depth=2
	s_or_b64 exec, exec, s[84:85]
	scratch_load_dword v0, off, off offset:4 ; 4-byte Folded Reload
	s_mov_b32 s95, s93
	s_waitcnt vmcnt(0)
	ds_write_b16 v0, v3
	scratch_load_dword v0, off, off offset:8 ; 4-byte Folded Reload
	v_mov_b32_e32 v3, 0
	s_waitcnt vmcnt(0)
	ds_write_b16 v0, v2 offset:128
	scratch_load_dword v0, off, off offset:12 ; 4-byte Folded Reload
	v_mov_b32_e32 v2, 0
	s_waitcnt vmcnt(0)
	ds_write_b16 v0, v4 offset:256
	scratch_load_dword v0, off, off offset:16 ; 4-byte Folded Reload
	s_waitcnt vmcnt(0)
	ds_write_b16_d16_hi v0, v4 offset:384
	scratch_load_dword v0, off, off offset:20 ; 4-byte Folded Reload
	s_waitcnt vmcnt(0)
	ds_write_b16 v0, v5 offset:512
	scratch_load_dword v0, off, off offset:24 ; 4-byte Folded Reload
	s_waitcnt vmcnt(0)
	ds_write_b16_d16_hi v0, v5 offset:640
	scratch_load_dword v0, off, off offset:28 ; 4-byte Folded Reload
	;; [unrolled: 6-line block ×6, first 2 shown]
	s_waitcnt vmcnt(0)
	ds_write_b16 v0, v10 offset:1792
	scratch_load_dword v0, off, off offset:64 ; 4-byte Folded Reload
	s_waitcnt vmcnt(0)
	ds_write_b16_d16_hi v0, v10 offset:1920
	; wave barrier
	scratch_load_dword v0, off, off         ; 4-byte Folded Reload
	s_waitcnt vmcnt(0)
	ds_read_b128 v[12:15], v0
	ds_read_b128 v[8:11], v0 offset:16
	v_lshl_add_u64 v[0:1], s[94:95], 1, v[42:43]
	s_and_saveexec_b64 s[84:85], s[18:19]
	s_cbranch_execnz .LBB114_161
; %bb.128:                              ;   in Loop: Header=BB114_110 Depth=2
	s_or_b64 exec, exec, s[84:85]
	s_and_saveexec_b64 s[84:85], s[20:21]
	s_cbranch_execnz .LBB114_162
.LBB114_129:                            ;   in Loop: Header=BB114_110 Depth=2
	s_or_b64 exec, exec, s[84:85]
	v_mov_b32_e32 v4, 0
	s_and_saveexec_b64 s[84:85], s[22:23]
	s_cbranch_execnz .LBB114_163
.LBB114_130:                            ;   in Loop: Header=BB114_110 Depth=2
	s_or_b64 exec, exec, s[84:85]
	s_and_saveexec_b64 s[84:85], s[24:25]
	s_cbranch_execnz .LBB114_164
.LBB114_131:                            ;   in Loop: Header=BB114_110 Depth=2
	s_or_b64 exec, exec, s[84:85]
	v_mov_b32_e32 v5, 0
	s_and_saveexec_b64 s[84:85], s[26:27]
	s_cbranch_execnz .LBB114_165
.LBB114_132:                            ;   in Loop: Header=BB114_110 Depth=2
	s_or_b64 exec, exec, s[84:85]
	s_and_saveexec_b64 s[84:85], s[28:29]
	s_cbranch_execnz .LBB114_166
.LBB114_133:                            ;   in Loop: Header=BB114_110 Depth=2
	s_or_b64 exec, exec, s[84:85]
	v_mov_b32_e32 v6, 0
	s_and_saveexec_b64 s[84:85], s[30:31]
	s_cbranch_execnz .LBB114_167
.LBB114_134:                            ;   in Loop: Header=BB114_110 Depth=2
	s_or_b64 exec, exec, s[84:85]
	s_and_saveexec_b64 s[84:85], s[34:35]
	s_cbranch_execnz .LBB114_168
.LBB114_135:                            ;   in Loop: Header=BB114_110 Depth=2
	s_or_b64 exec, exec, s[84:85]
	v_mov_b32_e32 v7, 0
	s_and_saveexec_b64 s[84:85], s[36:37]
	s_cbranch_execnz .LBB114_169
.LBB114_136:                            ;   in Loop: Header=BB114_110 Depth=2
	s_or_b64 exec, exec, s[84:85]
	s_and_saveexec_b64 s[84:85], s[38:39]
	s_cbranch_execnz .LBB114_170
.LBB114_137:                            ;   in Loop: Header=BB114_110 Depth=2
	s_or_b64 exec, exec, s[84:85]
	v_mov_b32_e32 v16, 0
	s_and_saveexec_b64 s[84:85], s[40:41]
	s_cbranch_execnz .LBB114_171
.LBB114_138:                            ;   in Loop: Header=BB114_110 Depth=2
	s_or_b64 exec, exec, s[84:85]
	s_and_saveexec_b64 s[84:85], s[42:43]
	s_cbranch_execnz .LBB114_172
.LBB114_139:                            ;   in Loop: Header=BB114_110 Depth=2
	s_or_b64 exec, exec, s[84:85]
	v_mov_b32_e32 v22, 0
	s_and_saveexec_b64 s[84:85], s[44:45]
	s_cbranch_execnz .LBB114_173
.LBB114_140:                            ;   in Loop: Header=BB114_110 Depth=2
	s_or_b64 exec, exec, s[84:85]
	s_and_saveexec_b64 s[84:85], s[46:47]
	s_cbranch_execnz .LBB114_174
.LBB114_141:                            ;   in Loop: Header=BB114_110 Depth=2
	s_or_b64 exec, exec, s[84:85]
	v_mov_b32_e32 v44, 0
	s_and_saveexec_b64 s[84:85], s[48:49]
	s_cbranch_execnz .LBB114_175
.LBB114_142:                            ;   in Loop: Header=BB114_110 Depth=2
	s_or_b64 exec, exec, s[84:85]
	s_and_saveexec_b64 s[84:85], s[50:51]
	s_cbranch_execz .LBB114_144
.LBB114_143:                            ;   in Loop: Header=BB114_110 Depth=2
	global_load_ushort v0, v[0:1], off offset:1920
	s_waitcnt vmcnt(0)
	v_lshl_or_b32 v44, v0, 16, v44
.LBB114_144:                            ;   in Loop: Header=BB114_110 Depth=2
	s_or_b64 exec, exec, s[84:85]
	scratch_load_dword v0, off, off offset:4 ; 4-byte Folded Reload
	s_andn2_b64 vcc, exec, s[86:87]
	s_waitcnt vmcnt(0)
	ds_write_b16 v0, v3 offset:2112
	scratch_load_dword v0, off, off offset:96 ; 4-byte Folded Reload
	s_waitcnt vmcnt(0)
	ds_write_b16 v0, v2 offset:128
	scratch_load_dword v0, off, off offset:100 ; 4-byte Folded Reload
	;; [unrolled: 3-line block ×3, first 2 shown]
	s_waitcnt vmcnt(0)
	ds_write_b16_d16_hi v0, v4 offset:384
	scratch_load_dword v0, off, off offset:108 ; 4-byte Folded Reload
	s_waitcnt vmcnt(0)
	ds_write_b16 v0, v5 offset:512
	scratch_load_dword v0, off, off offset:112 ; 4-byte Folded Reload
	s_waitcnt vmcnt(0)
	ds_write_b16_d16_hi v0, v5 offset:640
	scratch_load_dword v0, off, off offset:116 ; 4-byte Folded Reload
	s_waitcnt vmcnt(0)
	ds_write_b16 v0, v6 offset:768
	scratch_load_dword v0, off, off offset:120 ; 4-byte Folded Reload
	;; [unrolled: 6-line block ×6, first 2 shown]
	s_waitcnt vmcnt(0)
	ds_write_b16_d16_hi v0, v44 offset:1920
	; wave barrier
	scratch_load_dword v0, off, off         ; 4-byte Folded Reload
	s_waitcnt vmcnt(0)
	ds_read_b128 v[4:7], v0 offset:2112
	scratch_load_dword v0, off, off offset:156 ; 4-byte Folded Reload
	s_waitcnt vmcnt(0)
	ds_read_b128 v[0:3], v0 offset:16
	s_cbranch_vccnz .LBB114_176
; %bb.145:                              ;   in Loop: Header=BB114_110 Depth=2
	v_mov_b32_e32 v16, s1
	ds_read_b64 v[44:45], v16
	s_cbranch_execz .LBB114_177
	s_branch .LBB114_180
.LBB114_146:                            ;   in Loop: Header=BB114_110 Depth=2
	global_load_ushort v3, v[0:1], off
	s_or_b64 exec, exec, s[84:85]
	s_and_saveexec_b64 s[84:85], s[20:21]
	s_cbranch_execz .LBB114_112
.LBB114_147:                            ;   in Loop: Header=BB114_110 Depth=2
	global_load_ushort v2, v[0:1], off offset:128
	s_or_b64 exec, exec, s[84:85]
	v_mov_b32_e32 v4, 0
	s_and_saveexec_b64 s[84:85], s[22:23]
	s_cbranch_execz .LBB114_113
.LBB114_148:                            ;   in Loop: Header=BB114_110 Depth=2
	global_load_ushort v4, v[0:1], off offset:256
	s_or_b64 exec, exec, s[84:85]
	s_and_saveexec_b64 s[84:85], s[24:25]
	s_cbranch_execz .LBB114_114
.LBB114_149:                            ;   in Loop: Header=BB114_110 Depth=2
	global_load_ushort v5, v[0:1], off offset:384
	s_waitcnt vmcnt(0)
	v_lshl_or_b32 v4, v5, 16, v4
	s_or_b64 exec, exec, s[84:85]
	v_mov_b32_e32 v5, 0
	s_and_saveexec_b64 s[84:85], s[26:27]
	s_cbranch_execz .LBB114_115
.LBB114_150:                            ;   in Loop: Header=BB114_110 Depth=2
	global_load_ushort v5, v[0:1], off offset:512
	s_or_b64 exec, exec, s[84:85]
	s_and_saveexec_b64 s[84:85], s[28:29]
	s_cbranch_execz .LBB114_116
.LBB114_151:                            ;   in Loop: Header=BB114_110 Depth=2
	global_load_ushort v6, v[0:1], off offset:640
	s_waitcnt vmcnt(0)
	v_lshl_or_b32 v5, v6, 16, v5
	s_or_b64 exec, exec, s[84:85]
	v_mov_b32_e32 v6, 0
	s_and_saveexec_b64 s[84:85], s[30:31]
	s_cbranch_execz .LBB114_117
.LBB114_152:                            ;   in Loop: Header=BB114_110 Depth=2
	global_load_ushort v6, v[0:1], off offset:768
	s_or_b64 exec, exec, s[84:85]
	s_and_saveexec_b64 s[84:85], s[34:35]
	s_cbranch_execz .LBB114_118
.LBB114_153:                            ;   in Loop: Header=BB114_110 Depth=2
	global_load_ushort v7, v[0:1], off offset:896
	s_waitcnt vmcnt(0)
	v_lshl_or_b32 v6, v7, 16, v6
	s_or_b64 exec, exec, s[84:85]
	v_mov_b32_e32 v7, 0
	s_and_saveexec_b64 s[84:85], s[36:37]
	s_cbranch_execz .LBB114_119
.LBB114_154:                            ;   in Loop: Header=BB114_110 Depth=2
	global_load_ushort v7, v[0:1], off offset:1024
	s_or_b64 exec, exec, s[84:85]
	s_and_saveexec_b64 s[84:85], s[38:39]
	s_cbranch_execz .LBB114_120
.LBB114_155:                            ;   in Loop: Header=BB114_110 Depth=2
	global_load_ushort v8, v[0:1], off offset:1152
	s_waitcnt vmcnt(0)
	v_lshl_or_b32 v7, v8, 16, v7
	s_or_b64 exec, exec, s[84:85]
	v_mov_b32_e32 v8, 0
	s_and_saveexec_b64 s[84:85], s[40:41]
	s_cbranch_execz .LBB114_121
.LBB114_156:                            ;   in Loop: Header=BB114_110 Depth=2
	global_load_ushort v8, v[0:1], off offset:1280
	s_or_b64 exec, exec, s[84:85]
	s_and_saveexec_b64 s[84:85], s[42:43]
	s_cbranch_execz .LBB114_122
.LBB114_157:                            ;   in Loop: Header=BB114_110 Depth=2
	global_load_ushort v9, v[0:1], off offset:1408
	s_waitcnt vmcnt(0)
	v_lshl_or_b32 v8, v9, 16, v8
	s_or_b64 exec, exec, s[84:85]
	v_mov_b32_e32 v9, 0
	s_and_saveexec_b64 s[84:85], s[44:45]
	s_cbranch_execz .LBB114_123
.LBB114_158:                            ;   in Loop: Header=BB114_110 Depth=2
	global_load_ushort v9, v[0:1], off offset:1536
	s_or_b64 exec, exec, s[84:85]
	s_and_saveexec_b64 s[84:85], s[46:47]
	s_cbranch_execz .LBB114_124
.LBB114_159:                            ;   in Loop: Header=BB114_110 Depth=2
	global_load_ushort v10, v[0:1], off offset:1664
	s_waitcnt vmcnt(0)
	v_lshl_or_b32 v9, v10, 16, v9
	s_or_b64 exec, exec, s[84:85]
	v_mov_b32_e32 v10, 0
	s_and_saveexec_b64 s[84:85], s[48:49]
	s_cbranch_execz .LBB114_125
.LBB114_160:                            ;   in Loop: Header=BB114_110 Depth=2
	global_load_ushort v10, v[0:1], off offset:1792
	s_or_b64 exec, exec, s[84:85]
	s_and_saveexec_b64 s[84:85], s[50:51]
	s_cbranch_execnz .LBB114_126
	s_branch .LBB114_127
.LBB114_161:                            ;   in Loop: Header=BB114_110 Depth=2
	global_load_ushort v3, v[0:1], off
	s_or_b64 exec, exec, s[84:85]
	s_and_saveexec_b64 s[84:85], s[20:21]
	s_cbranch_execz .LBB114_129
.LBB114_162:                            ;   in Loop: Header=BB114_110 Depth=2
	global_load_ushort v2, v[0:1], off offset:128
	s_or_b64 exec, exec, s[84:85]
	v_mov_b32_e32 v4, 0
	s_and_saveexec_b64 s[84:85], s[22:23]
	s_cbranch_execz .LBB114_130
.LBB114_163:                            ;   in Loop: Header=BB114_110 Depth=2
	global_load_ushort v4, v[0:1], off offset:256
	s_or_b64 exec, exec, s[84:85]
	s_and_saveexec_b64 s[84:85], s[24:25]
	s_cbranch_execz .LBB114_131
.LBB114_164:                            ;   in Loop: Header=BB114_110 Depth=2
	global_load_ushort v5, v[0:1], off offset:384
	s_waitcnt vmcnt(0)
	v_lshl_or_b32 v4, v5, 16, v4
	s_or_b64 exec, exec, s[84:85]
	v_mov_b32_e32 v5, 0
	s_and_saveexec_b64 s[84:85], s[26:27]
	s_cbranch_execz .LBB114_132
.LBB114_165:                            ;   in Loop: Header=BB114_110 Depth=2
	global_load_ushort v5, v[0:1], off offset:512
	s_or_b64 exec, exec, s[84:85]
	s_and_saveexec_b64 s[84:85], s[28:29]
	s_cbranch_execz .LBB114_133
.LBB114_166:                            ;   in Loop: Header=BB114_110 Depth=2
	global_load_ushort v6, v[0:1], off offset:640
	s_waitcnt vmcnt(0)
	v_lshl_or_b32 v5, v6, 16, v5
	s_or_b64 exec, exec, s[84:85]
	v_mov_b32_e32 v6, 0
	s_and_saveexec_b64 s[84:85], s[30:31]
	s_cbranch_execz .LBB114_134
.LBB114_167:                            ;   in Loop: Header=BB114_110 Depth=2
	global_load_ushort v6, v[0:1], off offset:768
	s_or_b64 exec, exec, s[84:85]
	s_and_saveexec_b64 s[84:85], s[34:35]
	s_cbranch_execz .LBB114_135
.LBB114_168:                            ;   in Loop: Header=BB114_110 Depth=2
	global_load_ushort v7, v[0:1], off offset:896
	s_waitcnt vmcnt(0)
	v_lshl_or_b32 v6, v7, 16, v6
	s_or_b64 exec, exec, s[84:85]
	v_mov_b32_e32 v7, 0
	s_and_saveexec_b64 s[84:85], s[36:37]
	s_cbranch_execz .LBB114_136
.LBB114_169:                            ;   in Loop: Header=BB114_110 Depth=2
	global_load_ushort v7, v[0:1], off offset:1024
	s_or_b64 exec, exec, s[84:85]
	s_and_saveexec_b64 s[84:85], s[38:39]
	s_cbranch_execz .LBB114_137
.LBB114_170:                            ;   in Loop: Header=BB114_110 Depth=2
	global_load_ushort v16, v[0:1], off offset:1152
	s_waitcnt vmcnt(0)
	v_lshl_or_b32 v7, v16, 16, v7
	s_or_b64 exec, exec, s[84:85]
	v_mov_b32_e32 v16, 0
	s_and_saveexec_b64 s[84:85], s[40:41]
	s_cbranch_execz .LBB114_138
.LBB114_171:                            ;   in Loop: Header=BB114_110 Depth=2
	global_load_ushort v16, v[0:1], off offset:1280
	s_or_b64 exec, exec, s[84:85]
	s_and_saveexec_b64 s[84:85], s[42:43]
	s_cbranch_execz .LBB114_139
.LBB114_172:                            ;   in Loop: Header=BB114_110 Depth=2
	global_load_ushort v22, v[0:1], off offset:1408
	s_waitcnt vmcnt(0)
	v_lshl_or_b32 v16, v22, 16, v16
	s_or_b64 exec, exec, s[84:85]
	v_mov_b32_e32 v22, 0
	s_and_saveexec_b64 s[84:85], s[44:45]
	s_cbranch_execz .LBB114_140
.LBB114_173:                            ;   in Loop: Header=BB114_110 Depth=2
	global_load_ushort v22, v[0:1], off offset:1536
	s_or_b64 exec, exec, s[84:85]
	s_and_saveexec_b64 s[84:85], s[46:47]
	s_cbranch_execz .LBB114_141
.LBB114_174:                            ;   in Loop: Header=BB114_110 Depth=2
	global_load_ushort v44, v[0:1], off offset:1664
	s_waitcnt vmcnt(0)
	v_lshl_or_b32 v22, v44, 16, v22
	s_or_b64 exec, exec, s[84:85]
	v_mov_b32_e32 v44, 0
	s_and_saveexec_b64 s[84:85], s[48:49]
	s_cbranch_execz .LBB114_142
.LBB114_175:                            ;   in Loop: Header=BB114_110 Depth=2
	global_load_ushort v44, v[0:1], off offset:1792
	s_or_b64 exec, exec, s[84:85]
	s_and_saveexec_b64 s[84:85], s[50:51]
	s_cbranch_execnz .LBB114_143
	s_branch .LBB114_144
.LBB114_176:                            ;   in Loop: Header=BB114_110 Depth=2
                                        ; implicit-def: $vgpr45
.LBB114_177:                            ;   in Loop: Header=BB114_110 Depth=2
	v_readlane_b32 s84, v95, 0
	v_readlane_b32 s85, v95, 1
	s_andn2_b64 vcc, exec, s[84:85]
	s_waitcnt lgkmcnt(0)
	v_mov_b32_e32 v45, 0
	s_cbranch_vccnz .LBB114_179
; %bb.178:                              ;   in Loop: Header=BB114_110 Depth=2
	s_mov_b32 s99, s93
	s_lshl_b64 s[84:85], s[98:99], 2
	v_readlane_b32 s4, v95, 27
	s_add_u32 s84, s4, s84
	v_readlane_b32 s4, v95, 28
	s_addc_u32 s85, s4, s85
	global_load_dword v45, v17, s[84:85]
	v_readlane_b32 s99, v95, 48
.LBB114_179:                            ;   in Loop: Header=BB114_110 Depth=2
	v_mov_b32_e32 v44, 1.0
.LBB114_180:                            ;   in Loop: Header=BB114_110 Depth=2
	v_mul_f32_e32 v52, 0x3fb8aa3b, v46
	s_waitcnt lgkmcnt(14)
	v_cvt_f32_f16_e32 v49, v8
	v_cvt_f32_f16_sdwa v50, v8 dst_sel:DWORD dst_unused:UNUSED_PAD src0_sel:WORD_1
	v_mul_f32_e32 v8, v52, v70
	v_cmp_gt_f32_e32 vcc, s33, v8
	v_cvt_f32_f16_e32 v55, v10
	v_cvt_f32_f16_sdwa v58, v10 dst_sel:DWORD dst_unused:UNUSED_PAD src0_sel:WORD_1
	v_cndmask_b32_e32 v8, 0, v68, vcc
	v_mul_f32_e32 v10, v52, v19
	v_cvt_f32_f16_e32 v51, v9
	v_cvt_f32_f16_sdwa v54, v9 dst_sel:DWORD dst_unused:UNUSED_PAD src0_sel:WORD_1
	v_fmac_f32_e32 v8, v52, v70
	v_cndmask_b32_e32 v9, 1.0, v69, vcc
	v_cmp_gt_f32_e32 vcc, s33, v10
	v_exp_f32_e32 v8, v8
	v_cvt_f32_f16_e32 v16, v12
	v_cndmask_b32_e32 v10, 0, v68, vcc
	v_fmac_f32_e32 v10, v52, v19
	v_cvt_f32_f16_sdwa v12, v12 dst_sel:DWORD dst_unused:UNUSED_PAD src0_sel:WORD_1
	v_exp_f32_e32 v10, v10
	v_cvt_f32_f16_e32 v59, v11
	v_cvt_f32_f16_sdwa v53, v11 dst_sel:DWORD dst_unused:UNUSED_PAD src0_sel:WORD_1
	v_mul_f32_e32 v9, v8, v9
	v_mul_f32_e32 v11, v52, v20
	v_cndmask_b32_e64 v79, 1.0, v9, s[52:53]
	v_cndmask_b32_e32 v9, 1.0, v69, vcc
	v_cmp_gt_f32_e32 vcc, s33, v11
	v_mul_f32_e32 v10, v10, v9
	v_mul_f32_e32 v9, v77, v12
	v_cndmask_b32_e32 v11, 0, v68, vcc
	v_mul_f32_e32 v12, v52, v21
	v_fmac_f32_e32 v11, v52, v20
	v_cndmask_b32_e64 v80, 1.0, v10, s[54:55]
	v_cndmask_b32_e32 v10, 1.0, v69, vcc
	v_cmp_gt_f32_e32 vcc, s33, v12
	v_exp_f32_e32 v11, v11
	v_cvt_f32_f16_e32 v22, v13
	v_cndmask_b32_e32 v12, 0, v68, vcc
	v_fmac_f32_e32 v12, v52, v21
	v_cvt_f32_f16_sdwa v13, v13 dst_sel:DWORD dst_unused:UNUSED_PAD src0_sel:WORD_1
	v_exp_f32_e32 v12, v12
	v_mul_f32_e32 v11, v11, v10
	v_cndmask_b32_e64 v81, 1.0, v11, s[56:57]
	v_cndmask_b32_e32 v11, 1.0, v69, vcc
	v_mul_f32_e32 v12, v12, v11
	v_mul_f32_e32 v11, v75, v13
	;; [unrolled: 1-line block ×3, first 2 shown]
	v_cmp_gt_f32_e32 vcc, s33, v13
	v_mul_f32_e32 v8, v78, v16
	v_mul_f32_e32 v16, v52, v66
	v_cndmask_b32_e32 v13, 0, v68, vcc
	v_fmac_f32_e32 v13, v52, v18
	v_cndmask_b32_e64 v82, 1.0, v12, s[58:59]
	v_cndmask_b32_e32 v12, 1.0, v69, vcc
	v_cmp_gt_f32_e32 vcc, s33, v16
	v_exp_f32_e32 v13, v13
	v_cvt_f32_f16_e32 v47, v14
	v_cndmask_b32_e32 v16, 0, v68, vcc
	v_fmac_f32_e32 v16, v52, v66
	v_cvt_f32_f16_sdwa v14, v14 dst_sel:DWORD dst_unused:UNUSED_PAD src0_sel:WORD_1
	v_exp_f32_e32 v16, v16
	v_mul_f32_e32 v13, v13, v12
	v_cndmask_b32_e64 v83, 1.0, v13, s[60:61]
	v_cndmask_b32_e32 v13, 1.0, v69, vcc
	v_mul_f32_e32 v16, v16, v13
	v_mul_f32_e32 v13, v73, v14
	;; [unrolled: 1-line block ×3, first 2 shown]
	v_cmp_gt_f32_e32 vcc, s33, v14
	v_mul_f32_e32 v10, v76, v22
	v_mul_f32_e32 v22, v52, v88
	v_cndmask_b32_e32 v14, 0, v68, vcc
	v_fmac_f32_e32 v14, v52, v67
	v_cndmask_b32_e64 v84, 1.0, v16, s[62:63]
	v_cndmask_b32_e32 v16, 1.0, v69, vcc
	v_cmp_gt_f32_e32 vcc, s33, v22
	v_exp_f32_e32 v14, v14
	v_cvt_f32_f16_e32 v48, v15
	v_cndmask_b32_e32 v22, 0, v68, vcc
	v_fmac_f32_e32 v22, v52, v88
	v_exp_f32_e32 v22, v22
	v_mul_f32_e32 v16, v14, v16
	v_cndmask_b32_e64 v85, 1.0, v16, s[64:65]
	v_cndmask_b32_e32 v16, 1.0, v69, vcc
	v_mul_f32_e32 v16, v22, v16
	v_mul_f32_e32 v22, v52, v89
	v_cmp_gt_f32_e32 vcc, s33, v22
	v_cndmask_b32_e64 v86, 1.0, v16, s[66:67]
	v_mul_f32_e32 v14, v72, v48
	v_cndmask_b32_e32 v22, 0, v68, vcc
	v_fmac_f32_e32 v22, v52, v89
	v_exp_f32_e32 v22, v22
	v_cndmask_b32_e32 v16, 1.0, v69, vcc
	v_mul_f32_e32 v46, v52, v90
	v_cmp_gt_f32_e32 vcc, s33, v46
	v_mul_f32_e32 v16, v22, v16
	v_mul_f32_e32 v22, v63, v49
	v_cndmask_b32_e64 v48, 0, v22, s[68:69]
	scratch_load_dword v22, off, off offset:92 ; 4-byte Folded Reload
	v_cndmask_b32_e32 v46, 0, v68, vcc
	v_fmac_f32_e32 v46, v52, v90
	v_exp_f32_e32 v46, v46
	v_cndmask_b32_e64 v65, 1.0, v16, s[68:69]
	v_cndmask_b32_e32 v16, 1.0, v69, vcc
	v_mul_f32_e32 v12, v74, v47
	v_mul_f32_e32 v16, v46, v16
	;; [unrolled: 1-line block ×3, first 2 shown]
	v_cmp_gt_f32_e32 vcc, s33, v46
	v_cndmask_b32_e64 v71, 1.0, v16, s[70:71]
	v_mul_f32_e32 v47, v52, v93
	v_cndmask_b32_e32 v46, 0, v68, vcc
	v_fmac_f32_e32 v46, v52, v91
	v_exp_f32_e32 v46, v46
	v_cndmask_b32_e32 v16, 1.0, v69, vcc
	v_cndmask_b32_e64 v8, 0, v8, s[52:53]
	v_cndmask_b32_e64 v9, 0, v9, s[54:55]
	v_mul_f32_e32 v16, v46, v16
	v_mul_f32_e32 v46, v52, v92
	v_cmp_gt_f32_e32 vcc, s33, v46
	v_cvt_f32_f16_sdwa v15, v15 dst_sel:DWORD dst_unused:UNUSED_PAD src0_sel:WORD_1
	v_cndmask_b32_e64 v10, 0, v10, s[56:57]
	v_cndmask_b32_e32 v46, 0, v68, vcc
	v_fmac_f32_e32 v46, v52, v92
	v_exp_f32_e32 v46, v46
	v_cndmask_b32_e64 v11, 0, v11, s[58:59]
	v_cndmask_b32_e64 v12, 0, v12, s[60:61]
	;; [unrolled: 1-line block ×4, first 2 shown]
	v_mul_f32_e32 v15, v64, v15
	v_cndmask_b32_e64 v15, 0, v15, s[66:67]
	v_readlane_b32 s4, v95, 35
	v_readlane_b32 s5, v95, 36
	s_waitcnt vmcnt(0)
	v_mul_f32_e32 v22, v22, v50
	v_cndmask_b32_e64 v49, 0, v22, s[70:71]
	scratch_load_dword v22, off, off offset:88 ; 4-byte Folded Reload
	s_waitcnt vmcnt(0)
	v_mul_f32_e32 v22, v22, v51
	v_cndmask_b32_e64 v50, 0, v22, s[72:73]
	v_cndmask_b32_e64 v22, 1.0, v16, s[72:73]
	v_cndmask_b32_e32 v16, 1.0, v69, vcc
	v_mul_f32_e32 v16, v46, v16
	scratch_load_dword v46, off, off offset:84 ; 4-byte Folded Reload
	v_cmp_gt_f32_e32 vcc, s33, v47
	v_cndmask_b32_e64 v87, 1.0, v16, s[74:75]
	s_waitcnt vmcnt(0)
	v_mul_f32_e32 v46, v46, v54
	v_cndmask_b32_e64 v51, 0, v46, s[74:75]
	scratch_load_dword v46, off, off offset:80 ; 4-byte Folded Reload
	v_cndmask_b32_e32 v47, 0, v68, vcc
	v_fmac_f32_e32 v47, v52, v93
	v_exp_f32_e32 v47, v47
	v_cndmask_b32_e32 v16, 1.0, v69, vcc
	v_mul_f32_e32 v54, v52, v56
	v_mul_f32_e32 v16, v47, v16
	;; [unrolled: 1-line block ×3, first 2 shown]
	v_cmp_gt_f32_e32 vcc, s33, v47
	v_cndmask_b32_e64 v57, 1.0, v16, s[76:77]
	s_nop 0
	v_cndmask_b32_e32 v47, 0, v68, vcc
	v_fmac_f32_e32 v47, v52, v94
	v_cndmask_b32_e32 v16, 1.0, v69, vcc
	v_cmp_gt_f32_e32 vcc, s33, v54
	v_exp_f32_e32 v47, v47
	s_nop 0
	v_cndmask_b32_e32 v54, 0, v68, vcc
	v_fmac_f32_e32 v54, v52, v56
	v_exp_f32_e32 v54, v54
	v_mul_f32_e32 v16, v47, v16
	scratch_load_dword v47, off, off offset:76 ; 4-byte Folded Reload
	v_cndmask_b32_e64 v16, 1.0, v16, s[78:79]
	s_waitcnt vmcnt(1)
	v_mul_f32_e32 v46, v46, v55
	v_cndmask_b32_e32 v55, 1.0, v69, vcc
	v_mul_f32_e32 v54, v54, v55
	scratch_load_dword v55, off, off offset:72 ; 4-byte Folded Reload
	v_cndmask_b32_e64 v46, 0, v46, s[76:77]
	s_waitcnt vmcnt(1)
	v_mul_f32_e32 v47, v47, v58
	v_mul_f32_e32 v58, v52, v23
	v_cmp_gt_f32_e32 vcc, s33, v58
	v_cndmask_b32_e64 v47, 0, v47, s[78:79]
	s_waitcnt vmcnt(0)
	v_mul_f32_e32 v55, v55, v59
	v_cndmask_b32_e32 v58, 0, v68, vcc
	v_fmac_f32_e32 v58, v52, v23
	v_cndmask_b32_e64 v52, 0, v55, s[80:81]
	scratch_load_dword v55, off, off offset:68 ; 4-byte Folded Reload
	v_exp_f32_e32 v59, v58
	v_cndmask_b32_e64 v58, 1.0, v54, s[80:81]
	v_cndmask_b32_e32 v54, 1.0, v69, vcc
	v_mul_f32_e32 v54, v59, v54
	v_cndmask_b32_e64 v59, 1.0, v54, s[82:83]
	v_mul_f32_e32 v54, v80, v79
	v_mul_f32_e32 v54, v54, v81
	;; [unrolled: 1-line block ×15, first 2 shown]
	s_waitcnt vmcnt(0)
	v_mul_f32_e32 v53, v55, v53
	v_fma_f32 v55, v80, v8, v9
	v_fma_f32 v55, v55, v81, v10
	v_fma_f32 v55, v55, v82, v11
	v_fma_f32 v55, v55, v83, v12
	v_fma_f32 v55, v55, v84, v13
	v_fma_f32 v55, v55, v85, v14
	v_fma_f32 v55, v55, v86, v15
	v_fma_f32 v55, v55, v65, v48
	v_fma_f32 v55, v55, v71, v49
	v_fma_f32 v55, v55, v22, v50
	v_fma_f32 v55, v55, v87, v51
	v_fma_f32 v55, v55, v57, v46
	v_fma_f32 v55, v55, v16, v47
	v_cndmask_b32_e64 v53, 0, v53, s[82:83]
	v_fma_f32 v55, v55, v58, v52
	v_fma_f32 v62, v55, v59, v53
	v_mov_b32_dpp v61, v54 row_shr:1 row_mask:0xf bank_mask:0xf
	s_nop 0
	v_mov_b32_dpp v60, v62 row_shr:1 row_mask:0xf bank_mask:0xf
	s_and_saveexec_b64 s[84:85], s[4:5]
; %bb.181:                              ;   in Loop: Header=BB114_110 Depth=2
	v_mul_f32_e32 v61, v54, v61
	v_fmac_f32_e32 v62, v54, v60
	v_mov_b32_e32 v54, v61
; %bb.182:                              ;   in Loop: Header=BB114_110 Depth=2
	s_or_b64 exec, exec, s[84:85]
	v_readlane_b32 s4, v95, 37
	v_mov_b32_dpp v60, v54 row_shr:2 row_mask:0xf bank_mask:0xf
	v_mov_b32_dpp v61, v62 row_shr:2 row_mask:0xf bank_mask:0xf
	v_readlane_b32 s5, v95, 38
	s_and_saveexec_b64 s[84:85], s[4:5]
; %bb.183:                              ;   in Loop: Header=BB114_110 Depth=2
	v_fmac_f32_e32 v62, v54, v61
	v_mul_f32_e32 v54, v54, v60
; %bb.184:                              ;   in Loop: Header=BB114_110 Depth=2
	s_or_b64 exec, exec, s[84:85]
	s_nop 0
	v_mov_b32_dpp v60, v54 row_shr:4 row_mask:0xf bank_mask:0xf
	v_mov_b32_dpp v61, v62 row_shr:4 row_mask:0xf bank_mask:0xf
	s_and_saveexec_b64 s[84:85], s[2:3]
; %bb.185:                              ;   in Loop: Header=BB114_110 Depth=2
	v_fmac_f32_e32 v62, v54, v61
	v_mul_f32_e32 v54, v54, v60
; %bb.186:                              ;   in Loop: Header=BB114_110 Depth=2
	s_or_b64 exec, exec, s[84:85]
	v_readlane_b32 s4, v95, 39
	v_mov_b32_dpp v60, v54 row_shr:8 row_mask:0xf bank_mask:0xf
	v_mov_b32_dpp v61, v62 row_shr:8 row_mask:0xf bank_mask:0xf
	v_readlane_b32 s5, v95, 40
	s_and_saveexec_b64 s[84:85], s[4:5]
; %bb.187:                              ;   in Loop: Header=BB114_110 Depth=2
	v_fmac_f32_e32 v62, v54, v61
	v_mul_f32_e32 v54, v54, v60
; %bb.188:                              ;   in Loop: Header=BB114_110 Depth=2
	s_or_b64 exec, exec, s[84:85]
	v_readlane_b32 s4, v95, 41
	v_mov_b32_dpp v60, v54 row_bcast:15 row_mask:0xf bank_mask:0xf
	v_mov_b32_dpp v61, v62 row_bcast:15 row_mask:0xf bank_mask:0xf
	v_readlane_b32 s5, v95, 42
	s_and_saveexec_b64 s[84:85], s[4:5]
; %bb.189:                              ;   in Loop: Header=BB114_110 Depth=2
	v_fmac_f32_e32 v62, v54, v61
	v_mul_f32_e32 v54, v54, v60
; %bb.190:                              ;   in Loop: Header=BB114_110 Depth=2
	s_or_b64 exec, exec, s[84:85]
	s_nop 0
	v_mov_b32_dpp v60, v54 row_bcast:31 row_mask:0xf bank_mask:0xf
	v_mov_b32_dpp v61, v62 row_bcast:31 row_mask:0xf bank_mask:0xf
	v_mov_b32_e32 v55, v62
	v_mul_f32_e32 v60, v54, v60
	v_fmac_f32_e32 v55, v54, v61
	v_readlane_b32 s4, v95, 45
	v_cndmask_b32_e64 v54, v54, v60, s[12:13]
	v_cndmask_b32_e64 v55, v62, v55, s[12:13]
	v_readlane_b32 s5, v95, 46
	s_and_saveexec_b64 s[84:85], s[4:5]
	s_cbranch_execz .LBB114_192
; %bb.191:                              ;   in Loop: Header=BB114_110 Depth=2
	ds_write_b64 v17, v[54:55] offset:4224
.LBB114_192:                            ;   in Loop: Header=BB114_110 Depth=2
	s_or_b64 exec, exec, s[84:85]
	scratch_load_dword v61, off, off offset:160 ; 4-byte Folded Reload
	s_waitcnt lgkmcnt(0)
	; wave barrier
	s_waitcnt vmcnt(0) lgkmcnt(0)
	ds_bpermute_b32 v60, v61, v54
	ds_bpermute_b32 v61, v61, v55
	v_mov_b32_e32 v55, v45
	s_and_saveexec_b64 s[84:85], s[14:15]
	s_cbranch_execz .LBB114_196
; %bb.193:                              ;   in Loop: Header=BB114_110 Depth=2
	ds_read_b64 v[54:55], v17 offset:4224
	s_and_saveexec_b64 s[88:89], s[16:17]
	s_cbranch_execz .LBB114_195
; %bb.194:                              ;   in Loop: Header=BB114_110 Depth=2
	ds_write_b64 v17, v[44:45] offset:4224
.LBB114_195:                            ;   in Loop: Header=BB114_110 Depth=2
	s_or_b64 exec, exec, s[88:89]
	s_waitcnt lgkmcnt(0)
	v_fmac_f32_e32 v55, v45, v54
	v_mul_f32_e32 v44, v44, v54
	v_mov_b32_e32 v45, v55
.LBB114_196:                            ;   in Loop: Header=BB114_110 Depth=2
	s_or_b64 exec, exec, s[84:85]
	s_waitcnt lgkmcnt(0)
	; wave barrier
	s_waitcnt lgkmcnt(0)
	ds_read_b32 v54, v17 offset:4228
	s_and_saveexec_b64 s[84:85], s[16:17]
	s_cbranch_execz .LBB114_109
; %bb.197:                              ;   in Loop: Header=BB114_110 Depth=2
	v_mov_b32_e32 v62, s1
	s_andn2_b64 vcc, exec, s[90:91]
	ds_write_b64 v62, v[44:45]
	s_cbranch_vccnz .LBB114_109
; %bb.198:                              ;   in Loop: Header=BB114_110 Depth=2
	s_mov_b32 s99, s93
	s_lshl_b64 s[88:89], s[98:99], 2
	v_readlane_b32 s4, v95, 27
	s_add_u32 s88, s4, s88
	v_readlane_b32 s4, v95, 28
	v_readlane_b32 s99, v95, 48
	s_addc_u32 s89, s4, s89
	global_store_dword v17, v55, s[88:89]
	s_branch .LBB114_109
.LBB114_199:                            ;   in Loop: Header=BB114_13 Depth=1
	scratch_load_dwordx2 v[42:43], off, off offset:164 ; 8-byte Folded Reload
	v_readlane_b32 s4, v95, 49
	v_readlane_b32 s5, v95, 50
	s_mov_b32 s6, 0x41a00000
	s_mov_b32 s7, 0x3fb8aa3b
	;; [unrolled: 1-line block ×8, first 2 shown]
	v_mov_b32_e32 v40, 0x3ecc95a3
	v_mov_b32_e32 v41, 0x7f800000
.LBB114_200:                            ;   in Loop: Header=BB114_13 Depth=1
	v_cvt_f16_f32_e32 v0, v39
	v_cvt_f16_f32_e32 v4, v38
	s_waitcnt lgkmcnt(0)
	; wave barrier
	v_cvt_f16_f32_e32 v1, v37
	v_pack_b32_f16 v0, v4, v0
	scratch_load_dword v4, off, off         ; 4-byte Folded Reload
	v_cvt_f16_f32_e32 v5, v36
	v_cvt_f16_f32_e32 v2, v35
	;; [unrolled: 1-line block ×13, first 2 shown]
	v_pack_b32_f16 v3, v7, v3
	v_pack_b32_f16 v2, v6, v2
	;; [unrolled: 1-line block ×3, first 2 shown]
	v_readlane_b32 s0, v95, 52
	v_readlane_b32 s1, v95, 53
	s_mov_b32 s1, s93
	s_waitcnt vmcnt(0)
	ds_write_b128 v4, v[0:3]
	v_pack_b32_f16 v3, v15, v14
	v_pack_b32_f16 v2, v13, v12
	;; [unrolled: 1-line block ×4, first 2 shown]
	ds_write_b128 v4, v[0:3] offset:16
	; wave barrier
	scratch_load_dword v0, off, off offset:8 ; 4-byte Folded Reload
	s_waitcnt vmcnt(0)
	ds_read_u16 v16, v0 offset:128
	scratch_load_dword v0, off, off offset:12 ; 4-byte Folded Reload
	s_waitcnt vmcnt(0)
	ds_read_u16 v15, v0 offset:256
	scratch_load_dword v0, off, off offset:16 ; 4-byte Folded Reload
	s_waitcnt vmcnt(0)
	ds_read_u16 v14, v0 offset:384
	scratch_load_dword v0, off, off offset:20 ; 4-byte Folded Reload
	s_waitcnt vmcnt(0)
	ds_read_u16 v13, v0 offset:512
	scratch_load_dword v0, off, off offset:24 ; 4-byte Folded Reload
	s_waitcnt vmcnt(0)
	ds_read_u16 v12, v0 offset:640
	scratch_load_dword v0, off, off offset:28 ; 4-byte Folded Reload
	s_waitcnt vmcnt(0)
	ds_read_u16 v11, v0 offset:768
	scratch_load_dword v0, off, off offset:32 ; 4-byte Folded Reload
	s_waitcnt vmcnt(0)
	ds_read_u16 v10, v0 offset:896
	scratch_load_dword v0, off, off offset:36 ; 4-byte Folded Reload
	s_waitcnt vmcnt(0)
	ds_read_u16 v9, v0 offset:1024
	scratch_load_dword v0, off, off offset:40 ; 4-byte Folded Reload
	s_waitcnt vmcnt(0)
	ds_read_u16 v8, v0 offset:1152
	scratch_load_dword v0, off, off offset:44 ; 4-byte Folded Reload
	s_waitcnt vmcnt(0)
	ds_read_u16 v7, v0 offset:1280
	scratch_load_dword v0, off, off offset:48 ; 4-byte Folded Reload
	s_waitcnt vmcnt(0)
	ds_read_u16 v6, v0 offset:1408
	scratch_load_dword v0, off, off offset:52 ; 4-byte Folded Reload
	s_waitcnt vmcnt(0)
	ds_read_u16 v5, v0 offset:1536
	scratch_load_dword v0, off, off offset:56 ; 4-byte Folded Reload
	s_waitcnt vmcnt(0)
	ds_read_u16 v4, v0 offset:1664
	scratch_load_dword v0, off, off offset:60 ; 4-byte Folded Reload
	s_waitcnt vmcnt(0)
	ds_read_u16 v3, v0 offset:1792
	scratch_load_dword v0, off, off offset:64 ; 4-byte Folded Reload
	s_waitcnt vmcnt(0)
	ds_read_u16 v2, v0 offset:1920
	scratch_load_dwordx2 v[0:1], off, off offset:240 ; 8-byte Folded Reload
	s_waitcnt vmcnt(0)
	v_lshl_add_u64 v[0:1], s[0:1], 1, v[0:1]
	s_and_saveexec_b64 s[52:53], s[18:19]
	s_cbranch_execnz .LBB114_218
; %bb.201:                              ;   in Loop: Header=BB114_13 Depth=1
	s_or_b64 exec, exec, s[52:53]
	s_and_saveexec_b64 s[18:19], s[20:21]
	s_cbranch_execnz .LBB114_219
.LBB114_202:                            ;   in Loop: Header=BB114_13 Depth=1
	s_or_b64 exec, exec, s[18:19]
	s_and_saveexec_b64 s[18:19], s[22:23]
	s_cbranch_execnz .LBB114_220
.LBB114_203:                            ;   in Loop: Header=BB114_13 Depth=1
	s_or_b64 exec, exec, s[18:19]
	s_and_saveexec_b64 s[18:19], s[24:25]
	s_cbranch_execnz .LBB114_221
.LBB114_204:                            ;   in Loop: Header=BB114_13 Depth=1
	s_or_b64 exec, exec, s[18:19]
	s_and_saveexec_b64 s[18:19], s[26:27]
	s_cbranch_execnz .LBB114_222
.LBB114_205:                            ;   in Loop: Header=BB114_13 Depth=1
	s_or_b64 exec, exec, s[18:19]
	s_and_saveexec_b64 s[18:19], s[28:29]
	s_cbranch_execnz .LBB114_223
.LBB114_206:                            ;   in Loop: Header=BB114_13 Depth=1
	s_or_b64 exec, exec, s[18:19]
	s_and_saveexec_b64 s[18:19], s[30:31]
	s_cbranch_execnz .LBB114_224
.LBB114_207:                            ;   in Loop: Header=BB114_13 Depth=1
	s_or_b64 exec, exec, s[18:19]
	s_and_saveexec_b64 s[18:19], s[34:35]
	s_cbranch_execnz .LBB114_225
.LBB114_208:                            ;   in Loop: Header=BB114_13 Depth=1
	s_or_b64 exec, exec, s[18:19]
	s_and_saveexec_b64 s[18:19], s[36:37]
	s_cbranch_execnz .LBB114_226
.LBB114_209:                            ;   in Loop: Header=BB114_13 Depth=1
	s_or_b64 exec, exec, s[18:19]
	s_and_saveexec_b64 s[18:19], s[38:39]
	s_cbranch_execnz .LBB114_227
.LBB114_210:                            ;   in Loop: Header=BB114_13 Depth=1
	s_or_b64 exec, exec, s[18:19]
	s_and_saveexec_b64 s[18:19], s[40:41]
	s_cbranch_execnz .LBB114_228
.LBB114_211:                            ;   in Loop: Header=BB114_13 Depth=1
	s_or_b64 exec, exec, s[18:19]
	s_and_saveexec_b64 s[18:19], s[42:43]
	s_cbranch_execnz .LBB114_229
.LBB114_212:                            ;   in Loop: Header=BB114_13 Depth=1
	s_or_b64 exec, exec, s[18:19]
	s_and_saveexec_b64 s[18:19], s[44:45]
	s_cbranch_execnz .LBB114_230
.LBB114_213:                            ;   in Loop: Header=BB114_13 Depth=1
	s_or_b64 exec, exec, s[18:19]
	s_and_saveexec_b64 s[18:19], s[46:47]
	s_cbranch_execnz .LBB114_231
.LBB114_214:                            ;   in Loop: Header=BB114_13 Depth=1
	s_or_b64 exec, exec, s[18:19]
	s_and_saveexec_b64 s[18:19], s[48:49]
	s_cbranch_execnz .LBB114_232
.LBB114_215:                            ;   in Loop: Header=BB114_13 Depth=1
	s_or_b64 exec, exec, s[18:19]
	s_and_saveexec_b64 s[18:19], s[50:51]
	s_cbranch_execz .LBB114_12
	s_branch .LBB114_233
.LBB114_216:                            ;   in Loop: Header=BB114_13 Depth=1
	global_load_ushort v26, v[8:9], off offset:1664
	s_or_b64 exec, exec, s[52:53]
	s_and_saveexec_b64 s[52:53], s[48:49]
	s_cbranch_execz .LBB114_73
.LBB114_217:                            ;   in Loop: Header=BB114_13 Depth=1
	global_load_ushort v25, v[8:9], off offset:1792
	s_or_b64 exec, exec, s[52:53]
	v_mov_b32_e32 v27, 0
	s_and_saveexec_b64 s[52:53], s[50:51]
	s_cbranch_execnz .LBB114_74
	s_branch .LBB114_75
.LBB114_218:                            ;   in Loop: Header=BB114_13 Depth=1
	scratch_load_dword v18, off, off offset:4 ; 4-byte Folded Reload
	s_waitcnt vmcnt(0)
	ds_read_u16 v18, v18
	s_waitcnt lgkmcnt(0)
	global_store_short v[0:1], v18, off
	s_or_b64 exec, exec, s[52:53]
	s_and_saveexec_b64 s[18:19], s[20:21]
	s_cbranch_execz .LBB114_202
.LBB114_219:                            ;   in Loop: Header=BB114_13 Depth=1
	s_waitcnt lgkmcnt(14)
	global_store_short v[0:1], v16, off offset:128
	s_or_b64 exec, exec, s[18:19]
	s_and_saveexec_b64 s[18:19], s[22:23]
	s_cbranch_execz .LBB114_203
.LBB114_220:                            ;   in Loop: Header=BB114_13 Depth=1
	s_waitcnt lgkmcnt(13)
	global_store_short v[0:1], v15, off offset:256
	s_or_b64 exec, exec, s[18:19]
	s_and_saveexec_b64 s[18:19], s[24:25]
	s_cbranch_execz .LBB114_204
.LBB114_221:                            ;   in Loop: Header=BB114_13 Depth=1
	s_waitcnt lgkmcnt(12)
	global_store_short v[0:1], v14, off offset:384
	s_or_b64 exec, exec, s[18:19]
	s_and_saveexec_b64 s[18:19], s[26:27]
	s_cbranch_execz .LBB114_205
.LBB114_222:                            ;   in Loop: Header=BB114_13 Depth=1
	s_waitcnt lgkmcnt(11)
	global_store_short v[0:1], v13, off offset:512
	s_or_b64 exec, exec, s[18:19]
	s_and_saveexec_b64 s[18:19], s[28:29]
	s_cbranch_execz .LBB114_206
.LBB114_223:                            ;   in Loop: Header=BB114_13 Depth=1
	s_waitcnt lgkmcnt(10)
	global_store_short v[0:1], v12, off offset:640
	s_or_b64 exec, exec, s[18:19]
	s_and_saveexec_b64 s[18:19], s[30:31]
	s_cbranch_execz .LBB114_207
.LBB114_224:                            ;   in Loop: Header=BB114_13 Depth=1
	s_waitcnt lgkmcnt(9)
	global_store_short v[0:1], v11, off offset:768
	s_or_b64 exec, exec, s[18:19]
	s_and_saveexec_b64 s[18:19], s[34:35]
	s_cbranch_execz .LBB114_208
.LBB114_225:                            ;   in Loop: Header=BB114_13 Depth=1
	s_waitcnt lgkmcnt(8)
	global_store_short v[0:1], v10, off offset:896
	s_or_b64 exec, exec, s[18:19]
	s_and_saveexec_b64 s[18:19], s[36:37]
	s_cbranch_execz .LBB114_209
.LBB114_226:                            ;   in Loop: Header=BB114_13 Depth=1
	s_waitcnt lgkmcnt(7)
	global_store_short v[0:1], v9, off offset:1024
	s_or_b64 exec, exec, s[18:19]
	s_and_saveexec_b64 s[18:19], s[38:39]
	s_cbranch_execz .LBB114_210
.LBB114_227:                            ;   in Loop: Header=BB114_13 Depth=1
	s_waitcnt lgkmcnt(6)
	global_store_short v[0:1], v8, off offset:1152
	s_or_b64 exec, exec, s[18:19]
	s_and_saveexec_b64 s[18:19], s[40:41]
	s_cbranch_execz .LBB114_211
.LBB114_228:                            ;   in Loop: Header=BB114_13 Depth=1
	s_waitcnt lgkmcnt(5)
	global_store_short v[0:1], v7, off offset:1280
	s_or_b64 exec, exec, s[18:19]
	s_and_saveexec_b64 s[18:19], s[42:43]
	s_cbranch_execz .LBB114_212
.LBB114_229:                            ;   in Loop: Header=BB114_13 Depth=1
	s_waitcnt lgkmcnt(4)
	global_store_short v[0:1], v6, off offset:1408
	s_or_b64 exec, exec, s[18:19]
	s_and_saveexec_b64 s[18:19], s[44:45]
	s_cbranch_execz .LBB114_213
.LBB114_230:                            ;   in Loop: Header=BB114_13 Depth=1
	s_waitcnt lgkmcnt(3)
	global_store_short v[0:1], v5, off offset:1536
	s_or_b64 exec, exec, s[18:19]
	s_and_saveexec_b64 s[18:19], s[46:47]
	s_cbranch_execz .LBB114_214
.LBB114_231:                            ;   in Loop: Header=BB114_13 Depth=1
	s_waitcnt lgkmcnt(2)
	global_store_short v[0:1], v4, off offset:1664
	s_or_b64 exec, exec, s[18:19]
	s_and_saveexec_b64 s[18:19], s[48:49]
	s_cbranch_execz .LBB114_215
.LBB114_232:                            ;   in Loop: Header=BB114_13 Depth=1
	s_waitcnt lgkmcnt(1)
	global_store_short v[0:1], v3, off offset:1792
	s_or_b64 exec, exec, s[18:19]
	s_and_saveexec_b64 s[18:19], s[50:51]
	s_cbranch_execz .LBB114_12
.LBB114_233:                            ;   in Loop: Header=BB114_13 Depth=1
	s_waitcnt lgkmcnt(0)
	global_store_short v[0:1], v2, off offset:1920
	s_branch .LBB114_12
.LBB114_234:
	s_endpgm
	.section	.rodata,"a",@progbits
	.p2align	6, 0x0
	.amdhsa_kernel _Z25selective_scan_fwd_kernelI32Selective_Scan_fwd_kernel_traitsILi64ELi16ELi1ELb1ELb1ELb1ELb0ELb1EN3c104HalfEffEEv13SSMParamsBase
		.amdhsa_group_segment_fixed_size 0
		.amdhsa_private_segment_fixed_size 316
		.amdhsa_kernarg_size 248
		.amdhsa_user_sgpr_count 2
		.amdhsa_user_sgpr_dispatch_ptr 0
		.amdhsa_user_sgpr_queue_ptr 0
		.amdhsa_user_sgpr_kernarg_segment_ptr 1
		.amdhsa_user_sgpr_dispatch_id 0
		.amdhsa_user_sgpr_kernarg_preload_length 0
		.amdhsa_user_sgpr_kernarg_preload_offset 0
		.amdhsa_user_sgpr_private_segment_size 0
		.amdhsa_uses_dynamic_stack 0
		.amdhsa_enable_private_segment 1
		.amdhsa_system_sgpr_workgroup_id_x 1
		.amdhsa_system_sgpr_workgroup_id_y 1
		.amdhsa_system_sgpr_workgroup_id_z 0
		.amdhsa_system_sgpr_workgroup_info 0
		.amdhsa_system_vgpr_workitem_id 0
		.amdhsa_next_free_vgpr 96
		.amdhsa_next_free_sgpr 100
		.amdhsa_accum_offset 96
		.amdhsa_reserve_vcc 1
		.amdhsa_float_round_mode_32 0
		.amdhsa_float_round_mode_16_64 0
		.amdhsa_float_denorm_mode_32 3
		.amdhsa_float_denorm_mode_16_64 3
		.amdhsa_dx10_clamp 1
		.amdhsa_ieee_mode 1
		.amdhsa_fp16_overflow 0
		.amdhsa_tg_split 0
		.amdhsa_exception_fp_ieee_invalid_op 0
		.amdhsa_exception_fp_denorm_src 0
		.amdhsa_exception_fp_ieee_div_zero 0
		.amdhsa_exception_fp_ieee_overflow 0
		.amdhsa_exception_fp_ieee_underflow 0
		.amdhsa_exception_fp_ieee_inexact 0
		.amdhsa_exception_int_div_zero 0
	.end_amdhsa_kernel
	.section	.text._Z25selective_scan_fwd_kernelI32Selective_Scan_fwd_kernel_traitsILi64ELi16ELi1ELb1ELb1ELb1ELb0ELb1EN3c104HalfEffEEv13SSMParamsBase,"axG",@progbits,_Z25selective_scan_fwd_kernelI32Selective_Scan_fwd_kernel_traitsILi64ELi16ELi1ELb1ELb1ELb1ELb0ELb1EN3c104HalfEffEEv13SSMParamsBase,comdat
.Lfunc_end114:
	.size	_Z25selective_scan_fwd_kernelI32Selective_Scan_fwd_kernel_traitsILi64ELi16ELi1ELb1ELb1ELb1ELb0ELb1EN3c104HalfEffEEv13SSMParamsBase, .Lfunc_end114-_Z25selective_scan_fwd_kernelI32Selective_Scan_fwd_kernel_traitsILi64ELi16ELi1ELb1ELb1ELb1ELb0ELb1EN3c104HalfEffEEv13SSMParamsBase
                                        ; -- End function
	.section	.AMDGPU.csdata,"",@progbits
; Kernel info:
; codeLenInByte = 22356
; NumSgprs: 106
; NumVgprs: 96
; NumAgprs: 0
; TotalNumVgprs: 96
; ScratchSize: 316
; MemoryBound: 0
; FloatMode: 240
; IeeeMode: 1
; LDSByteSize: 0 bytes/workgroup (compile time only)
; SGPRBlocks: 13
; VGPRBlocks: 11
; NumSGPRsForWavesPerEU: 106
; NumVGPRsForWavesPerEU: 96
; AccumOffset: 96
; Occupancy: 5
; WaveLimiterHint : 1
; COMPUTE_PGM_RSRC2:SCRATCH_EN: 1
; COMPUTE_PGM_RSRC2:USER_SGPR: 2
; COMPUTE_PGM_RSRC2:TRAP_HANDLER: 0
; COMPUTE_PGM_RSRC2:TGID_X_EN: 1
; COMPUTE_PGM_RSRC2:TGID_Y_EN: 1
; COMPUTE_PGM_RSRC2:TGID_Z_EN: 0
; COMPUTE_PGM_RSRC2:TIDIG_COMP_CNT: 0
; COMPUTE_PGM_RSRC3_GFX90A:ACCUM_OFFSET: 23
; COMPUTE_PGM_RSRC3_GFX90A:TG_SPLIT: 0
	.section	.text._Z25selective_scan_fwd_kernelI32Selective_Scan_fwd_kernel_traitsILi64ELi16ELi1ELb1ELb1ELb1ELb0ELb0EN3c104HalfEffEEv13SSMParamsBase,"axG",@progbits,_Z25selective_scan_fwd_kernelI32Selective_Scan_fwd_kernel_traitsILi64ELi16ELi1ELb1ELb1ELb1ELb0ELb0EN3c104HalfEffEEv13SSMParamsBase,comdat
	.protected	_Z25selective_scan_fwd_kernelI32Selective_Scan_fwd_kernel_traitsILi64ELi16ELi1ELb1ELb1ELb1ELb0ELb0EN3c104HalfEffEEv13SSMParamsBase ; -- Begin function _Z25selective_scan_fwd_kernelI32Selective_Scan_fwd_kernel_traitsILi64ELi16ELi1ELb1ELb1ELb1ELb0ELb0EN3c104HalfEffEEv13SSMParamsBase
	.globl	_Z25selective_scan_fwd_kernelI32Selective_Scan_fwd_kernel_traitsILi64ELi16ELi1ELb1ELb1ELb1ELb0ELb0EN3c104HalfEffEEv13SSMParamsBase
	.p2align	8
	.type	_Z25selective_scan_fwd_kernelI32Selective_Scan_fwd_kernel_traitsILi64ELi16ELi1ELb1ELb1ELb1ELb0ELb0EN3c104HalfEffEEv13SSMParamsBase,@function
_Z25selective_scan_fwd_kernelI32Selective_Scan_fwd_kernel_traitsILi64ELi16ELi1ELb1ELb1ELb1ELb0ELb0EN3c104HalfEffEEv13SSMParamsBase: ; @_Z25selective_scan_fwd_kernelI32Selective_Scan_fwd_kernel_traitsILi64ELi16ELi1ELb1ELb1ELb1ELb0ELb0EN3c104HalfEffEEv13SSMParamsBase
; %bb.0:
	s_load_dword s27, s[0:1], 0x18
	s_load_dwordx4 s[4:7], s[0:1], 0xe8
	s_mov_b32 s22, s3
	s_waitcnt lgkmcnt(0)
	s_abs_i32 s26, s27
	v_cvt_f32_u32_e32 v1, s26
	s_cmp_eq_u64 s[6:7], 0
	v_rcp_iflag_f32_e32 v1, v1
	s_nop 0
	v_mul_f32_e32 v1, 0x4f7ffffe, v1
	v_cvt_u32_f32_e32 v1, v1
	s_nop 0
	v_readfirstlane_b32 s24, v1
	s_cbranch_scc1 .LBB115_3
; %bb.1:
	s_ashr_i32 s3, s2, 31
	s_add_u32 s6, s6, s2
	s_addc_u32 s7, s7, s3
	v_mov_b32_e32 v1, 0
	global_load_ubyte v1, v1, s[6:7]
	s_waitcnt vmcnt(0)
	v_and_b32_e32 v1, 1, v1
	v_cmp_eq_u32_e64 s[72:73], 1, v1
	s_load_dwordx2 s[6:7], s[0:1], 0x20
	s_cmp_eq_u64 s[4:5], 0
	s_cbranch_scc1 .LBB115_4
.LBB115_2:
	s_ashr_i32 s3, s2, 31
	s_lshl_b64 s[8:9], s[2:3], 2
	s_add_u32 s4, s4, s8
	s_addc_u32 s5, s5, s9
	s_load_dword s20, s[4:5], 0x0
	s_waitcnt lgkmcnt(0)
	s_ashr_i32 s21, s20, 31
	s_cmp_eq_u64 s[6:7], s[20:21]
	s_cbranch_scc0 .LBB115_5
	s_branch .LBB115_81
.LBB115_3:
	s_mov_b64 s[72:73], 0
	s_load_dwordx2 s[6:7], s[0:1], 0x20
	s_cmp_eq_u64 s[4:5], 0
	s_cbranch_scc0 .LBB115_2
.LBB115_4:
	s_mov_b32 s20, s2
	s_ashr_i32 s21, s20, 31
	s_waitcnt lgkmcnt(0)
	s_cmp_eq_u64 s[6:7], s[20:21]
	s_cbranch_scc1 .LBB115_81
.LBB115_5:
	s_load_dwordx16 s[4:19], s[0:1], 0x88
	s_load_dwordx2 s[30:31], s[0:1], 0x8
	s_mov_b32 s33, 0
	s_mov_b32 s74, 0
	s_waitcnt lgkmcnt(0)
	s_cmp_eq_u64 s[10:11], 0
	s_cbranch_scc1 .LBB115_7
; %bb.6:
	s_ashr_i32 s23, s22, 31
	s_lshl_b64 s[28:29], s[22:23], 2
	s_add_u32 s10, s10, s28
	s_addc_u32 s11, s11, s29
	s_load_dword s74, s[10:11], 0x0
.LBB115_7:
	s_cmp_eq_u64 s[16:17], 0
	s_cbranch_scc1 .LBB115_9
; %bb.8:
	s_ashr_i32 s23, s22, 31
	s_lshl_b64 s[10:11], s[22:23], 2
	s_add_u32 s10, s16, s10
	s_addc_u32 s11, s17, s11
	s_load_dword s33, s[10:11], 0x0
.LBB115_9:
	s_cmp_lt_i32 s30, 1
	s_cbranch_scc1 .LBB115_81
; %bb.10:
	s_sub_i32 s3, 0, s26
	s_mul_i32 s3, s3, s24
	s_mul_hi_u32 s3, s24, s3
	s_abs_i32 s21, s22
	s_add_i32 s3, s24, s3
	s_load_dwordx8 s[60:67], s[0:1], 0x2c
	s_load_dwordx2 s[10:11], s[0:1], 0x5c
	s_load_dwordx4 s[68:71], s[0:1], 0x4c
	s_load_dwordx4 s[56:59], s[0:1], 0x7c
	s_load_dwordx2 s[24:25], s[0:1], 0x6c
	s_load_dwordx2 s[16:17], s[0:1], 0xc8
	s_mul_hi_u32 s3, s21, s3
	s_load_dword s23, s[0:1], 0x28
	s_ashr_i32 s0, s22, 31
	s_ashr_i32 s1, s27, 31
	s_xor_b32 s0, s0, s1
	s_mul_i32 s1, s3, s26
	s_sub_i32 s1, s21, s1
	s_add_i32 s21, s3, 1
	s_sub_i32 s27, s1, s26
	s_cmp_ge_u32 s1, s26
	s_cselect_b32 s3, s21, s3
	s_cselect_b32 s1, s27, s1
	s_add_i32 s21, s3, 1
	s_cmp_ge_u32 s1, s26
	s_cselect_b32 s1, s21, s3
	s_xor_b32 s1, s1, s0
	s_waitcnt lgkmcnt(0)
	s_mul_i32 s76, s70, s2
	s_mov_b32 s77, 0
	s_sub_i32 s3, s1, s0
	s_lshl_b64 s[0:1], s[76:77], 1
	s_add_u32 s12, s12, s0
	s_mul_i32 s76, s71, s22
	s_addc_u32 s13, s13, s1
	s_lshl_b64 s[0:1], s[76:77], 1
	s_add_u32 s70, s12, s0
	s_mul_i32 s76, s10, s2
	s_addc_u32 s71, s13, s1
	;; [unrolled: 4-line block ×10, first 2 shown]
	s_lshl_b64 s[0:1], s[76:77], 2
	s_add_u32 s65, s3, s0
	s_addc_u32 s69, s4, s1
	s_add_i32 s0, s30, 0x7ff
	v_mbcnt_lo_u32_b32 v1, -1, 0
	s_lshr_b32 s1, s0, 11
	v_mbcnt_hi_u32_b32 v2, -1, v1
	s_movk_i32 s0, 0x80
	v_cmp_gt_u32_e64 s[4:5], s0, v2
                                        ; implicit-def: $vgpr95 : SGPR spill to VGPR lane
	v_add_u32_e32 v1, 64, v2
	v_lshrrev_b32_e32 v3, 5, v2
	v_writelane_b32 v95, s4, 0
	v_add_u32_e32 v3, v3, v2
	s_bitcmp1_b32 s23, 0
	v_writelane_b32 v95, s5, 1
	v_cmp_gt_u32_e64 s[4:5], s0, v1
	v_lshrrev_b32_e32 v1, 5, v1
	v_lshl_add_u32 v3, v3, 4, 0
	v_writelane_b32 v95, s4, 2
	v_add_lshl_u32 v1, v1, v2, 4
	s_cselect_b64 s[80:81], -1, 0
	s_cmp_gt_i32 s31, 0
	v_writelane_b32 v95, s5, 3
	scratch_store_dword off, v3, off        ; 4-byte Folded Spill
	v_add_u32_e32 v3, 0, v1
	s_cselect_b64 s[4:5], -1, 0
	scratch_store_dword off, v3, off offset:4 ; 4-byte Folded Spill
	v_lshlrev_b32_e32 v3, 1, v2
	v_bfe_u32 v4, v2, 4, 27
	v_writelane_b32 v95, s4, 4
	s_add_i32 s0, 0, 0x840
	v_add_lshl_u32 v3, v4, v3, 4
	v_writelane_b32 v95, s5, 5
	v_add_u32_e32 v1, s0, v1
	scratch_store_dword off, v1, off offset:44 ; 4-byte Folded Spill
	v_add_u32_e32 v1, s0, v3
	v_writelane_b32 v95, s30, 6
	s_and_b32 s0, s30, 0x3ff
	s_cmp_eq_u32 s0, 0
	v_writelane_b32 v95, s31, 7
	scratch_store_dword off, v1, off offset:48 ; 4-byte Folded Spill
	s_cselect_b64 s[84:85], -1, 0
	v_and_b32_e32 v1, 15, v2
	v_writelane_b32 v95, s1, 8
	s_add_i32 s0, s1, -1
	s_mul_i32 s76, s24, s2
	v_cmp_ne_u32_e64 s[4:5], 0, v1
	v_cmp_lt_u32_e64 s[6:7], 1, v1
	v_cmp_lt_u32_e64 s[8:9], 3, v1
	;; [unrolled: 1-line block ×3, first 2 shown]
	v_and_b32_e32 v1, 16, v2
	v_writelane_b32 v95, s0, 9
	s_lshl_b64 s[0:1], s[76:77], 1
	v_add_u32_e32 v4, 0, v3
	s_add_u32 s2, s18, s0
	v_cmp_ne_u32_e64 s[12:13], 0, v1
	v_add_u32_e32 v1, -1, v2
	v_and_b32_e32 v3, 64, v2
	s_mul_i32 s76, s25, s22
	s_addc_u32 s3, s19, s1
	v_cmp_lt_i32_e32 vcc, v1, v3
	s_lshl_b64 s[0:1], s[76:77], 1
	s_add_u32 s0, s2, s0
	v_cndmask_b32_e32 v1, v1, v2, vcc
	v_mov_b32_e32 v33, 0
	v_lshlrev_b32_e32 v1, 2, v1
	s_addc_u32 s1, s3, s1
	v_lshlrev_b32_e32 v32, 4, v2
	scratch_store_dword off, v4, off offset:8 ; 4-byte Folded Spill
	v_lshlrev_b32_e32 v4, 4, v0
	v_cmp_eq_u32_e64 s[16:17], 63, v0
	scratch_store_dword off, v1, off offset:52 ; 4-byte Folded Spill
	v_cmp_gt_u32_e64 s[18:19], 64, v0
	v_cmp_eq_u32_e64 s[20:21], 0, v0
	v_lshl_add_u64 v[0:1], s[0:1], 0, v[32:33]
	scratch_store_dwordx2 off, v[0:1], off offset:128 ; 8-byte Folded Spill
	v_or_b32_e32 v0, 1, v4
	scratch_store_dword off, v0, off offset:140 ; 4-byte Folded Spill
	v_or_b32_e32 v0, 2, v4
	scratch_store_dword off, v0, off offset:144 ; 4-byte Folded Spill
	;; [unrolled: 2-line block ×14, first 2 shown]
	scratch_store_dword off, v4, off offset:136 ; 4-byte Folded Spill
	v_or_b32_e32 v0, 15, v4
	scratch_store_dword off, v0, off offset:196 ; 4-byte Folded Spill
                                        ; implicit-def: $vgpr0
	s_add_i32 s0, 0, 0x1088
	v_cmp_lt_u32_e64 s[14:15], 31, v2
	v_lshlrev_b32_e32 v32, 4, v2
	s_mov_b32 s82, 0x41a00000
	s_mov_b32 s56, 0x3f2aaaab
	;; [unrolled: 1-line block ×4, first 2 shown]
	v_writelane_b32 v95, s0, 10
	s_mov_b32 s75, 0xc2fc0000
	v_mov_b32_e32 v0, 0x3f317218
	v_mov_b32_e32 v94, 0x42800000
	;; [unrolled: 1-line block ×3, first 2 shown]
	s_mov_b32 s0, 0
	scratch_store_dwordx2 off, v[0:1], off offset:56 ; 8-byte Folded Spill
                                        ; implicit-def: $vgpr0_vgpr1
	scratch_store_dwordx4 off, v[0:3], off offset:64 ; 16-byte Folded Spill
                                        ; implicit-def: $vgpr18_vgpr19
                                        ; implicit-def: $vgpr26_vgpr27
                                        ; implicit-def: $vgpr22_vgpr23
	s_branch .LBB115_13
.LBB115_11:                             ;   in Loop: Header=BB115_13 Depth=1
	scratch_load_dwordx4 v[18:21], off, off offset:80 ; 16-byte Folded Reload
	scratch_load_dwordx4 v[22:25], off, off offset:96 ; 16-byte Folded Reload
	;; [unrolled: 1-line block ×3, first 2 shown]
.LBB115_12:                             ;   in Loop: Header=BB115_13 Depth=1
	v_cvt_f16_f32_e32 v0, v53
	v_cvt_f16_f32_e32 v4, v52
	s_waitcnt lgkmcnt(0)
	; wave barrier
	v_cvt_f16_f32_e32 v1, v51
	v_pack_b32_f16 v0, v4, v0
	scratch_load_dword v4, off, off offset:8 ; 4-byte Folded Reload
	v_cvt_f16_f32_e32 v5, v50
	v_cvt_f16_f32_e32 v2, v49
	;; [unrolled: 1-line block ×13, first 2 shown]
	v_pack_b32_f16 v3, v7, v3
	v_pack_b32_f16 v2, v6, v2
	;; [unrolled: 1-line block ×3, first 2 shown]
	s_add_u32 s78, s78, 0x800
	s_addc_u32 s79, s79, 0
	s_add_u32 s70, s70, 0x800
	s_addc_u32 s71, s71, 0
	;; [unrolled: 2-line block ×3, first 2 shown]
	s_add_u32 s66, s66, 0x800
	s_mov_b32 s3, s77
	s_addc_u32 s67, s67, 0
	s_add_i32 s0, s0, 1
	v_readlane_b32 s1, v95, 8
	s_cmp_eq_u32 s0, s1
	s_waitcnt vmcnt(0)
	ds_write_b128 v4, v[0:3]
	v_pack_b32_f16 v3, v15, v14
	v_pack_b32_f16 v2, v13, v12
	;; [unrolled: 1-line block ×4, first 2 shown]
	ds_write_b128 v4, v[0:3] offset:16
	; wave barrier
	scratch_load_dword v0, off, off         ; 4-byte Folded Reload
	scratch_load_dword v4, off, off offset:4 ; 4-byte Folded Reload
	scratch_load_dwordx2 v[8:9], off, off offset:128 ; 8-byte Folded Reload
	s_waitcnt vmcnt(2)
	ds_read_b128 v[0:3], v0
	s_waitcnt vmcnt(1)
	ds_read_b128 v[4:7], v4 offset:1024
	s_waitcnt vmcnt(0)
	v_lshl_add_u64 v[8:9], s[2:3], 1, v[8:9]
	s_waitcnt lgkmcnt(1)
	v_lshrrev_b32_e32 v12, 16, v3
	global_store_short v[8:9], v0, off
	v_alignbit_b32 v11, v2, v1, 16
	v_alignbit_b32 v10, v1, v0, 16
	;; [unrolled: 1-line block ×3, first 2 shown]
	global_store_short v[8:9], v12, off offset:14
	global_store_dword v[8:9], v0, off offset:10
	global_store_dwordx2 v[8:9], v[10:11], off offset:2
	s_waitcnt lgkmcnt(0)
	global_store_dwordx4 v[8:9], v[4:7], off offset:1024
	s_cbranch_scc1 .LBB115_81
.LBB115_13:                             ; =>This Loop Header: Depth=1
                                        ;     Child Loop BB115_56 Depth 2
	v_lshl_add_u64 v[16:17], s[70:71], 0, v[32:33]
	s_waitcnt lgkmcnt(0)
	; wave barrier
	s_mov_b64 s[2:3], exec
	v_readlane_b32 s22, v95, 0
	v_readlane_b32 s23, v95, 1
	s_and_b64 s[22:23], s[2:3], s[22:23]
	s_mov_b64 exec, s[22:23]
	s_cbranch_execz .LBB115_15
; %bb.14:                               ;   in Loop: Header=BB115_13 Depth=1
	global_load_dwordx4 v[26:29], v[16:17], off
.LBB115_15:                             ;   in Loop: Header=BB115_13 Depth=1
	s_or_b64 exec, exec, s[2:3]
	s_mov_b64 s[2:3], exec
	v_readlane_b32 s22, v95, 2
	v_readlane_b32 s23, v95, 3
	s_and_b64 s[22:23], s[2:3], s[22:23]
	s_mov_b64 exec, s[22:23]
	s_cbranch_execz .LBB115_17
; %bb.16:                               ;   in Loop: Header=BB115_13 Depth=1
	global_load_dwordx4 v[22:25], v[16:17], off offset:1024
.LBB115_17:                             ;   in Loop: Header=BB115_13 Depth=1
	s_or_b64 exec, exec, s[2:3]
	scratch_load_dword v0, off, off         ; 4-byte Folded Reload
	v_lshl_add_u64 v[16:17], s[78:79], 0, v[32:33]
	s_waitcnt vmcnt(0)
	ds_write_b128 v0, v[26:29]
	scratch_load_dword v0, off, off offset:4 ; 4-byte Folded Reload
	s_waitcnt vmcnt(0)
	ds_write_b128 v0, v[22:25] offset:1024
	; wave barrier
	scratch_load_dword v0, off, off offset:8 ; 4-byte Folded Reload
	s_waitcnt vmcnt(0)
	ds_read_b128 v[26:29], v0
	ds_read_b128 v[22:25], v0 offset:16
	s_waitcnt lgkmcnt(0)
	; wave barrier
	s_waitcnt lgkmcnt(0)
	s_mov_b64 s[2:3], exec
	v_readlane_b32 s22, v95, 0
	v_readlane_b32 s23, v95, 1
	s_and_b64 s[22:23], s[2:3], s[22:23]
	s_mov_b64 exec, s[22:23]
	s_cbranch_execz .LBB115_19
; %bb.18:                               ;   in Loop: Header=BB115_13 Depth=1
	global_load_dwordx4 v[0:3], v[16:17], off
	s_waitcnt vmcnt(0)
	scratch_store_dwordx4 off, v[0:3], off offset:64 ; 16-byte Folded Spill
.LBB115_19:                             ;   in Loop: Header=BB115_13 Depth=1
	s_or_b64 exec, exec, s[2:3]
	s_mov_b64 s[2:3], exec
	v_readlane_b32 s22, v95, 2
	v_readlane_b32 s23, v95, 3
	s_and_b64 s[22:23], s[2:3], s[22:23]
	s_mov_b64 exec, s[22:23]
	s_cbranch_execz .LBB115_21
; %bb.20:                               ;   in Loop: Header=BB115_13 Depth=1
	global_load_dwordx4 v[18:21], v[16:17], off offset:1024
.LBB115_21:                             ;   in Loop: Header=BB115_13 Depth=1
	s_or_b64 exec, exec, s[2:3]
	scratch_load_dword v0, off, off         ; 4-byte Folded Reload
	scratch_load_dwordx4 v[2:5], off, off offset:64 ; 16-byte Folded Reload
	s_waitcnt vmcnt(0)
	ds_write_b128 v0, v[2:5]
	scratch_load_dword v0, off, off offset:4 ; 4-byte Folded Reload
	s_waitcnt vmcnt(0)
	ds_write_b128 v0, v[18:21] offset:1024
	; wave barrier
	scratch_load_dword v0, off, off offset:8 ; 4-byte Folded Reload
	s_waitcnt vmcnt(0)
	ds_read_b128 v[2:5], v0
	ds_read_b128 v[18:21], v0 offset:16
	s_waitcnt lgkmcnt(1)
	v_cvt_f32_f16_e32 v0, v2
	scratch_store_dwordx4 off, v[2:5], off offset:64 ; 16-byte Folded Spill
	v_add_f32_e32 v78, s33, v0
	v_cmp_ge_f32_e32 vcc, s82, v78
	s_and_b64 s[2:3], s[80:81], vcc
	s_and_saveexec_b64 s[22:23], s[2:3]
	s_cbranch_execz .LBB115_23
; %bb.22:                               ;   in Loop: Header=BB115_13 Depth=1
	v_mul_f32_e32 v0, 0x3fb8aa3b, v78
	v_rndne_f32_e32 v1, v0
	s_mov_b32 s1, 0x3fb8aa3b
	v_sub_f32_e32 v2, v0, v1
	v_fma_f32 v0, v78, s1, -v0
	v_fmac_f32_e32 v0, 0x32a5705f, v78
	v_add_f32_e32 v0, v2, v0
	v_cvt_i32_f32_e32 v1, v1
	v_exp_f32_e32 v0, v0
	s_mov_b32 s1, 0xc2ce8ed0
	v_cmp_ngt_f32_e32 vcc, s1, v78
	s_mov_b32 s1, 0x42b17218
	v_ldexp_f32 v0, v0, v1
	v_cndmask_b32_e32 v0, 0, v0, vcc
	v_cmp_nlt_f32_e32 vcc, s1, v78
	v_mov_b32_e32 v1, 0x7f800000
	s_mov_b32 s1, 0x7f800000
	v_cndmask_b32_e32 v16, v1, v0, vcc
	v_add_f32_e32 v2, 1.0, v16
	v_add_f32_e32 v0, -1.0, v2
	v_sub_f32_e32 v1, v0, v2
	v_add_f32_e32 v1, 1.0, v1
	v_sub_f32_e32 v0, v16, v0
	v_add_f32_e32 v3, v0, v1
	v_frexp_mant_f32_e32 v4, v2
	v_cvt_f64_f32_e32 v[0:1], v2
	v_frexp_exp_i32_f64_e32 v0, v[0:1]
	v_cmp_gt_f32_e32 vcc, s56, v4
	v_cmp_gt_f32_e64 s[2:3], s83, v16
	s_nop 0
	v_subbrev_co_u32_e32 v8, vcc, 0, v0, vcc
	v_sub_u32_e32 v0, 0, v8
	v_ldexp_f32 v1, v2, v0
	v_add_f32_e32 v2, -1.0, v1
	v_add_f32_e32 v4, 1.0, v1
	v_ldexp_f32 v0, v3, v0
	v_add_f32_e32 v3, 1.0, v2
	v_add_f32_e32 v5, -1.0, v4
	v_sub_f32_e32 v3, v1, v3
	v_sub_f32_e32 v1, v1, v5
	v_add_f32_e32 v3, v0, v3
	v_add_f32_e32 v0, v0, v1
	;; [unrolled: 1-line block ×3, first 2 shown]
	v_rcp_f32_e32 v11, v9
	v_sub_f32_e32 v1, v4, v9
	v_add_f32_e32 v10, v0, v1
	v_add_f32_e32 v1, v2, v3
	v_mul_f32_e32 v13, v1, v11
	v_sub_f32_e32 v0, v2, v1
	v_mul_f32_e32 v2, v9, v13
	v_fma_f32 v4, v13, v9, -v2
	v_fmac_f32_e32 v4, v13, v10
	v_add_f32_e32 v12, v3, v0
	v_add_f32_e32 v0, v2, v4
	v_sub_f32_e32 v3, v1, v0
	v_pk_add_f32 v[6:7], v[0:1], v[2:3] neg_lo:[0,1] neg_hi:[0,1]
	v_mov_b32_e32 v5, v0
	v_pk_add_f32 v[0:1], v[6:7], v[4:5] neg_lo:[0,1] neg_hi:[0,1]
	v_cmp_eq_f32_e32 vcc, s1, v16
	v_add_f32_e32 v1, v12, v1
	v_add_f32_e32 v0, v0, v1
	;; [unrolled: 1-line block ×3, first 2 shown]
	v_mul_f32_e32 v12, v11, v1
	v_mul_f32_e32 v2, v9, v12
	v_fma_f32 v4, v12, v9, -v2
	v_fmac_f32_e32 v4, v12, v10
	v_sub_f32_e32 v3, v3, v1
	v_add_f32_e32 v9, v0, v3
	v_add_f32_e32 v0, v2, v4
	v_sub_f32_e32 v3, v1, v0
	v_pk_add_f32 v[6:7], v[0:1], v[2:3] neg_lo:[0,1] neg_hi:[0,1]
	v_mov_b32_e32 v5, v0
	v_pk_add_f32 v[0:1], v[6:7], v[4:5] neg_lo:[0,1] neg_hi:[0,1]
	scratch_load_dwordx2 v[6:7], off, off offset:56 ; 8-byte Folded Reload
	v_add_f32_e32 v1, v9, v1
	v_add_f32_e32 v0, v0, v1
	;; [unrolled: 1-line block ×4, first 2 shown]
	v_sub_f32_e32 v2, v1, v13
	v_mul_f32_e32 v0, v11, v0
	v_sub_f32_e32 v2, v12, v2
	v_add_f32_e32 v2, v2, v0
	v_add_f32_e32 v4, v1, v2
	v_mul_f32_e32 v5, v4, v4
	v_mov_b32_e32 v0, 0x3ecc95a3
	v_fmamk_f32 v0, v5, 0x3e9b6dac, v0
	v_fmaak_f32 v11, v5, v0, 0x3f2aaada
	v_cvt_f32_i32_e32 v0, v8
	v_sub_f32_e32 v1, v4, v1
	v_sub_f32_e32 v1, v2, v1
	v_ldexp_f32 v3, v4, 1
	s_or_b64 vcc, s[2:3], vcc
	s_waitcnt vmcnt(0)
	v_mov_b32_e32 v10, v6
	v_ldexp_f32 v6, v1, 1
	v_mul_f32_e32 v1, v4, v5
	v_mov_b32_e32 v2, v10
	v_pk_mul_f32 v[4:5], v[0:1], v[10:11]
	scratch_store_dwordx2 off, v[2:3], off offset:56 ; 8-byte Folded Spill
	v_fma_f32 v2, v0, s57, -v4
	v_fmac_f32_e32 v2, 0xb102e308, v0
	v_pk_add_f32 v[0:1], v[4:5], v[2:3]
	s_nop 0
	v_sub_f32_e32 v3, v1, v3
	v_sub_f32_e32 v3, v5, v3
	v_add_f32_e32 v7, v6, v3
	v_mov_b32_e32 v6, v4
	v_pk_add_f32 v[4:5], v[0:1], v[4:5] neg_lo:[0,1] neg_hi:[0,1]
	v_pk_add_f32 v[8:9], v[0:1], v[6:7]
	v_mov_b32_e32 v3, v0
	v_mov_b32_e32 v5, v9
	v_pk_add_f32 v[10:11], v[2:3], v[4:5] neg_lo:[0,1] neg_hi:[0,1]
	v_pk_add_f32 v[2:3], v[2:3], v[4:5]
	v_mov_b32_e32 v6, v7
	v_mov_b32_e32 v4, v3
	v_pk_add_f32 v[12:13], v[4:5], v[0:1] neg_lo:[0,1] neg_hi:[0,1]
	v_mov_b32_e32 v2, v9
	v_mov_b32_e32 v5, v12
	v_pk_add_f32 v[14:15], v[8:9], v[4:5] neg_lo:[0,1] neg_hi:[0,1]
	v_mov_b32_e32 v8, v1
	v_mov_b32_e32 v9, v12
	;; [unrolled: 1-line block ×3, first 2 shown]
	v_pk_add_f32 v[2:3], v[2:3], v[8:9] neg_lo:[0,1] neg_hi:[0,1]
	v_mov_b32_e32 v7, v0
	v_pk_add_f32 v[0:1], v[6:7], v[2:3] neg_lo:[0,1] neg_hi:[0,1]
	v_mov_b32_e32 v14, v10
	v_pk_add_f32 v[2:3], v[14:15], v[0:1]
	s_nop 0
	v_mov_b32_e32 v6, v3
	v_pk_add_f32 v[6:7], v[2:3], v[6:7]
	s_nop 0
	v_pk_add_f32 v[4:5], v[4:5], v[6:7]
	v_mov_b32_e32 v1, v6
	v_mov_b32_e32 v3, v4
	v_pk_add_f32 v[8:9], v[2:3], v[10:11] neg_lo:[0,1] neg_hi:[0,1]
	s_nop 0
	v_sub_f32_e32 v2, v2, v8
	v_pk_add_f32 v[0:1], v[0:1], v[8:9] neg_lo:[0,1] neg_hi:[0,1]
	v_sub_f32_e32 v2, v10, v2
	v_add_f32_e32 v0, v0, v2
	v_add_f32_e32 v0, v0, v1
	;; [unrolled: 1-line block ×3, first 2 shown]
	v_cndmask_b32_e32 v78, v0, v16, vcc
.LBB115_23:                             ;   in Loop: Header=BB115_13 Depth=1
	s_or_b64 exec, exec, s[22:23]
	scratch_load_dwordx4 v[0:3], off, off offset:64 ; 16-byte Folded Reload
	s_waitcnt vmcnt(0)
	v_cvt_f32_f16_sdwa v0, v0 dst_sel:DWORD dst_unused:UNUSED_PAD src0_sel:WORD_1
	v_add_f32_e32 v79, s33, v0
	v_cmp_ge_f32_e32 vcc, s82, v79
	s_and_b64 s[2:3], s[80:81], vcc
	s_and_saveexec_b64 s[22:23], s[2:3]
	s_cbranch_execz .LBB115_25
; %bb.24:                               ;   in Loop: Header=BB115_13 Depth=1
	v_mul_f32_e32 v0, 0x3fb8aa3b, v79
	v_rndne_f32_e32 v1, v0
	s_mov_b32 s1, 0x3fb8aa3b
	v_sub_f32_e32 v2, v0, v1
	v_fma_f32 v0, v79, s1, -v0
	v_fmac_f32_e32 v0, 0x32a5705f, v79
	v_add_f32_e32 v0, v2, v0
	v_cvt_i32_f32_e32 v1, v1
	v_exp_f32_e32 v0, v0
	s_mov_b32 s1, 0xc2ce8ed0
	v_cmp_ngt_f32_e32 vcc, s1, v79
	s_mov_b32 s1, 0x42b17218
	v_ldexp_f32 v0, v0, v1
	v_cndmask_b32_e32 v0, 0, v0, vcc
	v_cmp_nlt_f32_e32 vcc, s1, v79
	v_mov_b32_e32 v1, 0x7f800000
	s_mov_b32 s1, 0x7f800000
	v_cndmask_b32_e32 v16, v1, v0, vcc
	v_add_f32_e32 v2, 1.0, v16
	v_add_f32_e32 v0, -1.0, v2
	v_sub_f32_e32 v1, v0, v2
	v_add_f32_e32 v1, 1.0, v1
	v_sub_f32_e32 v0, v16, v0
	v_add_f32_e32 v3, v0, v1
	v_frexp_mant_f32_e32 v4, v2
	v_cvt_f64_f32_e32 v[0:1], v2
	v_frexp_exp_i32_f64_e32 v0, v[0:1]
	v_cmp_gt_f32_e32 vcc, s56, v4
	v_cmp_gt_f32_e64 s[2:3], s83, v16
	s_nop 0
	v_subbrev_co_u32_e32 v8, vcc, 0, v0, vcc
	v_sub_u32_e32 v0, 0, v8
	v_ldexp_f32 v1, v2, v0
	v_add_f32_e32 v2, -1.0, v1
	v_add_f32_e32 v4, 1.0, v1
	v_ldexp_f32 v0, v3, v0
	v_add_f32_e32 v3, 1.0, v2
	v_add_f32_e32 v5, -1.0, v4
	v_sub_f32_e32 v3, v1, v3
	v_sub_f32_e32 v1, v1, v5
	v_add_f32_e32 v3, v0, v3
	v_add_f32_e32 v0, v0, v1
	;; [unrolled: 1-line block ×3, first 2 shown]
	v_rcp_f32_e32 v11, v9
	v_sub_f32_e32 v1, v4, v9
	v_add_f32_e32 v10, v0, v1
	v_add_f32_e32 v1, v2, v3
	v_mul_f32_e32 v13, v1, v11
	v_sub_f32_e32 v0, v2, v1
	v_mul_f32_e32 v2, v9, v13
	v_fma_f32 v4, v13, v9, -v2
	v_fmac_f32_e32 v4, v13, v10
	v_add_f32_e32 v12, v3, v0
	v_add_f32_e32 v0, v2, v4
	v_sub_f32_e32 v3, v1, v0
	v_pk_add_f32 v[6:7], v[0:1], v[2:3] neg_lo:[0,1] neg_hi:[0,1]
	v_mov_b32_e32 v5, v0
	v_pk_add_f32 v[0:1], v[6:7], v[4:5] neg_lo:[0,1] neg_hi:[0,1]
	v_cmp_eq_f32_e32 vcc, s1, v16
	v_add_f32_e32 v1, v12, v1
	v_add_f32_e32 v0, v0, v1
	;; [unrolled: 1-line block ×3, first 2 shown]
	v_mul_f32_e32 v12, v11, v1
	v_mul_f32_e32 v2, v9, v12
	v_fma_f32 v4, v12, v9, -v2
	v_fmac_f32_e32 v4, v12, v10
	v_sub_f32_e32 v3, v3, v1
	v_add_f32_e32 v9, v0, v3
	v_add_f32_e32 v0, v2, v4
	v_sub_f32_e32 v3, v1, v0
	v_pk_add_f32 v[6:7], v[0:1], v[2:3] neg_lo:[0,1] neg_hi:[0,1]
	v_mov_b32_e32 v5, v0
	v_pk_add_f32 v[0:1], v[6:7], v[4:5] neg_lo:[0,1] neg_hi:[0,1]
	scratch_load_dwordx2 v[6:7], off, off offset:56 ; 8-byte Folded Reload
	v_add_f32_e32 v1, v9, v1
	v_add_f32_e32 v0, v0, v1
	;; [unrolled: 1-line block ×4, first 2 shown]
	v_sub_f32_e32 v2, v1, v13
	v_mul_f32_e32 v0, v11, v0
	v_sub_f32_e32 v2, v12, v2
	v_add_f32_e32 v2, v2, v0
	v_add_f32_e32 v4, v1, v2
	v_mul_f32_e32 v5, v4, v4
	v_mov_b32_e32 v0, 0x3ecc95a3
	v_fmamk_f32 v0, v5, 0x3e9b6dac, v0
	v_fmaak_f32 v11, v5, v0, 0x3f2aaada
	v_cvt_f32_i32_e32 v0, v8
	v_sub_f32_e32 v1, v4, v1
	v_sub_f32_e32 v1, v2, v1
	v_ldexp_f32 v3, v4, 1
	s_or_b64 vcc, s[2:3], vcc
	s_waitcnt vmcnt(0)
	v_mov_b32_e32 v10, v6
	v_ldexp_f32 v6, v1, 1
	v_mul_f32_e32 v1, v4, v5
	v_mov_b32_e32 v2, v10
	v_pk_mul_f32 v[4:5], v[0:1], v[10:11]
	scratch_store_dwordx2 off, v[2:3], off offset:56 ; 8-byte Folded Spill
	v_fma_f32 v2, v0, s57, -v4
	v_fmac_f32_e32 v2, 0xb102e308, v0
	v_pk_add_f32 v[0:1], v[4:5], v[2:3]
	s_nop 0
	v_sub_f32_e32 v3, v1, v3
	v_sub_f32_e32 v3, v5, v3
	v_add_f32_e32 v7, v6, v3
	v_mov_b32_e32 v6, v4
	v_pk_add_f32 v[4:5], v[0:1], v[4:5] neg_lo:[0,1] neg_hi:[0,1]
	v_pk_add_f32 v[8:9], v[0:1], v[6:7]
	v_mov_b32_e32 v3, v0
	v_mov_b32_e32 v5, v9
	v_pk_add_f32 v[10:11], v[2:3], v[4:5] neg_lo:[0,1] neg_hi:[0,1]
	v_pk_add_f32 v[2:3], v[2:3], v[4:5]
	v_mov_b32_e32 v6, v7
	v_mov_b32_e32 v4, v3
	v_pk_add_f32 v[12:13], v[4:5], v[0:1] neg_lo:[0,1] neg_hi:[0,1]
	v_mov_b32_e32 v2, v9
	v_mov_b32_e32 v5, v12
	v_pk_add_f32 v[14:15], v[8:9], v[4:5] neg_lo:[0,1] neg_hi:[0,1]
	v_mov_b32_e32 v8, v1
	v_mov_b32_e32 v9, v12
	v_mov_b32_e32 v11, v3
	v_pk_add_f32 v[2:3], v[2:3], v[8:9] neg_lo:[0,1] neg_hi:[0,1]
	v_mov_b32_e32 v7, v0
	v_pk_add_f32 v[0:1], v[6:7], v[2:3] neg_lo:[0,1] neg_hi:[0,1]
	v_mov_b32_e32 v14, v10
	v_pk_add_f32 v[2:3], v[14:15], v[0:1]
	s_nop 0
	v_mov_b32_e32 v6, v3
	v_pk_add_f32 v[6:7], v[2:3], v[6:7]
	s_nop 0
	v_pk_add_f32 v[4:5], v[4:5], v[6:7]
	v_mov_b32_e32 v1, v6
	v_mov_b32_e32 v3, v4
	v_pk_add_f32 v[8:9], v[2:3], v[10:11] neg_lo:[0,1] neg_hi:[0,1]
	s_nop 0
	v_sub_f32_e32 v2, v2, v8
	v_pk_add_f32 v[0:1], v[0:1], v[8:9] neg_lo:[0,1] neg_hi:[0,1]
	v_sub_f32_e32 v2, v10, v2
	v_add_f32_e32 v0, v0, v2
	v_add_f32_e32 v0, v0, v1
	;; [unrolled: 1-line block ×3, first 2 shown]
	v_cndmask_b32_e32 v79, v0, v16, vcc
.LBB115_25:                             ;   in Loop: Header=BB115_13 Depth=1
	s_or_b64 exec, exec, s[22:23]
	scratch_load_dwordx4 v[0:3], off, off offset:64 ; 16-byte Folded Reload
	s_waitcnt vmcnt(0)
	v_cvt_f32_f16_e32 v0, v1
	v_add_f32_e32 v80, s33, v0
	v_cmp_ge_f32_e32 vcc, s82, v80
	s_and_b64 s[2:3], s[80:81], vcc
	s_and_saveexec_b64 s[22:23], s[2:3]
	s_cbranch_execz .LBB115_27
; %bb.26:                               ;   in Loop: Header=BB115_13 Depth=1
	v_mul_f32_e32 v0, 0x3fb8aa3b, v80
	v_rndne_f32_e32 v1, v0
	s_mov_b32 s1, 0x3fb8aa3b
	v_sub_f32_e32 v2, v0, v1
	v_fma_f32 v0, v80, s1, -v0
	v_fmac_f32_e32 v0, 0x32a5705f, v80
	v_add_f32_e32 v0, v2, v0
	v_cvt_i32_f32_e32 v1, v1
	v_exp_f32_e32 v0, v0
	s_mov_b32 s1, 0xc2ce8ed0
	v_cmp_ngt_f32_e32 vcc, s1, v80
	s_mov_b32 s1, 0x42b17218
	v_ldexp_f32 v0, v0, v1
	v_cndmask_b32_e32 v0, 0, v0, vcc
	v_cmp_nlt_f32_e32 vcc, s1, v80
	v_mov_b32_e32 v1, 0x7f800000
	s_mov_b32 s1, 0x7f800000
	v_cndmask_b32_e32 v16, v1, v0, vcc
	v_add_f32_e32 v2, 1.0, v16
	v_add_f32_e32 v0, -1.0, v2
	v_sub_f32_e32 v1, v0, v2
	v_add_f32_e32 v1, 1.0, v1
	v_sub_f32_e32 v0, v16, v0
	v_add_f32_e32 v3, v0, v1
	v_frexp_mant_f32_e32 v4, v2
	v_cvt_f64_f32_e32 v[0:1], v2
	v_frexp_exp_i32_f64_e32 v0, v[0:1]
	v_cmp_gt_f32_e32 vcc, s56, v4
	v_cmp_gt_f32_e64 s[2:3], s83, v16
	s_nop 0
	v_subbrev_co_u32_e32 v8, vcc, 0, v0, vcc
	v_sub_u32_e32 v0, 0, v8
	v_ldexp_f32 v1, v2, v0
	v_add_f32_e32 v2, -1.0, v1
	v_add_f32_e32 v4, 1.0, v1
	v_ldexp_f32 v0, v3, v0
	v_add_f32_e32 v3, 1.0, v2
	v_add_f32_e32 v5, -1.0, v4
	v_sub_f32_e32 v3, v1, v3
	v_sub_f32_e32 v1, v1, v5
	v_add_f32_e32 v3, v0, v3
	v_add_f32_e32 v0, v0, v1
	;; [unrolled: 1-line block ×3, first 2 shown]
	v_rcp_f32_e32 v11, v9
	v_sub_f32_e32 v1, v4, v9
	v_add_f32_e32 v10, v0, v1
	v_add_f32_e32 v1, v2, v3
	v_mul_f32_e32 v13, v1, v11
	v_sub_f32_e32 v0, v2, v1
	v_mul_f32_e32 v2, v9, v13
	v_fma_f32 v4, v13, v9, -v2
	v_fmac_f32_e32 v4, v13, v10
	v_add_f32_e32 v12, v3, v0
	v_add_f32_e32 v0, v2, v4
	v_sub_f32_e32 v3, v1, v0
	v_pk_add_f32 v[6:7], v[0:1], v[2:3] neg_lo:[0,1] neg_hi:[0,1]
	v_mov_b32_e32 v5, v0
	v_pk_add_f32 v[0:1], v[6:7], v[4:5] neg_lo:[0,1] neg_hi:[0,1]
	v_cmp_eq_f32_e32 vcc, s1, v16
	v_add_f32_e32 v1, v12, v1
	v_add_f32_e32 v0, v0, v1
	;; [unrolled: 1-line block ×3, first 2 shown]
	v_mul_f32_e32 v12, v11, v1
	v_mul_f32_e32 v2, v9, v12
	v_fma_f32 v4, v12, v9, -v2
	v_fmac_f32_e32 v4, v12, v10
	v_sub_f32_e32 v3, v3, v1
	v_add_f32_e32 v9, v0, v3
	v_add_f32_e32 v0, v2, v4
	v_sub_f32_e32 v3, v1, v0
	v_pk_add_f32 v[6:7], v[0:1], v[2:3] neg_lo:[0,1] neg_hi:[0,1]
	v_mov_b32_e32 v5, v0
	v_pk_add_f32 v[0:1], v[6:7], v[4:5] neg_lo:[0,1] neg_hi:[0,1]
	scratch_load_dwordx2 v[6:7], off, off offset:56 ; 8-byte Folded Reload
	v_add_f32_e32 v1, v9, v1
	v_add_f32_e32 v0, v0, v1
	;; [unrolled: 1-line block ×4, first 2 shown]
	v_sub_f32_e32 v2, v1, v13
	v_mul_f32_e32 v0, v11, v0
	v_sub_f32_e32 v2, v12, v2
	v_add_f32_e32 v2, v2, v0
	v_add_f32_e32 v4, v1, v2
	v_mul_f32_e32 v5, v4, v4
	v_mov_b32_e32 v0, 0x3ecc95a3
	v_fmamk_f32 v0, v5, 0x3e9b6dac, v0
	v_fmaak_f32 v11, v5, v0, 0x3f2aaada
	v_cvt_f32_i32_e32 v0, v8
	v_sub_f32_e32 v1, v4, v1
	v_sub_f32_e32 v1, v2, v1
	v_ldexp_f32 v3, v4, 1
	s_or_b64 vcc, s[2:3], vcc
	s_waitcnt vmcnt(0)
	v_mov_b32_e32 v10, v6
	v_ldexp_f32 v6, v1, 1
	v_mul_f32_e32 v1, v4, v5
	v_mov_b32_e32 v2, v10
	v_pk_mul_f32 v[4:5], v[0:1], v[10:11]
	scratch_store_dwordx2 off, v[2:3], off offset:56 ; 8-byte Folded Spill
	v_fma_f32 v2, v0, s57, -v4
	v_fmac_f32_e32 v2, 0xb102e308, v0
	v_pk_add_f32 v[0:1], v[4:5], v[2:3]
	s_nop 0
	v_sub_f32_e32 v3, v1, v3
	v_sub_f32_e32 v3, v5, v3
	v_add_f32_e32 v7, v6, v3
	v_mov_b32_e32 v6, v4
	v_pk_add_f32 v[4:5], v[0:1], v[4:5] neg_lo:[0,1] neg_hi:[0,1]
	v_pk_add_f32 v[8:9], v[0:1], v[6:7]
	v_mov_b32_e32 v3, v0
	v_mov_b32_e32 v5, v9
	v_pk_add_f32 v[10:11], v[2:3], v[4:5] neg_lo:[0,1] neg_hi:[0,1]
	v_pk_add_f32 v[2:3], v[2:3], v[4:5]
	v_mov_b32_e32 v6, v7
	v_mov_b32_e32 v4, v3
	v_pk_add_f32 v[12:13], v[4:5], v[0:1] neg_lo:[0,1] neg_hi:[0,1]
	v_mov_b32_e32 v2, v9
	v_mov_b32_e32 v5, v12
	v_pk_add_f32 v[14:15], v[8:9], v[4:5] neg_lo:[0,1] neg_hi:[0,1]
	v_mov_b32_e32 v8, v1
	v_mov_b32_e32 v9, v12
	;; [unrolled: 1-line block ×3, first 2 shown]
	v_pk_add_f32 v[2:3], v[2:3], v[8:9] neg_lo:[0,1] neg_hi:[0,1]
	v_mov_b32_e32 v7, v0
	v_pk_add_f32 v[0:1], v[6:7], v[2:3] neg_lo:[0,1] neg_hi:[0,1]
	v_mov_b32_e32 v14, v10
	v_pk_add_f32 v[2:3], v[14:15], v[0:1]
	s_nop 0
	v_mov_b32_e32 v6, v3
	v_pk_add_f32 v[6:7], v[2:3], v[6:7]
	s_nop 0
	v_pk_add_f32 v[4:5], v[4:5], v[6:7]
	v_mov_b32_e32 v1, v6
	v_mov_b32_e32 v3, v4
	v_pk_add_f32 v[8:9], v[2:3], v[10:11] neg_lo:[0,1] neg_hi:[0,1]
	s_nop 0
	v_sub_f32_e32 v2, v2, v8
	v_pk_add_f32 v[0:1], v[0:1], v[8:9] neg_lo:[0,1] neg_hi:[0,1]
	v_sub_f32_e32 v2, v10, v2
	v_add_f32_e32 v0, v0, v2
	v_add_f32_e32 v0, v0, v1
	;; [unrolled: 1-line block ×3, first 2 shown]
	v_cndmask_b32_e32 v80, v0, v16, vcc
.LBB115_27:                             ;   in Loop: Header=BB115_13 Depth=1
	s_or_b64 exec, exec, s[22:23]
	scratch_load_dwordx4 v[0:3], off, off offset:64 ; 16-byte Folded Reload
	s_waitcnt vmcnt(0)
	v_cvt_f32_f16_sdwa v0, v1 dst_sel:DWORD dst_unused:UNUSED_PAD src0_sel:WORD_1
	v_add_f32_e32 v81, s33, v0
	v_cmp_ge_f32_e32 vcc, s82, v81
	s_and_b64 s[2:3], s[80:81], vcc
	s_and_saveexec_b64 s[22:23], s[2:3]
	s_cbranch_execz .LBB115_29
; %bb.28:                               ;   in Loop: Header=BB115_13 Depth=1
	v_mul_f32_e32 v0, 0x3fb8aa3b, v81
	v_rndne_f32_e32 v1, v0
	s_mov_b32 s1, 0x3fb8aa3b
	v_sub_f32_e32 v2, v0, v1
	v_fma_f32 v0, v81, s1, -v0
	v_fmac_f32_e32 v0, 0x32a5705f, v81
	v_add_f32_e32 v0, v2, v0
	v_cvt_i32_f32_e32 v1, v1
	v_exp_f32_e32 v0, v0
	s_mov_b32 s1, 0xc2ce8ed0
	v_cmp_ngt_f32_e32 vcc, s1, v81
	s_mov_b32 s1, 0x42b17218
	v_ldexp_f32 v0, v0, v1
	v_cndmask_b32_e32 v0, 0, v0, vcc
	v_cmp_nlt_f32_e32 vcc, s1, v81
	v_mov_b32_e32 v1, 0x7f800000
	s_mov_b32 s1, 0x7f800000
	v_cndmask_b32_e32 v16, v1, v0, vcc
	v_add_f32_e32 v2, 1.0, v16
	v_add_f32_e32 v0, -1.0, v2
	v_sub_f32_e32 v1, v0, v2
	v_add_f32_e32 v1, 1.0, v1
	v_sub_f32_e32 v0, v16, v0
	v_add_f32_e32 v3, v0, v1
	v_frexp_mant_f32_e32 v4, v2
	v_cvt_f64_f32_e32 v[0:1], v2
	v_frexp_exp_i32_f64_e32 v0, v[0:1]
	v_cmp_gt_f32_e32 vcc, s56, v4
	v_cmp_gt_f32_e64 s[2:3], s83, v16
	s_nop 0
	v_subbrev_co_u32_e32 v8, vcc, 0, v0, vcc
	v_sub_u32_e32 v0, 0, v8
	v_ldexp_f32 v1, v2, v0
	v_add_f32_e32 v2, -1.0, v1
	v_add_f32_e32 v4, 1.0, v1
	v_ldexp_f32 v0, v3, v0
	v_add_f32_e32 v3, 1.0, v2
	v_add_f32_e32 v5, -1.0, v4
	v_sub_f32_e32 v3, v1, v3
	v_sub_f32_e32 v1, v1, v5
	v_add_f32_e32 v3, v0, v3
	v_add_f32_e32 v0, v0, v1
	;; [unrolled: 1-line block ×3, first 2 shown]
	v_rcp_f32_e32 v11, v9
	v_sub_f32_e32 v1, v4, v9
	v_add_f32_e32 v10, v0, v1
	v_add_f32_e32 v1, v2, v3
	v_mul_f32_e32 v13, v1, v11
	v_sub_f32_e32 v0, v2, v1
	v_mul_f32_e32 v2, v9, v13
	v_fma_f32 v4, v13, v9, -v2
	v_fmac_f32_e32 v4, v13, v10
	v_add_f32_e32 v12, v3, v0
	v_add_f32_e32 v0, v2, v4
	v_sub_f32_e32 v3, v1, v0
	v_pk_add_f32 v[6:7], v[0:1], v[2:3] neg_lo:[0,1] neg_hi:[0,1]
	v_mov_b32_e32 v5, v0
	v_pk_add_f32 v[0:1], v[6:7], v[4:5] neg_lo:[0,1] neg_hi:[0,1]
	v_cmp_eq_f32_e32 vcc, s1, v16
	v_add_f32_e32 v1, v12, v1
	v_add_f32_e32 v0, v0, v1
	;; [unrolled: 1-line block ×3, first 2 shown]
	v_mul_f32_e32 v12, v11, v1
	v_mul_f32_e32 v2, v9, v12
	v_fma_f32 v4, v12, v9, -v2
	v_fmac_f32_e32 v4, v12, v10
	v_sub_f32_e32 v3, v3, v1
	v_add_f32_e32 v9, v0, v3
	v_add_f32_e32 v0, v2, v4
	v_sub_f32_e32 v3, v1, v0
	v_pk_add_f32 v[6:7], v[0:1], v[2:3] neg_lo:[0,1] neg_hi:[0,1]
	v_mov_b32_e32 v5, v0
	v_pk_add_f32 v[0:1], v[6:7], v[4:5] neg_lo:[0,1] neg_hi:[0,1]
	scratch_load_dwordx2 v[6:7], off, off offset:56 ; 8-byte Folded Reload
	v_add_f32_e32 v1, v9, v1
	v_add_f32_e32 v0, v0, v1
	v_add_f32_e32 v1, v13, v12
	v_add_f32_e32 v0, v3, v0
	v_sub_f32_e32 v2, v1, v13
	v_mul_f32_e32 v0, v11, v0
	v_sub_f32_e32 v2, v12, v2
	v_add_f32_e32 v2, v2, v0
	v_add_f32_e32 v4, v1, v2
	v_mul_f32_e32 v5, v4, v4
	v_mov_b32_e32 v0, 0x3ecc95a3
	v_fmamk_f32 v0, v5, 0x3e9b6dac, v0
	v_fmaak_f32 v11, v5, v0, 0x3f2aaada
	v_cvt_f32_i32_e32 v0, v8
	v_sub_f32_e32 v1, v4, v1
	v_sub_f32_e32 v1, v2, v1
	v_ldexp_f32 v3, v4, 1
	s_or_b64 vcc, s[2:3], vcc
	s_waitcnt vmcnt(0)
	v_mov_b32_e32 v10, v6
	v_ldexp_f32 v6, v1, 1
	v_mul_f32_e32 v1, v4, v5
	v_mov_b32_e32 v2, v10
	v_pk_mul_f32 v[4:5], v[0:1], v[10:11]
	scratch_store_dwordx2 off, v[2:3], off offset:56 ; 8-byte Folded Spill
	v_fma_f32 v2, v0, s57, -v4
	v_fmac_f32_e32 v2, 0xb102e308, v0
	v_pk_add_f32 v[0:1], v[4:5], v[2:3]
	s_nop 0
	v_sub_f32_e32 v3, v1, v3
	v_sub_f32_e32 v3, v5, v3
	v_add_f32_e32 v7, v6, v3
	v_mov_b32_e32 v6, v4
	v_pk_add_f32 v[4:5], v[0:1], v[4:5] neg_lo:[0,1] neg_hi:[0,1]
	v_pk_add_f32 v[8:9], v[0:1], v[6:7]
	v_mov_b32_e32 v3, v0
	v_mov_b32_e32 v5, v9
	v_pk_add_f32 v[10:11], v[2:3], v[4:5] neg_lo:[0,1] neg_hi:[0,1]
	v_pk_add_f32 v[2:3], v[2:3], v[4:5]
	v_mov_b32_e32 v6, v7
	v_mov_b32_e32 v4, v3
	v_pk_add_f32 v[12:13], v[4:5], v[0:1] neg_lo:[0,1] neg_hi:[0,1]
	v_mov_b32_e32 v2, v9
	v_mov_b32_e32 v5, v12
	v_pk_add_f32 v[14:15], v[8:9], v[4:5] neg_lo:[0,1] neg_hi:[0,1]
	v_mov_b32_e32 v8, v1
	v_mov_b32_e32 v9, v12
	;; [unrolled: 1-line block ×3, first 2 shown]
	v_pk_add_f32 v[2:3], v[2:3], v[8:9] neg_lo:[0,1] neg_hi:[0,1]
	v_mov_b32_e32 v7, v0
	v_pk_add_f32 v[0:1], v[6:7], v[2:3] neg_lo:[0,1] neg_hi:[0,1]
	v_mov_b32_e32 v14, v10
	v_pk_add_f32 v[2:3], v[14:15], v[0:1]
	s_nop 0
	v_mov_b32_e32 v6, v3
	v_pk_add_f32 v[6:7], v[2:3], v[6:7]
	s_nop 0
	v_pk_add_f32 v[4:5], v[4:5], v[6:7]
	v_mov_b32_e32 v1, v6
	v_mov_b32_e32 v3, v4
	v_pk_add_f32 v[8:9], v[2:3], v[10:11] neg_lo:[0,1] neg_hi:[0,1]
	s_nop 0
	v_sub_f32_e32 v2, v2, v8
	v_pk_add_f32 v[0:1], v[0:1], v[8:9] neg_lo:[0,1] neg_hi:[0,1]
	v_sub_f32_e32 v2, v10, v2
	v_add_f32_e32 v0, v0, v2
	v_add_f32_e32 v0, v0, v1
	;; [unrolled: 1-line block ×3, first 2 shown]
	v_cndmask_b32_e32 v81, v0, v16, vcc
.LBB115_29:                             ;   in Loop: Header=BB115_13 Depth=1
	s_or_b64 exec, exec, s[22:23]
	scratch_load_dwordx4 v[0:3], off, off offset:64 ; 16-byte Folded Reload
	s_waitcnt vmcnt(0)
	v_cvt_f32_f16_e32 v0, v2
	v_add_f32_e32 v82, s33, v0
	v_cmp_ge_f32_e32 vcc, s82, v82
	s_and_b64 s[2:3], s[80:81], vcc
	s_and_saveexec_b64 s[22:23], s[2:3]
	s_cbranch_execz .LBB115_31
; %bb.30:                               ;   in Loop: Header=BB115_13 Depth=1
	v_mul_f32_e32 v0, 0x3fb8aa3b, v82
	v_rndne_f32_e32 v1, v0
	s_mov_b32 s1, 0x3fb8aa3b
	v_sub_f32_e32 v2, v0, v1
	v_fma_f32 v0, v82, s1, -v0
	v_fmac_f32_e32 v0, 0x32a5705f, v82
	v_add_f32_e32 v0, v2, v0
	v_cvt_i32_f32_e32 v1, v1
	v_exp_f32_e32 v0, v0
	s_mov_b32 s1, 0xc2ce8ed0
	v_cmp_ngt_f32_e32 vcc, s1, v82
	s_mov_b32 s1, 0x42b17218
	v_ldexp_f32 v0, v0, v1
	v_cndmask_b32_e32 v0, 0, v0, vcc
	v_cmp_nlt_f32_e32 vcc, s1, v82
	v_mov_b32_e32 v1, 0x7f800000
	s_mov_b32 s1, 0x7f800000
	v_cndmask_b32_e32 v16, v1, v0, vcc
	v_add_f32_e32 v2, 1.0, v16
	v_add_f32_e32 v0, -1.0, v2
	v_sub_f32_e32 v1, v0, v2
	v_add_f32_e32 v1, 1.0, v1
	v_sub_f32_e32 v0, v16, v0
	v_add_f32_e32 v3, v0, v1
	v_frexp_mant_f32_e32 v4, v2
	v_cvt_f64_f32_e32 v[0:1], v2
	v_frexp_exp_i32_f64_e32 v0, v[0:1]
	v_cmp_gt_f32_e32 vcc, s56, v4
	v_cmp_gt_f32_e64 s[2:3], s83, v16
	s_nop 0
	v_subbrev_co_u32_e32 v8, vcc, 0, v0, vcc
	v_sub_u32_e32 v0, 0, v8
	v_ldexp_f32 v1, v2, v0
	v_add_f32_e32 v2, -1.0, v1
	v_add_f32_e32 v4, 1.0, v1
	v_ldexp_f32 v0, v3, v0
	v_add_f32_e32 v3, 1.0, v2
	v_add_f32_e32 v5, -1.0, v4
	v_sub_f32_e32 v3, v1, v3
	v_sub_f32_e32 v1, v1, v5
	v_add_f32_e32 v3, v0, v3
	v_add_f32_e32 v0, v0, v1
	v_add_f32_e32 v9, v4, v0
	v_rcp_f32_e32 v11, v9
	v_sub_f32_e32 v1, v4, v9
	v_add_f32_e32 v10, v0, v1
	v_add_f32_e32 v1, v2, v3
	v_mul_f32_e32 v13, v1, v11
	v_sub_f32_e32 v0, v2, v1
	v_mul_f32_e32 v2, v9, v13
	v_fma_f32 v4, v13, v9, -v2
	v_fmac_f32_e32 v4, v13, v10
	v_add_f32_e32 v12, v3, v0
	v_add_f32_e32 v0, v2, v4
	v_sub_f32_e32 v3, v1, v0
	v_pk_add_f32 v[6:7], v[0:1], v[2:3] neg_lo:[0,1] neg_hi:[0,1]
	v_mov_b32_e32 v5, v0
	v_pk_add_f32 v[0:1], v[6:7], v[4:5] neg_lo:[0,1] neg_hi:[0,1]
	v_cmp_eq_f32_e32 vcc, s1, v16
	v_add_f32_e32 v1, v12, v1
	v_add_f32_e32 v0, v0, v1
	;; [unrolled: 1-line block ×3, first 2 shown]
	v_mul_f32_e32 v12, v11, v1
	v_mul_f32_e32 v2, v9, v12
	v_fma_f32 v4, v12, v9, -v2
	v_fmac_f32_e32 v4, v12, v10
	v_sub_f32_e32 v3, v3, v1
	v_add_f32_e32 v9, v0, v3
	v_add_f32_e32 v0, v2, v4
	v_sub_f32_e32 v3, v1, v0
	v_pk_add_f32 v[6:7], v[0:1], v[2:3] neg_lo:[0,1] neg_hi:[0,1]
	v_mov_b32_e32 v5, v0
	v_pk_add_f32 v[0:1], v[6:7], v[4:5] neg_lo:[0,1] neg_hi:[0,1]
	scratch_load_dwordx2 v[6:7], off, off offset:56 ; 8-byte Folded Reload
	v_add_f32_e32 v1, v9, v1
	v_add_f32_e32 v0, v0, v1
	;; [unrolled: 1-line block ×4, first 2 shown]
	v_sub_f32_e32 v2, v1, v13
	v_mul_f32_e32 v0, v11, v0
	v_sub_f32_e32 v2, v12, v2
	v_add_f32_e32 v2, v2, v0
	v_add_f32_e32 v4, v1, v2
	v_mul_f32_e32 v5, v4, v4
	v_mov_b32_e32 v0, 0x3ecc95a3
	v_fmamk_f32 v0, v5, 0x3e9b6dac, v0
	v_fmaak_f32 v11, v5, v0, 0x3f2aaada
	v_cvt_f32_i32_e32 v0, v8
	v_sub_f32_e32 v1, v4, v1
	v_sub_f32_e32 v1, v2, v1
	v_ldexp_f32 v3, v4, 1
	s_or_b64 vcc, s[2:3], vcc
	s_waitcnt vmcnt(0)
	v_mov_b32_e32 v10, v6
	v_ldexp_f32 v6, v1, 1
	v_mul_f32_e32 v1, v4, v5
	v_mov_b32_e32 v2, v10
	v_pk_mul_f32 v[4:5], v[0:1], v[10:11]
	scratch_store_dwordx2 off, v[2:3], off offset:56 ; 8-byte Folded Spill
	v_fma_f32 v2, v0, s57, -v4
	v_fmac_f32_e32 v2, 0xb102e308, v0
	v_pk_add_f32 v[0:1], v[4:5], v[2:3]
	s_nop 0
	v_sub_f32_e32 v3, v1, v3
	v_sub_f32_e32 v3, v5, v3
	v_add_f32_e32 v7, v6, v3
	v_mov_b32_e32 v6, v4
	v_pk_add_f32 v[4:5], v[0:1], v[4:5] neg_lo:[0,1] neg_hi:[0,1]
	v_pk_add_f32 v[8:9], v[0:1], v[6:7]
	v_mov_b32_e32 v3, v0
	v_mov_b32_e32 v5, v9
	v_pk_add_f32 v[10:11], v[2:3], v[4:5] neg_lo:[0,1] neg_hi:[0,1]
	v_pk_add_f32 v[2:3], v[2:3], v[4:5]
	v_mov_b32_e32 v6, v7
	v_mov_b32_e32 v4, v3
	v_pk_add_f32 v[12:13], v[4:5], v[0:1] neg_lo:[0,1] neg_hi:[0,1]
	v_mov_b32_e32 v2, v9
	v_mov_b32_e32 v5, v12
	v_pk_add_f32 v[14:15], v[8:9], v[4:5] neg_lo:[0,1] neg_hi:[0,1]
	v_mov_b32_e32 v8, v1
	v_mov_b32_e32 v9, v12
	;; [unrolled: 1-line block ×3, first 2 shown]
	v_pk_add_f32 v[2:3], v[2:3], v[8:9] neg_lo:[0,1] neg_hi:[0,1]
	v_mov_b32_e32 v7, v0
	v_pk_add_f32 v[0:1], v[6:7], v[2:3] neg_lo:[0,1] neg_hi:[0,1]
	v_mov_b32_e32 v14, v10
	v_pk_add_f32 v[2:3], v[14:15], v[0:1]
	s_nop 0
	v_mov_b32_e32 v6, v3
	v_pk_add_f32 v[6:7], v[2:3], v[6:7]
	s_nop 0
	v_pk_add_f32 v[4:5], v[4:5], v[6:7]
	v_mov_b32_e32 v1, v6
	v_mov_b32_e32 v3, v4
	v_pk_add_f32 v[8:9], v[2:3], v[10:11] neg_lo:[0,1] neg_hi:[0,1]
	s_nop 0
	v_sub_f32_e32 v2, v2, v8
	v_pk_add_f32 v[0:1], v[0:1], v[8:9] neg_lo:[0,1] neg_hi:[0,1]
	v_sub_f32_e32 v2, v10, v2
	v_add_f32_e32 v0, v0, v2
	v_add_f32_e32 v0, v0, v1
	;; [unrolled: 1-line block ×3, first 2 shown]
	v_cndmask_b32_e32 v82, v0, v16, vcc
.LBB115_31:                             ;   in Loop: Header=BB115_13 Depth=1
	s_or_b64 exec, exec, s[22:23]
	scratch_load_dwordx4 v[0:3], off, off offset:64 ; 16-byte Folded Reload
	s_waitcnt vmcnt(0)
	v_cvt_f32_f16_sdwa v0, v2 dst_sel:DWORD dst_unused:UNUSED_PAD src0_sel:WORD_1
	v_add_f32_e32 v83, s33, v0
	v_cmp_ge_f32_e32 vcc, s82, v83
	s_and_b64 s[2:3], s[80:81], vcc
	s_and_saveexec_b64 s[22:23], s[2:3]
	s_cbranch_execz .LBB115_33
; %bb.32:                               ;   in Loop: Header=BB115_13 Depth=1
	v_mul_f32_e32 v0, 0x3fb8aa3b, v83
	v_rndne_f32_e32 v1, v0
	s_mov_b32 s1, 0x3fb8aa3b
	v_sub_f32_e32 v2, v0, v1
	v_fma_f32 v0, v83, s1, -v0
	v_fmac_f32_e32 v0, 0x32a5705f, v83
	v_add_f32_e32 v0, v2, v0
	v_cvt_i32_f32_e32 v1, v1
	v_exp_f32_e32 v0, v0
	s_mov_b32 s1, 0xc2ce8ed0
	v_cmp_ngt_f32_e32 vcc, s1, v83
	s_mov_b32 s1, 0x42b17218
	v_ldexp_f32 v0, v0, v1
	v_cndmask_b32_e32 v0, 0, v0, vcc
	v_cmp_nlt_f32_e32 vcc, s1, v83
	v_mov_b32_e32 v1, 0x7f800000
	s_mov_b32 s1, 0x7f800000
	v_cndmask_b32_e32 v16, v1, v0, vcc
	v_add_f32_e32 v2, 1.0, v16
	v_add_f32_e32 v0, -1.0, v2
	v_sub_f32_e32 v1, v0, v2
	v_add_f32_e32 v1, 1.0, v1
	v_sub_f32_e32 v0, v16, v0
	v_add_f32_e32 v3, v0, v1
	v_frexp_mant_f32_e32 v4, v2
	v_cvt_f64_f32_e32 v[0:1], v2
	v_frexp_exp_i32_f64_e32 v0, v[0:1]
	v_cmp_gt_f32_e32 vcc, s56, v4
	v_cmp_gt_f32_e64 s[2:3], s83, v16
	s_nop 0
	v_subbrev_co_u32_e32 v8, vcc, 0, v0, vcc
	v_sub_u32_e32 v0, 0, v8
	v_ldexp_f32 v1, v2, v0
	v_add_f32_e32 v2, -1.0, v1
	v_add_f32_e32 v4, 1.0, v1
	v_ldexp_f32 v0, v3, v0
	v_add_f32_e32 v3, 1.0, v2
	v_add_f32_e32 v5, -1.0, v4
	v_sub_f32_e32 v3, v1, v3
	v_sub_f32_e32 v1, v1, v5
	v_add_f32_e32 v3, v0, v3
	v_add_f32_e32 v0, v0, v1
	;; [unrolled: 1-line block ×3, first 2 shown]
	v_rcp_f32_e32 v11, v9
	v_sub_f32_e32 v1, v4, v9
	v_add_f32_e32 v10, v0, v1
	v_add_f32_e32 v1, v2, v3
	v_mul_f32_e32 v13, v1, v11
	v_sub_f32_e32 v0, v2, v1
	v_mul_f32_e32 v2, v9, v13
	v_fma_f32 v4, v13, v9, -v2
	v_fmac_f32_e32 v4, v13, v10
	v_add_f32_e32 v12, v3, v0
	v_add_f32_e32 v0, v2, v4
	v_sub_f32_e32 v3, v1, v0
	v_pk_add_f32 v[6:7], v[0:1], v[2:3] neg_lo:[0,1] neg_hi:[0,1]
	v_mov_b32_e32 v5, v0
	v_pk_add_f32 v[0:1], v[6:7], v[4:5] neg_lo:[0,1] neg_hi:[0,1]
	v_cmp_eq_f32_e32 vcc, s1, v16
	v_add_f32_e32 v1, v12, v1
	v_add_f32_e32 v0, v0, v1
	;; [unrolled: 1-line block ×3, first 2 shown]
	v_mul_f32_e32 v12, v11, v1
	v_mul_f32_e32 v2, v9, v12
	v_fma_f32 v4, v12, v9, -v2
	v_fmac_f32_e32 v4, v12, v10
	v_sub_f32_e32 v3, v3, v1
	v_add_f32_e32 v9, v0, v3
	v_add_f32_e32 v0, v2, v4
	v_sub_f32_e32 v3, v1, v0
	v_pk_add_f32 v[6:7], v[0:1], v[2:3] neg_lo:[0,1] neg_hi:[0,1]
	v_mov_b32_e32 v5, v0
	v_pk_add_f32 v[0:1], v[6:7], v[4:5] neg_lo:[0,1] neg_hi:[0,1]
	scratch_load_dwordx2 v[6:7], off, off offset:56 ; 8-byte Folded Reload
	v_add_f32_e32 v1, v9, v1
	v_add_f32_e32 v0, v0, v1
	;; [unrolled: 1-line block ×4, first 2 shown]
	v_sub_f32_e32 v2, v1, v13
	v_mul_f32_e32 v0, v11, v0
	v_sub_f32_e32 v2, v12, v2
	v_add_f32_e32 v2, v2, v0
	v_add_f32_e32 v4, v1, v2
	v_mul_f32_e32 v5, v4, v4
	v_mov_b32_e32 v0, 0x3ecc95a3
	v_fmamk_f32 v0, v5, 0x3e9b6dac, v0
	v_fmaak_f32 v11, v5, v0, 0x3f2aaada
	v_cvt_f32_i32_e32 v0, v8
	v_sub_f32_e32 v1, v4, v1
	v_sub_f32_e32 v1, v2, v1
	v_ldexp_f32 v3, v4, 1
	s_or_b64 vcc, s[2:3], vcc
	s_waitcnt vmcnt(0)
	v_mov_b32_e32 v10, v6
	v_ldexp_f32 v6, v1, 1
	v_mul_f32_e32 v1, v4, v5
	v_mov_b32_e32 v2, v10
	v_pk_mul_f32 v[4:5], v[0:1], v[10:11]
	scratch_store_dwordx2 off, v[2:3], off offset:56 ; 8-byte Folded Spill
	v_fma_f32 v2, v0, s57, -v4
	v_fmac_f32_e32 v2, 0xb102e308, v0
	v_pk_add_f32 v[0:1], v[4:5], v[2:3]
	s_nop 0
	v_sub_f32_e32 v3, v1, v3
	v_sub_f32_e32 v3, v5, v3
	v_add_f32_e32 v7, v6, v3
	v_mov_b32_e32 v6, v4
	v_pk_add_f32 v[4:5], v[0:1], v[4:5] neg_lo:[0,1] neg_hi:[0,1]
	v_pk_add_f32 v[8:9], v[0:1], v[6:7]
	v_mov_b32_e32 v3, v0
	v_mov_b32_e32 v5, v9
	v_pk_add_f32 v[10:11], v[2:3], v[4:5] neg_lo:[0,1] neg_hi:[0,1]
	v_pk_add_f32 v[2:3], v[2:3], v[4:5]
	v_mov_b32_e32 v6, v7
	v_mov_b32_e32 v4, v3
	v_pk_add_f32 v[12:13], v[4:5], v[0:1] neg_lo:[0,1] neg_hi:[0,1]
	v_mov_b32_e32 v2, v9
	v_mov_b32_e32 v5, v12
	v_pk_add_f32 v[14:15], v[8:9], v[4:5] neg_lo:[0,1] neg_hi:[0,1]
	v_mov_b32_e32 v8, v1
	v_mov_b32_e32 v9, v12
	;; [unrolled: 1-line block ×3, first 2 shown]
	v_pk_add_f32 v[2:3], v[2:3], v[8:9] neg_lo:[0,1] neg_hi:[0,1]
	v_mov_b32_e32 v7, v0
	v_pk_add_f32 v[0:1], v[6:7], v[2:3] neg_lo:[0,1] neg_hi:[0,1]
	v_mov_b32_e32 v14, v10
	v_pk_add_f32 v[2:3], v[14:15], v[0:1]
	s_nop 0
	v_mov_b32_e32 v6, v3
	v_pk_add_f32 v[6:7], v[2:3], v[6:7]
	s_nop 0
	v_pk_add_f32 v[4:5], v[4:5], v[6:7]
	v_mov_b32_e32 v1, v6
	v_mov_b32_e32 v3, v4
	v_pk_add_f32 v[8:9], v[2:3], v[10:11] neg_lo:[0,1] neg_hi:[0,1]
	s_nop 0
	v_sub_f32_e32 v2, v2, v8
	v_pk_add_f32 v[0:1], v[0:1], v[8:9] neg_lo:[0,1] neg_hi:[0,1]
	v_sub_f32_e32 v2, v10, v2
	v_add_f32_e32 v0, v0, v2
	v_add_f32_e32 v0, v0, v1
	;; [unrolled: 1-line block ×3, first 2 shown]
	v_cndmask_b32_e32 v83, v0, v16, vcc
.LBB115_33:                             ;   in Loop: Header=BB115_13 Depth=1
	s_or_b64 exec, exec, s[22:23]
	scratch_load_dwordx4 v[0:3], off, off offset:64 ; 16-byte Folded Reload
	s_waitcnt vmcnt(0)
	v_cvt_f32_f16_e32 v0, v3
	v_add_f32_e32 v84, s33, v0
	v_cmp_ge_f32_e32 vcc, s82, v84
	s_and_b64 s[2:3], s[80:81], vcc
	s_and_saveexec_b64 s[22:23], s[2:3]
	s_cbranch_execz .LBB115_35
; %bb.34:                               ;   in Loop: Header=BB115_13 Depth=1
	v_mul_f32_e32 v0, 0x3fb8aa3b, v84
	v_rndne_f32_e32 v1, v0
	s_mov_b32 s1, 0x3fb8aa3b
	v_sub_f32_e32 v2, v0, v1
	v_fma_f32 v0, v84, s1, -v0
	v_fmac_f32_e32 v0, 0x32a5705f, v84
	v_add_f32_e32 v0, v2, v0
	v_cvt_i32_f32_e32 v1, v1
	v_exp_f32_e32 v0, v0
	s_mov_b32 s1, 0xc2ce8ed0
	v_cmp_ngt_f32_e32 vcc, s1, v84
	s_mov_b32 s1, 0x42b17218
	v_ldexp_f32 v0, v0, v1
	v_cndmask_b32_e32 v0, 0, v0, vcc
	v_cmp_nlt_f32_e32 vcc, s1, v84
	v_mov_b32_e32 v1, 0x7f800000
	s_mov_b32 s1, 0x7f800000
	v_cndmask_b32_e32 v16, v1, v0, vcc
	v_add_f32_e32 v2, 1.0, v16
	v_add_f32_e32 v0, -1.0, v2
	v_sub_f32_e32 v1, v0, v2
	v_add_f32_e32 v1, 1.0, v1
	v_sub_f32_e32 v0, v16, v0
	v_add_f32_e32 v3, v0, v1
	v_frexp_mant_f32_e32 v4, v2
	v_cvt_f64_f32_e32 v[0:1], v2
	v_frexp_exp_i32_f64_e32 v0, v[0:1]
	v_cmp_gt_f32_e32 vcc, s56, v4
	v_cmp_gt_f32_e64 s[2:3], s83, v16
	s_nop 0
	v_subbrev_co_u32_e32 v8, vcc, 0, v0, vcc
	v_sub_u32_e32 v0, 0, v8
	v_ldexp_f32 v1, v2, v0
	v_add_f32_e32 v2, -1.0, v1
	v_add_f32_e32 v4, 1.0, v1
	v_ldexp_f32 v0, v3, v0
	v_add_f32_e32 v3, 1.0, v2
	v_add_f32_e32 v5, -1.0, v4
	v_sub_f32_e32 v3, v1, v3
	v_sub_f32_e32 v1, v1, v5
	v_add_f32_e32 v3, v0, v3
	v_add_f32_e32 v0, v0, v1
	v_add_f32_e32 v9, v4, v0
	v_rcp_f32_e32 v11, v9
	v_sub_f32_e32 v1, v4, v9
	v_add_f32_e32 v10, v0, v1
	v_add_f32_e32 v1, v2, v3
	v_mul_f32_e32 v13, v1, v11
	v_sub_f32_e32 v0, v2, v1
	v_mul_f32_e32 v2, v9, v13
	v_fma_f32 v4, v13, v9, -v2
	v_fmac_f32_e32 v4, v13, v10
	v_add_f32_e32 v12, v3, v0
	v_add_f32_e32 v0, v2, v4
	v_sub_f32_e32 v3, v1, v0
	v_pk_add_f32 v[6:7], v[0:1], v[2:3] neg_lo:[0,1] neg_hi:[0,1]
	v_mov_b32_e32 v5, v0
	v_pk_add_f32 v[0:1], v[6:7], v[4:5] neg_lo:[0,1] neg_hi:[0,1]
	v_cmp_eq_f32_e32 vcc, s1, v16
	v_add_f32_e32 v1, v12, v1
	v_add_f32_e32 v0, v0, v1
	;; [unrolled: 1-line block ×3, first 2 shown]
	v_mul_f32_e32 v12, v11, v1
	v_mul_f32_e32 v2, v9, v12
	v_fma_f32 v4, v12, v9, -v2
	v_fmac_f32_e32 v4, v12, v10
	v_sub_f32_e32 v3, v3, v1
	v_add_f32_e32 v9, v0, v3
	v_add_f32_e32 v0, v2, v4
	v_sub_f32_e32 v3, v1, v0
	v_pk_add_f32 v[6:7], v[0:1], v[2:3] neg_lo:[0,1] neg_hi:[0,1]
	v_mov_b32_e32 v5, v0
	v_pk_add_f32 v[0:1], v[6:7], v[4:5] neg_lo:[0,1] neg_hi:[0,1]
	scratch_load_dwordx2 v[6:7], off, off offset:56 ; 8-byte Folded Reload
	v_add_f32_e32 v1, v9, v1
	v_add_f32_e32 v0, v0, v1
	;; [unrolled: 1-line block ×4, first 2 shown]
	v_sub_f32_e32 v2, v1, v13
	v_mul_f32_e32 v0, v11, v0
	v_sub_f32_e32 v2, v12, v2
	v_add_f32_e32 v2, v2, v0
	v_add_f32_e32 v4, v1, v2
	v_mul_f32_e32 v5, v4, v4
	v_mov_b32_e32 v0, 0x3ecc95a3
	v_fmamk_f32 v0, v5, 0x3e9b6dac, v0
	v_fmaak_f32 v11, v5, v0, 0x3f2aaada
	v_cvt_f32_i32_e32 v0, v8
	v_sub_f32_e32 v1, v4, v1
	v_sub_f32_e32 v1, v2, v1
	v_ldexp_f32 v3, v4, 1
	s_or_b64 vcc, s[2:3], vcc
	s_waitcnt vmcnt(0)
	v_mov_b32_e32 v10, v6
	v_ldexp_f32 v6, v1, 1
	v_mul_f32_e32 v1, v4, v5
	v_mov_b32_e32 v2, v10
	v_pk_mul_f32 v[4:5], v[0:1], v[10:11]
	scratch_store_dwordx2 off, v[2:3], off offset:56 ; 8-byte Folded Spill
	v_fma_f32 v2, v0, s57, -v4
	v_fmac_f32_e32 v2, 0xb102e308, v0
	v_pk_add_f32 v[0:1], v[4:5], v[2:3]
	s_nop 0
	v_sub_f32_e32 v3, v1, v3
	v_sub_f32_e32 v3, v5, v3
	v_add_f32_e32 v7, v6, v3
	v_mov_b32_e32 v6, v4
	v_pk_add_f32 v[4:5], v[0:1], v[4:5] neg_lo:[0,1] neg_hi:[0,1]
	v_pk_add_f32 v[8:9], v[0:1], v[6:7]
	v_mov_b32_e32 v3, v0
	v_mov_b32_e32 v5, v9
	v_pk_add_f32 v[10:11], v[2:3], v[4:5] neg_lo:[0,1] neg_hi:[0,1]
	v_pk_add_f32 v[2:3], v[2:3], v[4:5]
	v_mov_b32_e32 v6, v7
	v_mov_b32_e32 v4, v3
	v_pk_add_f32 v[12:13], v[4:5], v[0:1] neg_lo:[0,1] neg_hi:[0,1]
	v_mov_b32_e32 v2, v9
	v_mov_b32_e32 v5, v12
	v_pk_add_f32 v[14:15], v[8:9], v[4:5] neg_lo:[0,1] neg_hi:[0,1]
	v_mov_b32_e32 v8, v1
	v_mov_b32_e32 v9, v12
	;; [unrolled: 1-line block ×3, first 2 shown]
	v_pk_add_f32 v[2:3], v[2:3], v[8:9] neg_lo:[0,1] neg_hi:[0,1]
	v_mov_b32_e32 v7, v0
	v_pk_add_f32 v[0:1], v[6:7], v[2:3] neg_lo:[0,1] neg_hi:[0,1]
	v_mov_b32_e32 v14, v10
	v_pk_add_f32 v[2:3], v[14:15], v[0:1]
	s_nop 0
	v_mov_b32_e32 v6, v3
	v_pk_add_f32 v[6:7], v[2:3], v[6:7]
	s_nop 0
	v_pk_add_f32 v[4:5], v[4:5], v[6:7]
	v_mov_b32_e32 v1, v6
	v_mov_b32_e32 v3, v4
	v_pk_add_f32 v[8:9], v[2:3], v[10:11] neg_lo:[0,1] neg_hi:[0,1]
	s_nop 0
	v_sub_f32_e32 v2, v2, v8
	v_pk_add_f32 v[0:1], v[0:1], v[8:9] neg_lo:[0,1] neg_hi:[0,1]
	v_sub_f32_e32 v2, v10, v2
	v_add_f32_e32 v0, v0, v2
	v_add_f32_e32 v0, v0, v1
	;; [unrolled: 1-line block ×3, first 2 shown]
	v_cndmask_b32_e32 v84, v0, v16, vcc
.LBB115_35:                             ;   in Loop: Header=BB115_13 Depth=1
	s_or_b64 exec, exec, s[22:23]
	scratch_load_dwordx4 v[0:3], off, off offset:64 ; 16-byte Folded Reload
	s_waitcnt vmcnt(0)
	v_cvt_f32_f16_sdwa v0, v3 dst_sel:DWORD dst_unused:UNUSED_PAD src0_sel:WORD_1
	v_add_f32_e32 v85, s33, v0
	v_cmp_ge_f32_e32 vcc, s82, v85
	s_and_b64 s[2:3], s[80:81], vcc
	s_and_saveexec_b64 s[22:23], s[2:3]
	s_cbranch_execz .LBB115_37
; %bb.36:                               ;   in Loop: Header=BB115_13 Depth=1
	v_mul_f32_e32 v0, 0x3fb8aa3b, v85
	v_rndne_f32_e32 v1, v0
	s_mov_b32 s1, 0x3fb8aa3b
	v_sub_f32_e32 v2, v0, v1
	v_fma_f32 v0, v85, s1, -v0
	v_fmac_f32_e32 v0, 0x32a5705f, v85
	v_add_f32_e32 v0, v2, v0
	v_cvt_i32_f32_e32 v1, v1
	v_exp_f32_e32 v0, v0
	s_mov_b32 s1, 0xc2ce8ed0
	v_cmp_ngt_f32_e32 vcc, s1, v85
	s_mov_b32 s1, 0x42b17218
	v_ldexp_f32 v0, v0, v1
	v_cndmask_b32_e32 v0, 0, v0, vcc
	v_cmp_nlt_f32_e32 vcc, s1, v85
	v_mov_b32_e32 v1, 0x7f800000
	s_mov_b32 s1, 0x7f800000
	v_cndmask_b32_e32 v16, v1, v0, vcc
	v_add_f32_e32 v2, 1.0, v16
	v_add_f32_e32 v0, -1.0, v2
	v_sub_f32_e32 v1, v0, v2
	v_add_f32_e32 v1, 1.0, v1
	v_sub_f32_e32 v0, v16, v0
	v_add_f32_e32 v3, v0, v1
	v_frexp_mant_f32_e32 v4, v2
	v_cvt_f64_f32_e32 v[0:1], v2
	v_frexp_exp_i32_f64_e32 v0, v[0:1]
	v_cmp_gt_f32_e32 vcc, s56, v4
	v_cmp_gt_f32_e64 s[2:3], s83, v16
	s_nop 0
	v_subbrev_co_u32_e32 v8, vcc, 0, v0, vcc
	v_sub_u32_e32 v0, 0, v8
	v_ldexp_f32 v1, v2, v0
	v_add_f32_e32 v2, -1.0, v1
	v_add_f32_e32 v4, 1.0, v1
	v_ldexp_f32 v0, v3, v0
	v_add_f32_e32 v3, 1.0, v2
	v_add_f32_e32 v5, -1.0, v4
	v_sub_f32_e32 v3, v1, v3
	v_sub_f32_e32 v1, v1, v5
	v_add_f32_e32 v3, v0, v3
	v_add_f32_e32 v0, v0, v1
	;; [unrolled: 1-line block ×3, first 2 shown]
	v_rcp_f32_e32 v11, v9
	v_sub_f32_e32 v1, v4, v9
	v_add_f32_e32 v10, v0, v1
	v_add_f32_e32 v1, v2, v3
	v_mul_f32_e32 v13, v1, v11
	v_sub_f32_e32 v0, v2, v1
	v_mul_f32_e32 v2, v9, v13
	v_fma_f32 v4, v13, v9, -v2
	v_fmac_f32_e32 v4, v13, v10
	v_add_f32_e32 v12, v3, v0
	v_add_f32_e32 v0, v2, v4
	v_sub_f32_e32 v3, v1, v0
	v_pk_add_f32 v[6:7], v[0:1], v[2:3] neg_lo:[0,1] neg_hi:[0,1]
	v_mov_b32_e32 v5, v0
	v_pk_add_f32 v[0:1], v[6:7], v[4:5] neg_lo:[0,1] neg_hi:[0,1]
	v_cmp_eq_f32_e32 vcc, s1, v16
	v_add_f32_e32 v1, v12, v1
	v_add_f32_e32 v0, v0, v1
	;; [unrolled: 1-line block ×3, first 2 shown]
	v_mul_f32_e32 v12, v11, v1
	v_mul_f32_e32 v2, v9, v12
	v_fma_f32 v4, v12, v9, -v2
	v_fmac_f32_e32 v4, v12, v10
	v_sub_f32_e32 v3, v3, v1
	v_add_f32_e32 v9, v0, v3
	v_add_f32_e32 v0, v2, v4
	v_sub_f32_e32 v3, v1, v0
	v_pk_add_f32 v[6:7], v[0:1], v[2:3] neg_lo:[0,1] neg_hi:[0,1]
	v_mov_b32_e32 v5, v0
	v_pk_add_f32 v[0:1], v[6:7], v[4:5] neg_lo:[0,1] neg_hi:[0,1]
	scratch_load_dwordx2 v[6:7], off, off offset:56 ; 8-byte Folded Reload
	v_add_f32_e32 v1, v9, v1
	v_add_f32_e32 v0, v0, v1
	;; [unrolled: 1-line block ×4, first 2 shown]
	v_sub_f32_e32 v2, v1, v13
	v_mul_f32_e32 v0, v11, v0
	v_sub_f32_e32 v2, v12, v2
	v_add_f32_e32 v2, v2, v0
	v_add_f32_e32 v4, v1, v2
	v_mul_f32_e32 v5, v4, v4
	v_mov_b32_e32 v0, 0x3ecc95a3
	v_fmamk_f32 v0, v5, 0x3e9b6dac, v0
	v_fmaak_f32 v11, v5, v0, 0x3f2aaada
	v_cvt_f32_i32_e32 v0, v8
	v_sub_f32_e32 v1, v4, v1
	v_sub_f32_e32 v1, v2, v1
	v_ldexp_f32 v3, v4, 1
	s_or_b64 vcc, s[2:3], vcc
	s_waitcnt vmcnt(0)
	v_mov_b32_e32 v10, v6
	v_ldexp_f32 v6, v1, 1
	v_mul_f32_e32 v1, v4, v5
	v_mov_b32_e32 v2, v10
	v_pk_mul_f32 v[4:5], v[0:1], v[10:11]
	scratch_store_dwordx2 off, v[2:3], off offset:56 ; 8-byte Folded Spill
	v_fma_f32 v2, v0, s57, -v4
	v_fmac_f32_e32 v2, 0xb102e308, v0
	v_pk_add_f32 v[0:1], v[4:5], v[2:3]
	s_nop 0
	v_sub_f32_e32 v3, v1, v3
	v_sub_f32_e32 v3, v5, v3
	v_add_f32_e32 v7, v6, v3
	v_mov_b32_e32 v6, v4
	v_pk_add_f32 v[4:5], v[0:1], v[4:5] neg_lo:[0,1] neg_hi:[0,1]
	v_pk_add_f32 v[8:9], v[0:1], v[6:7]
	v_mov_b32_e32 v3, v0
	v_mov_b32_e32 v5, v9
	v_pk_add_f32 v[10:11], v[2:3], v[4:5] neg_lo:[0,1] neg_hi:[0,1]
	v_pk_add_f32 v[2:3], v[2:3], v[4:5]
	v_mov_b32_e32 v6, v7
	v_mov_b32_e32 v4, v3
	v_pk_add_f32 v[12:13], v[4:5], v[0:1] neg_lo:[0,1] neg_hi:[0,1]
	v_mov_b32_e32 v2, v9
	v_mov_b32_e32 v5, v12
	v_pk_add_f32 v[14:15], v[8:9], v[4:5] neg_lo:[0,1] neg_hi:[0,1]
	v_mov_b32_e32 v8, v1
	v_mov_b32_e32 v9, v12
	;; [unrolled: 1-line block ×3, first 2 shown]
	v_pk_add_f32 v[2:3], v[2:3], v[8:9] neg_lo:[0,1] neg_hi:[0,1]
	v_mov_b32_e32 v7, v0
	v_pk_add_f32 v[0:1], v[6:7], v[2:3] neg_lo:[0,1] neg_hi:[0,1]
	v_mov_b32_e32 v14, v10
	v_pk_add_f32 v[2:3], v[14:15], v[0:1]
	s_nop 0
	v_mov_b32_e32 v6, v3
	v_pk_add_f32 v[6:7], v[2:3], v[6:7]
	s_nop 0
	v_pk_add_f32 v[4:5], v[4:5], v[6:7]
	v_mov_b32_e32 v1, v6
	v_mov_b32_e32 v3, v4
	v_pk_add_f32 v[8:9], v[2:3], v[10:11] neg_lo:[0,1] neg_hi:[0,1]
	s_nop 0
	v_sub_f32_e32 v2, v2, v8
	v_pk_add_f32 v[0:1], v[0:1], v[8:9] neg_lo:[0,1] neg_hi:[0,1]
	v_sub_f32_e32 v2, v10, v2
	v_add_f32_e32 v0, v0, v2
	v_add_f32_e32 v0, v0, v1
	;; [unrolled: 1-line block ×3, first 2 shown]
	v_cndmask_b32_e32 v85, v0, v16, vcc
.LBB115_37:                             ;   in Loop: Header=BB115_13 Depth=1
	s_or_b64 exec, exec, s[22:23]
	s_waitcnt lgkmcnt(0)
	v_cvt_f32_f16_e32 v0, v18
	v_add_f32_e32 v86, s33, v0
	v_cmp_ge_f32_e32 vcc, s82, v86
	s_and_b64 s[2:3], s[80:81], vcc
	s_and_saveexec_b64 s[22:23], s[2:3]
	s_cbranch_execz .LBB115_39
; %bb.38:                               ;   in Loop: Header=BB115_13 Depth=1
	v_mul_f32_e32 v0, 0x3fb8aa3b, v86
	v_rndne_f32_e32 v1, v0
	s_mov_b32 s1, 0x3fb8aa3b
	v_sub_f32_e32 v2, v0, v1
	v_fma_f32 v0, v86, s1, -v0
	v_fmac_f32_e32 v0, 0x32a5705f, v86
	v_add_f32_e32 v0, v2, v0
	v_cvt_i32_f32_e32 v1, v1
	v_exp_f32_e32 v0, v0
	s_mov_b32 s1, 0xc2ce8ed0
	v_cmp_ngt_f32_e32 vcc, s1, v86
	s_mov_b32 s1, 0x42b17218
	v_ldexp_f32 v0, v0, v1
	v_cndmask_b32_e32 v0, 0, v0, vcc
	v_cmp_nlt_f32_e32 vcc, s1, v86
	v_mov_b32_e32 v1, 0x7f800000
	s_mov_b32 s1, 0x7f800000
	v_cndmask_b32_e32 v16, v1, v0, vcc
	v_add_f32_e32 v2, 1.0, v16
	v_add_f32_e32 v0, -1.0, v2
	v_sub_f32_e32 v1, v0, v2
	v_add_f32_e32 v1, 1.0, v1
	v_sub_f32_e32 v0, v16, v0
	v_add_f32_e32 v3, v0, v1
	v_frexp_mant_f32_e32 v4, v2
	v_cvt_f64_f32_e32 v[0:1], v2
	v_frexp_exp_i32_f64_e32 v0, v[0:1]
	v_cmp_gt_f32_e32 vcc, s56, v4
	v_cmp_gt_f32_e64 s[2:3], s83, v16
	s_nop 0
	v_subbrev_co_u32_e32 v8, vcc, 0, v0, vcc
	v_sub_u32_e32 v0, 0, v8
	v_ldexp_f32 v1, v2, v0
	v_add_f32_e32 v2, -1.0, v1
	v_add_f32_e32 v4, 1.0, v1
	v_ldexp_f32 v0, v3, v0
	v_add_f32_e32 v3, 1.0, v2
	v_add_f32_e32 v5, -1.0, v4
	v_sub_f32_e32 v3, v1, v3
	v_sub_f32_e32 v1, v1, v5
	v_add_f32_e32 v3, v0, v3
	v_add_f32_e32 v0, v0, v1
	;; [unrolled: 1-line block ×3, first 2 shown]
	v_rcp_f32_e32 v11, v9
	v_sub_f32_e32 v1, v4, v9
	v_add_f32_e32 v10, v0, v1
	v_add_f32_e32 v1, v2, v3
	v_mul_f32_e32 v13, v1, v11
	v_sub_f32_e32 v0, v2, v1
	v_mul_f32_e32 v2, v9, v13
	v_fma_f32 v4, v13, v9, -v2
	v_fmac_f32_e32 v4, v13, v10
	v_add_f32_e32 v12, v3, v0
	v_add_f32_e32 v0, v2, v4
	v_sub_f32_e32 v3, v1, v0
	v_pk_add_f32 v[6:7], v[0:1], v[2:3] neg_lo:[0,1] neg_hi:[0,1]
	v_mov_b32_e32 v5, v0
	v_pk_add_f32 v[0:1], v[6:7], v[4:5] neg_lo:[0,1] neg_hi:[0,1]
	v_cmp_eq_f32_e32 vcc, s1, v16
	v_add_f32_e32 v1, v12, v1
	v_add_f32_e32 v0, v0, v1
	;; [unrolled: 1-line block ×3, first 2 shown]
	v_mul_f32_e32 v12, v11, v1
	v_mul_f32_e32 v2, v9, v12
	v_fma_f32 v4, v12, v9, -v2
	v_fmac_f32_e32 v4, v12, v10
	v_sub_f32_e32 v3, v3, v1
	v_add_f32_e32 v9, v0, v3
	v_add_f32_e32 v0, v2, v4
	v_sub_f32_e32 v3, v1, v0
	v_pk_add_f32 v[6:7], v[0:1], v[2:3] neg_lo:[0,1] neg_hi:[0,1]
	v_mov_b32_e32 v5, v0
	v_pk_add_f32 v[0:1], v[6:7], v[4:5] neg_lo:[0,1] neg_hi:[0,1]
	scratch_load_dwordx2 v[6:7], off, off offset:56 ; 8-byte Folded Reload
	v_add_f32_e32 v1, v9, v1
	v_add_f32_e32 v0, v0, v1
	;; [unrolled: 1-line block ×4, first 2 shown]
	v_sub_f32_e32 v2, v1, v13
	v_mul_f32_e32 v0, v11, v0
	v_sub_f32_e32 v2, v12, v2
	v_add_f32_e32 v2, v2, v0
	v_add_f32_e32 v4, v1, v2
	v_mul_f32_e32 v5, v4, v4
	v_mov_b32_e32 v0, 0x3ecc95a3
	v_fmamk_f32 v0, v5, 0x3e9b6dac, v0
	v_fmaak_f32 v11, v5, v0, 0x3f2aaada
	v_cvt_f32_i32_e32 v0, v8
	v_sub_f32_e32 v1, v4, v1
	v_sub_f32_e32 v1, v2, v1
	v_ldexp_f32 v3, v4, 1
	s_or_b64 vcc, s[2:3], vcc
	s_waitcnt vmcnt(0)
	v_mov_b32_e32 v10, v6
	v_ldexp_f32 v6, v1, 1
	v_mul_f32_e32 v1, v4, v5
	v_mov_b32_e32 v2, v10
	v_pk_mul_f32 v[4:5], v[0:1], v[10:11]
	scratch_store_dwordx2 off, v[2:3], off offset:56 ; 8-byte Folded Spill
	v_fma_f32 v2, v0, s57, -v4
	v_fmac_f32_e32 v2, 0xb102e308, v0
	v_pk_add_f32 v[0:1], v[4:5], v[2:3]
	s_nop 0
	v_sub_f32_e32 v3, v1, v3
	v_sub_f32_e32 v3, v5, v3
	v_add_f32_e32 v7, v6, v3
	v_mov_b32_e32 v6, v4
	v_pk_add_f32 v[4:5], v[0:1], v[4:5] neg_lo:[0,1] neg_hi:[0,1]
	v_pk_add_f32 v[8:9], v[0:1], v[6:7]
	v_mov_b32_e32 v3, v0
	v_mov_b32_e32 v5, v9
	v_pk_add_f32 v[10:11], v[2:3], v[4:5] neg_lo:[0,1] neg_hi:[0,1]
	v_pk_add_f32 v[2:3], v[2:3], v[4:5]
	v_mov_b32_e32 v6, v7
	v_mov_b32_e32 v4, v3
	v_pk_add_f32 v[12:13], v[4:5], v[0:1] neg_lo:[0,1] neg_hi:[0,1]
	v_mov_b32_e32 v2, v9
	v_mov_b32_e32 v5, v12
	v_pk_add_f32 v[14:15], v[8:9], v[4:5] neg_lo:[0,1] neg_hi:[0,1]
	v_mov_b32_e32 v8, v1
	v_mov_b32_e32 v9, v12
	;; [unrolled: 1-line block ×3, first 2 shown]
	v_pk_add_f32 v[2:3], v[2:3], v[8:9] neg_lo:[0,1] neg_hi:[0,1]
	v_mov_b32_e32 v7, v0
	v_pk_add_f32 v[0:1], v[6:7], v[2:3] neg_lo:[0,1] neg_hi:[0,1]
	v_mov_b32_e32 v14, v10
	v_pk_add_f32 v[2:3], v[14:15], v[0:1]
	s_nop 0
	v_mov_b32_e32 v6, v3
	v_pk_add_f32 v[6:7], v[2:3], v[6:7]
	s_nop 0
	v_pk_add_f32 v[4:5], v[4:5], v[6:7]
	v_mov_b32_e32 v1, v6
	v_mov_b32_e32 v3, v4
	v_pk_add_f32 v[8:9], v[2:3], v[10:11] neg_lo:[0,1] neg_hi:[0,1]
	s_nop 0
	v_sub_f32_e32 v2, v2, v8
	v_pk_add_f32 v[0:1], v[0:1], v[8:9] neg_lo:[0,1] neg_hi:[0,1]
	v_sub_f32_e32 v2, v10, v2
	v_add_f32_e32 v0, v0, v2
	v_add_f32_e32 v0, v0, v1
	;; [unrolled: 1-line block ×3, first 2 shown]
	v_cndmask_b32_e32 v86, v0, v16, vcc
.LBB115_39:                             ;   in Loop: Header=BB115_13 Depth=1
	s_or_b64 exec, exec, s[22:23]
	v_cvt_f32_f16_sdwa v0, v18 dst_sel:DWORD dst_unused:UNUSED_PAD src0_sel:WORD_1
	v_add_f32_e32 v87, s33, v0
	v_cmp_ge_f32_e32 vcc, s82, v87
	s_and_b64 s[2:3], s[80:81], vcc
	s_and_saveexec_b64 s[22:23], s[2:3]
	s_cbranch_execz .LBB115_41
; %bb.40:                               ;   in Loop: Header=BB115_13 Depth=1
	v_mul_f32_e32 v0, 0x3fb8aa3b, v87
	v_rndne_f32_e32 v1, v0
	s_mov_b32 s1, 0x3fb8aa3b
	v_sub_f32_e32 v2, v0, v1
	v_fma_f32 v0, v87, s1, -v0
	v_fmac_f32_e32 v0, 0x32a5705f, v87
	v_add_f32_e32 v0, v2, v0
	v_cvt_i32_f32_e32 v1, v1
	v_exp_f32_e32 v0, v0
	s_mov_b32 s1, 0xc2ce8ed0
	v_cmp_ngt_f32_e32 vcc, s1, v87
	s_mov_b32 s1, 0x42b17218
	v_ldexp_f32 v0, v0, v1
	v_cndmask_b32_e32 v0, 0, v0, vcc
	v_cmp_nlt_f32_e32 vcc, s1, v87
	v_mov_b32_e32 v1, 0x7f800000
	s_mov_b32 s1, 0x7f800000
	v_cndmask_b32_e32 v16, v1, v0, vcc
	v_add_f32_e32 v2, 1.0, v16
	v_add_f32_e32 v0, -1.0, v2
	v_sub_f32_e32 v1, v0, v2
	v_add_f32_e32 v1, 1.0, v1
	v_sub_f32_e32 v0, v16, v0
	v_add_f32_e32 v3, v0, v1
	v_frexp_mant_f32_e32 v4, v2
	v_cvt_f64_f32_e32 v[0:1], v2
	v_frexp_exp_i32_f64_e32 v0, v[0:1]
	v_cmp_gt_f32_e32 vcc, s56, v4
	v_cmp_gt_f32_e64 s[2:3], s83, v16
	s_nop 0
	v_subbrev_co_u32_e32 v8, vcc, 0, v0, vcc
	v_sub_u32_e32 v0, 0, v8
	v_ldexp_f32 v1, v2, v0
	v_add_f32_e32 v2, -1.0, v1
	v_add_f32_e32 v4, 1.0, v1
	v_ldexp_f32 v0, v3, v0
	v_add_f32_e32 v3, 1.0, v2
	v_add_f32_e32 v5, -1.0, v4
	v_sub_f32_e32 v3, v1, v3
	v_sub_f32_e32 v1, v1, v5
	v_add_f32_e32 v3, v0, v3
	v_add_f32_e32 v0, v0, v1
	;; [unrolled: 1-line block ×3, first 2 shown]
	v_rcp_f32_e32 v11, v9
	v_sub_f32_e32 v1, v4, v9
	v_add_f32_e32 v10, v0, v1
	v_add_f32_e32 v1, v2, v3
	v_mul_f32_e32 v13, v1, v11
	v_sub_f32_e32 v0, v2, v1
	v_mul_f32_e32 v2, v9, v13
	v_fma_f32 v4, v13, v9, -v2
	v_fmac_f32_e32 v4, v13, v10
	v_add_f32_e32 v12, v3, v0
	v_add_f32_e32 v0, v2, v4
	v_sub_f32_e32 v3, v1, v0
	v_pk_add_f32 v[6:7], v[0:1], v[2:3] neg_lo:[0,1] neg_hi:[0,1]
	v_mov_b32_e32 v5, v0
	v_pk_add_f32 v[0:1], v[6:7], v[4:5] neg_lo:[0,1] neg_hi:[0,1]
	v_cmp_eq_f32_e32 vcc, s1, v16
	v_add_f32_e32 v1, v12, v1
	v_add_f32_e32 v0, v0, v1
	;; [unrolled: 1-line block ×3, first 2 shown]
	v_mul_f32_e32 v12, v11, v1
	v_mul_f32_e32 v2, v9, v12
	v_fma_f32 v4, v12, v9, -v2
	v_fmac_f32_e32 v4, v12, v10
	v_sub_f32_e32 v3, v3, v1
	v_add_f32_e32 v9, v0, v3
	v_add_f32_e32 v0, v2, v4
	v_sub_f32_e32 v3, v1, v0
	v_pk_add_f32 v[6:7], v[0:1], v[2:3] neg_lo:[0,1] neg_hi:[0,1]
	v_mov_b32_e32 v5, v0
	v_pk_add_f32 v[0:1], v[6:7], v[4:5] neg_lo:[0,1] neg_hi:[0,1]
	scratch_load_dwordx2 v[6:7], off, off offset:56 ; 8-byte Folded Reload
	v_add_f32_e32 v1, v9, v1
	v_add_f32_e32 v0, v0, v1
	;; [unrolled: 1-line block ×4, first 2 shown]
	v_sub_f32_e32 v2, v1, v13
	v_mul_f32_e32 v0, v11, v0
	v_sub_f32_e32 v2, v12, v2
	v_add_f32_e32 v2, v2, v0
	v_add_f32_e32 v4, v1, v2
	v_mul_f32_e32 v5, v4, v4
	v_mov_b32_e32 v0, 0x3ecc95a3
	v_fmamk_f32 v0, v5, 0x3e9b6dac, v0
	v_fmaak_f32 v11, v5, v0, 0x3f2aaada
	v_cvt_f32_i32_e32 v0, v8
	v_sub_f32_e32 v1, v4, v1
	v_sub_f32_e32 v1, v2, v1
	v_ldexp_f32 v3, v4, 1
	s_or_b64 vcc, s[2:3], vcc
	s_waitcnt vmcnt(0)
	v_mov_b32_e32 v10, v6
	v_ldexp_f32 v6, v1, 1
	v_mul_f32_e32 v1, v4, v5
	v_mov_b32_e32 v2, v10
	v_pk_mul_f32 v[4:5], v[0:1], v[10:11]
	scratch_store_dwordx2 off, v[2:3], off offset:56 ; 8-byte Folded Spill
	v_fma_f32 v2, v0, s57, -v4
	v_fmac_f32_e32 v2, 0xb102e308, v0
	v_pk_add_f32 v[0:1], v[4:5], v[2:3]
	s_nop 0
	v_sub_f32_e32 v3, v1, v3
	v_sub_f32_e32 v3, v5, v3
	v_add_f32_e32 v7, v6, v3
	v_mov_b32_e32 v6, v4
	v_pk_add_f32 v[4:5], v[0:1], v[4:5] neg_lo:[0,1] neg_hi:[0,1]
	v_pk_add_f32 v[8:9], v[0:1], v[6:7]
	v_mov_b32_e32 v3, v0
	v_mov_b32_e32 v5, v9
	v_pk_add_f32 v[10:11], v[2:3], v[4:5] neg_lo:[0,1] neg_hi:[0,1]
	v_pk_add_f32 v[2:3], v[2:3], v[4:5]
	v_mov_b32_e32 v6, v7
	v_mov_b32_e32 v4, v3
	v_pk_add_f32 v[12:13], v[4:5], v[0:1] neg_lo:[0,1] neg_hi:[0,1]
	v_mov_b32_e32 v2, v9
	v_mov_b32_e32 v5, v12
	v_pk_add_f32 v[14:15], v[8:9], v[4:5] neg_lo:[0,1] neg_hi:[0,1]
	v_mov_b32_e32 v8, v1
	v_mov_b32_e32 v9, v12
	;; [unrolled: 1-line block ×3, first 2 shown]
	v_pk_add_f32 v[2:3], v[2:3], v[8:9] neg_lo:[0,1] neg_hi:[0,1]
	v_mov_b32_e32 v7, v0
	v_pk_add_f32 v[0:1], v[6:7], v[2:3] neg_lo:[0,1] neg_hi:[0,1]
	v_mov_b32_e32 v14, v10
	v_pk_add_f32 v[2:3], v[14:15], v[0:1]
	s_nop 0
	v_mov_b32_e32 v6, v3
	v_pk_add_f32 v[6:7], v[2:3], v[6:7]
	s_nop 0
	v_pk_add_f32 v[4:5], v[4:5], v[6:7]
	v_mov_b32_e32 v1, v6
	v_mov_b32_e32 v3, v4
	v_pk_add_f32 v[8:9], v[2:3], v[10:11] neg_lo:[0,1] neg_hi:[0,1]
	s_nop 0
	v_sub_f32_e32 v2, v2, v8
	v_pk_add_f32 v[0:1], v[0:1], v[8:9] neg_lo:[0,1] neg_hi:[0,1]
	v_sub_f32_e32 v2, v10, v2
	v_add_f32_e32 v0, v0, v2
	v_add_f32_e32 v0, v0, v1
	;; [unrolled: 1-line block ×3, first 2 shown]
	v_cndmask_b32_e32 v87, v0, v16, vcc
.LBB115_41:                             ;   in Loop: Header=BB115_13 Depth=1
	s_or_b64 exec, exec, s[22:23]
	v_cvt_f32_f16_e32 v0, v19
	v_add_f32_e32 v88, s33, v0
	v_cmp_ge_f32_e32 vcc, s82, v88
	s_and_b64 s[2:3], s[80:81], vcc
	s_and_saveexec_b64 s[22:23], s[2:3]
	s_cbranch_execz .LBB115_43
; %bb.42:                               ;   in Loop: Header=BB115_13 Depth=1
	v_mul_f32_e32 v0, 0x3fb8aa3b, v88
	v_rndne_f32_e32 v1, v0
	s_mov_b32 s1, 0x3fb8aa3b
	v_sub_f32_e32 v2, v0, v1
	v_fma_f32 v0, v88, s1, -v0
	v_fmac_f32_e32 v0, 0x32a5705f, v88
	v_add_f32_e32 v0, v2, v0
	v_cvt_i32_f32_e32 v1, v1
	v_exp_f32_e32 v0, v0
	s_mov_b32 s1, 0xc2ce8ed0
	v_cmp_ngt_f32_e32 vcc, s1, v88
	s_mov_b32 s1, 0x42b17218
	v_ldexp_f32 v0, v0, v1
	v_cndmask_b32_e32 v0, 0, v0, vcc
	v_cmp_nlt_f32_e32 vcc, s1, v88
	v_mov_b32_e32 v1, 0x7f800000
	s_mov_b32 s1, 0x7f800000
	v_cndmask_b32_e32 v16, v1, v0, vcc
	v_add_f32_e32 v2, 1.0, v16
	v_add_f32_e32 v0, -1.0, v2
	v_sub_f32_e32 v1, v0, v2
	v_add_f32_e32 v1, 1.0, v1
	v_sub_f32_e32 v0, v16, v0
	v_add_f32_e32 v3, v0, v1
	v_frexp_mant_f32_e32 v4, v2
	v_cvt_f64_f32_e32 v[0:1], v2
	v_frexp_exp_i32_f64_e32 v0, v[0:1]
	v_cmp_gt_f32_e32 vcc, s56, v4
	v_cmp_gt_f32_e64 s[2:3], s83, v16
	s_nop 0
	v_subbrev_co_u32_e32 v8, vcc, 0, v0, vcc
	v_sub_u32_e32 v0, 0, v8
	v_ldexp_f32 v1, v2, v0
	v_add_f32_e32 v2, -1.0, v1
	v_add_f32_e32 v4, 1.0, v1
	v_ldexp_f32 v0, v3, v0
	v_add_f32_e32 v3, 1.0, v2
	v_add_f32_e32 v5, -1.0, v4
	v_sub_f32_e32 v3, v1, v3
	v_sub_f32_e32 v1, v1, v5
	v_add_f32_e32 v3, v0, v3
	v_add_f32_e32 v0, v0, v1
	;; [unrolled: 1-line block ×3, first 2 shown]
	v_rcp_f32_e32 v11, v9
	v_sub_f32_e32 v1, v4, v9
	v_add_f32_e32 v10, v0, v1
	v_add_f32_e32 v1, v2, v3
	v_mul_f32_e32 v13, v1, v11
	v_sub_f32_e32 v0, v2, v1
	v_mul_f32_e32 v2, v9, v13
	v_fma_f32 v4, v13, v9, -v2
	v_fmac_f32_e32 v4, v13, v10
	v_add_f32_e32 v12, v3, v0
	v_add_f32_e32 v0, v2, v4
	v_sub_f32_e32 v3, v1, v0
	v_pk_add_f32 v[6:7], v[0:1], v[2:3] neg_lo:[0,1] neg_hi:[0,1]
	v_mov_b32_e32 v5, v0
	v_pk_add_f32 v[0:1], v[6:7], v[4:5] neg_lo:[0,1] neg_hi:[0,1]
	v_cmp_eq_f32_e32 vcc, s1, v16
	v_add_f32_e32 v1, v12, v1
	v_add_f32_e32 v0, v0, v1
	;; [unrolled: 1-line block ×3, first 2 shown]
	v_mul_f32_e32 v12, v11, v1
	v_mul_f32_e32 v2, v9, v12
	v_fma_f32 v4, v12, v9, -v2
	v_fmac_f32_e32 v4, v12, v10
	v_sub_f32_e32 v3, v3, v1
	v_add_f32_e32 v9, v0, v3
	v_add_f32_e32 v0, v2, v4
	v_sub_f32_e32 v3, v1, v0
	v_pk_add_f32 v[6:7], v[0:1], v[2:3] neg_lo:[0,1] neg_hi:[0,1]
	v_mov_b32_e32 v5, v0
	v_pk_add_f32 v[0:1], v[6:7], v[4:5] neg_lo:[0,1] neg_hi:[0,1]
	scratch_load_dwordx2 v[6:7], off, off offset:56 ; 8-byte Folded Reload
	v_add_f32_e32 v1, v9, v1
	v_add_f32_e32 v0, v0, v1
	;; [unrolled: 1-line block ×4, first 2 shown]
	v_sub_f32_e32 v2, v1, v13
	v_mul_f32_e32 v0, v11, v0
	v_sub_f32_e32 v2, v12, v2
	v_add_f32_e32 v2, v2, v0
	v_add_f32_e32 v4, v1, v2
	v_mul_f32_e32 v5, v4, v4
	v_mov_b32_e32 v0, 0x3ecc95a3
	v_fmamk_f32 v0, v5, 0x3e9b6dac, v0
	v_fmaak_f32 v11, v5, v0, 0x3f2aaada
	v_cvt_f32_i32_e32 v0, v8
	v_sub_f32_e32 v1, v4, v1
	v_sub_f32_e32 v1, v2, v1
	v_ldexp_f32 v3, v4, 1
	s_or_b64 vcc, s[2:3], vcc
	s_waitcnt vmcnt(0)
	v_mov_b32_e32 v10, v6
	v_ldexp_f32 v6, v1, 1
	v_mul_f32_e32 v1, v4, v5
	v_mov_b32_e32 v2, v10
	v_pk_mul_f32 v[4:5], v[0:1], v[10:11]
	scratch_store_dwordx2 off, v[2:3], off offset:56 ; 8-byte Folded Spill
	v_fma_f32 v2, v0, s57, -v4
	v_fmac_f32_e32 v2, 0xb102e308, v0
	v_pk_add_f32 v[0:1], v[4:5], v[2:3]
	s_nop 0
	v_sub_f32_e32 v3, v1, v3
	v_sub_f32_e32 v3, v5, v3
	v_add_f32_e32 v7, v6, v3
	v_mov_b32_e32 v6, v4
	v_pk_add_f32 v[4:5], v[0:1], v[4:5] neg_lo:[0,1] neg_hi:[0,1]
	v_pk_add_f32 v[8:9], v[0:1], v[6:7]
	v_mov_b32_e32 v3, v0
	v_mov_b32_e32 v5, v9
	v_pk_add_f32 v[10:11], v[2:3], v[4:5] neg_lo:[0,1] neg_hi:[0,1]
	v_pk_add_f32 v[2:3], v[2:3], v[4:5]
	v_mov_b32_e32 v6, v7
	v_mov_b32_e32 v4, v3
	v_pk_add_f32 v[12:13], v[4:5], v[0:1] neg_lo:[0,1] neg_hi:[0,1]
	v_mov_b32_e32 v2, v9
	v_mov_b32_e32 v5, v12
	v_pk_add_f32 v[14:15], v[8:9], v[4:5] neg_lo:[0,1] neg_hi:[0,1]
	v_mov_b32_e32 v8, v1
	v_mov_b32_e32 v9, v12
	;; [unrolled: 1-line block ×3, first 2 shown]
	v_pk_add_f32 v[2:3], v[2:3], v[8:9] neg_lo:[0,1] neg_hi:[0,1]
	v_mov_b32_e32 v7, v0
	v_pk_add_f32 v[0:1], v[6:7], v[2:3] neg_lo:[0,1] neg_hi:[0,1]
	v_mov_b32_e32 v14, v10
	v_pk_add_f32 v[2:3], v[14:15], v[0:1]
	s_nop 0
	v_mov_b32_e32 v6, v3
	v_pk_add_f32 v[6:7], v[2:3], v[6:7]
	s_nop 0
	v_pk_add_f32 v[4:5], v[4:5], v[6:7]
	v_mov_b32_e32 v1, v6
	v_mov_b32_e32 v3, v4
	v_pk_add_f32 v[8:9], v[2:3], v[10:11] neg_lo:[0,1] neg_hi:[0,1]
	s_nop 0
	v_sub_f32_e32 v2, v2, v8
	v_pk_add_f32 v[0:1], v[0:1], v[8:9] neg_lo:[0,1] neg_hi:[0,1]
	v_sub_f32_e32 v2, v10, v2
	v_add_f32_e32 v0, v0, v2
	v_add_f32_e32 v0, v0, v1
	;; [unrolled: 1-line block ×3, first 2 shown]
	v_cndmask_b32_e32 v88, v0, v16, vcc
.LBB115_43:                             ;   in Loop: Header=BB115_13 Depth=1
	s_or_b64 exec, exec, s[22:23]
	v_cvt_f32_f16_sdwa v0, v19 dst_sel:DWORD dst_unused:UNUSED_PAD src0_sel:WORD_1
	v_add_f32_e32 v89, s33, v0
	v_cmp_ge_f32_e32 vcc, s82, v89
	s_and_b64 s[2:3], s[80:81], vcc
	s_and_saveexec_b64 s[22:23], s[2:3]
	s_cbranch_execz .LBB115_45
; %bb.44:                               ;   in Loop: Header=BB115_13 Depth=1
	v_mul_f32_e32 v0, 0x3fb8aa3b, v89
	v_rndne_f32_e32 v1, v0
	s_mov_b32 s1, 0x3fb8aa3b
	v_sub_f32_e32 v2, v0, v1
	v_fma_f32 v0, v89, s1, -v0
	v_fmac_f32_e32 v0, 0x32a5705f, v89
	v_add_f32_e32 v0, v2, v0
	v_cvt_i32_f32_e32 v1, v1
	v_exp_f32_e32 v0, v0
	s_mov_b32 s1, 0xc2ce8ed0
	v_cmp_ngt_f32_e32 vcc, s1, v89
	s_mov_b32 s1, 0x42b17218
	v_ldexp_f32 v0, v0, v1
	v_cndmask_b32_e32 v0, 0, v0, vcc
	v_cmp_nlt_f32_e32 vcc, s1, v89
	v_mov_b32_e32 v1, 0x7f800000
	s_mov_b32 s1, 0x7f800000
	v_cndmask_b32_e32 v16, v1, v0, vcc
	v_add_f32_e32 v2, 1.0, v16
	v_add_f32_e32 v0, -1.0, v2
	v_sub_f32_e32 v1, v0, v2
	v_add_f32_e32 v1, 1.0, v1
	v_sub_f32_e32 v0, v16, v0
	v_add_f32_e32 v3, v0, v1
	v_frexp_mant_f32_e32 v4, v2
	v_cvt_f64_f32_e32 v[0:1], v2
	v_frexp_exp_i32_f64_e32 v0, v[0:1]
	v_cmp_gt_f32_e32 vcc, s56, v4
	v_cmp_gt_f32_e64 s[2:3], s83, v16
	s_nop 0
	v_subbrev_co_u32_e32 v8, vcc, 0, v0, vcc
	v_sub_u32_e32 v0, 0, v8
	v_ldexp_f32 v1, v2, v0
	v_add_f32_e32 v2, -1.0, v1
	v_add_f32_e32 v4, 1.0, v1
	v_ldexp_f32 v0, v3, v0
	v_add_f32_e32 v3, 1.0, v2
	v_add_f32_e32 v5, -1.0, v4
	v_sub_f32_e32 v3, v1, v3
	v_sub_f32_e32 v1, v1, v5
	v_add_f32_e32 v3, v0, v3
	v_add_f32_e32 v0, v0, v1
	;; [unrolled: 1-line block ×3, first 2 shown]
	v_rcp_f32_e32 v11, v9
	v_sub_f32_e32 v1, v4, v9
	v_add_f32_e32 v10, v0, v1
	v_add_f32_e32 v1, v2, v3
	v_mul_f32_e32 v13, v1, v11
	v_sub_f32_e32 v0, v2, v1
	v_mul_f32_e32 v2, v9, v13
	v_fma_f32 v4, v13, v9, -v2
	v_fmac_f32_e32 v4, v13, v10
	v_add_f32_e32 v12, v3, v0
	v_add_f32_e32 v0, v2, v4
	v_sub_f32_e32 v3, v1, v0
	v_pk_add_f32 v[6:7], v[0:1], v[2:3] neg_lo:[0,1] neg_hi:[0,1]
	v_mov_b32_e32 v5, v0
	v_pk_add_f32 v[0:1], v[6:7], v[4:5] neg_lo:[0,1] neg_hi:[0,1]
	v_cmp_eq_f32_e32 vcc, s1, v16
	v_add_f32_e32 v1, v12, v1
	v_add_f32_e32 v0, v0, v1
	;; [unrolled: 1-line block ×3, first 2 shown]
	v_mul_f32_e32 v12, v11, v1
	v_mul_f32_e32 v2, v9, v12
	v_fma_f32 v4, v12, v9, -v2
	v_fmac_f32_e32 v4, v12, v10
	v_sub_f32_e32 v3, v3, v1
	v_add_f32_e32 v9, v0, v3
	v_add_f32_e32 v0, v2, v4
	v_sub_f32_e32 v3, v1, v0
	v_pk_add_f32 v[6:7], v[0:1], v[2:3] neg_lo:[0,1] neg_hi:[0,1]
	v_mov_b32_e32 v5, v0
	v_pk_add_f32 v[0:1], v[6:7], v[4:5] neg_lo:[0,1] neg_hi:[0,1]
	scratch_load_dwordx2 v[6:7], off, off offset:56 ; 8-byte Folded Reload
	v_add_f32_e32 v1, v9, v1
	v_add_f32_e32 v0, v0, v1
	;; [unrolled: 1-line block ×4, first 2 shown]
	v_sub_f32_e32 v2, v1, v13
	v_mul_f32_e32 v0, v11, v0
	v_sub_f32_e32 v2, v12, v2
	v_add_f32_e32 v2, v2, v0
	v_add_f32_e32 v4, v1, v2
	v_mul_f32_e32 v5, v4, v4
	v_mov_b32_e32 v0, 0x3ecc95a3
	v_fmamk_f32 v0, v5, 0x3e9b6dac, v0
	v_fmaak_f32 v11, v5, v0, 0x3f2aaada
	v_cvt_f32_i32_e32 v0, v8
	v_sub_f32_e32 v1, v4, v1
	v_sub_f32_e32 v1, v2, v1
	v_ldexp_f32 v3, v4, 1
	s_or_b64 vcc, s[2:3], vcc
	s_waitcnt vmcnt(0)
	v_mov_b32_e32 v10, v6
	v_ldexp_f32 v6, v1, 1
	v_mul_f32_e32 v1, v4, v5
	v_mov_b32_e32 v2, v10
	v_pk_mul_f32 v[4:5], v[0:1], v[10:11]
	scratch_store_dwordx2 off, v[2:3], off offset:56 ; 8-byte Folded Spill
	v_fma_f32 v2, v0, s57, -v4
	v_fmac_f32_e32 v2, 0xb102e308, v0
	v_pk_add_f32 v[0:1], v[4:5], v[2:3]
	s_nop 0
	v_sub_f32_e32 v3, v1, v3
	v_sub_f32_e32 v3, v5, v3
	v_add_f32_e32 v7, v6, v3
	v_mov_b32_e32 v6, v4
	v_pk_add_f32 v[4:5], v[0:1], v[4:5] neg_lo:[0,1] neg_hi:[0,1]
	v_pk_add_f32 v[8:9], v[0:1], v[6:7]
	v_mov_b32_e32 v3, v0
	v_mov_b32_e32 v5, v9
	v_pk_add_f32 v[10:11], v[2:3], v[4:5] neg_lo:[0,1] neg_hi:[0,1]
	v_pk_add_f32 v[2:3], v[2:3], v[4:5]
	v_mov_b32_e32 v6, v7
	v_mov_b32_e32 v4, v3
	v_pk_add_f32 v[12:13], v[4:5], v[0:1] neg_lo:[0,1] neg_hi:[0,1]
	v_mov_b32_e32 v2, v9
	v_mov_b32_e32 v5, v12
	v_pk_add_f32 v[14:15], v[8:9], v[4:5] neg_lo:[0,1] neg_hi:[0,1]
	v_mov_b32_e32 v8, v1
	v_mov_b32_e32 v9, v12
	;; [unrolled: 1-line block ×3, first 2 shown]
	v_pk_add_f32 v[2:3], v[2:3], v[8:9] neg_lo:[0,1] neg_hi:[0,1]
	v_mov_b32_e32 v7, v0
	v_pk_add_f32 v[0:1], v[6:7], v[2:3] neg_lo:[0,1] neg_hi:[0,1]
	v_mov_b32_e32 v14, v10
	v_pk_add_f32 v[2:3], v[14:15], v[0:1]
	s_nop 0
	v_mov_b32_e32 v6, v3
	v_pk_add_f32 v[6:7], v[2:3], v[6:7]
	s_nop 0
	v_pk_add_f32 v[4:5], v[4:5], v[6:7]
	v_mov_b32_e32 v1, v6
	v_mov_b32_e32 v3, v4
	v_pk_add_f32 v[8:9], v[2:3], v[10:11] neg_lo:[0,1] neg_hi:[0,1]
	s_nop 0
	v_sub_f32_e32 v2, v2, v8
	v_pk_add_f32 v[0:1], v[0:1], v[8:9] neg_lo:[0,1] neg_hi:[0,1]
	v_sub_f32_e32 v2, v10, v2
	v_add_f32_e32 v0, v0, v2
	v_add_f32_e32 v0, v0, v1
	;; [unrolled: 1-line block ×3, first 2 shown]
	v_cndmask_b32_e32 v89, v0, v16, vcc
.LBB115_45:                             ;   in Loop: Header=BB115_13 Depth=1
	s_or_b64 exec, exec, s[22:23]
	v_cvt_f32_f16_e32 v0, v20
	v_add_f32_e32 v90, s33, v0
	v_cmp_ge_f32_e32 vcc, s82, v90
	s_and_b64 s[2:3], s[80:81], vcc
	s_and_saveexec_b64 s[22:23], s[2:3]
	s_cbranch_execz .LBB115_47
; %bb.46:                               ;   in Loop: Header=BB115_13 Depth=1
	v_mul_f32_e32 v0, 0x3fb8aa3b, v90
	v_rndne_f32_e32 v1, v0
	s_mov_b32 s1, 0x3fb8aa3b
	v_sub_f32_e32 v2, v0, v1
	v_fma_f32 v0, v90, s1, -v0
	v_fmac_f32_e32 v0, 0x32a5705f, v90
	v_add_f32_e32 v0, v2, v0
	v_cvt_i32_f32_e32 v1, v1
	v_exp_f32_e32 v0, v0
	s_mov_b32 s1, 0xc2ce8ed0
	v_cmp_ngt_f32_e32 vcc, s1, v90
	s_mov_b32 s1, 0x42b17218
	v_ldexp_f32 v0, v0, v1
	v_cndmask_b32_e32 v0, 0, v0, vcc
	v_cmp_nlt_f32_e32 vcc, s1, v90
	v_mov_b32_e32 v1, 0x7f800000
	s_mov_b32 s1, 0x7f800000
	v_cndmask_b32_e32 v16, v1, v0, vcc
	v_add_f32_e32 v2, 1.0, v16
	v_add_f32_e32 v0, -1.0, v2
	v_sub_f32_e32 v1, v0, v2
	v_add_f32_e32 v1, 1.0, v1
	v_sub_f32_e32 v0, v16, v0
	v_add_f32_e32 v3, v0, v1
	v_frexp_mant_f32_e32 v4, v2
	v_cvt_f64_f32_e32 v[0:1], v2
	v_frexp_exp_i32_f64_e32 v0, v[0:1]
	v_cmp_gt_f32_e32 vcc, s56, v4
	v_cmp_gt_f32_e64 s[2:3], s83, v16
	s_nop 0
	v_subbrev_co_u32_e32 v8, vcc, 0, v0, vcc
	v_sub_u32_e32 v0, 0, v8
	v_ldexp_f32 v1, v2, v0
	v_add_f32_e32 v2, -1.0, v1
	v_add_f32_e32 v4, 1.0, v1
	v_ldexp_f32 v0, v3, v0
	v_add_f32_e32 v3, 1.0, v2
	v_add_f32_e32 v5, -1.0, v4
	v_sub_f32_e32 v3, v1, v3
	v_sub_f32_e32 v1, v1, v5
	v_add_f32_e32 v3, v0, v3
	v_add_f32_e32 v0, v0, v1
	;; [unrolled: 1-line block ×3, first 2 shown]
	v_rcp_f32_e32 v11, v9
	v_sub_f32_e32 v1, v4, v9
	v_add_f32_e32 v10, v0, v1
	v_add_f32_e32 v1, v2, v3
	v_mul_f32_e32 v13, v1, v11
	v_sub_f32_e32 v0, v2, v1
	v_mul_f32_e32 v2, v9, v13
	v_fma_f32 v4, v13, v9, -v2
	v_fmac_f32_e32 v4, v13, v10
	v_add_f32_e32 v12, v3, v0
	v_add_f32_e32 v0, v2, v4
	v_sub_f32_e32 v3, v1, v0
	v_pk_add_f32 v[6:7], v[0:1], v[2:3] neg_lo:[0,1] neg_hi:[0,1]
	v_mov_b32_e32 v5, v0
	v_pk_add_f32 v[0:1], v[6:7], v[4:5] neg_lo:[0,1] neg_hi:[0,1]
	v_cmp_eq_f32_e32 vcc, s1, v16
	v_add_f32_e32 v1, v12, v1
	v_add_f32_e32 v0, v0, v1
	;; [unrolled: 1-line block ×3, first 2 shown]
	v_mul_f32_e32 v12, v11, v1
	v_mul_f32_e32 v2, v9, v12
	v_fma_f32 v4, v12, v9, -v2
	v_fmac_f32_e32 v4, v12, v10
	v_sub_f32_e32 v3, v3, v1
	v_add_f32_e32 v9, v0, v3
	v_add_f32_e32 v0, v2, v4
	v_sub_f32_e32 v3, v1, v0
	v_pk_add_f32 v[6:7], v[0:1], v[2:3] neg_lo:[0,1] neg_hi:[0,1]
	v_mov_b32_e32 v5, v0
	v_pk_add_f32 v[0:1], v[6:7], v[4:5] neg_lo:[0,1] neg_hi:[0,1]
	scratch_load_dwordx2 v[6:7], off, off offset:56 ; 8-byte Folded Reload
	v_add_f32_e32 v1, v9, v1
	v_add_f32_e32 v0, v0, v1
	v_add_f32_e32 v1, v13, v12
	v_add_f32_e32 v0, v3, v0
	v_sub_f32_e32 v2, v1, v13
	v_mul_f32_e32 v0, v11, v0
	v_sub_f32_e32 v2, v12, v2
	v_add_f32_e32 v2, v2, v0
	v_add_f32_e32 v4, v1, v2
	v_mul_f32_e32 v5, v4, v4
	v_mov_b32_e32 v0, 0x3ecc95a3
	v_fmamk_f32 v0, v5, 0x3e9b6dac, v0
	v_fmaak_f32 v11, v5, v0, 0x3f2aaada
	v_cvt_f32_i32_e32 v0, v8
	v_sub_f32_e32 v1, v4, v1
	v_sub_f32_e32 v1, v2, v1
	v_ldexp_f32 v3, v4, 1
	s_or_b64 vcc, s[2:3], vcc
	s_waitcnt vmcnt(0)
	v_mov_b32_e32 v10, v6
	v_ldexp_f32 v6, v1, 1
	v_mul_f32_e32 v1, v4, v5
	v_mov_b32_e32 v2, v10
	v_pk_mul_f32 v[4:5], v[0:1], v[10:11]
	scratch_store_dwordx2 off, v[2:3], off offset:56 ; 8-byte Folded Spill
	v_fma_f32 v2, v0, s57, -v4
	v_fmac_f32_e32 v2, 0xb102e308, v0
	v_pk_add_f32 v[0:1], v[4:5], v[2:3]
	s_nop 0
	v_sub_f32_e32 v3, v1, v3
	v_sub_f32_e32 v3, v5, v3
	v_add_f32_e32 v7, v6, v3
	v_mov_b32_e32 v6, v4
	v_pk_add_f32 v[4:5], v[0:1], v[4:5] neg_lo:[0,1] neg_hi:[0,1]
	v_pk_add_f32 v[8:9], v[0:1], v[6:7]
	v_mov_b32_e32 v3, v0
	v_mov_b32_e32 v5, v9
	v_pk_add_f32 v[10:11], v[2:3], v[4:5] neg_lo:[0,1] neg_hi:[0,1]
	v_pk_add_f32 v[2:3], v[2:3], v[4:5]
	v_mov_b32_e32 v6, v7
	v_mov_b32_e32 v4, v3
	v_pk_add_f32 v[12:13], v[4:5], v[0:1] neg_lo:[0,1] neg_hi:[0,1]
	v_mov_b32_e32 v2, v9
	v_mov_b32_e32 v5, v12
	v_pk_add_f32 v[14:15], v[8:9], v[4:5] neg_lo:[0,1] neg_hi:[0,1]
	v_mov_b32_e32 v8, v1
	v_mov_b32_e32 v9, v12
	;; [unrolled: 1-line block ×3, first 2 shown]
	v_pk_add_f32 v[2:3], v[2:3], v[8:9] neg_lo:[0,1] neg_hi:[0,1]
	v_mov_b32_e32 v7, v0
	v_pk_add_f32 v[0:1], v[6:7], v[2:3] neg_lo:[0,1] neg_hi:[0,1]
	v_mov_b32_e32 v14, v10
	v_pk_add_f32 v[2:3], v[14:15], v[0:1]
	s_nop 0
	v_mov_b32_e32 v6, v3
	v_pk_add_f32 v[6:7], v[2:3], v[6:7]
	s_nop 0
	v_pk_add_f32 v[4:5], v[4:5], v[6:7]
	v_mov_b32_e32 v1, v6
	v_mov_b32_e32 v3, v4
	v_pk_add_f32 v[8:9], v[2:3], v[10:11] neg_lo:[0,1] neg_hi:[0,1]
	s_nop 0
	v_sub_f32_e32 v2, v2, v8
	v_pk_add_f32 v[0:1], v[0:1], v[8:9] neg_lo:[0,1] neg_hi:[0,1]
	v_sub_f32_e32 v2, v10, v2
	v_add_f32_e32 v0, v0, v2
	v_add_f32_e32 v0, v0, v1
	;; [unrolled: 1-line block ×3, first 2 shown]
	v_cndmask_b32_e32 v90, v0, v16, vcc
.LBB115_47:                             ;   in Loop: Header=BB115_13 Depth=1
	s_or_b64 exec, exec, s[22:23]
	v_cvt_f32_f16_sdwa v0, v20 dst_sel:DWORD dst_unused:UNUSED_PAD src0_sel:WORD_1
	v_add_f32_e32 v91, s33, v0
	v_cmp_ge_f32_e32 vcc, s82, v91
	s_and_b64 s[2:3], s[80:81], vcc
	s_and_saveexec_b64 s[22:23], s[2:3]
	s_cbranch_execz .LBB115_49
; %bb.48:                               ;   in Loop: Header=BB115_13 Depth=1
	v_mul_f32_e32 v0, 0x3fb8aa3b, v91
	v_rndne_f32_e32 v1, v0
	s_mov_b32 s1, 0x3fb8aa3b
	v_sub_f32_e32 v2, v0, v1
	v_fma_f32 v0, v91, s1, -v0
	v_fmac_f32_e32 v0, 0x32a5705f, v91
	v_add_f32_e32 v0, v2, v0
	v_cvt_i32_f32_e32 v1, v1
	v_exp_f32_e32 v0, v0
	s_mov_b32 s1, 0xc2ce8ed0
	v_cmp_ngt_f32_e32 vcc, s1, v91
	s_mov_b32 s1, 0x42b17218
	v_ldexp_f32 v0, v0, v1
	v_cndmask_b32_e32 v0, 0, v0, vcc
	v_cmp_nlt_f32_e32 vcc, s1, v91
	v_mov_b32_e32 v1, 0x7f800000
	s_mov_b32 s1, 0x7f800000
	v_cndmask_b32_e32 v16, v1, v0, vcc
	v_add_f32_e32 v2, 1.0, v16
	v_add_f32_e32 v0, -1.0, v2
	v_sub_f32_e32 v1, v0, v2
	v_add_f32_e32 v1, 1.0, v1
	v_sub_f32_e32 v0, v16, v0
	v_add_f32_e32 v3, v0, v1
	v_frexp_mant_f32_e32 v4, v2
	v_cvt_f64_f32_e32 v[0:1], v2
	v_frexp_exp_i32_f64_e32 v0, v[0:1]
	v_cmp_gt_f32_e32 vcc, s56, v4
	v_cmp_gt_f32_e64 s[2:3], s83, v16
	s_nop 0
	v_subbrev_co_u32_e32 v8, vcc, 0, v0, vcc
	v_sub_u32_e32 v0, 0, v8
	v_ldexp_f32 v1, v2, v0
	v_add_f32_e32 v2, -1.0, v1
	v_add_f32_e32 v4, 1.0, v1
	v_ldexp_f32 v0, v3, v0
	v_add_f32_e32 v3, 1.0, v2
	v_add_f32_e32 v5, -1.0, v4
	v_sub_f32_e32 v3, v1, v3
	v_sub_f32_e32 v1, v1, v5
	v_add_f32_e32 v3, v0, v3
	v_add_f32_e32 v0, v0, v1
	;; [unrolled: 1-line block ×3, first 2 shown]
	v_rcp_f32_e32 v11, v9
	v_sub_f32_e32 v1, v4, v9
	v_add_f32_e32 v10, v0, v1
	v_add_f32_e32 v1, v2, v3
	v_mul_f32_e32 v13, v1, v11
	v_sub_f32_e32 v0, v2, v1
	v_mul_f32_e32 v2, v9, v13
	v_fma_f32 v4, v13, v9, -v2
	v_fmac_f32_e32 v4, v13, v10
	v_add_f32_e32 v12, v3, v0
	v_add_f32_e32 v0, v2, v4
	v_sub_f32_e32 v3, v1, v0
	v_pk_add_f32 v[6:7], v[0:1], v[2:3] neg_lo:[0,1] neg_hi:[0,1]
	v_mov_b32_e32 v5, v0
	v_pk_add_f32 v[0:1], v[6:7], v[4:5] neg_lo:[0,1] neg_hi:[0,1]
	v_cmp_eq_f32_e32 vcc, s1, v16
	v_add_f32_e32 v1, v12, v1
	v_add_f32_e32 v0, v0, v1
	;; [unrolled: 1-line block ×3, first 2 shown]
	v_mul_f32_e32 v12, v11, v1
	v_mul_f32_e32 v2, v9, v12
	v_fma_f32 v4, v12, v9, -v2
	v_fmac_f32_e32 v4, v12, v10
	v_sub_f32_e32 v3, v3, v1
	v_add_f32_e32 v9, v0, v3
	v_add_f32_e32 v0, v2, v4
	v_sub_f32_e32 v3, v1, v0
	v_pk_add_f32 v[6:7], v[0:1], v[2:3] neg_lo:[0,1] neg_hi:[0,1]
	v_mov_b32_e32 v5, v0
	v_pk_add_f32 v[0:1], v[6:7], v[4:5] neg_lo:[0,1] neg_hi:[0,1]
	scratch_load_dwordx2 v[6:7], off, off offset:56 ; 8-byte Folded Reload
	v_add_f32_e32 v1, v9, v1
	v_add_f32_e32 v0, v0, v1
	;; [unrolled: 1-line block ×4, first 2 shown]
	v_sub_f32_e32 v2, v1, v13
	v_mul_f32_e32 v0, v11, v0
	v_sub_f32_e32 v2, v12, v2
	v_add_f32_e32 v2, v2, v0
	v_add_f32_e32 v4, v1, v2
	v_mul_f32_e32 v5, v4, v4
	v_mov_b32_e32 v0, 0x3ecc95a3
	v_fmamk_f32 v0, v5, 0x3e9b6dac, v0
	v_fmaak_f32 v11, v5, v0, 0x3f2aaada
	v_cvt_f32_i32_e32 v0, v8
	v_sub_f32_e32 v1, v4, v1
	v_sub_f32_e32 v1, v2, v1
	v_ldexp_f32 v3, v4, 1
	s_or_b64 vcc, s[2:3], vcc
	s_waitcnt vmcnt(0)
	v_mov_b32_e32 v10, v6
	v_ldexp_f32 v6, v1, 1
	v_mul_f32_e32 v1, v4, v5
	v_mov_b32_e32 v2, v10
	v_pk_mul_f32 v[4:5], v[0:1], v[10:11]
	scratch_store_dwordx2 off, v[2:3], off offset:56 ; 8-byte Folded Spill
	v_fma_f32 v2, v0, s57, -v4
	v_fmac_f32_e32 v2, 0xb102e308, v0
	v_pk_add_f32 v[0:1], v[4:5], v[2:3]
	s_nop 0
	v_sub_f32_e32 v3, v1, v3
	v_sub_f32_e32 v3, v5, v3
	v_add_f32_e32 v7, v6, v3
	v_mov_b32_e32 v6, v4
	v_pk_add_f32 v[4:5], v[0:1], v[4:5] neg_lo:[0,1] neg_hi:[0,1]
	v_pk_add_f32 v[8:9], v[0:1], v[6:7]
	v_mov_b32_e32 v3, v0
	v_mov_b32_e32 v5, v9
	v_pk_add_f32 v[10:11], v[2:3], v[4:5] neg_lo:[0,1] neg_hi:[0,1]
	v_pk_add_f32 v[2:3], v[2:3], v[4:5]
	v_mov_b32_e32 v6, v7
	v_mov_b32_e32 v4, v3
	v_pk_add_f32 v[12:13], v[4:5], v[0:1] neg_lo:[0,1] neg_hi:[0,1]
	v_mov_b32_e32 v2, v9
	v_mov_b32_e32 v5, v12
	v_pk_add_f32 v[14:15], v[8:9], v[4:5] neg_lo:[0,1] neg_hi:[0,1]
	v_mov_b32_e32 v8, v1
	v_mov_b32_e32 v9, v12
	;; [unrolled: 1-line block ×3, first 2 shown]
	v_pk_add_f32 v[2:3], v[2:3], v[8:9] neg_lo:[0,1] neg_hi:[0,1]
	v_mov_b32_e32 v7, v0
	v_pk_add_f32 v[0:1], v[6:7], v[2:3] neg_lo:[0,1] neg_hi:[0,1]
	v_mov_b32_e32 v14, v10
	v_pk_add_f32 v[2:3], v[14:15], v[0:1]
	s_nop 0
	v_mov_b32_e32 v6, v3
	v_pk_add_f32 v[6:7], v[2:3], v[6:7]
	s_nop 0
	v_pk_add_f32 v[4:5], v[4:5], v[6:7]
	v_mov_b32_e32 v1, v6
	v_mov_b32_e32 v3, v4
	v_pk_add_f32 v[8:9], v[2:3], v[10:11] neg_lo:[0,1] neg_hi:[0,1]
	s_nop 0
	v_sub_f32_e32 v2, v2, v8
	v_pk_add_f32 v[0:1], v[0:1], v[8:9] neg_lo:[0,1] neg_hi:[0,1]
	v_sub_f32_e32 v2, v10, v2
	v_add_f32_e32 v0, v0, v2
	v_add_f32_e32 v0, v0, v1
	v_add_f32_e32 v0, v4, v0
	v_cndmask_b32_e32 v91, v0, v16, vcc
.LBB115_49:                             ;   in Loop: Header=BB115_13 Depth=1
	s_or_b64 exec, exec, s[22:23]
	v_cvt_f32_f16_e32 v0, v21
	v_add_f32_e32 v75, s33, v0
	v_cmp_ge_f32_e32 vcc, s82, v75
	s_and_b64 s[2:3], s[80:81], vcc
	s_and_saveexec_b64 s[22:23], s[2:3]
	s_cbranch_execz .LBB115_51
; %bb.50:                               ;   in Loop: Header=BB115_13 Depth=1
	v_mul_f32_e32 v0, 0x3fb8aa3b, v75
	v_rndne_f32_e32 v1, v0
	s_mov_b32 s1, 0x3fb8aa3b
	v_sub_f32_e32 v2, v0, v1
	v_fma_f32 v0, v75, s1, -v0
	v_fmac_f32_e32 v0, 0x32a5705f, v75
	v_add_f32_e32 v0, v2, v0
	v_cvt_i32_f32_e32 v1, v1
	v_exp_f32_e32 v0, v0
	s_mov_b32 s1, 0xc2ce8ed0
	v_cmp_ngt_f32_e32 vcc, s1, v75
	s_mov_b32 s1, 0x42b17218
	v_ldexp_f32 v0, v0, v1
	v_cndmask_b32_e32 v0, 0, v0, vcc
	v_cmp_nlt_f32_e32 vcc, s1, v75
	v_mov_b32_e32 v1, 0x7f800000
	s_mov_b32 s1, 0x7f800000
	v_cndmask_b32_e32 v16, v1, v0, vcc
	v_add_f32_e32 v2, 1.0, v16
	v_add_f32_e32 v0, -1.0, v2
	v_sub_f32_e32 v1, v0, v2
	v_add_f32_e32 v1, 1.0, v1
	v_sub_f32_e32 v0, v16, v0
	v_add_f32_e32 v3, v0, v1
	v_frexp_mant_f32_e32 v4, v2
	v_cvt_f64_f32_e32 v[0:1], v2
	v_frexp_exp_i32_f64_e32 v0, v[0:1]
	v_cmp_gt_f32_e32 vcc, s56, v4
	v_cmp_gt_f32_e64 s[2:3], s83, v16
	s_nop 0
	v_subbrev_co_u32_e32 v8, vcc, 0, v0, vcc
	v_sub_u32_e32 v0, 0, v8
	v_ldexp_f32 v1, v2, v0
	v_add_f32_e32 v2, -1.0, v1
	v_add_f32_e32 v4, 1.0, v1
	v_ldexp_f32 v0, v3, v0
	v_add_f32_e32 v3, 1.0, v2
	v_add_f32_e32 v5, -1.0, v4
	v_sub_f32_e32 v3, v1, v3
	v_sub_f32_e32 v1, v1, v5
	v_add_f32_e32 v3, v0, v3
	v_add_f32_e32 v0, v0, v1
	;; [unrolled: 1-line block ×3, first 2 shown]
	v_rcp_f32_e32 v11, v9
	v_sub_f32_e32 v1, v4, v9
	v_add_f32_e32 v10, v0, v1
	v_add_f32_e32 v1, v2, v3
	v_mul_f32_e32 v13, v1, v11
	v_sub_f32_e32 v0, v2, v1
	v_mul_f32_e32 v2, v9, v13
	v_fma_f32 v4, v13, v9, -v2
	v_fmac_f32_e32 v4, v13, v10
	v_add_f32_e32 v12, v3, v0
	v_add_f32_e32 v0, v2, v4
	v_sub_f32_e32 v3, v1, v0
	v_pk_add_f32 v[6:7], v[0:1], v[2:3] neg_lo:[0,1] neg_hi:[0,1]
	v_mov_b32_e32 v5, v0
	v_pk_add_f32 v[0:1], v[6:7], v[4:5] neg_lo:[0,1] neg_hi:[0,1]
	v_cmp_eq_f32_e32 vcc, s1, v16
	v_add_f32_e32 v1, v12, v1
	v_add_f32_e32 v0, v0, v1
	;; [unrolled: 1-line block ×3, first 2 shown]
	v_mul_f32_e32 v12, v11, v1
	v_mul_f32_e32 v2, v9, v12
	v_fma_f32 v4, v12, v9, -v2
	v_fmac_f32_e32 v4, v12, v10
	v_sub_f32_e32 v3, v3, v1
	v_add_f32_e32 v9, v0, v3
	v_add_f32_e32 v0, v2, v4
	v_sub_f32_e32 v3, v1, v0
	v_pk_add_f32 v[6:7], v[0:1], v[2:3] neg_lo:[0,1] neg_hi:[0,1]
	v_mov_b32_e32 v5, v0
	v_pk_add_f32 v[0:1], v[6:7], v[4:5] neg_lo:[0,1] neg_hi:[0,1]
	scratch_load_dwordx2 v[6:7], off, off offset:56 ; 8-byte Folded Reload
	v_add_f32_e32 v1, v9, v1
	v_add_f32_e32 v0, v0, v1
	;; [unrolled: 1-line block ×4, first 2 shown]
	v_sub_f32_e32 v2, v1, v13
	v_mul_f32_e32 v0, v11, v0
	v_sub_f32_e32 v2, v12, v2
	v_add_f32_e32 v2, v2, v0
	v_add_f32_e32 v4, v1, v2
	v_mul_f32_e32 v5, v4, v4
	v_mov_b32_e32 v0, 0x3ecc95a3
	v_fmamk_f32 v0, v5, 0x3e9b6dac, v0
	v_fmaak_f32 v11, v5, v0, 0x3f2aaada
	v_cvt_f32_i32_e32 v0, v8
	v_sub_f32_e32 v1, v4, v1
	v_sub_f32_e32 v1, v2, v1
	v_ldexp_f32 v3, v4, 1
	s_or_b64 vcc, s[2:3], vcc
	s_waitcnt vmcnt(0)
	v_mov_b32_e32 v10, v6
	v_ldexp_f32 v6, v1, 1
	v_mul_f32_e32 v1, v4, v5
	v_mov_b32_e32 v2, v10
	v_pk_mul_f32 v[4:5], v[0:1], v[10:11]
	scratch_store_dwordx2 off, v[2:3], off offset:56 ; 8-byte Folded Spill
	v_fma_f32 v2, v0, s57, -v4
	v_fmac_f32_e32 v2, 0xb102e308, v0
	v_pk_add_f32 v[0:1], v[4:5], v[2:3]
	s_nop 0
	v_sub_f32_e32 v3, v1, v3
	v_sub_f32_e32 v3, v5, v3
	v_add_f32_e32 v7, v6, v3
	v_mov_b32_e32 v6, v4
	v_pk_add_f32 v[4:5], v[0:1], v[4:5] neg_lo:[0,1] neg_hi:[0,1]
	v_pk_add_f32 v[8:9], v[0:1], v[6:7]
	v_mov_b32_e32 v3, v0
	v_mov_b32_e32 v5, v9
	v_pk_add_f32 v[10:11], v[2:3], v[4:5] neg_lo:[0,1] neg_hi:[0,1]
	v_pk_add_f32 v[2:3], v[2:3], v[4:5]
	v_mov_b32_e32 v6, v7
	v_mov_b32_e32 v4, v3
	v_pk_add_f32 v[12:13], v[4:5], v[0:1] neg_lo:[0,1] neg_hi:[0,1]
	v_mov_b32_e32 v2, v9
	v_mov_b32_e32 v5, v12
	v_pk_add_f32 v[14:15], v[8:9], v[4:5] neg_lo:[0,1] neg_hi:[0,1]
	v_mov_b32_e32 v8, v1
	v_mov_b32_e32 v9, v12
	v_mov_b32_e32 v11, v3
	v_pk_add_f32 v[2:3], v[2:3], v[8:9] neg_lo:[0,1] neg_hi:[0,1]
	v_mov_b32_e32 v7, v0
	v_pk_add_f32 v[0:1], v[6:7], v[2:3] neg_lo:[0,1] neg_hi:[0,1]
	v_mov_b32_e32 v14, v10
	v_pk_add_f32 v[2:3], v[14:15], v[0:1]
	s_nop 0
	v_mov_b32_e32 v6, v3
	v_pk_add_f32 v[6:7], v[2:3], v[6:7]
	s_nop 0
	v_pk_add_f32 v[4:5], v[4:5], v[6:7]
	v_mov_b32_e32 v1, v6
	v_mov_b32_e32 v3, v4
	v_pk_add_f32 v[8:9], v[2:3], v[10:11] neg_lo:[0,1] neg_hi:[0,1]
	s_nop 0
	v_sub_f32_e32 v2, v2, v8
	v_pk_add_f32 v[0:1], v[0:1], v[8:9] neg_lo:[0,1] neg_hi:[0,1]
	v_sub_f32_e32 v2, v10, v2
	v_add_f32_e32 v0, v0, v2
	v_add_f32_e32 v0, v0, v1
	;; [unrolled: 1-line block ×3, first 2 shown]
	v_cndmask_b32_e32 v75, v0, v16, vcc
.LBB115_51:                             ;   in Loop: Header=BB115_13 Depth=1
	s_or_b64 exec, exec, s[22:23]
	v_cvt_f32_f16_sdwa v0, v21 dst_sel:DWORD dst_unused:UNUSED_PAD src0_sel:WORD_1
	v_add_f32_e32 v37, s33, v0
	v_cmp_ge_f32_e32 vcc, s82, v37
	s_and_b64 s[2:3], s[80:81], vcc
	s_and_saveexec_b64 s[22:23], s[2:3]
	s_cbranch_execz .LBB115_53
; %bb.52:                               ;   in Loop: Header=BB115_13 Depth=1
	v_mul_f32_e32 v0, 0x3fb8aa3b, v37
	v_rndne_f32_e32 v1, v0
	s_mov_b32 s1, 0x3fb8aa3b
	v_sub_f32_e32 v2, v0, v1
	v_fma_f32 v0, v37, s1, -v0
	v_fmac_f32_e32 v0, 0x32a5705f, v37
	v_add_f32_e32 v0, v2, v0
	v_cvt_i32_f32_e32 v1, v1
	v_exp_f32_e32 v0, v0
	s_mov_b32 s1, 0xc2ce8ed0
	v_cmp_ngt_f32_e32 vcc, s1, v37
	s_mov_b32 s1, 0x42b17218
	v_ldexp_f32 v0, v0, v1
	v_cndmask_b32_e32 v0, 0, v0, vcc
	v_cmp_nlt_f32_e32 vcc, s1, v37
	v_mov_b32_e32 v1, 0x7f800000
	s_mov_b32 s1, 0x7f800000
	v_cndmask_b32_e32 v16, v1, v0, vcc
	v_add_f32_e32 v2, 1.0, v16
	v_add_f32_e32 v0, -1.0, v2
	v_sub_f32_e32 v1, v0, v2
	v_add_f32_e32 v1, 1.0, v1
	v_sub_f32_e32 v0, v16, v0
	v_add_f32_e32 v3, v0, v1
	v_frexp_mant_f32_e32 v4, v2
	v_cvt_f64_f32_e32 v[0:1], v2
	v_frexp_exp_i32_f64_e32 v0, v[0:1]
	v_cmp_gt_f32_e32 vcc, s56, v4
	v_cmp_gt_f32_e64 s[2:3], s83, v16
	s_nop 0
	v_subbrev_co_u32_e32 v8, vcc, 0, v0, vcc
	v_sub_u32_e32 v0, 0, v8
	v_ldexp_f32 v1, v2, v0
	v_add_f32_e32 v2, -1.0, v1
	v_add_f32_e32 v4, 1.0, v1
	v_ldexp_f32 v0, v3, v0
	v_add_f32_e32 v3, 1.0, v2
	v_add_f32_e32 v5, -1.0, v4
	v_sub_f32_e32 v3, v1, v3
	v_sub_f32_e32 v1, v1, v5
	v_add_f32_e32 v3, v0, v3
	v_add_f32_e32 v0, v0, v1
	;; [unrolled: 1-line block ×3, first 2 shown]
	v_rcp_f32_e32 v11, v9
	v_sub_f32_e32 v1, v4, v9
	v_add_f32_e32 v10, v0, v1
	v_add_f32_e32 v1, v2, v3
	v_mul_f32_e32 v13, v1, v11
	v_sub_f32_e32 v0, v2, v1
	v_mul_f32_e32 v2, v9, v13
	v_fma_f32 v4, v13, v9, -v2
	v_fmac_f32_e32 v4, v13, v10
	v_add_f32_e32 v12, v3, v0
	v_add_f32_e32 v0, v2, v4
	v_sub_f32_e32 v3, v1, v0
	v_pk_add_f32 v[6:7], v[0:1], v[2:3] neg_lo:[0,1] neg_hi:[0,1]
	v_mov_b32_e32 v5, v0
	v_pk_add_f32 v[0:1], v[6:7], v[4:5] neg_lo:[0,1] neg_hi:[0,1]
	v_cmp_eq_f32_e32 vcc, s1, v16
	v_add_f32_e32 v1, v12, v1
	v_add_f32_e32 v0, v0, v1
	v_add_f32_e32 v1, v3, v0
	v_mul_f32_e32 v12, v11, v1
	v_mul_f32_e32 v2, v9, v12
	v_fma_f32 v4, v12, v9, -v2
	v_fmac_f32_e32 v4, v12, v10
	v_sub_f32_e32 v3, v3, v1
	v_add_f32_e32 v9, v0, v3
	v_add_f32_e32 v0, v2, v4
	v_sub_f32_e32 v3, v1, v0
	v_pk_add_f32 v[6:7], v[0:1], v[2:3] neg_lo:[0,1] neg_hi:[0,1]
	v_mov_b32_e32 v5, v0
	v_pk_add_f32 v[0:1], v[6:7], v[4:5] neg_lo:[0,1] neg_hi:[0,1]
	scratch_load_dwordx2 v[6:7], off, off offset:56 ; 8-byte Folded Reload
	v_add_f32_e32 v1, v9, v1
	v_add_f32_e32 v0, v0, v1
	;; [unrolled: 1-line block ×4, first 2 shown]
	v_sub_f32_e32 v2, v1, v13
	v_mul_f32_e32 v0, v11, v0
	v_sub_f32_e32 v2, v12, v2
	v_add_f32_e32 v2, v2, v0
	v_add_f32_e32 v4, v1, v2
	v_mul_f32_e32 v5, v4, v4
	v_mov_b32_e32 v0, 0x3ecc95a3
	v_fmamk_f32 v0, v5, 0x3e9b6dac, v0
	v_fmaak_f32 v11, v5, v0, 0x3f2aaada
	v_cvt_f32_i32_e32 v0, v8
	v_sub_f32_e32 v1, v4, v1
	v_sub_f32_e32 v1, v2, v1
	v_ldexp_f32 v3, v4, 1
	s_or_b64 vcc, s[2:3], vcc
	s_waitcnt vmcnt(0)
	v_mov_b32_e32 v10, v6
	v_ldexp_f32 v6, v1, 1
	v_mul_f32_e32 v1, v4, v5
	v_mov_b32_e32 v2, v10
	v_pk_mul_f32 v[4:5], v[0:1], v[10:11]
	scratch_store_dwordx2 off, v[2:3], off offset:56 ; 8-byte Folded Spill
	v_fma_f32 v2, v0, s57, -v4
	v_fmac_f32_e32 v2, 0xb102e308, v0
	v_pk_add_f32 v[0:1], v[4:5], v[2:3]
	s_nop 0
	v_sub_f32_e32 v3, v1, v3
	v_sub_f32_e32 v3, v5, v3
	v_add_f32_e32 v7, v6, v3
	v_mov_b32_e32 v6, v4
	v_pk_add_f32 v[4:5], v[0:1], v[4:5] neg_lo:[0,1] neg_hi:[0,1]
	v_pk_add_f32 v[8:9], v[0:1], v[6:7]
	v_mov_b32_e32 v3, v0
	v_mov_b32_e32 v5, v9
	v_pk_add_f32 v[10:11], v[2:3], v[4:5] neg_lo:[0,1] neg_hi:[0,1]
	v_pk_add_f32 v[2:3], v[2:3], v[4:5]
	v_mov_b32_e32 v6, v7
	v_mov_b32_e32 v4, v3
	v_pk_add_f32 v[12:13], v[4:5], v[0:1] neg_lo:[0,1] neg_hi:[0,1]
	v_mov_b32_e32 v2, v9
	v_mov_b32_e32 v5, v12
	v_pk_add_f32 v[14:15], v[8:9], v[4:5] neg_lo:[0,1] neg_hi:[0,1]
	v_mov_b32_e32 v8, v1
	v_mov_b32_e32 v9, v12
	;; [unrolled: 1-line block ×3, first 2 shown]
	v_pk_add_f32 v[2:3], v[2:3], v[8:9] neg_lo:[0,1] neg_hi:[0,1]
	v_mov_b32_e32 v7, v0
	v_pk_add_f32 v[0:1], v[6:7], v[2:3] neg_lo:[0,1] neg_hi:[0,1]
	v_mov_b32_e32 v14, v10
	v_pk_add_f32 v[2:3], v[14:15], v[0:1]
	s_nop 0
	v_mov_b32_e32 v6, v3
	v_pk_add_f32 v[6:7], v[2:3], v[6:7]
	s_nop 0
	v_pk_add_f32 v[4:5], v[4:5], v[6:7]
	v_mov_b32_e32 v1, v6
	v_mov_b32_e32 v3, v4
	v_pk_add_f32 v[8:9], v[2:3], v[10:11] neg_lo:[0,1] neg_hi:[0,1]
	s_nop 0
	v_sub_f32_e32 v2, v2, v8
	v_pk_add_f32 v[0:1], v[0:1], v[8:9] neg_lo:[0,1] neg_hi:[0,1]
	v_sub_f32_e32 v2, v10, v2
	v_add_f32_e32 v0, v0, v2
	v_add_f32_e32 v0, v0, v1
	;; [unrolled: 1-line block ×3, first 2 shown]
	v_cndmask_b32_e32 v37, v0, v16, vcc
.LBB115_53:                             ;   in Loop: Header=BB115_13 Depth=1
	s_or_b64 exec, exec, s[22:23]
	v_cvt_f32_f16_e32 v0, v25
	v_cvt_f32_f16_sdwa v1, v24 dst_sel:DWORD dst_unused:UNUSED_PAD src0_sel:WORD_1
	v_cvt_f32_f16_e32 v2, v24
	v_cvt_f32_f16_sdwa v7, v25 dst_sel:DWORD dst_unused:UNUSED_PAD src0_sel:WORD_1
	v_cvt_f32_f16_sdwa v3, v23 dst_sel:DWORD dst_unused:UNUSED_PAD src0_sel:WORD_1
	v_cvt_f32_f16_e32 v4, v23
	v_cvt_f32_f16_sdwa v5, v22 dst_sel:DWORD dst_unused:UNUSED_PAD src0_sel:WORD_1
	v_cvt_f32_f16_e32 v6, v22
	;; [unrolled: 2-line block ×6, first 2 shown]
	v_readlane_b32 s22, v95, 4
	v_readlane_b32 s23, v95, 5
	v_mul_f32_e32 v38, s74, v0
	v_mul_f32_e32 v41, s74, v1
	;; [unrolled: 1-line block ×15, first 2 shown]
	s_lshl_b32 s2, s0, 10
	v_mul_f32_e32 v39, s74, v7
	s_and_b64 vcc, exec, s[22:23]
	s_waitcnt lgkmcnt(0)
	; wave barrier
	s_cbranch_vccz .LBB115_12
; %bb.54:                               ;   in Loop: Header=BB115_13 Depth=1
	v_mul_f32_e32 v0, v75, v0
	scratch_store_dwordx4 off, v[26:29], off offset:112 ; 16-byte Folded Spill
	scratch_store_dwordx4 off, v[22:25], off offset:96 ; 16-byte Folded Spill
	;; [unrolled: 1-line block ×3, first 2 shown]
	scratch_store_dword off, v0, off offset:16 ; 4-byte Folded Spill
	v_mul_f32_e32 v0, v91, v1
	scratch_store_dword off, v0, off offset:20 ; 4-byte Folded Spill
	v_mul_f32_e32 v0, v90, v2
	;; [unrolled: 2-line block ×6, first 2 shown]
	scratch_store_dword off, v0, off offset:40 ; 4-byte Folded Spill
	scratch_load_dword v0, off, off offset:136 ; 4-byte Folded Reload
	v_readlane_b32 s90, v95, 6
	s_sub_i32 s1, s90, s2
	s_cmp_lg_u32 s0, 0
	v_readlane_b32 s3, v95, 9
	s_cselect_b64 s[86:87], -1, 0
	s_cmp_eq_u32 s0, s3
	s_cselect_b64 s[88:89], -1, 0
	v_mul_f32_e32 v7, v37, v7
	v_readlane_b32 s91, v95, 7
	s_mov_b32 s76, 0
	scratch_store_dword off, v7, off offset:12 ; 4-byte Folded Spill
	v_lshl_add_u64 v[54:55], s[62:63], 0, v[32:33]
	v_lshl_add_u64 v[56:57], s[66:67], 0, v[32:33]
	v_mul_f32_e32 v2, v85, v8
	v_mul_f32_e32 v3, v84, v9
	;; [unrolled: 1-line block ×8, first 2 shown]
	s_mov_b32 s90, s76
	s_mov_b32 s92, s76
	;; [unrolled: 1-line block ×4, first 2 shown]
	s_waitcnt vmcnt(1)
	v_cmp_gt_u32_e32 vcc, s1, v0
	scratch_load_dword v0, off, off offset:140 ; 4-byte Folded Reload
	s_or_b64 s[22:23], s[84:85], vcc
	s_waitcnt vmcnt(0)
	v_cmp_gt_u32_e32 vcc, s1, v0
	scratch_load_dword v0, off, off offset:144 ; 4-byte Folded Reload
	s_or_b64 s[24:25], s[84:85], vcc
	;; [unrolled: 4-line block ×15, first 2 shown]
	s_waitcnt vmcnt(0)
	v_cmp_gt_u32_e32 vcc, s1, v0
	s_or_b64 s[54:55], s[84:85], vcc
	v_readlane_b32 s1, v95, 10
	s_branch .LBB115_56
.LBB115_55:                             ;   in Loop: Header=BB115_56 Depth=2
	s_or_b64 exec, exec, s[96:97]
	v_mul_f32_e32 v1, v11, v24
	v_fma_f32 v0, v11, v0, v10
	v_cndmask_b32_e64 v24, v0, v10, s[20:21]
	v_cndmask_b32_e64 v0, v1, v11, s[20:21]
	s_waitcnt lgkmcnt(0)
	v_fmac_f32_e32 v24, v68, v0
	v_fmac_f32_e32 v25, v24, v12
	v_fmac_f32_e32 v26, v25, v13
	v_fmac_f32_e32 v27, v26, v14
	v_fmac_f32_e32 v28, v27, v15
	v_fmac_f32_e32 v29, v28, v71
	v_fmac_f32_e32 v30, v29, v76
	v_fmac_f32_e32 v31, v30, v70
	v_fmac_f32_e32 v60, v31, v36
	v_fmac_f32_e32 v61, v60, v72
	v_fmac_f32_e32 v64, v61, v34
	v_fmac_f32_e32 v65, v64, v35
	v_fmac_f32_e32 v62, v65, v92
	v_cvt_f32_f16_sdwa v11, v20 dst_sel:DWORD dst_unused:UNUSED_PAD src0_sel:WORD_1
	v_cvt_f32_f16_sdwa v13, v21 dst_sel:DWORD dst_unused:UNUSED_PAD src0_sel:WORD_1
	v_cvt_f32_f16_e32 v10, v20
	v_cvt_f32_f16_e32 v12, v21
	v_cvt_f32_f16_sdwa v15, v22 dst_sel:DWORD dst_unused:UNUSED_PAD src0_sel:WORD_1
	v_cvt_f32_f16_sdwa v21, v23 dst_sel:DWORD dst_unused:UNUSED_PAD src0_sel:WORD_1
	v_cvt_f32_f16_e32 v14, v22
	v_cvt_f32_f16_e32 v20, v23
	;; [unrolled: 4-line block ×4, first 2 shown]
	v_fmac_f32_e32 v63, v62, v93
	v_fmac_f32_e32 v66, v63, v73
	;; [unrolled: 1-line block ×3, first 2 shown]
	s_add_i32 s1, s1, 8
	s_add_i32 s3, s3, -1
	s_add_i32 s94, s94, s58
	s_add_i32 s92, s92, s68
	;; [unrolled: 1-line block ×4, first 2 shown]
	v_pk_fma_f32 v[50:51], v[26:27], v[12:13], v[50:51]
	v_pk_fma_f32 v[52:53], v[24:25], v[10:11], v[52:53]
	;; [unrolled: 1-line block ×7, first 2 shown]
	s_cmp_eq_u32 s3, 0
	v_pk_fma_f32 v[40:41], v[62:63], v[16:17], v[40:41]
	s_cbranch_scc1 .LBB115_11
.LBB115_56:                             ;   Parent Loop BB115_13 Depth=1
                                        ; =>  This Inner Loop Header: Depth=2
	s_lshl_b64 s[96:97], s[76:77], 2
	s_add_u32 s96, s59, s96
	s_mov_b32 s91, s77
	s_addc_u32 s97, s60, s97
	v_lshl_add_u64 v[16:17], s[90:91], 1, v[54:55]
	global_load_dword v10, v33, s[96:97]
	global_load_dwordx4 v[12:15], v[16:17], off
	scratch_load_dword v0, off, off         ; 4-byte Folded Reload
	s_mov_b32 s93, s77
	s_andn2_b64 vcc, exec, s[86:87]
	s_waitcnt vmcnt(0)
	ds_write_b128 v0, v[12:15]
	global_load_dwordx4 v[12:15], v[16:17], off offset:1024
	scratch_load_dword v1, off, off offset:4 ; 4-byte Folded Reload
	v_lshl_add_u64 v[16:17], s[92:93], 1, v[56:57]
	s_waitcnt vmcnt(0)
	ds_write_b128 v1, v[12:15] offset:1024
	; wave barrier
	scratch_load_dword v1, off, off offset:8 ; 4-byte Folded Reload
	s_waitcnt vmcnt(0)
	ds_read_b128 v[28:31], v1
	ds_read_b128 v[24:27], v1 offset:16
	global_load_dwordx4 v[12:15], v[16:17], off
	s_waitcnt vmcnt(0)
	ds_write_b128 v0, v[12:15] offset:2112
	global_load_dwordx4 v[12:15], v[16:17], off offset:1024
	scratch_load_dword v0, off, off offset:44 ; 4-byte Folded Reload
	s_waitcnt vmcnt(0)
	ds_write_b128 v0, v[12:15] offset:1024
	; wave barrier
	scratch_load_dword v0, off, off offset:48 ; 4-byte Folded Reload
	ds_read_b128 v[20:23], v1 offset:2112
	s_waitcnt vmcnt(0)
	ds_read_b128 v[16:19], v0 offset:16
	s_cbranch_vccnz .LBB115_58
; %bb.57:                               ;   in Loop: Header=BB115_56 Depth=2
	v_mov_b32_e32 v0, s1
	ds_read_b64 v[58:59], v0
	s_cbranch_execz .LBB115_59
	s_branch .LBB115_62
.LBB115_58:                             ;   in Loop: Header=BB115_56 Depth=2
                                        ; implicit-def: $vgpr59
.LBB115_59:                             ;   in Loop: Header=BB115_56 Depth=2
	s_andn2_b64 vcc, exec, s[72:73]
	s_waitcnt lgkmcnt(0)
	v_mov_b32_e32 v59, 0
	s_cbranch_vccnz .LBB115_61
; %bb.60:                               ;   in Loop: Header=BB115_56 Depth=2
	s_mov_b32 s95, s77
	s_lshl_b64 s[96:97], s[94:95], 2
	s_add_u32 s96, s65, s96
	s_addc_u32 s97, s69, s97
	global_load_dword v59, v33, s[96:97]
.LBB115_61:                             ;   in Loop: Header=BB115_56 Depth=2
	v_mov_b32_e32 v58, 1.0
.LBB115_62:                             ;   in Loop: Header=BB115_56 Depth=2
	scratch_load_dword v1, off, off offset:40 ; 4-byte Folded Reload
	s_waitcnt lgkmcnt(4)
	v_cvt_f32_f16_e32 v34, v24
	v_cvt_f32_f16_sdwa v35, v24 dst_sel:DWORD dst_unused:UNUSED_PAD src0_sel:WORD_1
	v_mul_f32_e32 v66, 0x3fb8aa3b, v10
	v_mul_f32_e32 v10, v66, v78
	v_cmp_gt_f32_e32 vcc, s75, v10
	v_cvt_f32_f16_e32 v0, v28
	v_cvt_f32_f16_e32 v62, v25
	v_cndmask_b32_e32 v10, 0, v94, vcc
	v_fmac_f32_e32 v10, v66, v78
	v_exp_f32_e32 v10, v10
	v_cndmask_b32_e32 v11, 1.0, v77, vcc
	v_cvt_f32_f16_sdwa v63, v25 dst_sel:DWORD dst_unused:UNUSED_PAD src0_sel:WORD_1
	v_mul_f32_e32 v0, v9, v0
	v_mul_f32_e32 v11, v10, v11
	v_mul_f32_e32 v10, v66, v79
	v_cmp_gt_f32_e32 vcc, s75, v10
	v_cvt_f32_f16_sdwa v12, v28 dst_sel:DWORD dst_unused:UNUSED_PAD src0_sel:WORD_1
	v_cvt_f32_f16_e32 v67, v26
	v_cndmask_b32_e32 v10, 0, v94, vcc
	v_fmac_f32_e32 v10, v66, v79
	v_exp_f32_e32 v25, v10
	v_cndmask_b32_e64 v10, 0, v0, s[22:23]
	v_cndmask_b32_e32 v0, 1.0, v77, vcc
	v_cvt_f32_f16_sdwa v68, v26 dst_sel:DWORD dst_unused:UNUSED_PAD src0_sel:WORD_1
	v_mul_f32_e32 v0, v25, v0
	v_mul_f32_e32 v25, v66, v80
	v_cmp_gt_f32_e32 vcc, s75, v25
	v_mul_f32_e32 v12, v8, v12
	v_cvt_f32_f16_e32 v13, v29
	v_cndmask_b32_e32 v25, 0, v94, vcc
	v_fmac_f32_e32 v25, v66, v80
	v_exp_f32_e32 v26, v25
	v_cndmask_b32_e64 v25, 0, v12, s[24:25]
	v_cndmask_b32_e64 v12, 1.0, v0, s[24:25]
	v_cndmask_b32_e32 v0, 1.0, v77, vcc
	v_mul_f32_e32 v0, v26, v0
	v_mul_f32_e32 v26, v66, v81
	v_cmp_gt_f32_e32 vcc, s75, v26
	v_cvt_f32_f16_e32 v69, v27
	v_cvt_f32_f16_sdwa v24, v27 dst_sel:DWORD dst_unused:UNUSED_PAD src0_sel:WORD_1
	v_cndmask_b32_e32 v26, 0, v94, vcc
	v_fmac_f32_e32 v26, v66, v81
	v_exp_f32_e32 v27, v26
	v_mul_f32_e32 v13, v7, v13
	v_cndmask_b32_e64 v26, 0, v13, s[26:27]
	v_cndmask_b32_e64 v13, 1.0, v0, s[26:27]
	v_cndmask_b32_e32 v0, 1.0, v77, vcc
	v_mul_f32_e32 v0, v27, v0
	v_mul_f32_e32 v27, v66, v82
	v_cmp_gt_f32_e32 vcc, s75, v27
	v_cvt_f32_f16_sdwa v14, v29 dst_sel:DWORD dst_unused:UNUSED_PAD src0_sel:WORD_1
	v_cvt_f32_f16_e32 v15, v30
	v_cndmask_b32_e32 v27, 0, v94, vcc
	v_fmac_f32_e32 v27, v66, v82
	v_exp_f32_e32 v28, v27
	v_mul_f32_e32 v14, v6, v14
	v_cndmask_b32_e64 v27, 0, v14, s[28:29]
	v_cndmask_b32_e64 v14, 1.0, v0, s[28:29]
	v_cndmask_b32_e32 v0, 1.0, v77, vcc
	v_mul_f32_e32 v0, v28, v0
	v_mul_f32_e32 v28, v66, v83
	v_cmp_gt_f32_e32 vcc, s75, v28
	v_mul_f32_e32 v15, v5, v15
	v_cvt_f32_f16_sdwa v29, v30 dst_sel:DWORD dst_unused:UNUSED_PAD src0_sel:WORD_1
	v_cndmask_b32_e32 v28, 0, v94, vcc
	v_fmac_f32_e32 v28, v66, v83
	v_exp_f32_e32 v36, v28
	v_cndmask_b32_e64 v28, 0, v15, s[30:31]
	v_cndmask_b32_e64 v15, 1.0, v0, s[30:31]
	v_cndmask_b32_e32 v0, 1.0, v77, vcc
	v_mul_f32_e32 v0, v36, v0
	v_mul_f32_e32 v36, v66, v84
	v_cmp_gt_f32_e32 vcc, s75, v36
	v_cndmask_b32_e64 v71, 1.0, v0, s[34:35]
	v_cvt_f32_f16_e32 v30, v31
	v_cndmask_b32_e32 v36, 0, v94, vcc
	v_fmac_f32_e32 v36, v66, v84
	v_exp_f32_e32 v36, v36
	v_cndmask_b32_e32 v0, 1.0, v77, vcc
	s_waitcnt vmcnt(0)
	v_mul_f32_e32 v34, v1, v34
	scratch_load_dword v1, off, off offset:36 ; 4-byte Folded Reload
	v_cndmask_b32_e64 v60, 0, v34, s[40:41]
	v_mul_f32_e32 v0, v36, v0
	v_mul_f32_e32 v36, v66, v85
	v_cmp_gt_f32_e32 vcc, s75, v36
	v_cndmask_b32_e64 v76, 1.0, v0, s[36:37]
	v_cndmask_b32_e64 v11, 1.0, v11, s[22:23]
	v_cndmask_b32_e32 v36, 0, v94, vcc
	v_fmac_f32_e32 v36, v66, v85
	v_exp_f32_e32 v36, v36
	v_cndmask_b32_e32 v0, 1.0, v77, vcc
	v_cvt_f32_f16_sdwa v31, v31 dst_sel:DWORD dst_unused:UNUSED_PAD src0_sel:WORD_1
	v_mul_f32_e32 v29, v4, v29
	v_mul_f32_e32 v0, v36, v0
	;; [unrolled: 1-line block ×3, first 2 shown]
	v_cmp_gt_f32_e32 vcc, s75, v36
	v_cndmask_b32_e64 v70, 1.0, v0, s[38:39]
	v_cndmask_b32_e64 v29, 0, v29, s[34:35]
	v_cndmask_b32_e32 v36, 0, v94, vcc
	v_fmac_f32_e32 v36, v66, v86
	v_exp_f32_e32 v36, v36
	v_cndmask_b32_e32 v0, 1.0, v77, vcc
	v_mul_f32_e32 v30, v3, v30
	v_cndmask_b32_e64 v30, 0, v30, s[36:37]
	v_mul_f32_e32 v0, v36, v0
	v_mul_f32_e32 v36, v66, v87
	v_cmp_gt_f32_e32 vcc, s75, v36
	v_mul_f32_e32 v31, v2, v31
	v_cndmask_b32_e64 v31, 0, v31, s[38:39]
	v_cndmask_b32_e32 v36, 0, v94, vcc
	v_fmac_f32_e32 v36, v66, v87
	v_exp_f32_e32 v61, v36
	v_cndmask_b32_e64 v36, 1.0, v0, s[40:41]
	v_cndmask_b32_e32 v0, 1.0, v77, vcc
	v_mul_f32_e32 v0, v61, v0
	v_cndmask_b32_e64 v72, 1.0, v0, s[42:43]
	s_waitcnt vmcnt(0)
	v_mul_f32_e32 v34, v1, v35
	scratch_load_dword v1, off, off offset:32 ; 4-byte Folded Reload
	v_cndmask_b32_e64 v61, 0, v34, s[42:43]
	v_mul_f32_e32 v35, v66, v88
	v_cmp_gt_f32_e32 vcc, s75, v35
	s_waitcnt vmcnt(0)
	v_mul_f32_e32 v34, v1, v62
	scratch_load_dword v1, off, off offset:28 ; 4-byte Folded Reload
	v_cndmask_b32_e32 v35, 0, v94, vcc
	v_fmac_f32_e32 v35, v66, v88
	v_exp_f32_e32 v35, v35
	v_cndmask_b32_e32 v0, 1.0, v77, vcc
	v_cndmask_b32_e64 v64, 0, v34, s[44:45]
	v_mul_f32_e32 v62, v66, v90
	v_mul_f32_e32 v0, v35, v0
	;; [unrolled: 1-line block ×3, first 2 shown]
	v_cmp_gt_f32_e32 vcc, s75, v35
	v_cndmask_b32_e64 v34, 1.0, v0, s[44:45]
	s_nop 0
	v_cndmask_b32_e32 v35, 0, v94, vcc
	v_fmac_f32_e32 v35, v66, v89
	v_exp_f32_e32 v35, v35
	v_cndmask_b32_e32 v0, 1.0, v77, vcc
	v_cmp_gt_f32_e32 vcc, s75, v62
	v_mul_f32_e32 v0, v35, v0
	s_nop 0
	v_cndmask_b32_e32 v62, 0, v94, vcc
	v_fmac_f32_e32 v62, v66, v90
	v_exp_f32_e32 v62, v62
	s_waitcnt vmcnt(0)
	v_mul_f32_e32 v35, v1, v63
	scratch_load_dword v1, off, off offset:24 ; 4-byte Folded Reload
	v_cndmask_b32_e64 v65, 0, v35, s[46:47]
	v_cndmask_b32_e64 v35, 1.0, v0, s[46:47]
	v_cndmask_b32_e32 v0, 1.0, v77, vcc
	v_mul_f32_e32 v0, v62, v0
	v_mul_f32_e32 v63, v66, v91
	v_cmp_gt_f32_e32 vcc, s75, v63
	v_cndmask_b32_e64 v92, 1.0, v0, s[48:49]
	s_waitcnt vmcnt(0)
	v_mul_f32_e32 v62, v1, v67
	scratch_load_dword v1, off, off offset:20 ; 4-byte Folded Reload
	v_cndmask_b32_e32 v63, 0, v94, vcc
	v_fmac_f32_e32 v63, v66, v91
	v_exp_f32_e32 v63, v63
	v_cndmask_b32_e32 v0, 1.0, v77, vcc
	v_mul_f32_e32 v67, v66, v75
	v_cmp_gt_f32_e32 vcc, s75, v67
	v_mul_f32_e32 v0, v63, v0
	v_cndmask_b32_e64 v93, 1.0, v0, s[50:51]
	v_cndmask_b32_e32 v67, 0, v94, vcc
	v_fmac_f32_e32 v67, v66, v75
	v_exp_f32_e32 v67, v67
	v_cndmask_b32_e32 v0, 1.0, v77, vcc
	v_cndmask_b32_e64 v62, 0, v62, s[48:49]
	v_mul_f32_e32 v0, v67, v0
	v_cndmask_b32_e64 v73, 1.0, v0, s[52:53]
	s_waitcnt vmcnt(0)
	v_mul_f32_e32 v63, v1, v68
	scratch_load_dword v1, off, off offset:16 ; 4-byte Folded Reload
	v_mul_f32_e32 v68, v66, v37
	v_cmp_gt_f32_e32 vcc, s75, v68
	v_cndmask_b32_e64 v63, 0, v63, s[50:51]
	s_waitcnt vmcnt(0)
	v_mul_f32_e32 v67, v1, v69
	scratch_load_dword v1, off, off offset:12 ; 4-byte Folded Reload
	v_cndmask_b32_e32 v68, 0, v94, vcc
	v_fmac_f32_e32 v68, v66, v37
	v_exp_f32_e32 v68, v68
	v_cndmask_b32_e32 v0, 1.0, v77, vcc
	v_cndmask_b32_e64 v66, 0, v67, s[52:53]
	v_mul_f32_e32 v0, v68, v0
	v_cndmask_b32_e64 v74, 1.0, v0, s[54:55]
	v_mul_f32_e32 v0, v12, v11
	v_mul_f32_e32 v0, v0, v13
	;; [unrolled: 1-line block ×15, first 2 shown]
	s_waitcnt vmcnt(0)
	v_mul_f32_e32 v24, v1, v24
	v_cndmask_b32_e64 v67, 0, v24, s[54:55]
	v_fma_f32 v24, v12, v10, v25
	v_fma_f32 v24, v24, v13, v26
	;; [unrolled: 1-line block ×15, first 2 shown]
	v_mov_b32_dpp v69, v68 row_shr:1 row_mask:0xf bank_mask:0xf
	s_nop 0
	v_mov_b32_dpp v0, v1 row_shr:1 row_mask:0xf bank_mask:0xf
	s_and_saveexec_b64 s[96:97], s[4:5]
; %bb.63:                               ;   in Loop: Header=BB115_56 Depth=2
	v_mul_f32_e32 v69, v68, v69
	v_fmac_f32_e32 v1, v68, v0
	v_mov_b32_e32 v68, v69
; %bb.64:                               ;   in Loop: Header=BB115_56 Depth=2
	s_or_b64 exec, exec, s[96:97]
	s_nop 0
	v_mov_b32_dpp v0, v68 row_shr:2 row_mask:0xf bank_mask:0xf
	v_mov_b32_dpp v69, v1 row_shr:2 row_mask:0xf bank_mask:0xf
	s_and_saveexec_b64 s[96:97], s[6:7]
; %bb.65:                               ;   in Loop: Header=BB115_56 Depth=2
	v_fmac_f32_e32 v1, v68, v69
	v_mul_f32_e32 v68, v68, v0
; %bb.66:                               ;   in Loop: Header=BB115_56 Depth=2
	s_or_b64 exec, exec, s[96:97]
	s_nop 0
	v_mov_b32_dpp v0, v68 row_shr:4 row_mask:0xf bank_mask:0xf
	v_mov_b32_dpp v69, v1 row_shr:4 row_mask:0xf bank_mask:0xf
	s_and_saveexec_b64 s[96:97], s[8:9]
; %bb.67:                               ;   in Loop: Header=BB115_56 Depth=2
	v_fmac_f32_e32 v1, v68, v69
	v_mul_f32_e32 v68, v68, v0
	;; [unrolled: 9-line block ×3, first 2 shown]
; %bb.70:                               ;   in Loop: Header=BB115_56 Depth=2
	s_or_b64 exec, exec, s[96:97]
	s_nop 0
	v_mov_b32_dpp v0, v68 row_bcast:15 row_mask:0xf bank_mask:0xf
	v_mov_b32_dpp v69, v1 row_bcast:15 row_mask:0xf bank_mask:0xf
	s_and_saveexec_b64 s[96:97], s[12:13]
; %bb.71:                               ;   in Loop: Header=BB115_56 Depth=2
	v_fmac_f32_e32 v1, v68, v69
	v_mul_f32_e32 v68, v68, v0
; %bb.72:                               ;   in Loop: Header=BB115_56 Depth=2
	s_or_b64 exec, exec, s[96:97]
	s_nop 0
	v_mov_b32_dpp v0, v68 row_bcast:31 row_mask:0xf bank_mask:0xf
	v_mov_b32_dpp v69, v1 row_bcast:31 row_mask:0xf bank_mask:0xf
	v_mov_b32_e32 v24, v1
	v_mul_f32_e32 v0, v68, v0
	v_fmac_f32_e32 v24, v68, v69
	v_cndmask_b32_e64 v68, v68, v0, s[14:15]
	v_cndmask_b32_e64 v69, v1, v24, s[14:15]
	s_and_saveexec_b64 s[96:97], s[16:17]
	s_cbranch_execz .LBB115_74
; %bb.73:                               ;   in Loop: Header=BB115_56 Depth=2
	ds_write_b64 v33, v[68:69] offset:4224
.LBB115_74:                             ;   in Loop: Header=BB115_56 Depth=2
	s_or_b64 exec, exec, s[96:97]
	scratch_load_dword v0, off, off offset:52 ; 4-byte Folded Reload
	s_waitcnt lgkmcnt(0)
	; wave barrier
	s_waitcnt vmcnt(0) lgkmcnt(0)
	ds_bpermute_b32 v24, v0, v68
	ds_bpermute_b32 v0, v0, v69
	v_mov_b32_e32 v69, v59
	s_and_saveexec_b64 s[96:97], s[18:19]
	s_cbranch_execz .LBB115_78
; %bb.75:                               ;   in Loop: Header=BB115_56 Depth=2
	ds_read_b64 v[68:69], v33 offset:4224
	s_and_saveexec_b64 s[98:99], s[20:21]
	s_cbranch_execz .LBB115_77
; %bb.76:                               ;   in Loop: Header=BB115_56 Depth=2
	ds_write_b64 v33, v[58:59] offset:4224
.LBB115_77:                             ;   in Loop: Header=BB115_56 Depth=2
	s_or_b64 exec, exec, s[98:99]
	s_waitcnt lgkmcnt(0)
	v_fmac_f32_e32 v69, v59, v68
	v_mul_f32_e32 v58, v58, v68
	v_mov_b32_e32 v59, v69
.LBB115_78:                             ;   in Loop: Header=BB115_56 Depth=2
	s_or_b64 exec, exec, s[96:97]
	s_waitcnt lgkmcnt(0)
	; wave barrier
	s_waitcnt lgkmcnt(0)
	ds_read_b32 v68, v33 offset:4228
	s_and_saveexec_b64 s[96:97], s[20:21]
	s_cbranch_execz .LBB115_55
; %bb.79:                               ;   in Loop: Header=BB115_56 Depth=2
	v_mov_b32_e32 v1, s1
	s_andn2_b64 vcc, exec, s[88:89]
	ds_write_b64 v1, v[58:59]
	s_cbranch_vccnz .LBB115_55
; %bb.80:                               ;   in Loop: Header=BB115_56 Depth=2
	s_mov_b32 s95, s77
	s_lshl_b64 s[98:99], s[94:95], 2
	s_add_u32 s98, s65, s98
	s_addc_u32 s99, s69, s99
	global_store_dword v33, v69, s[98:99]
	s_branch .LBB115_55
.LBB115_81:
	s_endpgm
	.section	.rodata,"a",@progbits
	.p2align	6, 0x0
	.amdhsa_kernel _Z25selective_scan_fwd_kernelI32Selective_Scan_fwd_kernel_traitsILi64ELi16ELi1ELb1ELb1ELb1ELb0ELb0EN3c104HalfEffEEv13SSMParamsBase
		.amdhsa_group_segment_fixed_size 0
		.amdhsa_private_segment_fixed_size 204
		.amdhsa_kernarg_size 248
		.amdhsa_user_sgpr_count 2
		.amdhsa_user_sgpr_dispatch_ptr 0
		.amdhsa_user_sgpr_queue_ptr 0
		.amdhsa_user_sgpr_kernarg_segment_ptr 1
		.amdhsa_user_sgpr_dispatch_id 0
		.amdhsa_user_sgpr_kernarg_preload_length 0
		.amdhsa_user_sgpr_kernarg_preload_offset 0
		.amdhsa_user_sgpr_private_segment_size 0
		.amdhsa_uses_dynamic_stack 0
		.amdhsa_enable_private_segment 1
		.amdhsa_system_sgpr_workgroup_id_x 1
		.amdhsa_system_sgpr_workgroup_id_y 1
		.amdhsa_system_sgpr_workgroup_id_z 0
		.amdhsa_system_sgpr_workgroup_info 0
		.amdhsa_system_vgpr_workitem_id 0
		.amdhsa_next_free_vgpr 96
		.amdhsa_next_free_sgpr 100
		.amdhsa_accum_offset 96
		.amdhsa_reserve_vcc 1
		.amdhsa_float_round_mode_32 0
		.amdhsa_float_round_mode_16_64 0
		.amdhsa_float_denorm_mode_32 3
		.amdhsa_float_denorm_mode_16_64 3
		.amdhsa_dx10_clamp 1
		.amdhsa_ieee_mode 1
		.amdhsa_fp16_overflow 0
		.amdhsa_tg_split 0
		.amdhsa_exception_fp_ieee_invalid_op 0
		.amdhsa_exception_fp_denorm_src 0
		.amdhsa_exception_fp_ieee_div_zero 0
		.amdhsa_exception_fp_ieee_overflow 0
		.amdhsa_exception_fp_ieee_underflow 0
		.amdhsa_exception_fp_ieee_inexact 0
		.amdhsa_exception_int_div_zero 0
	.end_amdhsa_kernel
	.section	.text._Z25selective_scan_fwd_kernelI32Selective_Scan_fwd_kernel_traitsILi64ELi16ELi1ELb1ELb1ELb1ELb0ELb0EN3c104HalfEffEEv13SSMParamsBase,"axG",@progbits,_Z25selective_scan_fwd_kernelI32Selective_Scan_fwd_kernel_traitsILi64ELi16ELi1ELb1ELb1ELb1ELb0ELb0EN3c104HalfEffEEv13SSMParamsBase,comdat
.Lfunc_end115:
	.size	_Z25selective_scan_fwd_kernelI32Selective_Scan_fwd_kernel_traitsILi64ELi16ELi1ELb1ELb1ELb1ELb0ELb0EN3c104HalfEffEEv13SSMParamsBase, .Lfunc_end115-_Z25selective_scan_fwd_kernelI32Selective_Scan_fwd_kernel_traitsILi64ELi16ELi1ELb1ELb1ELb1ELb0ELb0EN3c104HalfEffEEv13SSMParamsBase
                                        ; -- End function
	.section	.AMDGPU.csdata,"",@progbits
; Kernel info:
; codeLenInByte = 17452
; NumSgprs: 106
; NumVgprs: 96
; NumAgprs: 0
; TotalNumVgprs: 96
; ScratchSize: 204
; MemoryBound: 1
; FloatMode: 240
; IeeeMode: 1
; LDSByteSize: 0 bytes/workgroup (compile time only)
; SGPRBlocks: 13
; VGPRBlocks: 11
; NumSGPRsForWavesPerEU: 106
; NumVGPRsForWavesPerEU: 96
; AccumOffset: 96
; Occupancy: 5
; WaveLimiterHint : 1
; COMPUTE_PGM_RSRC2:SCRATCH_EN: 1
; COMPUTE_PGM_RSRC2:USER_SGPR: 2
; COMPUTE_PGM_RSRC2:TRAP_HANDLER: 0
; COMPUTE_PGM_RSRC2:TGID_X_EN: 1
; COMPUTE_PGM_RSRC2:TGID_Y_EN: 1
; COMPUTE_PGM_RSRC2:TGID_Z_EN: 0
; COMPUTE_PGM_RSRC2:TIDIG_COMP_CNT: 0
; COMPUTE_PGM_RSRC3_GFX90A:ACCUM_OFFSET: 23
; COMPUTE_PGM_RSRC3_GFX90A:TG_SPLIT: 0
	.section	.text._Z25selective_scan_fwd_kernelI32Selective_Scan_fwd_kernel_traitsILi64ELi16ELi1ELb0ELb1ELb1ELb1ELb1EN3c104HalfEffEEv13SSMParamsBase,"axG",@progbits,_Z25selective_scan_fwd_kernelI32Selective_Scan_fwd_kernel_traitsILi64ELi16ELi1ELb0ELb1ELb1ELb1ELb1EN3c104HalfEffEEv13SSMParamsBase,comdat
	.protected	_Z25selective_scan_fwd_kernelI32Selective_Scan_fwd_kernel_traitsILi64ELi16ELi1ELb0ELb1ELb1ELb1ELb1EN3c104HalfEffEEv13SSMParamsBase ; -- Begin function _Z25selective_scan_fwd_kernelI32Selective_Scan_fwd_kernel_traitsILi64ELi16ELi1ELb0ELb1ELb1ELb1ELb1EN3c104HalfEffEEv13SSMParamsBase
	.globl	_Z25selective_scan_fwd_kernelI32Selective_Scan_fwd_kernel_traitsILi64ELi16ELi1ELb0ELb1ELb1ELb1ELb1EN3c104HalfEffEEv13SSMParamsBase
	.p2align	8
	.type	_Z25selective_scan_fwd_kernelI32Selective_Scan_fwd_kernel_traitsILi64ELi16ELi1ELb0ELb1ELb1ELb1ELb1EN3c104HalfEffEEv13SSMParamsBase,@function
_Z25selective_scan_fwd_kernelI32Selective_Scan_fwd_kernel_traitsILi64ELi16ELi1ELb0ELb1ELb1ELb1ELb1EN3c104HalfEffEEv13SSMParamsBase: ; @_Z25selective_scan_fwd_kernelI32Selective_Scan_fwd_kernel_traitsILi64ELi16ELi1ELb0ELb1ELb1ELb1ELb1EN3c104HalfEffEEv13SSMParamsBase
; %bb.0:
	s_load_dword s36, s[0:1], 0x18
	s_load_dwordx4 s[4:7], s[0:1], 0xe8
	s_load_dwordx8 s[20:27], s[0:1], 0xc8
	s_mov_b32 s34, s3
	s_ashr_i32 s3, s2, 31
	s_lshl_b64 s[8:9], s[2:3], 2
	s_waitcnt lgkmcnt(0)
	s_abs_i32 s33, s36
	v_cvt_f32_u32_e32 v1, s33
	s_add_u32 s28, s26, s8
	s_addc_u32 s29, s27, s9
	s_cmp_eq_u64 s[6:7], 0
	v_rcp_iflag_f32_e32 v1, v1
                                        ; implicit-def: $vgpr95 : SGPR spill to VGPR lane
	s_nop 0
	v_mul_f32_e32 v1, 0x4f7ffffe, v1
	v_cvt_u32_f32_e32 v1, v1
	s_nop 0
	v_readfirstlane_b32 s37, v1
	s_cbranch_scc1 .LBB116_2
; %bb.1:
	s_add_u32 s6, s6, s2
	s_addc_u32 s7, s7, s3
	v_mov_b32_e32 v1, 0
	global_load_ubyte v1, v1, s[6:7]
	s_waitcnt vmcnt(0)
	v_and_b32_e32 v1, 1, v1
	v_cmp_eq_u32_e64 s[6:7], 1, v1
	s_branch .LBB116_3
.LBB116_2:
	s_mov_b64 s[6:7], 0
.LBB116_3:
	s_nop 0
	v_writelane_b32 v95, s6, 0
	s_cmp_eq_u64 s[4:5], 0
	s_nop 0
	v_writelane_b32 v95, s7, 1
	s_load_dwordx2 s[6:7], s[0:1], 0x20
	s_cbranch_scc1 .LBB116_5
; %bb.4:
	s_add_u32 s2, s4, s8
	s_addc_u32 s3, s5, s9
	s_load_dword s2, s[2:3], 0x0
	s_waitcnt lgkmcnt(0)
	s_ashr_i32 s3, s2, 31
.LBB116_5:
	s_waitcnt lgkmcnt(0)
	s_cmp_eq_u64 s[6:7], s[2:3]
	s_cbranch_scc1 .LBB116_298
; %bb.6:
	s_load_dwordx16 s[4:19], s[0:1], 0x88
	s_load_dwordx2 s[26:27], s[28:29], 0x0
	s_mov_b32 s3, 0
	v_writelane_b32 v95, s3, 2
	v_writelane_b32 v95, s3, 3
	s_waitcnt lgkmcnt(0)
	s_cmp_eq_u64 s[10:11], 0
	s_cbranch_scc1 .LBB116_8
; %bb.7:
	s_ashr_i32 s35, s34, 31
	s_lshl_b64 s[28:29], s[34:35], 2
	s_add_u32 s10, s10, s28
	s_addc_u32 s11, s11, s29
	s_load_dword s3, s[10:11], 0x0
	s_waitcnt lgkmcnt(0)
	v_writelane_b32 v95, s3, 3
.LBB116_8:
	s_cmp_eq_u64 s[16:17], 0
	s_cbranch_scc1 .LBB116_10
; %bb.9:
	s_ashr_i32 s35, s34, 31
	s_lshl_b64 s[10:11], s[34:35], 2
	s_add_u32 s10, s16, s10
	s_addc_u32 s11, s17, s11
	s_load_dword s3, s[10:11], 0x0
	s_waitcnt lgkmcnt(0)
	v_writelane_b32 v95, s3, 2
.LBB116_10:
	s_sub_i32 s35, s27, s26
	s_cmp_lt_i32 s35, 1
	s_cbranch_scc1 .LBB116_298
; %bb.11:
	v_mbcnt_lo_u32_b32 v1, -1, 0
	v_mbcnt_hi_u32_b32 v20, -1, v1
	s_sub_i32 s3, 0, s33
	v_lshrrev_b32_e32 v1, 5, v20
	s_mul_i32 s3, s3, s37
	v_and_b32_e32 v1, 2, v1
	s_mul_hi_u32 s3, s37, s3
	v_add_u32_e32 v1, v1, v20
	s_abs_i32 s16, s34
	s_add_i32 s37, s37, s3
	v_add_u32_e32 v2, 64, v20
	v_lshl_add_u32 v1, v1, 1, 0
	s_load_dwordx8 s[40:47], s[0:1], 0x2c
	s_load_dwordx2 s[10:11], s[0:1], 0x7c
	s_load_dwordx4 s[28:31], s[0:1], 0x6c
	s_load_dwordx8 s[48:55], s[0:1], 0x4c
	s_mul_hi_u32 s3, s16, s37
	s_load_dword s37, s[0:1], 0xc
	s_load_dword s17, s[0:1], 0x28
	scratch_store_dword off, v1, off        ; 4-byte Folded Spill
	scratch_store_dword off, v2, off offset:180 ; 4-byte Folded Spill
	v_lshrrev_b32_e32 v1, 5, v2
	v_and_b32_e32 v1, 6, v1
	v_add_lshl_u32 v1, v1, v20, 1
	v_or_b32_e32 v3, 0x80, v20
	v_add_u32_e32 v2, 0, v1
	scratch_store_dword off, v2, off offset:8 ; 4-byte Folded Spill
	scratch_store_dword off, v3, off offset:184 ; 4-byte Folded Spill
	v_lshrrev_b32_e32 v2, 5, v3
	v_and_b32_e32 v2, 6, v2
	s_load_dword s97, s[0:1], 0x84
	s_ashr_i32 s0, s34, 31
	s_ashr_i32 s1, s36, 31
	v_add_lshl_u32 v2, v2, v20, 1
	s_xor_b32 s0, s0, s1
	s_mul_i32 s1, s3, s33
	v_add_u32_e32 v4, 0xc0, v20
	v_add_u32_e32 v3, 0, v2
	s_sub_i32 s1, s16, s1
	scratch_store_dword off, v3, off offset:12 ; 4-byte Folded Spill
	scratch_store_dword off, v4, off offset:188 ; 4-byte Folded Spill
	v_lshrrev_b32_e32 v3, 5, v4
	s_add_i32 s16, s3, 1
	s_sub_i32 s27, s1, s33
	v_and_b32_e32 v3, 14, v3
	s_cmp_ge_u32 s1, s33
	v_add_lshl_u32 v3, v3, v20, 1
	s_cselect_b32 s3, s16, s3
	v_or_b32_e32 v5, 0x100, v20
	v_add_u32_e32 v4, 0, v3
	s_cselect_b32 s1, s27, s1
	s_add_i32 s16, s3, 1
	scratch_store_dword off, v4, off offset:16 ; 4-byte Folded Spill
	scratch_store_dword off, v5, off offset:192 ; 4-byte Folded Spill
	v_lshrrev_b32_e32 v4, 5, v5
	s_cmp_ge_u32 s1, s33
	v_and_b32_e32 v4, 10, v4
	s_cselect_b32 s1, s16, s3
	v_add_lshl_u32 v4, v4, v20, 1
	s_xor_b32 s1, s1, s0
	s_waitcnt lgkmcnt(0)
	s_mul_i32 s98, s26, s50
	s_mov_b32 s99, 0
	v_add_u32_e32 v6, 0x140, v20
	v_add_u32_e32 v5, 0, v4
	s_sub_i32 s3, s1, s0
	s_lshl_b64 s[0:1], s[98:99], 1
	scratch_store_dword off, v5, off offset:20 ; 4-byte Folded Spill
	scratch_store_dword off, v6, off offset:196 ; 4-byte Folded Spill
	v_lshrrev_b32_e32 v5, 5, v6
	s_add_u32 s12, s12, s0
	s_mul_i32 s98, s51, s34
	v_and_b32_e32 v5, 14, v5
	s_addc_u32 s13, s13, s1
	s_lshl_b64 s[0:1], s[98:99], 1
	v_add_lshl_u32 v5, v5, v20, 1
	s_add_u32 s38, s12, s0
	s_mul_i32 s98, s26, s52
	v_or_b32_e32 v7, 0x180, v20
	v_add_u32_e32 v6, 0, v5
	s_addc_u32 s39, s13, s1
	s_lshl_b64 s[0:1], s[98:99], 1
	scratch_store_dword off, v6, off offset:24 ; 4-byte Folded Spill
	scratch_store_dword off, v7, off offset:200 ; 4-byte Folded Spill
	v_lshrrev_b32_e32 v6, 5, v7
	s_add_u32 s12, s14, s0
	s_mul_i32 s98, s53, s34
	v_and_b32_e32 v6, 14, v6
	s_addc_u32 s13, s15, s1
	s_lshl_b64 s[0:1], s[98:99], 1
	v_add_lshl_u32 v6, v6, v20, 1
	s_add_u32 s0, s12, s0
	v_add_u32_e32 v8, 0x1c0, v20
	v_add_u32_e32 v7, 0, v6
	s_addc_u32 s1, s13, s1
	scratch_store_dword off, v7, off offset:28 ; 4-byte Folded Spill
	scratch_store_dword off, v8, off offset:204 ; 4-byte Folded Spill
	v_lshrrev_b32_e32 v7, 5, v8
	v_writelane_b32 v95, s0, 4
	s_mul_i32 s98, s40, s34
	v_and_b32_e32 v7, 30, v7
	v_writelane_b32 v95, s1, 5
	s_lshl_b64 s[0:1], s[98:99], 2
	v_add_lshl_u32 v7, v7, v20, 1
	s_add_u32 s0, s4, s0
	v_or_b32_e32 v9, 0x200, v20
	v_add_u32_e32 v8, 0, v7
	v_writelane_b32 v95, s0, 6
	s_addc_u32 s0, s5, s1
	s_mul_i32 s98, s26, s42
	scratch_store_dword off, v8, off offset:32 ; 4-byte Folded Spill
	scratch_store_dword off, v9, off offset:208 ; 4-byte Folded Spill
	v_lshrrev_b32_e32 v8, 5, v9
	v_writelane_b32 v95, s0, 7
	s_lshl_b64 s[0:1], s[98:99], 1
	v_and_b32_e32 v8, 18, v8
	s_add_u32 s4, s6, s0
	s_mul_i32 s98, s3, s45
	v_add_lshl_u32 v8, v8, v20, 1
	s_addc_u32 s5, s7, s1
	s_lshl_b64 s[0:1], s[98:99], 1
	v_add_u32_e32 v10, 0x240, v20
	v_add_u32_e32 v9, 0, v8
	s_add_u32 s0, s4, s0
	scratch_store_dword off, v9, off offset:36 ; 4-byte Folded Spill
	scratch_store_dword off, v10, off offset:212 ; 4-byte Folded Spill
	v_lshrrev_b32_e32 v9, 5, v10
	s_addc_u32 s1, s5, s1
	v_and_b32_e32 v9, 22, v9
	v_writelane_b32 v95, s0, 8
	v_add_lshl_u32 v9, v9, v20, 1
	v_or_b32_e32 v11, 0x280, v20
	v_writelane_b32 v95, s1, 9
	v_add_u32_e32 v10, 0, v9
	v_writelane_b32 v95, s40, 10
	scratch_store_dword off, v10, off offset:40 ; 4-byte Folded Spill
	scratch_store_dword off, v11, off offset:216 ; 4-byte Folded Spill
	v_lshrrev_b32_e32 v10, 5, v11
	v_writelane_b32 v95, s41, 11
	v_and_b32_e32 v10, 22, v10
	v_writelane_b32 v95, s42, 12
	s_mul_i32 s98, s26, s46
	v_add_lshl_u32 v10, v10, v20, 1
	v_writelane_b32 v95, s43, 13
	s_lshl_b64 s[0:1], s[98:99], 1
	v_add_u32_e32 v12, 0x2c0, v20
	v_add_u32_e32 v11, 0, v10
	v_writelane_b32 v95, s44, 14
	s_add_u32 s4, s8, s0
	s_mul_i32 s98, s3, s49
	scratch_store_dword off, v11, off offset:44 ; 4-byte Folded Spill
	scratch_store_dword off, v12, off offset:220 ; 4-byte Folded Spill
	v_lshrrev_b32_e32 v11, 5, v12
	v_writelane_b32 v95, s45, 15
	s_addc_u32 s5, s9, s1
	s_lshl_b64 s[0:1], s[98:99], 1
	v_and_b32_e32 v11, 30, v11
	v_writelane_b32 v95, s46, 16
	s_add_u32 s0, s4, s0
	v_add_lshl_u32 v11, v11, v20, 1
	v_writelane_b32 v95, s47, 17
	s_addc_u32 s1, s5, s1
	v_or_b32_e32 v13, 0x300, v20
	v_add_u32_e32 v12, 0, v11
	v_writelane_b32 v95, s0, 18
	s_mul_i32 s98, s2, s10
	scratch_store_dword off, v12, off offset:48 ; 4-byte Folded Spill
	scratch_store_dword off, v13, off offset:224 ; 4-byte Folded Spill
	v_lshrrev_b32_e32 v12, 5, v13
	v_writelane_b32 v95, s1, 19
	s_lshl_b64 s[0:1], s[98:99], 2
	v_and_b32_e32 v12, 26, v12
	s_add_u32 s2, s20, s0
	s_mul_i32 s98, s11, s34
	v_add_lshl_u32 v12, v12, v20, 1
	s_addc_u32 s3, s21, s1
	s_lshl_b64 s[0:1], s[98:99], 2
	v_add_u32_e32 v14, 0x340, v20
	v_add_u32_e32 v13, 0, v12
	s_add_u32 s0, s2, s0
	scratch_store_dword off, v13, off offset:52 ; 4-byte Folded Spill
	scratch_store_dword off, v14, off offset:228 ; 4-byte Folded Spill
	v_lshrrev_b32_e32 v13, 5, v14
	v_writelane_b32 v95, s0, 20
	s_addc_u32 s0, s3, s1
	v_and_b32_e32 v13, 30, v13
	v_writelane_b32 v95, s0, 21
	s_add_i32 s0, s35, 0x7ff
	v_add_lshl_u32 v13, v13, v20, 1
	s_lshr_b32 s1, s0, 11
	v_or_b32_e32 v15, 0x380, v20
	v_add_u32_e32 v14, 0, v13
	scratch_store_dword off, v14, off offset:56 ; 4-byte Folded Spill
	scratch_store_dword off, v15, off offset:232 ; 4-byte Folded Spill
	v_lshrrev_b32_e32 v14, 5, v15
	s_bitcmp1_b32 s17, 0
	v_and_b32_e32 v14, 30, v14
	s_cselect_b64 s[6:7], -1, 0
	s_cmp_gt_i32 s37, 0
	v_add_lshl_u32 v14, v14, v20, 1
	s_cselect_b64 s[2:3], -1, 0
	s_add_i32 s0, 0, 0x840
	v_add_u32_e32 v15, 0, v14
	v_add_u32_e32 v1, s0, v1
	;; [unrolled: 1-line block ×3, first 2 shown]
	scratch_store_dword off, v15, off offset:60 ; 4-byte Folded Spill
	scratch_store_dword off, v16, off offset:236 ; 4-byte Folded Spill
	scratch_store_dword off, v1, off offset:96 ; 4-byte Folded Spill
	v_add_u32_e32 v1, s0, v2
	scratch_store_dword off, v1, off offset:100 ; 4-byte Folded Spill
	v_add_u32_e32 v1, s0, v3
	scratch_store_dword off, v1, off offset:104 ; 4-byte Folded Spill
	;; [unrolled: 2-line block ×7, first 2 shown]
	v_add_u32_e32 v1, s0, v9
	v_lshrrev_b32_e32 v15, 5, v16
	scratch_store_dword off, v1, off offset:128 ; 4-byte Folded Spill
	v_add_u32_e32 v1, s0, v10
	v_and_b32_e32 v15, 62, v15
	scratch_store_dword off, v1, off offset:132 ; 4-byte Folded Spill
	v_add_u32_e32 v1, s0, v11
	v_add_lshl_u32 v15, v15, v20, 1
	scratch_store_dword off, v1, off offset:136 ; 4-byte Folded Spill
	v_add_u32_e32 v1, s0, v12
	v_add_u32_e32 v16, 0, v15
	v_lshrrev_b32_e32 v18, 1, v20
	scratch_store_dword off, v1, off offset:140 ; 4-byte Folded Spill
	v_add_u32_e32 v1, s0, v13
	scratch_store_dword off, v16, off offset:64 ; 4-byte Folded Spill
	v_lshlrev_b32_e32 v16, 4, v20
	v_and_b32_e32 v18, 62, v18
	scratch_store_dword off, v1, off offset:144 ; 4-byte Folded Spill
	v_add_u32_e32 v1, s0, v14
	v_add_lshl_u32 v16, v18, v16, 1
	v_writelane_b32 v95, s37, 22
	scratch_store_dword off, v1, off offset:148 ; 4-byte Folded Spill
	v_add_u32_e32 v1, s0, v15
	v_writelane_b32 v95, s2, 23
	scratch_store_dword off, v1, off offset:152 ; 4-byte Folded Spill
	v_add_u32_e32 v1, s0, v16
	s_and_b32 s0, s35, 0x3ff
	v_writelane_b32 v95, s3, 24
	s_cmp_eq_u32 s0, 0
	v_writelane_b32 v95, s35, 25
	s_cselect_b64 s[2:3], -1, 0
	v_writelane_b32 v95, s2, 26
	s_add_i32 s0, s1, -1
	s_mul_i32 s98, s26, s28
	v_writelane_b32 v95, s3, 27
	v_writelane_b32 v95, s1, 28
	;; [unrolled: 1-line block ×3, first 2 shown]
	s_lshl_b64 s[0:1], s[98:99], 1
	scratch_store_dword off, v1, off offset:156 ; 4-byte Folded Spill
	v_and_b32_e32 v1, 15, v20
	s_add_u32 s4, s18, s0
	s_addc_u32 s5, s19, s1
	v_cmp_ne_u32_e64 s[0:1], 0, v1
	v_cmp_lt_u32_e64 s[2:3], 3, v1
	s_mul_i32 s98, s29, s34
	v_writelane_b32 v95, s0, 30
	v_and_b32_e32 v2, 64, v20
	v_lshlrev_b32_e32 v19, 4, v0
	v_writelane_b32 v95, s1, 31
	v_cmp_lt_u32_e64 s[0:1], 1, v1
	v_cmp_eq_u32_e64 s[16:17], 0, v0
	v_add_u32_e32 v18, 0, v16
	v_writelane_b32 v95, s0, 32
	v_mov_b32_e32 v17, 0
	scratch_store_dword off, v18, off offset:4 ; 4-byte Folded Spill
	v_writelane_b32 v95, s1, 33
	v_cmp_lt_u32_e64 s[0:1], 7, v1
	v_and_b32_e32 v1, 16, v20
	v_lshlrev_b32_e32 v16, 1, v20
	v_writelane_b32 v95, s0, 34
	v_cmp_lt_u32_e64 s[12:13], 31, v20
	s_mov_b32 s8, 0xc2ce8ed0
	v_writelane_b32 v95, s1, 35
	v_cmp_ne_u32_e64 s[0:1], 0, v1
	v_add_u32_e32 v1, -1, v20
	v_cmp_lt_i32_e32 vcc, v1, v2
	v_writelane_b32 v95, s0, 36
	s_mov_b32 s9, 0x42b17218
	v_cndmask_b32_e32 v1, v1, v20, vcc
	v_writelane_b32 v95, s1, 37
	s_lshl_b64 s[0:1], s[98:99], 1
	s_add_u32 s0, s4, s0
	s_mul_i32 s98, s26, s54
	s_addc_u32 s1, s5, s1
	s_lshl_b64 s[4:5], s[98:99], 1
	s_add_u32 s14, s22, s4
	v_writelane_b32 v95, s48, 38
	s_mul_i32 s98, s55, s34
	s_addc_u32 s15, s23, s5
	s_lshl_b64 s[4:5], s[98:99], 1
	s_add_u32 s18, s14, s4
	s_mul_i32 s98, s26, s30
	s_addc_u32 s19, s15, s5
	s_lshl_b64 s[14:15], s[98:99], 1
	s_add_u32 s22, s24, s14
	v_cmp_eq_u32_e64 s[4:5], 63, v0
	v_lshlrev_b32_e32 v1, 2, v1
	s_addc_u32 s23, s25, s15
	v_cmp_gt_u32_e64 s[14:15], 64, v0
	v_mov_b32_e32 v0, v20
	scratch_store_dwordx2 off, v[0:1], off offset:172 ; 8-byte Folded Spill
	v_or_b32_e32 v0, 1, v19
	scratch_store_dword off, v0, off offset:268 ; 4-byte Folded Spill
	v_or_b32_e32 v0, 2, v19
	scratch_store_dword off, v0, off offset:272 ; 4-byte Folded Spill
	;; [unrolled: 2-line block ×6, first 2 shown]
                                        ; implicit-def: $vgpr0
	v_writelane_b32 v95, s49, 39
	v_or_b32_e32 v0, 7, v19
	v_writelane_b32 v95, s50, 40
	scratch_store_dword off, v0, off offset:292 ; 4-byte Folded Spill
	v_or_b32_e32 v0, 8, v19
	v_writelane_b32 v95, s51, 41
	scratch_store_dword off, v0, off offset:296 ; 4-byte Folded Spill
	;; [unrolled: 3-line block ×4, first 2 shown]
	v_or_b32_e32 v0, 11, v19
	v_writelane_b32 v95, s54, 44
	s_mul_i32 s98, s31, s34
	scratch_store_dword off, v0, off offset:308 ; 4-byte Folded Spill
	v_or_b32_e32 v0, 12, v19
	v_writelane_b32 v95, s55, 45
	s_lshl_b64 s[20:21], s[98:99], 1
	scratch_store_dword off, v0, off offset:312 ; 4-byte Folded Spill
	v_or_b32_e32 v0, 13, v19
	v_writelane_b32 v95, s4, 46
	s_add_u32 s20, s22, s20
	scratch_store_dword off, v0, off offset:316 ; 4-byte Folded Spill
	v_or_b32_e32 v0, 14, v19
	v_writelane_b32 v95, s5, 47
	scratch_store_dword off, v1, off offset:160 ; 4-byte Folded Spill
	s_addc_u32 s21, s23, s21
	s_add_i32 s22, 0, 0x1088
	scratch_store_dword off, v0, off offset:320 ; 4-byte Folded Spill
	scratch_store_dword off, v19, off offset:264 ; 4-byte Folded Spill
	v_or_b32_e32 v0, 15, v19
	v_writelane_b32 v95, s22, 48
	scratch_store_dword off, v0, off offset:324 ; 4-byte Folded Spill
	v_lshl_add_u64 v[0:1], s[0:1], 0, v[16:17]
	scratch_store_dwordx2 off, v[0:1], off offset:240 ; 8-byte Folded Spill
	v_lshl_add_u64 v[0:1], s[18:19], 0, v[16:17]
	v_writelane_b32 v95, s97, 49
	scratch_store_dwordx2 off, v[0:1], off offset:248 ; 8-byte Folded Spill
	v_lshl_add_u64 v[0:1], s[20:21], 0, v[16:17]
	v_writelane_b32 v95, s6, 50
	s_mov_b32 s4, 0x41a00000
	s_mov_b32 s5, 0x3fb8aa3b
	;; [unrolled: 1-line block ×7, first 2 shown]
	v_mov_b32_e32 v39, 0x7f800000
	v_mov_b32_e32 v20, 0x42800000
	;; [unrolled: 1-line block ×3, first 2 shown]
	s_mov_b32 s1, 0
	scratch_store_dwordx2 off, v[0:1], off offset:256 ; 8-byte Folded Spill
	v_mov_b32_e32 v0, 0x3f317218
	v_writelane_b32 v95, s7, 51
	scratch_store_dwordx2 off, v[0:1], off offset:164 ; 8-byte Folded Spill
	s_branch .LBB116_13
.LBB116_12:                             ;   in Loop: Header=BB116_13 Depth=1
	s_or_b64 exec, exec, s[18:19]
	v_readlane_b32 s0, v95, 4
	v_readlane_b32 s1, v95, 5
	s_add_u32 s0, s0, 0x800
	s_addc_u32 s1, s1, 0
	v_writelane_b32 v95, s0, 4
	s_nop 1
	v_writelane_b32 v95, s1, 5
	s_nop 0
	v_readlane_b32 s38, v95, 55
	v_readlane_b32 s39, v95, 56
	s_add_u32 s38, s38, 0x800
	s_addc_u32 s39, s39, 0
	v_readlane_b32 s0, v95, 8
	v_readlane_b32 s1, v95, 9
	s_add_u32 s0, s0, 0x800
	s_addc_u32 s1, s1, 0
	v_writelane_b32 v95, s0, 8
	s_nop 1
	v_writelane_b32 v95, s1, 9
	s_nop 0
	v_readlane_b32 s0, v95, 18
	v_readlane_b32 s1, v95, 19
	s_add_u32 s0, s0, 0x800
	s_addc_u32 s1, s1, 0
	v_writelane_b32 v95, s0, 18
	s_nop 1
	v_writelane_b32 v95, s1, 19
	s_nop 0
	v_readlane_b32 s1, v95, 52
	s_add_i32 s1, s1, 1
	v_readlane_b32 s0, v95, 28
	s_cmp_lg_u32 s1, s0
	s_cbranch_scc0 .LBB116_298
.LBB116_13:                             ; =>This Loop Header: Depth=1
                                        ;     Child Loop BB116_110 Depth 2
	s_waitcnt lgkmcnt(0)
	; wave barrier
	s_waitcnt vmcnt(63) expcnt(7) lgkmcnt(15)
	scratch_load_dwordx2 v[0:1], off, off offset:172 ; 8-byte Folded Reload
	s_lshl_b32 s20, s1, 10
	v_writelane_b32 v95, s1, 52
	s_mov_b32 s18, s20
	v_readlane_b32 s0, v95, 25
	v_writelane_b32 v95, s18, 53
	s_sub_i32 s82, s0, s20
	s_waitcnt vmcnt(0) lgkmcnt(0)
	v_mov_b32_e32 v2, v0
	v_writelane_b32 v95, s19, 54
	v_lshlrev_b32_e32 v16, 1, v2
	v_writelane_b32 v95, s38, 55
	v_cmp_gt_u32_e64 s[18:19], s82, v2
	v_mov_b32_e32 v2, 0
	v_writelane_b32 v95, s39, 56
	v_lshl_add_u64 v[0:1], s[38:39], 0, v[16:17]
	s_and_saveexec_b64 s[20:21], s[18:19]
	s_cbranch_execz .LBB116_15
; %bb.14:                               ;   in Loop: Header=BB116_13 Depth=1
	global_load_ushort v2, v[0:1], off
.LBB116_15:                             ;   in Loop: Header=BB116_13 Depth=1
	s_or_b64 exec, exec, s[20:21]
	scratch_load_dword v3, off, off offset:180 ; 4-byte Folded Reload
	v_mov_b32_e32 v4, 0
	s_waitcnt vmcnt(0)
	v_cmp_gt_u32_e64 s[20:21], s82, v3
	v_mov_b32_e32 v3, 0
	s_and_saveexec_b64 s[22:23], s[20:21]
	s_cbranch_execz .LBB116_17
; %bb.16:                               ;   in Loop: Header=BB116_13 Depth=1
	global_load_ushort v4, v[0:1], off offset:128
.LBB116_17:                             ;   in Loop: Header=BB116_13 Depth=1
	s_or_b64 exec, exec, s[22:23]
	scratch_load_dword v5, off, off offset:184 ; 4-byte Folded Reload
	s_waitcnt vmcnt(0)
	v_cmp_gt_u32_e64 s[22:23], s82, v5
	s_and_saveexec_b64 s[24:25], s[22:23]
	s_cbranch_execz .LBB116_19
; %bb.18:                               ;   in Loop: Header=BB116_13 Depth=1
	global_load_ushort v3, v[0:1], off offset:256
.LBB116_19:                             ;   in Loop: Header=BB116_13 Depth=1
	s_or_b64 exec, exec, s[24:25]
	scratch_load_dword v5, off, off offset:188 ; 4-byte Folded Reload
	v_mov_b32_e32 v6, 0
	s_waitcnt vmcnt(0)
	v_cmp_gt_u32_e64 s[24:25], s82, v5
	v_mov_b32_e32 v5, 0
	s_and_saveexec_b64 s[26:27], s[24:25]
	s_cbranch_execz .LBB116_21
; %bb.20:                               ;   in Loop: Header=BB116_13 Depth=1
	global_load_ushort v6, v[0:1], off offset:384
.LBB116_21:                             ;   in Loop: Header=BB116_13 Depth=1
	s_or_b64 exec, exec, s[26:27]
	scratch_load_dword v7, off, off offset:192 ; 4-byte Folded Reload
	s_waitcnt vmcnt(0)
	v_cmp_gt_u32_e64 s[26:27], s82, v7
	s_and_saveexec_b64 s[28:29], s[26:27]
	s_cbranch_execz .LBB116_23
; %bb.22:                               ;   in Loop: Header=BB116_13 Depth=1
	global_load_ushort v5, v[0:1], off offset:512
.LBB116_23:                             ;   in Loop: Header=BB116_13 Depth=1
	;; [unrolled: 20-line block ×4, first 2 shown]
	s_or_b64 exec, exec, s[38:39]
	scratch_load_dword v10, off, off offset:212 ; 4-byte Folded Reload
	v_mov_b32_e32 v12, 0
	v_mov_b32_e32 v13, 0
	s_waitcnt vmcnt(0)
	v_cmp_gt_u32_e64 s[38:39], s82, v10
	s_and_saveexec_b64 s[40:41], s[38:39]
	s_cbranch_execz .LBB116_33
; %bb.32:                               ;   in Loop: Header=BB116_13 Depth=1
	global_load_ushort v13, v[0:1], off offset:1152
.LBB116_33:                             ;   in Loop: Header=BB116_13 Depth=1
	s_or_b64 exec, exec, s[40:41]
	scratch_load_dword v10, off, off offset:216 ; 4-byte Folded Reload
	s_waitcnt vmcnt(0)
	v_cmp_gt_u32_e64 s[40:41], s82, v10
	s_and_saveexec_b64 s[42:43], s[40:41]
	s_cbranch_execz .LBB116_35
; %bb.34:                               ;   in Loop: Header=BB116_13 Depth=1
	global_load_ushort v12, v[0:1], off offset:1280
.LBB116_35:                             ;   in Loop: Header=BB116_13 Depth=1
	s_or_b64 exec, exec, s[42:43]
	scratch_load_dword v10, off, off offset:220 ; 4-byte Folded Reload
	v_mov_b32_e32 v14, 0
	v_mov_b32_e32 v15, 0
	s_waitcnt vmcnt(0)
	v_cmp_gt_u32_e64 s[42:43], s82, v10
	s_and_saveexec_b64 s[44:45], s[42:43]
	s_cbranch_execz .LBB116_37
; %bb.36:                               ;   in Loop: Header=BB116_13 Depth=1
	global_load_ushort v15, v[0:1], off offset:1408
.LBB116_37:                             ;   in Loop: Header=BB116_13 Depth=1
	s_or_b64 exec, exec, s[44:45]
	scratch_load_dword v10, off, off offset:224 ; 4-byte Folded Reload
	s_waitcnt vmcnt(0)
	v_cmp_gt_u32_e64 s[44:45], s82, v10
	s_and_saveexec_b64 s[46:47], s[44:45]
	s_cbranch_execz .LBB116_39
; %bb.38:                               ;   in Loop: Header=BB116_13 Depth=1
	global_load_ushort v14, v[0:1], off offset:1536
.LBB116_39:                             ;   in Loop: Header=BB116_13 Depth=1
	;; [unrolled: 20-line block ×3, first 2 shown]
	s_or_b64 exec, exec, s[50:51]
	scratch_load_dword v10, off, off offset:236 ; 4-byte Folded Reload
	v_mov_b32_e32 v22, 0
	s_waitcnt vmcnt(0)
	v_cmp_gt_u32_e64 s[50:51], s82, v10
	v_mov_b32_e32 v10, 0
	s_and_saveexec_b64 s[52:53], s[50:51]
	s_cbranch_execz .LBB116_45
; %bb.44:                               ;   in Loop: Header=BB116_13 Depth=1
	global_load_ushort v22, v[0:1], off offset:1920
.LBB116_45:                             ;   in Loop: Header=BB116_13 Depth=1
	s_or_b64 exec, exec, s[52:53]
	scratch_load_dword v0, off, off         ; 4-byte Folded Reload
	v_readlane_b32 s0, v95, 4
	v_readlane_b32 s1, v95, 5
	s_waitcnt vmcnt(0)
	ds_write_b16 v0, v2
	scratch_load_dword v0, off, off offset:8 ; 4-byte Folded Reload
	s_waitcnt vmcnt(0)
	ds_write_b16 v0, v4 offset:128
	scratch_load_dword v0, off, off offset:12 ; 4-byte Folded Reload
	s_waitcnt vmcnt(0)
	ds_write_b16 v0, v3 offset:256
	scratch_load_dword v0, off, off offset:16 ; 4-byte Folded Reload
	s_waitcnt vmcnt(0)
	ds_write_b16 v0, v6 offset:384
	scratch_load_dword v0, off, off offset:20 ; 4-byte Folded Reload
	s_waitcnt vmcnt(0)
	ds_write_b16 v0, v5 offset:512
	scratch_load_dword v0, off, off offset:24 ; 4-byte Folded Reload
	s_waitcnt vmcnt(0)
	ds_write_b16 v0, v8 offset:640
	scratch_load_dword v0, off, off offset:28 ; 4-byte Folded Reload
	s_waitcnt vmcnt(0)
	ds_write_b16 v0, v7 offset:768
	scratch_load_dword v0, off, off offset:32 ; 4-byte Folded Reload
	s_waitcnt vmcnt(0)
	ds_write_b16 v0, v11 offset:896
	scratch_load_dword v0, off, off offset:36 ; 4-byte Folded Reload
	s_waitcnt vmcnt(0)
	ds_write_b16 v0, v9 offset:1024
	scratch_load_dword v0, off, off offset:40 ; 4-byte Folded Reload
	v_lshl_add_u64 v[8:9], s[0:1], 0, v[16:17]
	s_waitcnt vmcnt(0)
	ds_write_b16 v0, v13 offset:1152
	scratch_load_dword v0, off, off offset:44 ; 4-byte Folded Reload
	s_waitcnt vmcnt(0)
	ds_write_b16 v0, v12 offset:1280
	scratch_load_dword v0, off, off offset:48 ; 4-byte Folded Reload
	;; [unrolled: 3-line block ×6, first 2 shown]
	s_waitcnt vmcnt(0)
	ds_write_b16 v0, v22 offset:1920
	; wave barrier
	scratch_load_dword v4, off, off offset:4 ; 4-byte Folded Reload
	s_waitcnt vmcnt(0)
	ds_read_b128 v[0:3], v4
	ds_read_b128 v[4:7], v4 offset:16
	s_waitcnt lgkmcnt(0)
	; wave barrier
	s_waitcnt lgkmcnt(0)
	s_and_saveexec_b64 s[52:53], s[18:19]
	s_cbranch_execz .LBB116_47
; %bb.46:                               ;   in Loop: Header=BB116_13 Depth=1
	global_load_ushort v10, v[8:9], off
.LBB116_47:                             ;   in Loop: Header=BB116_13 Depth=1
	s_or_b64 exec, exec, s[52:53]
	v_mov_b32_e32 v11, 0
	v_mov_b32_e32 v12, 0
	s_and_saveexec_b64 s[52:53], s[20:21]
	s_cbranch_execz .LBB116_49
; %bb.48:                               ;   in Loop: Header=BB116_13 Depth=1
	global_load_ushort v12, v[8:9], off offset:128
.LBB116_49:                             ;   in Loop: Header=BB116_13 Depth=1
	s_or_b64 exec, exec, s[52:53]
	s_and_saveexec_b64 s[52:53], s[22:23]
	s_cbranch_execz .LBB116_51
; %bb.50:                               ;   in Loop: Header=BB116_13 Depth=1
	global_load_ushort v11, v[8:9], off offset:256
.LBB116_51:                             ;   in Loop: Header=BB116_13 Depth=1
	s_or_b64 exec, exec, s[52:53]
	v_mov_b32_e32 v13, 0
	v_mov_b32_e32 v14, 0
	s_and_saveexec_b64 s[52:53], s[24:25]
	s_cbranch_execz .LBB116_53
; %bb.52:                               ;   in Loop: Header=BB116_13 Depth=1
	global_load_ushort v14, v[8:9], off offset:384
.LBB116_53:                             ;   in Loop: Header=BB116_13 Depth=1
	s_or_b64 exec, exec, s[52:53]
	s_and_saveexec_b64 s[52:53], s[26:27]
	s_cbranch_execz .LBB116_55
; %bb.54:                               ;   in Loop: Header=BB116_13 Depth=1
	global_load_ushort v13, v[8:9], off offset:512
.LBB116_55:                             ;   in Loop: Header=BB116_13 Depth=1
	;; [unrolled: 14-line block ×6, first 2 shown]
	s_or_b64 exec, exec, s[52:53]
	v_mov_b32_e32 v27, 0
	v_mov_b32_e32 v28, 0
	s_and_saveexec_b64 s[52:53], s[46:47]
	s_cbranch_execnz .LBB116_267
; %bb.72:                               ;   in Loop: Header=BB116_13 Depth=1
	s_or_b64 exec, exec, s[52:53]
	s_and_saveexec_b64 s[52:53], s[48:49]
	s_cbranch_execnz .LBB116_268
.LBB116_73:                             ;   in Loop: Header=BB116_13 Depth=1
	s_or_b64 exec, exec, s[52:53]
	v_mov_b32_e32 v29, 0
	s_and_saveexec_b64 s[52:53], s[50:51]
	s_cbranch_execz .LBB116_75
.LBB116_74:                             ;   in Loop: Header=BB116_13 Depth=1
	global_load_ushort v29, v[8:9], off offset:1920
.LBB116_75:                             ;   in Loop: Header=BB116_13 Depth=1
	s_or_b64 exec, exec, s[52:53]
	scratch_load_dword v8, off, off         ; 4-byte Folded Reload
	v_readlane_b32 s0, v95, 2
	s_waitcnt vmcnt(0)
	ds_write_b16 v8, v10
	scratch_load_dword v8, off, off offset:8 ; 4-byte Folded Reload
	s_waitcnt vmcnt(0)
	ds_write_b16 v8, v12 offset:128
	scratch_load_dword v8, off, off offset:12 ; 4-byte Folded Reload
	s_waitcnt vmcnt(0)
	ds_write_b16 v8, v11 offset:256
	;; [unrolled: 3-line block ×15, first 2 shown]
	; wave barrier
	scratch_load_dword v8, off, off offset:4 ; 4-byte Folded Reload
	s_waitcnt vmcnt(0)
	ds_read_b128 v[12:15], v8
	ds_read_b128 v[8:11], v8 offset:16
	s_waitcnt lgkmcnt(1)
	v_cvt_f32_f16_e32 v18, v12
	v_add_f32_e32 v22, s0, v18
	v_cmp_ge_f32_e32 vcc, s4, v22
	s_and_b64 s[0:1], s[6:7], vcc
	s_and_saveexec_b64 s[54:55], s[0:1]
	s_cbranch_execz .LBB116_77
; %bb.76:                               ;   in Loop: Header=BB116_13 Depth=1
	v_mul_f32_e32 v18, 0x3fb8aa3b, v22
	v_rndne_f32_e32 v19, v18
	v_sub_f32_e32 v23, v18, v19
	v_fma_f32 v18, v22, s5, -v18
	v_fmac_f32_e32 v18, 0x32a5705f, v22
	v_add_f32_e32 v18, v23, v18
	v_cvt_i32_f32_e32 v19, v19
	v_exp_f32_e32 v18, v18
	v_cmp_ngt_f32_e32 vcc, s8, v22
	v_ldexp_f32 v18, v18, v19
	s_nop 0
	v_cndmask_b32_e32 v18, 0, v18, vcc
	v_cmp_nlt_f32_e32 vcc, s9, v22
	s_nop 1
	v_cndmask_b32_e32 v36, v39, v18, vcc
	v_add_f32_e32 v22, 1.0, v36
	v_add_f32_e32 v18, -1.0, v22
	v_sub_f32_e32 v19, v18, v22
	v_add_f32_e32 v19, 1.0, v19
	v_sub_f32_e32 v18, v36, v18
	v_add_f32_e32 v23, v18, v19
	v_frexp_mant_f32_e32 v24, v22
	v_cvt_f64_f32_e32 v[18:19], v22
	v_frexp_exp_i32_f64_e32 v18, v[18:19]
	v_cmp_gt_f32_e32 vcc, s11, v24
	v_cmp_gt_f32_e64 s[52:53], s57, v36
	s_nop 0
	v_subbrev_co_u32_e32 v28, vcc, 0, v18, vcc
	v_sub_u32_e32 v18, 0, v28
	v_ldexp_f32 v19, v22, v18
	v_add_f32_e32 v22, -1.0, v19
	v_add_f32_e32 v24, 1.0, v19
	v_ldexp_f32 v18, v23, v18
	v_add_f32_e32 v23, 1.0, v22
	v_add_f32_e32 v25, -1.0, v24
	v_sub_f32_e32 v23, v19, v23
	v_sub_f32_e32 v19, v19, v25
	v_add_f32_e32 v23, v18, v23
	v_add_f32_e32 v18, v18, v19
	;; [unrolled: 1-line block ×3, first 2 shown]
	v_rcp_f32_e32 v31, v29
	v_sub_f32_e32 v19, v24, v29
	v_add_f32_e32 v30, v18, v19
	v_add_f32_e32 v19, v22, v23
	v_mul_f32_e32 v33, v19, v31
	v_sub_f32_e32 v18, v22, v19
	v_mul_f32_e32 v22, v29, v33
	v_fma_f32 v24, v33, v29, -v22
	v_fmac_f32_e32 v24, v33, v30
	v_add_f32_e32 v32, v23, v18
	v_add_f32_e32 v18, v22, v24
	v_sub_f32_e32 v23, v19, v18
	v_pk_add_f32 v[26:27], v[18:19], v[22:23] neg_lo:[0,1] neg_hi:[0,1]
	v_mov_b32_e32 v25, v18
	v_pk_add_f32 v[18:19], v[26:27], v[24:25] neg_lo:[0,1] neg_hi:[0,1]
	v_cmp_eq_f32_e32 vcc, s10, v36
	v_add_f32_e32 v19, v32, v19
	v_add_f32_e32 v18, v18, v19
	;; [unrolled: 1-line block ×3, first 2 shown]
	v_mul_f32_e32 v32, v31, v19
	v_mul_f32_e32 v22, v29, v32
	v_fma_f32 v24, v32, v29, -v22
	v_fmac_f32_e32 v24, v32, v30
	v_sub_f32_e32 v23, v23, v19
	v_add_f32_e32 v29, v18, v23
	v_add_f32_e32 v18, v22, v24
	v_sub_f32_e32 v23, v19, v18
	v_pk_add_f32 v[26:27], v[18:19], v[22:23] neg_lo:[0,1] neg_hi:[0,1]
	v_mov_b32_e32 v25, v18
	v_pk_add_f32 v[18:19], v[26:27], v[24:25] neg_lo:[0,1] neg_hi:[0,1]
	scratch_load_dwordx2 v[26:27], off, off offset:164 ; 8-byte Folded Reload
	v_add_f32_e32 v19, v29, v19
	v_add_f32_e32 v18, v18, v19
	;; [unrolled: 1-line block ×4, first 2 shown]
	v_sub_f32_e32 v22, v19, v33
	v_mul_f32_e32 v18, v31, v18
	v_sub_f32_e32 v22, v32, v22
	v_add_f32_e32 v22, v22, v18
	v_add_f32_e32 v24, v19, v22
	v_mul_f32_e32 v25, v24, v24
	v_mov_b32_e32 v18, 0x3ecc95a3
	v_fmamk_f32 v18, v25, 0x3e9b6dac, v18
	v_fmaak_f32 v31, v25, v18, 0x3f2aaada
	v_cvt_f32_i32_e32 v18, v28
	v_sub_f32_e32 v19, v24, v19
	v_sub_f32_e32 v19, v22, v19
	v_ldexp_f32 v23, v24, 1
	s_or_b64 vcc, s[52:53], vcc
	s_waitcnt vmcnt(0)
	v_mov_b32_e32 v30, v26
	v_ldexp_f32 v26, v19, 1
	v_mul_f32_e32 v19, v24, v25
	v_mov_b32_e32 v22, v30
	v_pk_mul_f32 v[24:25], v[18:19], v[30:31]
	scratch_store_dwordx2 off, v[22:23], off offset:164 ; 8-byte Folded Spill
	v_fma_f32 v22, v18, s56, -v24
	v_fmac_f32_e32 v22, 0xb102e308, v18
	v_pk_add_f32 v[18:19], v[24:25], v[22:23]
	s_nop 0
	v_sub_f32_e32 v23, v19, v23
	v_sub_f32_e32 v23, v25, v23
	v_add_f32_e32 v27, v26, v23
	v_mov_b32_e32 v26, v24
	v_pk_add_f32 v[24:25], v[18:19], v[24:25] neg_lo:[0,1] neg_hi:[0,1]
	v_pk_add_f32 v[28:29], v[18:19], v[26:27]
	v_mov_b32_e32 v23, v18
	v_mov_b32_e32 v25, v29
	v_pk_add_f32 v[30:31], v[22:23], v[24:25] neg_lo:[0,1] neg_hi:[0,1]
	v_pk_add_f32 v[22:23], v[22:23], v[24:25]
	v_mov_b32_e32 v26, v27
	v_mov_b32_e32 v24, v23
	v_pk_add_f32 v[32:33], v[24:25], v[18:19] neg_lo:[0,1] neg_hi:[0,1]
	v_mov_b32_e32 v22, v29
	v_mov_b32_e32 v25, v32
	v_pk_add_f32 v[34:35], v[28:29], v[24:25] neg_lo:[0,1] neg_hi:[0,1]
	v_mov_b32_e32 v28, v19
	v_mov_b32_e32 v29, v32
	;; [unrolled: 1-line block ×3, first 2 shown]
	v_pk_add_f32 v[22:23], v[22:23], v[28:29] neg_lo:[0,1] neg_hi:[0,1]
	v_mov_b32_e32 v27, v18
	v_pk_add_f32 v[18:19], v[26:27], v[22:23] neg_lo:[0,1] neg_hi:[0,1]
	v_mov_b32_e32 v34, v30
	v_pk_add_f32 v[22:23], v[34:35], v[18:19]
	s_nop 0
	v_mov_b32_e32 v26, v23
	v_pk_add_f32 v[26:27], v[22:23], v[26:27]
	s_nop 0
	v_pk_add_f32 v[24:25], v[24:25], v[26:27]
	v_mov_b32_e32 v19, v26
	v_mov_b32_e32 v23, v24
	v_pk_add_f32 v[28:29], v[22:23], v[30:31] neg_lo:[0,1] neg_hi:[0,1]
	s_nop 0
	v_sub_f32_e32 v22, v22, v28
	v_pk_add_f32 v[18:19], v[18:19], v[28:29] neg_lo:[0,1] neg_hi:[0,1]
	v_sub_f32_e32 v22, v30, v22
	v_add_f32_e32 v18, v18, v22
	v_add_f32_e32 v18, v18, v19
	;; [unrolled: 1-line block ×3, first 2 shown]
	v_cndmask_b32_e32 v22, v18, v36, vcc
.LBB116_77:                             ;   in Loop: Header=BB116_13 Depth=1
	s_or_b64 exec, exec, s[54:55]
	v_cvt_f32_f16_sdwa v12, v12 dst_sel:DWORD dst_unused:UNUSED_PAD src0_sel:WORD_1
	v_readlane_b32 s0, v95, 2
	s_nop 1
	v_add_f32_e32 v23, s0, v12
	v_cmp_ge_f32_e32 vcc, s4, v23
	s_and_b64 s[0:1], s[6:7], vcc
	s_and_saveexec_b64 s[54:55], s[0:1]
	s_cbranch_execz .LBB116_79
; %bb.78:                               ;   in Loop: Header=BB116_13 Depth=1
	v_mul_f32_e32 v12, 0x3fb8aa3b, v23
	v_rndne_f32_e32 v18, v12
	v_sub_f32_e32 v19, v12, v18
	v_fma_f32 v12, v23, s5, -v12
	v_fmac_f32_e32 v12, 0x32a5705f, v23
	v_add_f32_e32 v12, v19, v12
	v_cvt_i32_f32_e32 v18, v18
	v_exp_f32_e32 v12, v12
	v_cmp_ngt_f32_e32 vcc, s8, v23
	v_ldexp_f32 v12, v12, v18
	s_nop 0
	v_cndmask_b32_e32 v12, 0, v12, vcc
	v_cmp_nlt_f32_e32 vcc, s9, v23
	s_nop 1
	v_cndmask_b32_e32 v36, v39, v12, vcc
	v_add_f32_e32 v12, 1.0, v36
	v_add_f32_e32 v18, -1.0, v12
	v_sub_f32_e32 v19, v18, v12
	v_add_f32_e32 v19, 1.0, v19
	v_sub_f32_e32 v18, v36, v18
	v_add_f32_e32 v23, v18, v19
	v_frexp_mant_f32_e32 v24, v12
	v_cvt_f64_f32_e32 v[18:19], v12
	v_frexp_exp_i32_f64_e32 v18, v[18:19]
	v_cmp_gt_f32_e32 vcc, s11, v24
	v_cmp_gt_f32_e64 s[52:53], s57, v36
	s_nop 0
	v_subbrev_co_u32_e32 v30, vcc, 0, v18, vcc
	v_sub_u32_e32 v18, 0, v30
	v_ldexp_f32 v12, v12, v18
	v_ldexp_f32 v18, v23, v18
	v_add_f32_e32 v23, -1.0, v12
	v_add_f32_e32 v19, 1.0, v23
	v_sub_f32_e32 v19, v12, v19
	v_add_f32_e32 v24, v18, v19
	v_add_f32_e32 v19, 1.0, v12
	v_add_f32_e32 v25, -1.0, v19
	v_sub_f32_e32 v12, v12, v25
	v_add_f32_e32 v12, v18, v12
	v_add_f32_e32 v31, v19, v12
	v_rcp_f32_e32 v32, v31
	v_sub_f32_e32 v18, v19, v31
	v_add_f32_e32 v19, v23, v24
	v_add_f32_e32 v12, v12, v18
	v_sub_f32_e32 v18, v23, v19
	v_mul_f32_e32 v33, v19, v32
	v_add_f32_e32 v23, v24, v18
	v_mul_f32_e32 v24, v31, v33
	v_fma_f32 v26, v33, v31, -v24
	v_fmac_f32_e32 v26, v33, v12
	v_add_f32_e32 v18, v24, v26
	v_sub_f32_e32 v25, v19, v18
	v_pk_add_f32 v[28:29], v[18:19], v[24:25] neg_lo:[0,1] neg_hi:[0,1]
	v_mov_b32_e32 v27, v18
	v_pk_add_f32 v[18:19], v[28:29], v[26:27] neg_lo:[0,1] neg_hi:[0,1]
	v_cmp_eq_f32_e32 vcc, s10, v36
	v_add_f32_e32 v19, v23, v19
	v_add_f32_e32 v18, v18, v19
	;; [unrolled: 1-line block ×3, first 2 shown]
	v_mul_f32_e32 v23, v32, v19
	v_mul_f32_e32 v24, v31, v23
	v_fma_f32 v26, v23, v31, -v24
	v_fmac_f32_e32 v26, v23, v12
	v_sub_f32_e32 v12, v25, v19
	v_add_f32_e32 v12, v18, v12
	v_add_f32_e32 v18, v24, v26
	v_sub_f32_e32 v25, v19, v18
	v_pk_add_f32 v[28:29], v[18:19], v[24:25] neg_lo:[0,1] neg_hi:[0,1]
	v_mov_b32_e32 v27, v18
	v_pk_add_f32 v[18:19], v[28:29], v[26:27] neg_lo:[0,1] neg_hi:[0,1]
	scratch_load_dwordx2 v[26:27], off, off offset:164 ; 8-byte Folded Reload
	v_add_f32_e32 v12, v12, v19
	v_add_f32_e32 v12, v18, v12
	;; [unrolled: 1-line block ×4, first 2 shown]
	v_sub_f32_e32 v18, v19, v33
	v_mul_f32_e32 v12, v32, v12
	v_sub_f32_e32 v18, v23, v18
	v_add_f32_e32 v12, v18, v12
	v_add_f32_e32 v23, v19, v12
	v_mul_f32_e32 v24, v23, v23
	v_mov_b32_e32 v18, 0x3ecc95a3
	v_fmamk_f32 v18, v24, 0x3e9b6dac, v18
	s_waitcnt vmcnt(0)
	v_fmaak_f32 v27, v24, v18, 0x3f2aaada
	v_cvt_f32_i32_e32 v18, v30
	v_sub_f32_e32 v19, v23, v19
	v_sub_f32_e32 v12, v12, v19
	v_mul_f32_e32 v19, v23, v24
	v_ldexp_f32 v25, v23, 1
	v_ldexp_f32 v12, v12, 1
	s_or_b64 vcc, s[52:53], vcc
	v_mov_b32_e32 v24, v26
	v_pk_mul_f32 v[26:27], v[18:19], v[26:27]
	scratch_store_dwordx2 off, v[24:25], off offset:164 ; 8-byte Folded Spill
	v_fma_f32 v24, v18, s56, -v26
	v_fmac_f32_e32 v24, 0xb102e308, v18
	v_pk_add_f32 v[18:19], v[26:27], v[24:25]
	v_mov_b32_e32 v28, v26
	v_sub_f32_e32 v23, v19, v25
	v_sub_f32_e32 v23, v27, v23
	v_add_f32_e32 v29, v12, v23
	v_pk_add_f32 v[26:27], v[18:19], v[26:27] neg_lo:[0,1] neg_hi:[0,1]
	v_pk_add_f32 v[30:31], v[18:19], v[28:29]
	v_mov_b32_e32 v25, v18
	v_mov_b32_e32 v27, v31
	v_pk_add_f32 v[32:33], v[24:25], v[26:27] neg_lo:[0,1] neg_hi:[0,1]
	v_pk_add_f32 v[24:25], v[24:25], v[26:27]
	s_nop 0
	v_mov_b32_e32 v12, v25
	v_pk_add_f32 v[26:27], v[12:13], v[18:19] neg_lo:[0,1] neg_hi:[0,1]
	v_mov_b32_e32 v24, v31
	v_mov_b32_e32 v23, v26
	v_pk_add_f32 v[34:35], v[30:31], v[22:23] neg_lo:[0,1] neg_hi:[0,1]
	v_mov_b32_e32 v30, v19
	v_mov_b32_e32 v31, v26
	;; [unrolled: 1-line block ×3, first 2 shown]
	v_pk_add_f32 v[24:25], v[24:25], v[30:31] neg_lo:[0,1] neg_hi:[0,1]
	v_mov_b32_e32 v26, v29
	v_mov_b32_e32 v27, v18
	v_pk_add_f32 v[18:19], v[26:27], v[24:25] neg_lo:[0,1] neg_hi:[0,1]
	v_mov_b32_e32 v34, v32
	v_pk_add_f32 v[24:25], v[34:35], v[18:19]
	s_nop 0
	v_mov_b32_e32 v26, v25
	v_pk_add_f32 v[26:27], v[24:25], v[26:27]
	s_nop 0
	v_pk_add_f32 v[28:29], v[12:13], v[26:27]
	v_mov_b32_e32 v19, v26
	v_mov_b32_e32 v25, v28
	v_pk_add_f32 v[30:31], v[24:25], v[32:33] neg_lo:[0,1] neg_hi:[0,1]
	s_nop 0
	v_sub_f32_e32 v12, v24, v30
	v_pk_add_f32 v[18:19], v[18:19], v[30:31] neg_lo:[0,1] neg_hi:[0,1]
	v_sub_f32_e32 v12, v32, v12
	v_add_f32_e32 v12, v18, v12
	v_add_f32_e32 v12, v12, v19
	;; [unrolled: 1-line block ×3, first 2 shown]
	v_cndmask_b32_e32 v23, v12, v36, vcc
.LBB116_79:                             ;   in Loop: Header=BB116_13 Depth=1
	s_or_b64 exec, exec, s[54:55]
	v_cvt_f32_f16_e32 v12, v13
	v_readlane_b32 s0, v95, 2
	s_nop 1
	v_add_f32_e32 v24, s0, v12
	v_cmp_ge_f32_e32 vcc, s4, v24
	s_and_b64 s[0:1], s[6:7], vcc
	s_and_saveexec_b64 s[54:55], s[0:1]
	s_cbranch_execz .LBB116_81
; %bb.80:                               ;   in Loop: Header=BB116_13 Depth=1
	v_mul_f32_e32 v12, 0x3fb8aa3b, v24
	v_rndne_f32_e32 v18, v12
	v_sub_f32_e32 v19, v12, v18
	v_fma_f32 v12, v24, s5, -v12
	v_fmac_f32_e32 v12, 0x32a5705f, v24
	v_add_f32_e32 v12, v19, v12
	v_cvt_i32_f32_e32 v18, v18
	v_exp_f32_e32 v12, v12
	v_cmp_ngt_f32_e32 vcc, s8, v24
	v_ldexp_f32 v12, v12, v18
	s_nop 0
	v_cndmask_b32_e32 v12, 0, v12, vcc
	v_cmp_nlt_f32_e32 vcc, s9, v24
	s_nop 1
	v_cndmask_b32_e32 v36, v39, v12, vcc
	v_add_f32_e32 v12, 1.0, v36
	v_add_f32_e32 v18, -1.0, v12
	v_sub_f32_e32 v19, v18, v12
	v_add_f32_e32 v19, 1.0, v19
	v_sub_f32_e32 v18, v36, v18
	v_add_f32_e32 v24, v18, v19
	v_frexp_mant_f32_e32 v25, v12
	v_cvt_f64_f32_e32 v[18:19], v12
	v_frexp_exp_i32_f64_e32 v18, v[18:19]
	v_cmp_gt_f32_e32 vcc, s11, v25
	v_cmp_gt_f32_e64 s[52:53], s57, v36
	s_nop 0
	v_subbrev_co_u32_e32 v30, vcc, 0, v18, vcc
	v_sub_u32_e32 v18, 0, v30
	v_ldexp_f32 v12, v12, v18
	v_ldexp_f32 v18, v24, v18
	v_add_f32_e32 v24, -1.0, v12
	v_add_f32_e32 v19, 1.0, v24
	v_sub_f32_e32 v19, v12, v19
	v_add_f32_e32 v25, v18, v19
	v_add_f32_e32 v19, 1.0, v12
	v_add_f32_e32 v26, -1.0, v19
	v_sub_f32_e32 v12, v12, v26
	v_add_f32_e32 v12, v18, v12
	v_add_f32_e32 v31, v19, v12
	v_rcp_f32_e32 v32, v31
	v_sub_f32_e32 v18, v19, v31
	v_add_f32_e32 v19, v24, v25
	v_add_f32_e32 v12, v12, v18
	v_mul_f32_e32 v34, v19, v32
	v_sub_f32_e32 v18, v24, v19
	v_mul_f32_e32 v24, v31, v34
	v_fma_f32 v26, v34, v31, -v24
	v_fmac_f32_e32 v26, v34, v12
	v_add_f32_e32 v33, v25, v18
	v_add_f32_e32 v18, v24, v26
	v_sub_f32_e32 v25, v19, v18
	v_pk_add_f32 v[28:29], v[18:19], v[24:25] neg_lo:[0,1] neg_hi:[0,1]
	v_mov_b32_e32 v27, v18
	v_pk_add_f32 v[18:19], v[28:29], v[26:27] neg_lo:[0,1] neg_hi:[0,1]
	v_cmp_eq_f32_e32 vcc, s10, v36
	v_add_f32_e32 v19, v33, v19
	v_add_f32_e32 v18, v18, v19
	;; [unrolled: 1-line block ×3, first 2 shown]
	v_mul_f32_e32 v33, v32, v19
	v_mul_f32_e32 v24, v31, v33
	v_fma_f32 v26, v33, v31, -v24
	v_fmac_f32_e32 v26, v33, v12
	v_sub_f32_e32 v12, v25, v19
	v_add_f32_e32 v12, v18, v12
	v_add_f32_e32 v18, v24, v26
	v_sub_f32_e32 v25, v19, v18
	v_pk_add_f32 v[28:29], v[18:19], v[24:25] neg_lo:[0,1] neg_hi:[0,1]
	v_mov_b32_e32 v27, v18
	v_pk_add_f32 v[18:19], v[28:29], v[26:27] neg_lo:[0,1] neg_hi:[0,1]
	scratch_load_dwordx2 v[28:29], off, off offset:164 ; 8-byte Folded Reload
	v_add_f32_e32 v12, v12, v19
	v_add_f32_e32 v12, v18, v12
	;; [unrolled: 1-line block ×4, first 2 shown]
	v_sub_f32_e32 v18, v19, v34
	v_mul_f32_e32 v12, v32, v12
	v_sub_f32_e32 v18, v33, v18
	v_add_f32_e32 v12, v18, v12
	v_add_f32_e32 v24, v19, v12
	v_mul_f32_e32 v26, v24, v24
	v_mov_b32_e32 v18, 0x3ecc95a3
	v_fmamk_f32 v18, v26, 0x3e9b6dac, v18
	s_waitcnt vmcnt(0)
	v_fmaak_f32 v29, v26, v18, 0x3f2aaada
	v_cvt_f32_i32_e32 v18, v30
	v_sub_f32_e32 v19, v24, v19
	v_sub_f32_e32 v12, v12, v19
	v_mul_f32_e32 v19, v24, v26
	v_ldexp_f32 v25, v24, 1
	v_ldexp_f32 v12, v12, 1
	s_or_b64 vcc, s[52:53], vcc
	v_mov_b32_e32 v24, v28
	v_pk_mul_f32 v[26:27], v[18:19], v[28:29]
	scratch_store_dwordx2 off, v[24:25], off offset:164 ; 8-byte Folded Spill
	v_fma_f32 v24, v18, s56, -v26
	v_fmac_f32_e32 v24, 0xb102e308, v18
	v_pk_add_f32 v[18:19], v[26:27], v[24:25]
	v_mov_b32_e32 v28, v26
	v_sub_f32_e32 v25, v19, v25
	v_sub_f32_e32 v25, v27, v25
	v_add_f32_e32 v29, v12, v25
	v_pk_add_f32 v[26:27], v[18:19], v[26:27] neg_lo:[0,1] neg_hi:[0,1]
	v_pk_add_f32 v[30:31], v[18:19], v[28:29]
	v_mov_b32_e32 v25, v18
	v_mov_b32_e32 v27, v31
	v_pk_add_f32 v[32:33], v[24:25], v[26:27] neg_lo:[0,1] neg_hi:[0,1]
	v_pk_add_f32 v[24:25], v[24:25], v[26:27]
	s_nop 0
	v_mov_b32_e32 v12, v25
	v_pk_add_f32 v[26:27], v[12:13], v[18:19] neg_lo:[0,1] neg_hi:[0,1]
	v_mov_b32_e32 v24, v31
	v_mov_b32_e32 v27, v26
	v_pk_add_f32 v[34:35], v[30:31], v[26:27] neg_lo:[0,1] neg_hi:[0,1]
	v_mov_b32_e32 v30, v19
	v_mov_b32_e32 v31, v26
	;; [unrolled: 1-line block ×3, first 2 shown]
	v_pk_add_f32 v[24:25], v[24:25], v[30:31] neg_lo:[0,1] neg_hi:[0,1]
	v_mov_b32_e32 v26, v29
	v_mov_b32_e32 v27, v18
	v_pk_add_f32 v[18:19], v[26:27], v[24:25] neg_lo:[0,1] neg_hi:[0,1]
	v_mov_b32_e32 v34, v32
	v_pk_add_f32 v[24:25], v[34:35], v[18:19]
	s_nop 0
	v_mov_b32_e32 v26, v25
	v_pk_add_f32 v[26:27], v[24:25], v[26:27]
	s_nop 0
	v_pk_add_f32 v[28:29], v[12:13], v[26:27]
	v_mov_b32_e32 v19, v26
	v_mov_b32_e32 v25, v28
	v_pk_add_f32 v[30:31], v[24:25], v[32:33] neg_lo:[0,1] neg_hi:[0,1]
	s_nop 0
	v_sub_f32_e32 v12, v24, v30
	v_pk_add_f32 v[18:19], v[18:19], v[30:31] neg_lo:[0,1] neg_hi:[0,1]
	v_sub_f32_e32 v12, v32, v12
	v_add_f32_e32 v12, v18, v12
	v_add_f32_e32 v12, v12, v19
	;; [unrolled: 1-line block ×3, first 2 shown]
	v_cndmask_b32_e32 v24, v12, v36, vcc
.LBB116_81:                             ;   in Loop: Header=BB116_13 Depth=1
	s_or_b64 exec, exec, s[54:55]
	v_cvt_f32_f16_sdwa v12, v13 dst_sel:DWORD dst_unused:UNUSED_PAD src0_sel:WORD_1
	v_readlane_b32 s0, v95, 2
	s_nop 1
	v_add_f32_e32 v25, s0, v12
	v_cmp_ge_f32_e32 vcc, s4, v25
	s_and_b64 s[0:1], s[6:7], vcc
	s_and_saveexec_b64 s[54:55], s[0:1]
	s_cbranch_execz .LBB116_83
; %bb.82:                               ;   in Loop: Header=BB116_13 Depth=1
	v_mul_f32_e32 v12, 0x3fb8aa3b, v25
	v_rndne_f32_e32 v13, v12
	v_sub_f32_e32 v18, v12, v13
	v_fma_f32 v12, v25, s5, -v12
	v_fmac_f32_e32 v12, 0x32a5705f, v25
	v_add_f32_e32 v12, v18, v12
	v_cvt_i32_f32_e32 v13, v13
	v_exp_f32_e32 v12, v12
	v_cmp_ngt_f32_e32 vcc, s8, v25
	v_ldexp_f32 v12, v12, v13
	s_nop 0
	v_cndmask_b32_e32 v12, 0, v12, vcc
	v_cmp_nlt_f32_e32 vcc, s9, v25
	s_nop 1
	v_cndmask_b32_e32 v38, v39, v12, vcc
	v_add_f32_e32 v18, 1.0, v38
	v_add_f32_e32 v12, -1.0, v18
	v_sub_f32_e32 v13, v12, v18
	v_add_f32_e32 v13, 1.0, v13
	v_sub_f32_e32 v12, v38, v12
	v_add_f32_e32 v19, v12, v13
	v_frexp_mant_f32_e32 v25, v18
	v_cvt_f64_f32_e32 v[12:13], v18
	v_frexp_exp_i32_f64_e32 v12, v[12:13]
	v_cmp_gt_f32_e32 vcc, s11, v25
	v_cmp_gt_f32_e64 s[52:53], s57, v38
	s_nop 0
	v_subbrev_co_u32_e32 v25, vcc, 0, v12, vcc
	v_sub_u32_e32 v12, 0, v25
	v_ldexp_f32 v13, v18, v12
	v_add_f32_e32 v18, -1.0, v13
	v_add_f32_e32 v26, 1.0, v13
	v_ldexp_f32 v12, v19, v12
	v_add_f32_e32 v19, 1.0, v18
	v_add_f32_e32 v27, -1.0, v26
	v_sub_f32_e32 v19, v13, v19
	v_sub_f32_e32 v13, v13, v27
	v_add_f32_e32 v19, v12, v19
	v_add_f32_e32 v12, v12, v13
	;; [unrolled: 1-line block ×3, first 2 shown]
	v_rcp_f32_e32 v32, v30
	v_sub_f32_e32 v13, v26, v30
	v_add_f32_e32 v31, v12, v13
	v_add_f32_e32 v13, v18, v19
	v_mul_f32_e32 v34, v13, v32
	v_sub_f32_e32 v12, v18, v13
	v_mul_f32_e32 v18, v30, v34
	v_fma_f32 v26, v34, v30, -v18
	v_fmac_f32_e32 v26, v34, v31
	v_add_f32_e32 v33, v19, v12
	v_add_f32_e32 v12, v18, v26
	v_sub_f32_e32 v19, v13, v12
	v_pk_add_f32 v[28:29], v[12:13], v[18:19] neg_lo:[0,1] neg_hi:[0,1]
	v_mov_b32_e32 v27, v12
	v_pk_add_f32 v[12:13], v[28:29], v[26:27] neg_lo:[0,1] neg_hi:[0,1]
	v_cmp_eq_f32_e32 vcc, s10, v38
	v_add_f32_e32 v13, v33, v13
	v_add_f32_e32 v12, v12, v13
	;; [unrolled: 1-line block ×3, first 2 shown]
	v_mul_f32_e32 v33, v32, v13
	v_mul_f32_e32 v18, v30, v33
	v_fma_f32 v26, v33, v30, -v18
	v_fmac_f32_e32 v26, v33, v31
	v_sub_f32_e32 v19, v19, v13
	v_add_f32_e32 v30, v12, v19
	v_add_f32_e32 v12, v18, v26
	v_sub_f32_e32 v19, v13, v12
	v_pk_add_f32 v[28:29], v[12:13], v[18:19] neg_lo:[0,1] neg_hi:[0,1]
	v_mov_b32_e32 v27, v12
	v_pk_add_f32 v[12:13], v[28:29], v[26:27] neg_lo:[0,1] neg_hi:[0,1]
	scratch_load_dwordx2 v[28:29], off, off offset:164 ; 8-byte Folded Reload
	v_add_f32_e32 v13, v30, v13
	v_add_f32_e32 v12, v12, v13
	;; [unrolled: 1-line block ×4, first 2 shown]
	v_sub_f32_e32 v18, v13, v34
	v_mul_f32_e32 v12, v32, v12
	v_sub_f32_e32 v18, v33, v18
	v_add_f32_e32 v18, v18, v12
	v_add_f32_e32 v26, v13, v18
	v_mul_f32_e32 v27, v26, v26
	v_mov_b32_e32 v12, 0x3ecc95a3
	v_fmamk_f32 v12, v27, 0x3e9b6dac, v12
	s_waitcnt vmcnt(0)
	v_fmaak_f32 v29, v27, v12, 0x3f2aaada
	v_cvt_f32_i32_e32 v12, v25
	v_sub_f32_e32 v13, v26, v13
	v_sub_f32_e32 v13, v18, v13
	v_ldexp_f32 v25, v13, 1
	v_mul_f32_e32 v13, v26, v27
	v_ldexp_f32 v19, v26, 1
	s_or_b64 vcc, s[52:53], vcc
	v_mov_b32_e32 v18, v28
	v_pk_mul_f32 v[26:27], v[12:13], v[28:29]
	scratch_store_dwordx2 off, v[18:19], off offset:164 ; 8-byte Folded Spill
	v_fma_f32 v18, v12, s56, -v26
	v_fmac_f32_e32 v18, 0xb102e308, v12
	v_pk_add_f32 v[12:13], v[26:27], v[18:19]
	v_mov_b32_e32 v28, v26
	v_sub_f32_e32 v19, v13, v19
	v_sub_f32_e32 v19, v27, v19
	v_add_f32_e32 v29, v25, v19
	v_pk_add_f32 v[26:27], v[12:13], v[26:27] neg_lo:[0,1] neg_hi:[0,1]
	v_pk_add_f32 v[30:31], v[12:13], v[28:29]
	v_mov_b32_e32 v19, v12
	v_mov_b32_e32 v27, v31
	v_pk_add_f32 v[32:33], v[18:19], v[26:27] neg_lo:[0,1] neg_hi:[0,1]
	v_pk_add_f32 v[18:19], v[18:19], v[26:27]
	v_mov_b32_e32 v28, v29
	v_mov_b32_e32 v26, v19
	v_pk_add_f32 v[34:35], v[26:27], v[12:13] neg_lo:[0,1] neg_hi:[0,1]
	v_mov_b32_e32 v18, v31
	v_mov_b32_e32 v25, v34
	v_pk_add_f32 v[36:37], v[30:31], v[24:25] neg_lo:[0,1] neg_hi:[0,1]
	v_mov_b32_e32 v30, v13
	v_mov_b32_e32 v31, v34
	;; [unrolled: 1-line block ×3, first 2 shown]
	v_pk_add_f32 v[18:19], v[18:19], v[30:31] neg_lo:[0,1] neg_hi:[0,1]
	v_mov_b32_e32 v29, v12
	v_pk_add_f32 v[12:13], v[28:29], v[18:19] neg_lo:[0,1] neg_hi:[0,1]
	v_mov_b32_e32 v36, v32
	v_pk_add_f32 v[18:19], v[36:37], v[12:13]
	s_nop 0
	v_mov_b32_e32 v28, v19
	v_pk_add_f32 v[28:29], v[18:19], v[28:29]
	s_nop 0
	v_pk_add_f32 v[26:27], v[26:27], v[28:29]
	v_mov_b32_e32 v13, v28
	v_mov_b32_e32 v19, v26
	v_pk_add_f32 v[30:31], v[18:19], v[32:33] neg_lo:[0,1] neg_hi:[0,1]
	s_nop 0
	v_sub_f32_e32 v18, v18, v30
	v_pk_add_f32 v[12:13], v[12:13], v[30:31] neg_lo:[0,1] neg_hi:[0,1]
	v_sub_f32_e32 v18, v32, v18
	v_add_f32_e32 v12, v12, v18
	v_add_f32_e32 v12, v12, v13
	;; [unrolled: 1-line block ×3, first 2 shown]
	v_cndmask_b32_e32 v25, v12, v38, vcc
.LBB116_83:                             ;   in Loop: Header=BB116_13 Depth=1
	s_or_b64 exec, exec, s[54:55]
	v_cvt_f32_f16_e32 v12, v14
	v_readlane_b32 s0, v95, 2
	s_nop 1
	v_add_f32_e32 v18, s0, v12
	v_cmp_ge_f32_e32 vcc, s4, v18
	s_and_b64 s[0:1], s[6:7], vcc
	s_and_saveexec_b64 s[54:55], s[0:1]
	s_cbranch_execz .LBB116_85
; %bb.84:                               ;   in Loop: Header=BB116_13 Depth=1
	v_mul_f32_e32 v12, 0x3fb8aa3b, v18
	v_rndne_f32_e32 v13, v12
	v_sub_f32_e32 v19, v12, v13
	v_fma_f32 v12, v18, s5, -v12
	v_fmac_f32_e32 v12, 0x32a5705f, v18
	v_add_f32_e32 v12, v19, v12
	v_cvt_i32_f32_e32 v13, v13
	v_exp_f32_e32 v12, v12
	v_cmp_ngt_f32_e32 vcc, s8, v18
	v_ldexp_f32 v12, v12, v13
	s_nop 0
	v_cndmask_b32_e32 v12, 0, v12, vcc
	v_cmp_nlt_f32_e32 vcc, s9, v18
	s_nop 1
	v_cndmask_b32_e32 v38, v39, v12, vcc
	v_add_f32_e32 v18, 1.0, v38
	v_add_f32_e32 v12, -1.0, v18
	v_sub_f32_e32 v13, v12, v18
	v_add_f32_e32 v13, 1.0, v13
	v_sub_f32_e32 v12, v38, v12
	v_add_f32_e32 v19, v12, v13
	v_frexp_mant_f32_e32 v26, v18
	v_cvt_f64_f32_e32 v[12:13], v18
	v_frexp_exp_i32_f64_e32 v12, v[12:13]
	v_cmp_gt_f32_e32 vcc, s11, v26
	v_cmp_gt_f32_e64 s[52:53], s57, v38
	s_nop 0
	v_subbrev_co_u32_e32 v30, vcc, 0, v12, vcc
	v_sub_u32_e32 v12, 0, v30
	v_ldexp_f32 v13, v18, v12
	v_add_f32_e32 v18, -1.0, v13
	v_add_f32_e32 v26, 1.0, v13
	v_ldexp_f32 v12, v19, v12
	v_add_f32_e32 v19, 1.0, v18
	v_add_f32_e32 v27, -1.0, v26
	v_sub_f32_e32 v19, v13, v19
	v_sub_f32_e32 v13, v13, v27
	v_add_f32_e32 v19, v12, v19
	v_add_f32_e32 v12, v12, v13
	v_add_f32_e32 v31, v26, v12
	v_rcp_f32_e32 v33, v31
	v_sub_f32_e32 v13, v26, v31
	v_add_f32_e32 v32, v12, v13
	v_add_f32_e32 v13, v18, v19
	v_mul_f32_e32 v35, v13, v33
	v_sub_f32_e32 v12, v18, v13
	v_mul_f32_e32 v18, v31, v35
	v_fma_f32 v26, v35, v31, -v18
	v_fmac_f32_e32 v26, v35, v32
	v_add_f32_e32 v34, v19, v12
	v_add_f32_e32 v12, v18, v26
	v_sub_f32_e32 v19, v13, v12
	v_pk_add_f32 v[28:29], v[12:13], v[18:19] neg_lo:[0,1] neg_hi:[0,1]
	v_mov_b32_e32 v27, v12
	v_pk_add_f32 v[12:13], v[28:29], v[26:27] neg_lo:[0,1] neg_hi:[0,1]
	v_cmp_eq_f32_e32 vcc, s10, v38
	v_add_f32_e32 v13, v34, v13
	v_add_f32_e32 v12, v12, v13
	;; [unrolled: 1-line block ×3, first 2 shown]
	v_mul_f32_e32 v34, v33, v13
	v_mul_f32_e32 v18, v31, v34
	v_fma_f32 v26, v34, v31, -v18
	v_fmac_f32_e32 v26, v34, v32
	v_sub_f32_e32 v19, v19, v13
	v_add_f32_e32 v31, v12, v19
	v_add_f32_e32 v12, v18, v26
	v_sub_f32_e32 v19, v13, v12
	v_pk_add_f32 v[28:29], v[12:13], v[18:19] neg_lo:[0,1] neg_hi:[0,1]
	v_mov_b32_e32 v27, v12
	v_pk_add_f32 v[12:13], v[28:29], v[26:27] neg_lo:[0,1] neg_hi:[0,1]
	scratch_load_dwordx2 v[28:29], off, off offset:164 ; 8-byte Folded Reload
	v_add_f32_e32 v13, v31, v13
	v_add_f32_e32 v12, v12, v13
	;; [unrolled: 1-line block ×4, first 2 shown]
	v_sub_f32_e32 v18, v13, v35
	v_mul_f32_e32 v12, v33, v12
	v_sub_f32_e32 v18, v34, v18
	v_add_f32_e32 v18, v18, v12
	v_add_f32_e32 v26, v13, v18
	v_mul_f32_e32 v27, v26, v26
	v_mov_b32_e32 v12, 0x3ecc95a3
	v_fmamk_f32 v12, v27, 0x3e9b6dac, v12
	v_fmaak_f32 v33, v27, v12, 0x3f2aaada
	v_cvt_f32_i32_e32 v12, v30
	v_sub_f32_e32 v13, v26, v13
	v_sub_f32_e32 v13, v18, v13
	v_ldexp_f32 v19, v26, 1
	s_or_b64 vcc, s[52:53], vcc
	s_waitcnt vmcnt(0)
	v_mov_b32_e32 v32, v28
	v_ldexp_f32 v28, v13, 1
	v_mul_f32_e32 v13, v26, v27
	v_mov_b32_e32 v18, v32
	v_pk_mul_f32 v[26:27], v[12:13], v[32:33]
	scratch_store_dwordx2 off, v[18:19], off offset:164 ; 8-byte Folded Spill
	v_fma_f32 v18, v12, s56, -v26
	v_fmac_f32_e32 v18, 0xb102e308, v12
	v_pk_add_f32 v[12:13], v[26:27], v[18:19]
	s_nop 0
	v_sub_f32_e32 v19, v13, v19
	v_sub_f32_e32 v19, v27, v19
	v_add_f32_e32 v29, v28, v19
	v_mov_b32_e32 v28, v26
	v_pk_add_f32 v[26:27], v[12:13], v[26:27] neg_lo:[0,1] neg_hi:[0,1]
	v_pk_add_f32 v[30:31], v[12:13], v[28:29]
	v_mov_b32_e32 v19, v12
	v_mov_b32_e32 v27, v31
	v_pk_add_f32 v[32:33], v[18:19], v[26:27] neg_lo:[0,1] neg_hi:[0,1]
	v_pk_add_f32 v[18:19], v[18:19], v[26:27]
	v_mov_b32_e32 v28, v29
	v_mov_b32_e32 v26, v19
	v_pk_add_f32 v[34:35], v[26:27], v[12:13] neg_lo:[0,1] neg_hi:[0,1]
	v_mov_b32_e32 v18, v31
	v_mov_b32_e32 v27, v34
	v_pk_add_f32 v[36:37], v[30:31], v[26:27] neg_lo:[0,1] neg_hi:[0,1]
	v_mov_b32_e32 v30, v13
	v_mov_b32_e32 v31, v34
	;; [unrolled: 1-line block ×3, first 2 shown]
	v_pk_add_f32 v[18:19], v[18:19], v[30:31] neg_lo:[0,1] neg_hi:[0,1]
	v_mov_b32_e32 v29, v12
	v_pk_add_f32 v[12:13], v[28:29], v[18:19] neg_lo:[0,1] neg_hi:[0,1]
	v_mov_b32_e32 v36, v32
	v_pk_add_f32 v[18:19], v[36:37], v[12:13]
	s_nop 0
	v_mov_b32_e32 v28, v19
	v_pk_add_f32 v[28:29], v[18:19], v[28:29]
	s_nop 0
	v_pk_add_f32 v[26:27], v[26:27], v[28:29]
	v_mov_b32_e32 v13, v28
	v_mov_b32_e32 v19, v26
	v_pk_add_f32 v[30:31], v[18:19], v[32:33] neg_lo:[0,1] neg_hi:[0,1]
	s_nop 0
	v_sub_f32_e32 v18, v18, v30
	v_pk_add_f32 v[12:13], v[12:13], v[30:31] neg_lo:[0,1] neg_hi:[0,1]
	v_sub_f32_e32 v18, v32, v18
	v_add_f32_e32 v12, v12, v18
	v_add_f32_e32 v12, v12, v13
	;; [unrolled: 1-line block ×3, first 2 shown]
	v_cndmask_b32_e32 v18, v12, v38, vcc
.LBB116_85:                             ;   in Loop: Header=BB116_13 Depth=1
	s_or_b64 exec, exec, s[54:55]
	v_cvt_f32_f16_sdwa v12, v14 dst_sel:DWORD dst_unused:UNUSED_PAD src0_sel:WORD_1
	v_readlane_b32 s0, v95, 2
	s_nop 1
	v_add_f32_e32 v74, s0, v12
	v_cmp_ge_f32_e32 vcc, s4, v74
	s_and_b64 s[0:1], s[6:7], vcc
	s_and_saveexec_b64 s[54:55], s[0:1]
	s_cbranch_execz .LBB116_87
; %bb.86:                               ;   in Loop: Header=BB116_13 Depth=1
	v_mul_f32_e32 v12, 0x3fb8aa3b, v74
	v_rndne_f32_e32 v13, v12
	v_sub_f32_e32 v14, v12, v13
	v_fma_f32 v12, v74, s5, -v12
	v_fmac_f32_e32 v12, 0x32a5705f, v74
	v_add_f32_e32 v12, v14, v12
	v_cvt_i32_f32_e32 v13, v13
	v_exp_f32_e32 v12, v12
	v_cmp_ngt_f32_e32 vcc, s8, v74
	v_ldexp_f32 v12, v12, v13
	s_nop 0
	v_cndmask_b32_e32 v12, 0, v12, vcc
	v_cmp_nlt_f32_e32 vcc, s9, v74
	s_nop 1
	v_cndmask_b32_e32 v38, v39, v12, vcc
	v_add_f32_e32 v14, 1.0, v38
	v_add_f32_e32 v12, -1.0, v14
	v_sub_f32_e32 v13, v12, v14
	v_add_f32_e32 v13, 1.0, v13
	v_sub_f32_e32 v12, v38, v12
	v_add_f32_e32 v19, v12, v13
	v_frexp_mant_f32_e32 v26, v14
	v_cvt_f64_f32_e32 v[12:13], v14
	v_frexp_exp_i32_f64_e32 v12, v[12:13]
	v_cmp_gt_f32_e32 vcc, s11, v26
	v_cmp_gt_f32_e64 s[52:53], s57, v38
	s_nop 0
	v_subbrev_co_u32_e32 v32, vcc, 0, v12, vcc
	v_sub_u32_e32 v12, 0, v32
	v_ldexp_f32 v13, v14, v12
	v_add_f32_e32 v14, -1.0, v13
	v_add_f32_e32 v26, 1.0, v13
	v_ldexp_f32 v12, v19, v12
	v_add_f32_e32 v19, 1.0, v14
	v_add_f32_e32 v27, -1.0, v26
	v_sub_f32_e32 v19, v13, v19
	v_sub_f32_e32 v13, v13, v27
	v_add_f32_e32 v19, v12, v19
	v_add_f32_e32 v12, v12, v13
	;; [unrolled: 1-line block ×3, first 2 shown]
	v_rcp_f32_e32 v35, v33
	v_sub_f32_e32 v13, v26, v33
	v_add_f32_e32 v34, v12, v13
	v_add_f32_e32 v13, v14, v19
	v_sub_f32_e32 v12, v14, v13
	v_add_f32_e32 v14, v19, v12
	v_mul_f32_e32 v19, v13, v35
	v_mul_f32_e32 v26, v33, v19
	v_fma_f32 v28, v19, v33, -v26
	v_fmac_f32_e32 v28, v19, v34
	v_add_f32_e32 v12, v26, v28
	v_sub_f32_e32 v27, v13, v12
	v_pk_add_f32 v[30:31], v[12:13], v[26:27] neg_lo:[0,1] neg_hi:[0,1]
	v_mov_b32_e32 v29, v12
	v_pk_add_f32 v[12:13], v[30:31], v[28:29] neg_lo:[0,1] neg_hi:[0,1]
	v_cmp_eq_f32_e32 vcc, s10, v38
	v_add_f32_e32 v13, v14, v13
	v_add_f32_e32 v12, v12, v13
	;; [unrolled: 1-line block ×3, first 2 shown]
	v_mul_f32_e32 v14, v35, v13
	v_mul_f32_e32 v26, v33, v14
	v_fma_f32 v28, v14, v33, -v26
	v_fmac_f32_e32 v28, v14, v34
	v_sub_f32_e32 v27, v27, v13
	v_add_f32_e32 v33, v12, v27
	v_add_f32_e32 v12, v26, v28
	v_sub_f32_e32 v27, v13, v12
	v_pk_add_f32 v[30:31], v[12:13], v[26:27] neg_lo:[0,1] neg_hi:[0,1]
	v_mov_b32_e32 v29, v12
	v_pk_add_f32 v[12:13], v[30:31], v[28:29] neg_lo:[0,1] neg_hi:[0,1]
	scratch_load_dwordx2 v[28:29], off, off offset:164 ; 8-byte Folded Reload
	v_add_f32_e32 v13, v33, v13
	v_add_f32_e32 v12, v12, v13
	;; [unrolled: 1-line block ×4, first 2 shown]
	v_sub_f32_e32 v19, v13, v19
	v_mul_f32_e32 v12, v35, v12
	v_sub_f32_e32 v14, v14, v19
	v_add_f32_e32 v14, v14, v12
	v_add_f32_e32 v19, v13, v14
	v_mul_f32_e32 v26, v19, v19
	v_mov_b32_e32 v12, 0x3ecc95a3
	v_fmamk_f32 v12, v26, 0x3e9b6dac, v12
	s_waitcnt vmcnt(0)
	v_fmaak_f32 v29, v26, v12, 0x3f2aaada
	v_cvt_f32_i32_e32 v12, v32
	v_sub_f32_e32 v13, v19, v13
	v_sub_f32_e32 v13, v14, v13
	v_ldexp_f32 v14, v13, 1
	v_mul_f32_e32 v13, v19, v26
	v_ldexp_f32 v27, v19, 1
	s_or_b64 vcc, s[52:53], vcc
	v_mov_b32_e32 v26, v28
	v_pk_mul_f32 v[28:29], v[12:13], v[28:29]
	scratch_store_dwordx2 off, v[26:27], off offset:164 ; 8-byte Folded Spill
	v_fma_f32 v26, v12, s56, -v28
	v_fmac_f32_e32 v26, 0xb102e308, v12
	v_pk_add_f32 v[12:13], v[28:29], v[26:27]
	v_mov_b32_e32 v30, v28
	v_sub_f32_e32 v19, v13, v27
	v_sub_f32_e32 v19, v29, v19
	v_add_f32_e32 v31, v14, v19
	v_pk_add_f32 v[28:29], v[12:13], v[28:29] neg_lo:[0,1] neg_hi:[0,1]
	v_pk_add_f32 v[32:33], v[12:13], v[30:31]
	v_mov_b32_e32 v27, v12
	v_mov_b32_e32 v29, v33
	v_pk_add_f32 v[34:35], v[26:27], v[28:29] neg_lo:[0,1] neg_hi:[0,1]
	v_pk_add_f32 v[26:27], v[26:27], v[28:29]
	s_nop 0
	v_mov_b32_e32 v14, v27
	v_pk_add_f32 v[28:29], v[14:15], v[12:13] neg_lo:[0,1] neg_hi:[0,1]
	v_mov_b32_e32 v26, v33
	v_mov_b32_e32 v19, v28
	v_pk_add_f32 v[36:37], v[32:33], v[18:19] neg_lo:[0,1] neg_hi:[0,1]
	v_mov_b32_e32 v32, v13
	v_mov_b32_e32 v33, v28
	;; [unrolled: 1-line block ×3, first 2 shown]
	v_pk_add_f32 v[26:27], v[26:27], v[32:33] neg_lo:[0,1] neg_hi:[0,1]
	v_mov_b32_e32 v28, v31
	v_mov_b32_e32 v29, v12
	v_pk_add_f32 v[12:13], v[28:29], v[26:27] neg_lo:[0,1] neg_hi:[0,1]
	v_mov_b32_e32 v36, v34
	v_pk_add_f32 v[26:27], v[36:37], v[12:13]
	s_nop 0
	v_mov_b32_e32 v28, v27
	v_pk_add_f32 v[28:29], v[26:27], v[28:29]
	s_nop 0
	v_pk_add_f32 v[30:31], v[14:15], v[28:29]
	v_mov_b32_e32 v13, v28
	v_mov_b32_e32 v27, v30
	v_pk_add_f32 v[32:33], v[26:27], v[34:35] neg_lo:[0,1] neg_hi:[0,1]
	s_nop 0
	v_sub_f32_e32 v14, v26, v32
	v_pk_add_f32 v[12:13], v[12:13], v[32:33] neg_lo:[0,1] neg_hi:[0,1]
	v_sub_f32_e32 v14, v34, v14
	v_add_f32_e32 v12, v12, v14
	v_add_f32_e32 v12, v12, v13
	;; [unrolled: 1-line block ×3, first 2 shown]
	v_cndmask_b32_e32 v74, v12, v38, vcc
.LBB116_87:                             ;   in Loop: Header=BB116_13 Depth=1
	s_or_b64 exec, exec, s[54:55]
	v_cvt_f32_f16_e32 v12, v15
	v_readlane_b32 s0, v95, 2
	s_nop 1
	v_add_f32_e32 v92, s0, v12
	v_cmp_ge_f32_e32 vcc, s4, v92
	s_and_b64 s[0:1], s[6:7], vcc
	s_and_saveexec_b64 s[54:55], s[0:1]
	s_cbranch_execz .LBB116_89
; %bb.88:                               ;   in Loop: Header=BB116_13 Depth=1
	v_mul_f32_e32 v12, 0x3fb8aa3b, v92
	v_rndne_f32_e32 v13, v12
	v_sub_f32_e32 v14, v12, v13
	v_fma_f32 v12, v92, s5, -v12
	v_fmac_f32_e32 v12, 0x32a5705f, v92
	v_add_f32_e32 v12, v14, v12
	v_cvt_i32_f32_e32 v13, v13
	v_exp_f32_e32 v12, v12
	v_cmp_ngt_f32_e32 vcc, s8, v92
	v_ldexp_f32 v12, v12, v13
	s_nop 0
	v_cndmask_b32_e32 v12, 0, v12, vcc
	v_cmp_nlt_f32_e32 vcc, s9, v92
	s_nop 1
	v_cndmask_b32_e32 v38, v39, v12, vcc
	v_add_f32_e32 v14, 1.0, v38
	v_add_f32_e32 v12, -1.0, v14
	v_sub_f32_e32 v13, v12, v14
	v_add_f32_e32 v13, 1.0, v13
	v_sub_f32_e32 v12, v38, v12
	v_add_f32_e32 v19, v12, v13
	v_frexp_mant_f32_e32 v26, v14
	v_cvt_f64_f32_e32 v[12:13], v14
	v_frexp_exp_i32_f64_e32 v12, v[12:13]
	v_cmp_gt_f32_e32 vcc, s11, v26
	v_cmp_gt_f32_e64 s[52:53], s57, v38
	s_nop 0
	v_subbrev_co_u32_e32 v32, vcc, 0, v12, vcc
	v_sub_u32_e32 v12, 0, v32
	v_ldexp_f32 v13, v14, v12
	v_add_f32_e32 v14, -1.0, v13
	v_add_f32_e32 v26, 1.0, v13
	v_ldexp_f32 v12, v19, v12
	v_add_f32_e32 v19, 1.0, v14
	v_add_f32_e32 v27, -1.0, v26
	v_sub_f32_e32 v19, v13, v19
	v_sub_f32_e32 v13, v13, v27
	v_add_f32_e32 v19, v12, v19
	v_add_f32_e32 v12, v12, v13
	;; [unrolled: 1-line block ×3, first 2 shown]
	v_rcp_f32_e32 v35, v33
	v_sub_f32_e32 v13, v26, v33
	v_add_f32_e32 v34, v12, v13
	v_add_f32_e32 v13, v14, v19
	v_sub_f32_e32 v12, v14, v13
	v_add_f32_e32 v14, v19, v12
	v_mul_f32_e32 v19, v13, v35
	v_mul_f32_e32 v26, v33, v19
	v_fma_f32 v28, v19, v33, -v26
	v_fmac_f32_e32 v28, v19, v34
	v_add_f32_e32 v12, v26, v28
	v_sub_f32_e32 v27, v13, v12
	v_pk_add_f32 v[30:31], v[12:13], v[26:27] neg_lo:[0,1] neg_hi:[0,1]
	v_mov_b32_e32 v29, v12
	v_pk_add_f32 v[12:13], v[30:31], v[28:29] neg_lo:[0,1] neg_hi:[0,1]
	v_cmp_eq_f32_e32 vcc, s10, v38
	v_add_f32_e32 v13, v14, v13
	v_add_f32_e32 v12, v12, v13
	v_add_f32_e32 v13, v27, v12
	v_mul_f32_e32 v14, v35, v13
	v_mul_f32_e32 v26, v33, v14
	v_fma_f32 v28, v14, v33, -v26
	v_fmac_f32_e32 v28, v14, v34
	v_sub_f32_e32 v27, v27, v13
	v_add_f32_e32 v33, v12, v27
	v_add_f32_e32 v12, v26, v28
	v_sub_f32_e32 v27, v13, v12
	v_pk_add_f32 v[30:31], v[12:13], v[26:27] neg_lo:[0,1] neg_hi:[0,1]
	v_mov_b32_e32 v29, v12
	v_pk_add_f32 v[12:13], v[30:31], v[28:29] neg_lo:[0,1] neg_hi:[0,1]
	scratch_load_dwordx2 v[28:29], off, off offset:164 ; 8-byte Folded Reload
	v_add_f32_e32 v13, v33, v13
	v_add_f32_e32 v12, v12, v13
	;; [unrolled: 1-line block ×4, first 2 shown]
	v_sub_f32_e32 v19, v13, v19
	v_mul_f32_e32 v12, v35, v12
	v_sub_f32_e32 v14, v14, v19
	v_add_f32_e32 v14, v14, v12
	v_add_f32_e32 v19, v13, v14
	v_mul_f32_e32 v26, v19, v19
	v_mov_b32_e32 v12, 0x3ecc95a3
	v_fmamk_f32 v12, v26, 0x3e9b6dac, v12
	s_waitcnt vmcnt(0)
	v_fmaak_f32 v29, v26, v12, 0x3f2aaada
	v_cvt_f32_i32_e32 v12, v32
	v_sub_f32_e32 v13, v19, v13
	v_sub_f32_e32 v13, v14, v13
	v_ldexp_f32 v14, v13, 1
	v_mul_f32_e32 v13, v19, v26
	v_ldexp_f32 v27, v19, 1
	s_or_b64 vcc, s[52:53], vcc
	v_mov_b32_e32 v26, v28
	v_pk_mul_f32 v[28:29], v[12:13], v[28:29]
	scratch_store_dwordx2 off, v[26:27], off offset:164 ; 8-byte Folded Spill
	v_fma_f32 v26, v12, s56, -v28
	v_fmac_f32_e32 v26, 0xb102e308, v12
	v_pk_add_f32 v[12:13], v[28:29], v[26:27]
	v_mov_b32_e32 v30, v28
	v_sub_f32_e32 v19, v13, v27
	v_sub_f32_e32 v19, v29, v19
	v_add_f32_e32 v31, v14, v19
	v_pk_add_f32 v[28:29], v[12:13], v[28:29] neg_lo:[0,1] neg_hi:[0,1]
	v_pk_add_f32 v[32:33], v[12:13], v[30:31]
	v_mov_b32_e32 v27, v12
	v_mov_b32_e32 v29, v33
	v_pk_add_f32 v[34:35], v[26:27], v[28:29] neg_lo:[0,1] neg_hi:[0,1]
	v_pk_add_f32 v[26:27], v[26:27], v[28:29]
	s_nop 0
	v_mov_b32_e32 v14, v27
	v_pk_add_f32 v[28:29], v[14:15], v[12:13] neg_lo:[0,1] neg_hi:[0,1]
	v_mov_b32_e32 v26, v33
	v_mov_b32_e32 v19, v28
	v_pk_add_f32 v[36:37], v[32:33], v[18:19] neg_lo:[0,1] neg_hi:[0,1]
	v_mov_b32_e32 v32, v13
	v_mov_b32_e32 v33, v28
	;; [unrolled: 1-line block ×3, first 2 shown]
	v_pk_add_f32 v[26:27], v[26:27], v[32:33] neg_lo:[0,1] neg_hi:[0,1]
	v_mov_b32_e32 v28, v31
	v_mov_b32_e32 v29, v12
	v_pk_add_f32 v[12:13], v[28:29], v[26:27] neg_lo:[0,1] neg_hi:[0,1]
	v_mov_b32_e32 v36, v34
	v_pk_add_f32 v[26:27], v[36:37], v[12:13]
	s_nop 0
	v_mov_b32_e32 v28, v27
	v_pk_add_f32 v[28:29], v[26:27], v[28:29]
	s_nop 0
	v_pk_add_f32 v[30:31], v[14:15], v[28:29]
	v_mov_b32_e32 v13, v28
	v_mov_b32_e32 v27, v30
	v_pk_add_f32 v[32:33], v[26:27], v[34:35] neg_lo:[0,1] neg_hi:[0,1]
	s_nop 0
	v_sub_f32_e32 v14, v26, v32
	v_pk_add_f32 v[12:13], v[12:13], v[32:33] neg_lo:[0,1] neg_hi:[0,1]
	v_sub_f32_e32 v14, v34, v14
	v_add_f32_e32 v12, v12, v14
	v_add_f32_e32 v12, v12, v13
	;; [unrolled: 1-line block ×3, first 2 shown]
	v_cndmask_b32_e32 v92, v12, v38, vcc
.LBB116_89:                             ;   in Loop: Header=BB116_13 Depth=1
	s_or_b64 exec, exec, s[54:55]
	v_cvt_f32_f16_sdwa v12, v15 dst_sel:DWORD dst_unused:UNUSED_PAD src0_sel:WORD_1
	v_readlane_b32 s0, v95, 2
	s_nop 1
	v_add_f32_e32 v93, s0, v12
	v_cmp_ge_f32_e32 vcc, s4, v93
	s_and_b64 s[0:1], s[6:7], vcc
	s_and_saveexec_b64 s[54:55], s[0:1]
	s_cbranch_execz .LBB116_91
; %bb.90:                               ;   in Loop: Header=BB116_13 Depth=1
	v_mul_f32_e32 v12, 0x3fb8aa3b, v93
	v_rndne_f32_e32 v13, v12
	v_sub_f32_e32 v14, v12, v13
	v_fma_f32 v12, v93, s5, -v12
	v_fmac_f32_e32 v12, 0x32a5705f, v93
	v_add_f32_e32 v12, v14, v12
	v_cvt_i32_f32_e32 v13, v13
	v_exp_f32_e32 v12, v12
	v_cmp_ngt_f32_e32 vcc, s8, v93
	v_ldexp_f32 v12, v12, v13
	s_nop 0
	v_cndmask_b32_e32 v12, 0, v12, vcc
	v_cmp_nlt_f32_e32 vcc, s9, v93
	s_nop 1
	v_cndmask_b32_e32 v38, v39, v12, vcc
	v_add_f32_e32 v14, 1.0, v38
	v_add_f32_e32 v12, -1.0, v14
	v_sub_f32_e32 v13, v12, v14
	v_add_f32_e32 v13, 1.0, v13
	v_sub_f32_e32 v12, v38, v12
	v_add_f32_e32 v15, v12, v13
	v_frexp_mant_f32_e32 v19, v14
	v_cvt_f64_f32_e32 v[12:13], v14
	v_frexp_exp_i32_f64_e32 v12, v[12:13]
	v_cmp_gt_f32_e32 vcc, s11, v19
	v_cmp_gt_f32_e64 s[52:53], s57, v38
	s_nop 0
	v_subbrev_co_u32_e32 v19, vcc, 0, v12, vcc
	v_sub_u32_e32 v12, 0, v19
	v_ldexp_f32 v13, v14, v12
	v_add_f32_e32 v14, -1.0, v13
	v_add_f32_e32 v26, 1.0, v13
	v_ldexp_f32 v12, v15, v12
	v_add_f32_e32 v15, 1.0, v14
	v_add_f32_e32 v27, -1.0, v26
	v_sub_f32_e32 v15, v13, v15
	v_sub_f32_e32 v13, v13, v27
	v_add_f32_e32 v15, v12, v15
	v_add_f32_e32 v12, v12, v13
	;; [unrolled: 1-line block ×3, first 2 shown]
	v_rcp_f32_e32 v32, v30
	v_sub_f32_e32 v13, v26, v30
	v_add_f32_e32 v31, v12, v13
	v_add_f32_e32 v13, v14, v15
	v_mul_f32_e32 v34, v13, v32
	v_sub_f32_e32 v12, v14, v13
	v_mul_f32_e32 v14, v30, v34
	v_fma_f32 v26, v34, v30, -v14
	v_fmac_f32_e32 v26, v34, v31
	v_add_f32_e32 v33, v15, v12
	v_add_f32_e32 v12, v14, v26
	v_sub_f32_e32 v15, v13, v12
	v_pk_add_f32 v[28:29], v[12:13], v[14:15] neg_lo:[0,1] neg_hi:[0,1]
	v_mov_b32_e32 v27, v12
	v_pk_add_f32 v[12:13], v[28:29], v[26:27] neg_lo:[0,1] neg_hi:[0,1]
	v_cmp_eq_f32_e32 vcc, s10, v38
	v_add_f32_e32 v13, v33, v13
	v_add_f32_e32 v12, v12, v13
	;; [unrolled: 1-line block ×3, first 2 shown]
	v_mul_f32_e32 v33, v32, v13
	v_mul_f32_e32 v14, v30, v33
	v_fma_f32 v26, v33, v30, -v14
	v_fmac_f32_e32 v26, v33, v31
	v_sub_f32_e32 v15, v15, v13
	v_add_f32_e32 v30, v12, v15
	v_add_f32_e32 v12, v14, v26
	v_sub_f32_e32 v15, v13, v12
	v_pk_add_f32 v[28:29], v[12:13], v[14:15] neg_lo:[0,1] neg_hi:[0,1]
	v_mov_b32_e32 v27, v12
	v_pk_add_f32 v[12:13], v[28:29], v[26:27] neg_lo:[0,1] neg_hi:[0,1]
	scratch_load_dwordx2 v[28:29], off, off offset:164 ; 8-byte Folded Reload
	v_add_f32_e32 v13, v30, v13
	v_add_f32_e32 v12, v12, v13
	;; [unrolled: 1-line block ×4, first 2 shown]
	v_sub_f32_e32 v14, v13, v34
	v_mul_f32_e32 v12, v32, v12
	v_sub_f32_e32 v14, v33, v14
	v_add_f32_e32 v14, v14, v12
	v_add_f32_e32 v26, v13, v14
	v_mul_f32_e32 v27, v26, v26
	v_mov_b32_e32 v12, 0x3ecc95a3
	v_fmamk_f32 v12, v27, 0x3e9b6dac, v12
	s_waitcnt vmcnt(0)
	v_fmaak_f32 v29, v27, v12, 0x3f2aaada
	v_cvt_f32_i32_e32 v12, v19
	v_sub_f32_e32 v13, v26, v13
	v_sub_f32_e32 v13, v14, v13
	v_ldexp_f32 v19, v13, 1
	v_mul_f32_e32 v13, v26, v27
	v_ldexp_f32 v15, v26, 1
	s_or_b64 vcc, s[52:53], vcc
	v_mov_b32_e32 v14, v28
	v_pk_mul_f32 v[26:27], v[12:13], v[28:29]
	scratch_store_dwordx2 off, v[14:15], off offset:164 ; 8-byte Folded Spill
	v_fma_f32 v14, v12, s56, -v26
	v_fmac_f32_e32 v14, 0xb102e308, v12
	v_pk_add_f32 v[12:13], v[26:27], v[14:15]
	v_mov_b32_e32 v28, v26
	v_sub_f32_e32 v15, v13, v15
	v_sub_f32_e32 v15, v27, v15
	v_add_f32_e32 v29, v19, v15
	v_pk_add_f32 v[26:27], v[12:13], v[26:27] neg_lo:[0,1] neg_hi:[0,1]
	v_pk_add_f32 v[30:31], v[12:13], v[28:29]
	v_mov_b32_e32 v15, v12
	v_mov_b32_e32 v27, v31
	v_pk_add_f32 v[32:33], v[14:15], v[26:27] neg_lo:[0,1] neg_hi:[0,1]
	v_pk_add_f32 v[14:15], v[14:15], v[26:27]
	v_mov_b32_e32 v28, v29
	v_mov_b32_e32 v26, v15
	v_pk_add_f32 v[34:35], v[26:27], v[12:13] neg_lo:[0,1] neg_hi:[0,1]
	v_mov_b32_e32 v14, v31
	v_mov_b32_e32 v19, v34
	v_pk_add_f32 v[36:37], v[30:31], v[18:19] neg_lo:[0,1] neg_hi:[0,1]
	v_mov_b32_e32 v30, v13
	v_mov_b32_e32 v31, v34
	;; [unrolled: 1-line block ×3, first 2 shown]
	v_pk_add_f32 v[14:15], v[14:15], v[30:31] neg_lo:[0,1] neg_hi:[0,1]
	v_mov_b32_e32 v29, v12
	v_pk_add_f32 v[12:13], v[28:29], v[14:15] neg_lo:[0,1] neg_hi:[0,1]
	v_mov_b32_e32 v36, v32
	v_pk_add_f32 v[14:15], v[36:37], v[12:13]
	s_nop 0
	v_mov_b32_e32 v28, v15
	v_pk_add_f32 v[28:29], v[14:15], v[28:29]
	s_nop 0
	v_pk_add_f32 v[26:27], v[26:27], v[28:29]
	v_mov_b32_e32 v13, v28
	v_mov_b32_e32 v15, v26
	v_pk_add_f32 v[30:31], v[14:15], v[32:33] neg_lo:[0,1] neg_hi:[0,1]
	s_nop 0
	v_sub_f32_e32 v14, v14, v30
	v_pk_add_f32 v[12:13], v[12:13], v[30:31] neg_lo:[0,1] neg_hi:[0,1]
	v_sub_f32_e32 v14, v32, v14
	v_add_f32_e32 v12, v12, v14
	v_add_f32_e32 v12, v12, v13
	;; [unrolled: 1-line block ×3, first 2 shown]
	v_cndmask_b32_e32 v93, v12, v38, vcc
.LBB116_91:                             ;   in Loop: Header=BB116_13 Depth=1
	s_or_b64 exec, exec, s[54:55]
	s_waitcnt lgkmcnt(0)
	v_cvt_f32_f16_e32 v12, v8
	v_readlane_b32 s0, v95, 2
	s_nop 1
	v_add_f32_e32 v94, s0, v12
	v_cmp_ge_f32_e32 vcc, s4, v94
	s_and_b64 s[0:1], s[6:7], vcc
	s_and_saveexec_b64 s[54:55], s[0:1]
	s_cbranch_execz .LBB116_93
; %bb.92:                               ;   in Loop: Header=BB116_13 Depth=1
	v_mul_f32_e32 v12, 0x3fb8aa3b, v94
	v_rndne_f32_e32 v13, v12
	v_sub_f32_e32 v14, v12, v13
	v_fma_f32 v12, v94, s5, -v12
	v_fmac_f32_e32 v12, 0x32a5705f, v94
	v_add_f32_e32 v12, v14, v12
	v_cvt_i32_f32_e32 v13, v13
	v_exp_f32_e32 v12, v12
	v_cmp_ngt_f32_e32 vcc, s8, v94
	v_ldexp_f32 v12, v12, v13
	s_nop 0
	v_cndmask_b32_e32 v12, 0, v12, vcc
	v_cmp_nlt_f32_e32 vcc, s9, v94
	s_nop 1
	v_cndmask_b32_e32 v38, v39, v12, vcc
	v_add_f32_e32 v14, 1.0, v38
	v_add_f32_e32 v12, -1.0, v14
	v_sub_f32_e32 v13, v12, v14
	v_add_f32_e32 v13, 1.0, v13
	v_sub_f32_e32 v12, v38, v12
	v_add_f32_e32 v15, v12, v13
	v_frexp_mant_f32_e32 v19, v14
	v_cvt_f64_f32_e32 v[12:13], v14
	v_frexp_exp_i32_f64_e32 v12, v[12:13]
	v_cmp_gt_f32_e32 vcc, s11, v19
	v_cmp_gt_f32_e64 s[52:53], s57, v38
	s_nop 0
	v_subbrev_co_u32_e32 v19, vcc, 0, v12, vcc
	v_sub_u32_e32 v12, 0, v19
	v_ldexp_f32 v13, v14, v12
	v_add_f32_e32 v14, -1.0, v13
	v_add_f32_e32 v26, 1.0, v13
	v_ldexp_f32 v12, v15, v12
	v_add_f32_e32 v15, 1.0, v14
	v_add_f32_e32 v27, -1.0, v26
	v_sub_f32_e32 v15, v13, v15
	v_sub_f32_e32 v13, v13, v27
	v_add_f32_e32 v15, v12, v15
	v_add_f32_e32 v12, v12, v13
	;; [unrolled: 1-line block ×3, first 2 shown]
	v_rcp_f32_e32 v32, v30
	v_sub_f32_e32 v13, v26, v30
	v_add_f32_e32 v31, v12, v13
	v_add_f32_e32 v13, v14, v15
	v_mul_f32_e32 v34, v13, v32
	v_sub_f32_e32 v12, v14, v13
	v_mul_f32_e32 v14, v30, v34
	v_fma_f32 v26, v34, v30, -v14
	v_fmac_f32_e32 v26, v34, v31
	v_add_f32_e32 v33, v15, v12
	v_add_f32_e32 v12, v14, v26
	v_sub_f32_e32 v15, v13, v12
	v_pk_add_f32 v[28:29], v[12:13], v[14:15] neg_lo:[0,1] neg_hi:[0,1]
	v_mov_b32_e32 v27, v12
	v_pk_add_f32 v[12:13], v[28:29], v[26:27] neg_lo:[0,1] neg_hi:[0,1]
	v_cmp_eq_f32_e32 vcc, s10, v38
	v_add_f32_e32 v13, v33, v13
	v_add_f32_e32 v12, v12, v13
	;; [unrolled: 1-line block ×3, first 2 shown]
	v_mul_f32_e32 v33, v32, v13
	v_mul_f32_e32 v14, v30, v33
	v_fma_f32 v26, v33, v30, -v14
	v_fmac_f32_e32 v26, v33, v31
	v_sub_f32_e32 v15, v15, v13
	v_add_f32_e32 v30, v12, v15
	v_add_f32_e32 v12, v14, v26
	v_sub_f32_e32 v15, v13, v12
	v_pk_add_f32 v[28:29], v[12:13], v[14:15] neg_lo:[0,1] neg_hi:[0,1]
	v_mov_b32_e32 v27, v12
	v_pk_add_f32 v[12:13], v[28:29], v[26:27] neg_lo:[0,1] neg_hi:[0,1]
	scratch_load_dwordx2 v[28:29], off, off offset:164 ; 8-byte Folded Reload
	v_add_f32_e32 v13, v30, v13
	v_add_f32_e32 v12, v12, v13
	;; [unrolled: 1-line block ×4, first 2 shown]
	v_sub_f32_e32 v14, v13, v34
	v_mul_f32_e32 v12, v32, v12
	v_sub_f32_e32 v14, v33, v14
	v_add_f32_e32 v14, v14, v12
	v_add_f32_e32 v26, v13, v14
	v_mul_f32_e32 v27, v26, v26
	v_mov_b32_e32 v12, 0x3ecc95a3
	v_fmamk_f32 v12, v27, 0x3e9b6dac, v12
	s_waitcnt vmcnt(0)
	v_fmaak_f32 v29, v27, v12, 0x3f2aaada
	v_cvt_f32_i32_e32 v12, v19
	v_sub_f32_e32 v13, v26, v13
	v_sub_f32_e32 v13, v14, v13
	v_ldexp_f32 v19, v13, 1
	v_mul_f32_e32 v13, v26, v27
	v_ldexp_f32 v15, v26, 1
	s_or_b64 vcc, s[52:53], vcc
	v_mov_b32_e32 v14, v28
	v_pk_mul_f32 v[26:27], v[12:13], v[28:29]
	scratch_store_dwordx2 off, v[14:15], off offset:164 ; 8-byte Folded Spill
	v_fma_f32 v14, v12, s56, -v26
	v_fmac_f32_e32 v14, 0xb102e308, v12
	v_pk_add_f32 v[12:13], v[26:27], v[14:15]
	v_mov_b32_e32 v28, v26
	v_sub_f32_e32 v15, v13, v15
	v_sub_f32_e32 v15, v27, v15
	v_add_f32_e32 v29, v19, v15
	v_pk_add_f32 v[26:27], v[12:13], v[26:27] neg_lo:[0,1] neg_hi:[0,1]
	v_pk_add_f32 v[30:31], v[12:13], v[28:29]
	v_mov_b32_e32 v15, v12
	v_mov_b32_e32 v27, v31
	v_pk_add_f32 v[32:33], v[14:15], v[26:27] neg_lo:[0,1] neg_hi:[0,1]
	v_pk_add_f32 v[14:15], v[14:15], v[26:27]
	v_mov_b32_e32 v28, v29
	v_mov_b32_e32 v26, v15
	v_pk_add_f32 v[34:35], v[26:27], v[12:13] neg_lo:[0,1] neg_hi:[0,1]
	v_mov_b32_e32 v14, v31
	v_mov_b32_e32 v19, v34
	v_pk_add_f32 v[36:37], v[30:31], v[18:19] neg_lo:[0,1] neg_hi:[0,1]
	v_mov_b32_e32 v30, v13
	v_mov_b32_e32 v31, v34
	;; [unrolled: 1-line block ×3, first 2 shown]
	v_pk_add_f32 v[14:15], v[14:15], v[30:31] neg_lo:[0,1] neg_hi:[0,1]
	v_mov_b32_e32 v29, v12
	v_pk_add_f32 v[12:13], v[28:29], v[14:15] neg_lo:[0,1] neg_hi:[0,1]
	v_mov_b32_e32 v36, v32
	v_pk_add_f32 v[14:15], v[36:37], v[12:13]
	s_nop 0
	v_mov_b32_e32 v28, v15
	v_pk_add_f32 v[28:29], v[14:15], v[28:29]
	s_nop 0
	v_pk_add_f32 v[26:27], v[26:27], v[28:29]
	v_mov_b32_e32 v13, v28
	v_mov_b32_e32 v15, v26
	v_pk_add_f32 v[30:31], v[14:15], v[32:33] neg_lo:[0,1] neg_hi:[0,1]
	s_nop 0
	v_sub_f32_e32 v14, v14, v30
	v_pk_add_f32 v[12:13], v[12:13], v[30:31] neg_lo:[0,1] neg_hi:[0,1]
	v_sub_f32_e32 v14, v32, v14
	v_add_f32_e32 v12, v12, v14
	v_add_f32_e32 v12, v12, v13
	;; [unrolled: 1-line block ×3, first 2 shown]
	v_cndmask_b32_e32 v94, v12, v38, vcc
.LBB116_93:                             ;   in Loop: Header=BB116_13 Depth=1
	s_or_b64 exec, exec, s[54:55]
	v_cvt_f32_f16_sdwa v8, v8 dst_sel:DWORD dst_unused:UNUSED_PAD src0_sel:WORD_1
	v_readlane_b32 s0, v95, 2
	s_nop 1
	v_add_f32_e32 v60, s0, v8
	v_cmp_ge_f32_e32 vcc, s4, v60
	s_and_b64 s[0:1], s[6:7], vcc
	s_and_saveexec_b64 s[54:55], s[0:1]
	s_cbranch_execz .LBB116_95
; %bb.94:                               ;   in Loop: Header=BB116_13 Depth=1
	v_mul_f32_e32 v8, 0x3fb8aa3b, v60
	v_rndne_f32_e32 v12, v8
	v_sub_f32_e32 v13, v8, v12
	v_fma_f32 v8, v60, s5, -v8
	v_fmac_f32_e32 v8, 0x32a5705f, v60
	v_add_f32_e32 v8, v13, v8
	v_cvt_i32_f32_e32 v12, v12
	v_exp_f32_e32 v8, v8
	v_cmp_ngt_f32_e32 vcc, s8, v60
	v_ldexp_f32 v8, v8, v12
	s_nop 0
	v_cndmask_b32_e32 v8, 0, v8, vcc
	v_cmp_nlt_f32_e32 vcc, s9, v60
	s_nop 1
	v_cndmask_b32_e32 v36, v39, v8, vcc
	v_add_f32_e32 v8, 1.0, v36
	v_add_f32_e32 v12, -1.0, v8
	v_sub_f32_e32 v13, v12, v8
	v_add_f32_e32 v13, 1.0, v13
	v_sub_f32_e32 v12, v36, v12
	v_add_f32_e32 v14, v12, v13
	v_frexp_mant_f32_e32 v15, v8
	v_cvt_f64_f32_e32 v[12:13], v8
	v_frexp_exp_i32_f64_e32 v12, v[12:13]
	v_cmp_gt_f32_e32 vcc, s11, v15
	v_cmp_gt_f32_e64 s[52:53], s57, v36
	s_nop 0
	v_subbrev_co_u32_e32 v19, vcc, 0, v12, vcc
	v_sub_u32_e32 v12, 0, v19
	v_ldexp_f32 v8, v8, v12
	v_ldexp_f32 v12, v14, v12
	v_add_f32_e32 v14, -1.0, v8
	v_add_f32_e32 v13, 1.0, v14
	v_sub_f32_e32 v13, v8, v13
	v_add_f32_e32 v15, v12, v13
	v_add_f32_e32 v13, 1.0, v8
	v_add_f32_e32 v26, -1.0, v13
	v_sub_f32_e32 v8, v8, v26
	v_add_f32_e32 v8, v12, v8
	v_add_f32_e32 v30, v13, v8
	v_rcp_f32_e32 v31, v30
	v_sub_f32_e32 v12, v13, v30
	v_add_f32_e32 v13, v14, v15
	v_add_f32_e32 v8, v8, v12
	v_mul_f32_e32 v33, v13, v31
	v_sub_f32_e32 v12, v14, v13
	v_mul_f32_e32 v14, v30, v33
	v_fma_f32 v26, v33, v30, -v14
	v_fmac_f32_e32 v26, v33, v8
	v_add_f32_e32 v32, v15, v12
	v_add_f32_e32 v12, v14, v26
	v_sub_f32_e32 v15, v13, v12
	v_pk_add_f32 v[28:29], v[12:13], v[14:15] neg_lo:[0,1] neg_hi:[0,1]
	v_mov_b32_e32 v27, v12
	v_pk_add_f32 v[12:13], v[28:29], v[26:27] neg_lo:[0,1] neg_hi:[0,1]
	v_cmp_eq_f32_e32 vcc, s10, v36
	v_add_f32_e32 v13, v32, v13
	v_add_f32_e32 v12, v12, v13
	;; [unrolled: 1-line block ×3, first 2 shown]
	v_mul_f32_e32 v32, v31, v13
	v_mul_f32_e32 v14, v30, v32
	v_fma_f32 v26, v32, v30, -v14
	v_fmac_f32_e32 v26, v32, v8
	v_sub_f32_e32 v8, v15, v13
	v_add_f32_e32 v8, v12, v8
	v_add_f32_e32 v12, v14, v26
	v_sub_f32_e32 v15, v13, v12
	v_pk_add_f32 v[28:29], v[12:13], v[14:15] neg_lo:[0,1] neg_hi:[0,1]
	v_mov_b32_e32 v27, v12
	v_pk_add_f32 v[12:13], v[28:29], v[26:27] neg_lo:[0,1] neg_hi:[0,1]
	scratch_load_dwordx2 v[28:29], off, off offset:164 ; 8-byte Folded Reload
	v_add_f32_e32 v8, v8, v13
	v_add_f32_e32 v8, v12, v8
	;; [unrolled: 1-line block ×4, first 2 shown]
	v_sub_f32_e32 v12, v13, v33
	v_mul_f32_e32 v8, v31, v8
	v_sub_f32_e32 v12, v32, v12
	v_add_f32_e32 v8, v12, v8
	v_add_f32_e32 v14, v13, v8
	v_mul_f32_e32 v26, v14, v14
	v_mov_b32_e32 v12, 0x3ecc95a3
	v_fmamk_f32 v12, v26, 0x3e9b6dac, v12
	s_waitcnt vmcnt(0)
	v_fmaak_f32 v29, v26, v12, 0x3f2aaada
	v_cvt_f32_i32_e32 v12, v19
	v_sub_f32_e32 v13, v14, v13
	v_sub_f32_e32 v8, v8, v13
	v_mul_f32_e32 v13, v14, v26
	v_ldexp_f32 v15, v14, 1
	v_ldexp_f32 v8, v8, 1
	s_or_b64 vcc, s[52:53], vcc
	v_mov_b32_e32 v14, v28
	v_pk_mul_f32 v[26:27], v[12:13], v[28:29]
	scratch_store_dwordx2 off, v[14:15], off offset:164 ; 8-byte Folded Spill
	v_fma_f32 v14, v12, s56, -v26
	v_fmac_f32_e32 v14, 0xb102e308, v12
	v_pk_add_f32 v[12:13], v[26:27], v[14:15]
	v_mov_b32_e32 v28, v26
	v_sub_f32_e32 v15, v13, v15
	v_sub_f32_e32 v15, v27, v15
	v_add_f32_e32 v29, v8, v15
	v_pk_add_f32 v[26:27], v[12:13], v[26:27] neg_lo:[0,1] neg_hi:[0,1]
	v_pk_add_f32 v[30:31], v[12:13], v[28:29]
	v_mov_b32_e32 v15, v12
	v_mov_b32_e32 v27, v31
	v_pk_add_f32 v[32:33], v[14:15], v[26:27] neg_lo:[0,1] neg_hi:[0,1]
	v_pk_add_f32 v[14:15], v[14:15], v[26:27]
	s_nop 0
	v_mov_b32_e32 v8, v15
	v_pk_add_f32 v[26:27], v[8:9], v[12:13] neg_lo:[0,1] neg_hi:[0,1]
	v_mov_b32_e32 v14, v31
	v_mov_b32_e32 v19, v26
	v_pk_add_f32 v[34:35], v[30:31], v[18:19] neg_lo:[0,1] neg_hi:[0,1]
	v_mov_b32_e32 v30, v13
	v_mov_b32_e32 v31, v26
	;; [unrolled: 1-line block ×3, first 2 shown]
	v_pk_add_f32 v[14:15], v[14:15], v[30:31] neg_lo:[0,1] neg_hi:[0,1]
	v_mov_b32_e32 v26, v29
	v_mov_b32_e32 v27, v12
	v_pk_add_f32 v[12:13], v[26:27], v[14:15] neg_lo:[0,1] neg_hi:[0,1]
	v_mov_b32_e32 v34, v32
	v_pk_add_f32 v[14:15], v[34:35], v[12:13]
	s_nop 0
	v_mov_b32_e32 v26, v15
	v_pk_add_f32 v[26:27], v[14:15], v[26:27]
	s_nop 0
	v_pk_add_f32 v[28:29], v[8:9], v[26:27]
	v_mov_b32_e32 v13, v26
	v_mov_b32_e32 v15, v28
	v_pk_add_f32 v[30:31], v[14:15], v[32:33] neg_lo:[0,1] neg_hi:[0,1]
	s_nop 0
	v_sub_f32_e32 v8, v14, v30
	v_pk_add_f32 v[12:13], v[12:13], v[30:31] neg_lo:[0,1] neg_hi:[0,1]
	v_sub_f32_e32 v8, v32, v8
	v_add_f32_e32 v8, v12, v8
	v_add_f32_e32 v8, v8, v13
	v_add_f32_e32 v8, v28, v8
	v_cndmask_b32_e32 v60, v8, v36, vcc
.LBB116_95:                             ;   in Loop: Header=BB116_13 Depth=1
	s_or_b64 exec, exec, s[54:55]
	v_cvt_f32_f16_e32 v8, v9
	v_readlane_b32 s0, v95, 2
	s_nop 1
	v_add_f32_e32 v61, s0, v8
	v_cmp_ge_f32_e32 vcc, s4, v61
	s_and_b64 s[0:1], s[6:7], vcc
	s_and_saveexec_b64 s[54:55], s[0:1]
	s_cbranch_execz .LBB116_97
; %bb.96:                               ;   in Loop: Header=BB116_13 Depth=1
	v_mul_f32_e32 v8, 0x3fb8aa3b, v61
	v_rndne_f32_e32 v12, v8
	v_sub_f32_e32 v13, v8, v12
	v_fma_f32 v8, v61, s5, -v8
	v_fmac_f32_e32 v8, 0x32a5705f, v61
	v_add_f32_e32 v8, v13, v8
	v_cvt_i32_f32_e32 v12, v12
	v_exp_f32_e32 v8, v8
	v_cmp_ngt_f32_e32 vcc, s8, v61
	v_ldexp_f32 v8, v8, v12
	s_nop 0
	v_cndmask_b32_e32 v8, 0, v8, vcc
	v_cmp_nlt_f32_e32 vcc, s9, v61
	s_nop 1
	v_cndmask_b32_e32 v36, v39, v8, vcc
	v_add_f32_e32 v8, 1.0, v36
	v_add_f32_e32 v12, -1.0, v8
	v_sub_f32_e32 v13, v12, v8
	v_add_f32_e32 v13, 1.0, v13
	v_sub_f32_e32 v12, v36, v12
	v_add_f32_e32 v14, v12, v13
	v_frexp_mant_f32_e32 v15, v8
	v_cvt_f64_f32_e32 v[12:13], v8
	v_frexp_exp_i32_f64_e32 v12, v[12:13]
	v_cmp_gt_f32_e32 vcc, s11, v15
	v_cmp_gt_f32_e64 s[52:53], s57, v36
	s_nop 0
	v_subbrev_co_u32_e32 v19, vcc, 0, v12, vcc
	v_sub_u32_e32 v12, 0, v19
	v_ldexp_f32 v8, v8, v12
	v_ldexp_f32 v12, v14, v12
	v_add_f32_e32 v14, -1.0, v8
	v_add_f32_e32 v13, 1.0, v14
	v_sub_f32_e32 v13, v8, v13
	v_add_f32_e32 v15, v12, v13
	v_add_f32_e32 v13, 1.0, v8
	v_add_f32_e32 v26, -1.0, v13
	v_sub_f32_e32 v8, v8, v26
	v_add_f32_e32 v8, v12, v8
	v_add_f32_e32 v30, v13, v8
	v_rcp_f32_e32 v31, v30
	v_sub_f32_e32 v12, v13, v30
	v_add_f32_e32 v13, v14, v15
	v_add_f32_e32 v8, v8, v12
	v_mul_f32_e32 v33, v13, v31
	v_sub_f32_e32 v12, v14, v13
	v_mul_f32_e32 v14, v30, v33
	v_fma_f32 v26, v33, v30, -v14
	v_fmac_f32_e32 v26, v33, v8
	v_add_f32_e32 v32, v15, v12
	v_add_f32_e32 v12, v14, v26
	v_sub_f32_e32 v15, v13, v12
	v_pk_add_f32 v[28:29], v[12:13], v[14:15] neg_lo:[0,1] neg_hi:[0,1]
	v_mov_b32_e32 v27, v12
	v_pk_add_f32 v[12:13], v[28:29], v[26:27] neg_lo:[0,1] neg_hi:[0,1]
	v_cmp_eq_f32_e32 vcc, s10, v36
	v_add_f32_e32 v13, v32, v13
	v_add_f32_e32 v12, v12, v13
	;; [unrolled: 1-line block ×3, first 2 shown]
	v_mul_f32_e32 v32, v31, v13
	v_mul_f32_e32 v14, v30, v32
	v_fma_f32 v26, v32, v30, -v14
	v_fmac_f32_e32 v26, v32, v8
	v_sub_f32_e32 v8, v15, v13
	v_add_f32_e32 v8, v12, v8
	v_add_f32_e32 v12, v14, v26
	v_sub_f32_e32 v15, v13, v12
	v_pk_add_f32 v[28:29], v[12:13], v[14:15] neg_lo:[0,1] neg_hi:[0,1]
	v_mov_b32_e32 v27, v12
	v_pk_add_f32 v[12:13], v[28:29], v[26:27] neg_lo:[0,1] neg_hi:[0,1]
	scratch_load_dwordx2 v[28:29], off, off offset:164 ; 8-byte Folded Reload
	v_add_f32_e32 v8, v8, v13
	v_add_f32_e32 v8, v12, v8
	;; [unrolled: 1-line block ×4, first 2 shown]
	v_sub_f32_e32 v12, v13, v33
	v_mul_f32_e32 v8, v31, v8
	v_sub_f32_e32 v12, v32, v12
	v_add_f32_e32 v8, v12, v8
	v_add_f32_e32 v14, v13, v8
	v_mul_f32_e32 v26, v14, v14
	v_mov_b32_e32 v12, 0x3ecc95a3
	v_fmamk_f32 v12, v26, 0x3e9b6dac, v12
	s_waitcnt vmcnt(0)
	v_fmaak_f32 v29, v26, v12, 0x3f2aaada
	v_cvt_f32_i32_e32 v12, v19
	v_sub_f32_e32 v13, v14, v13
	v_sub_f32_e32 v8, v8, v13
	v_mul_f32_e32 v13, v14, v26
	v_ldexp_f32 v15, v14, 1
	v_ldexp_f32 v8, v8, 1
	s_or_b64 vcc, s[52:53], vcc
	v_mov_b32_e32 v14, v28
	v_pk_mul_f32 v[26:27], v[12:13], v[28:29]
	scratch_store_dwordx2 off, v[14:15], off offset:164 ; 8-byte Folded Spill
	v_fma_f32 v14, v12, s56, -v26
	v_fmac_f32_e32 v14, 0xb102e308, v12
	v_pk_add_f32 v[12:13], v[26:27], v[14:15]
	v_mov_b32_e32 v28, v26
	v_sub_f32_e32 v15, v13, v15
	v_sub_f32_e32 v15, v27, v15
	v_add_f32_e32 v29, v8, v15
	v_pk_add_f32 v[26:27], v[12:13], v[26:27] neg_lo:[0,1] neg_hi:[0,1]
	v_pk_add_f32 v[30:31], v[12:13], v[28:29]
	v_mov_b32_e32 v15, v12
	v_mov_b32_e32 v27, v31
	v_pk_add_f32 v[32:33], v[14:15], v[26:27] neg_lo:[0,1] neg_hi:[0,1]
	v_pk_add_f32 v[14:15], v[14:15], v[26:27]
	s_nop 0
	v_mov_b32_e32 v8, v15
	v_pk_add_f32 v[26:27], v[8:9], v[12:13] neg_lo:[0,1] neg_hi:[0,1]
	v_mov_b32_e32 v14, v31
	v_mov_b32_e32 v19, v26
	v_pk_add_f32 v[34:35], v[30:31], v[18:19] neg_lo:[0,1] neg_hi:[0,1]
	v_mov_b32_e32 v30, v13
	v_mov_b32_e32 v31, v26
	;; [unrolled: 1-line block ×3, first 2 shown]
	v_pk_add_f32 v[14:15], v[14:15], v[30:31] neg_lo:[0,1] neg_hi:[0,1]
	v_mov_b32_e32 v26, v29
	v_mov_b32_e32 v27, v12
	v_pk_add_f32 v[12:13], v[26:27], v[14:15] neg_lo:[0,1] neg_hi:[0,1]
	v_mov_b32_e32 v34, v32
	v_pk_add_f32 v[14:15], v[34:35], v[12:13]
	s_nop 0
	v_mov_b32_e32 v26, v15
	v_pk_add_f32 v[26:27], v[14:15], v[26:27]
	s_nop 0
	v_pk_add_f32 v[28:29], v[8:9], v[26:27]
	v_mov_b32_e32 v13, v26
	v_mov_b32_e32 v15, v28
	v_pk_add_f32 v[30:31], v[14:15], v[32:33] neg_lo:[0,1] neg_hi:[0,1]
	s_nop 0
	v_sub_f32_e32 v8, v14, v30
	v_pk_add_f32 v[12:13], v[12:13], v[30:31] neg_lo:[0,1] neg_hi:[0,1]
	v_sub_f32_e32 v8, v32, v8
	v_add_f32_e32 v8, v12, v8
	v_add_f32_e32 v8, v8, v13
	v_add_f32_e32 v8, v28, v8
	v_cndmask_b32_e32 v61, v8, v36, vcc
.LBB116_97:                             ;   in Loop: Header=BB116_13 Depth=1
	s_or_b64 exec, exec, s[54:55]
	v_cvt_f32_f16_sdwa v8, v9 dst_sel:DWORD dst_unused:UNUSED_PAD src0_sel:WORD_1
	v_readlane_b32 s0, v95, 2
	s_nop 1
	v_add_f32_e32 v62, s0, v8
	v_cmp_ge_f32_e32 vcc, s4, v62
	s_and_b64 s[0:1], s[6:7], vcc
	s_and_saveexec_b64 s[54:55], s[0:1]
	s_cbranch_execz .LBB116_99
; %bb.98:                               ;   in Loop: Header=BB116_13 Depth=1
	v_mul_f32_e32 v8, 0x3fb8aa3b, v62
	v_rndne_f32_e32 v9, v8
	v_sub_f32_e32 v12, v8, v9
	v_fma_f32 v8, v62, s5, -v8
	v_fmac_f32_e32 v8, 0x32a5705f, v62
	v_add_f32_e32 v8, v12, v8
	v_cvt_i32_f32_e32 v9, v9
	v_exp_f32_e32 v8, v8
	v_cmp_ngt_f32_e32 vcc, s8, v62
	v_ldexp_f32 v8, v8, v9
	s_nop 0
	v_cndmask_b32_e32 v8, 0, v8, vcc
	v_cmp_nlt_f32_e32 vcc, s9, v62
	s_nop 1
	v_cndmask_b32_e32 v19, v39, v8, vcc
	v_add_f32_e32 v12, 1.0, v19
	v_add_f32_e32 v8, -1.0, v12
	v_sub_f32_e32 v9, v8, v12
	v_add_f32_e32 v9, 1.0, v9
	v_sub_f32_e32 v8, v19, v8
	v_add_f32_e32 v13, v8, v9
	v_frexp_mant_f32_e32 v14, v12
	v_cvt_f64_f32_e32 v[8:9], v12
	v_frexp_exp_i32_f64_e32 v8, v[8:9]
	v_cmp_gt_f32_e32 vcc, s11, v14
	v_cmp_gt_f32_e64 s[52:53], s57, v19
	s_nop 0
	v_subbrev_co_u32_e32 v28, vcc, 0, v8, vcc
	v_sub_u32_e32 v8, 0, v28
	v_ldexp_f32 v9, v12, v8
	v_add_f32_e32 v12, -1.0, v9
	v_add_f32_e32 v14, 1.0, v9
	v_ldexp_f32 v8, v13, v8
	v_add_f32_e32 v13, 1.0, v12
	v_add_f32_e32 v15, -1.0, v14
	v_sub_f32_e32 v13, v9, v13
	v_sub_f32_e32 v9, v9, v15
	v_add_f32_e32 v13, v8, v13
	v_add_f32_e32 v8, v8, v9
	;; [unrolled: 1-line block ×3, first 2 shown]
	v_rcp_f32_e32 v31, v29
	v_sub_f32_e32 v9, v14, v29
	v_add_f32_e32 v30, v8, v9
	v_add_f32_e32 v9, v12, v13
	v_mul_f32_e32 v33, v9, v31
	v_sub_f32_e32 v8, v12, v9
	v_mul_f32_e32 v12, v29, v33
	v_fma_f32 v14, v33, v29, -v12
	v_fmac_f32_e32 v14, v33, v30
	v_add_f32_e32 v32, v13, v8
	v_add_f32_e32 v8, v12, v14
	v_sub_f32_e32 v13, v9, v8
	v_pk_add_f32 v[26:27], v[8:9], v[12:13] neg_lo:[0,1] neg_hi:[0,1]
	v_mov_b32_e32 v15, v8
	v_pk_add_f32 v[8:9], v[26:27], v[14:15] neg_lo:[0,1] neg_hi:[0,1]
	v_cmp_eq_f32_e32 vcc, s10, v19
	v_add_f32_e32 v9, v32, v9
	v_add_f32_e32 v8, v8, v9
	;; [unrolled: 1-line block ×3, first 2 shown]
	v_mul_f32_e32 v32, v31, v9
	v_mul_f32_e32 v12, v29, v32
	v_fma_f32 v14, v32, v29, -v12
	v_fmac_f32_e32 v14, v32, v30
	v_sub_f32_e32 v13, v13, v9
	v_add_f32_e32 v29, v8, v13
	v_add_f32_e32 v8, v12, v14
	v_sub_f32_e32 v13, v9, v8
	v_pk_add_f32 v[26:27], v[8:9], v[12:13] neg_lo:[0,1] neg_hi:[0,1]
	v_mov_b32_e32 v15, v8
	v_pk_add_f32 v[8:9], v[26:27], v[14:15] neg_lo:[0,1] neg_hi:[0,1]
	scratch_load_dwordx2 v[26:27], off, off offset:164 ; 8-byte Folded Reload
	v_add_f32_e32 v9, v29, v9
	v_add_f32_e32 v8, v8, v9
	;; [unrolled: 1-line block ×4, first 2 shown]
	v_sub_f32_e32 v12, v9, v33
	v_mul_f32_e32 v8, v31, v8
	v_sub_f32_e32 v12, v32, v12
	v_add_f32_e32 v12, v12, v8
	v_add_f32_e32 v14, v9, v12
	v_mul_f32_e32 v15, v14, v14
	v_mov_b32_e32 v8, 0x3ecc95a3
	v_fmamk_f32 v8, v15, 0x3e9b6dac, v8
	v_fmaak_f32 v31, v15, v8, 0x3f2aaada
	v_cvt_f32_i32_e32 v8, v28
	v_sub_f32_e32 v9, v14, v9
	v_sub_f32_e32 v9, v12, v9
	v_ldexp_f32 v13, v14, 1
	s_or_b64 vcc, s[52:53], vcc
	s_waitcnt vmcnt(0)
	v_mov_b32_e32 v30, v26
	v_ldexp_f32 v26, v9, 1
	v_mul_f32_e32 v9, v14, v15
	v_mov_b32_e32 v12, v30
	v_pk_mul_f32 v[14:15], v[8:9], v[30:31]
	scratch_store_dwordx2 off, v[12:13], off offset:164 ; 8-byte Folded Spill
	v_fma_f32 v12, v8, s56, -v14
	v_fmac_f32_e32 v12, 0xb102e308, v8
	v_pk_add_f32 v[8:9], v[14:15], v[12:13]
	s_nop 0
	v_sub_f32_e32 v13, v9, v13
	v_sub_f32_e32 v13, v15, v13
	v_add_f32_e32 v27, v26, v13
	v_mov_b32_e32 v26, v14
	v_pk_add_f32 v[14:15], v[8:9], v[14:15] neg_lo:[0,1] neg_hi:[0,1]
	v_pk_add_f32 v[28:29], v[8:9], v[26:27]
	v_mov_b32_e32 v13, v8
	v_mov_b32_e32 v15, v29
	v_pk_add_f32 v[30:31], v[12:13], v[14:15] neg_lo:[0,1] neg_hi:[0,1]
	v_pk_add_f32 v[12:13], v[12:13], v[14:15]
	v_mov_b32_e32 v26, v27
	v_mov_b32_e32 v14, v13
	v_pk_add_f32 v[32:33], v[14:15], v[8:9] neg_lo:[0,1] neg_hi:[0,1]
	v_mov_b32_e32 v12, v29
	v_mov_b32_e32 v15, v32
	v_pk_add_f32 v[34:35], v[28:29], v[14:15] neg_lo:[0,1] neg_hi:[0,1]
	v_mov_b32_e32 v28, v9
	v_mov_b32_e32 v29, v32
	;; [unrolled: 1-line block ×3, first 2 shown]
	v_pk_add_f32 v[12:13], v[12:13], v[28:29] neg_lo:[0,1] neg_hi:[0,1]
	v_mov_b32_e32 v27, v8
	v_pk_add_f32 v[8:9], v[26:27], v[12:13] neg_lo:[0,1] neg_hi:[0,1]
	v_mov_b32_e32 v34, v30
	v_pk_add_f32 v[12:13], v[34:35], v[8:9]
	s_nop 0
	v_mov_b32_e32 v26, v13
	v_pk_add_f32 v[26:27], v[12:13], v[26:27]
	s_nop 0
	v_pk_add_f32 v[14:15], v[14:15], v[26:27]
	v_mov_b32_e32 v9, v26
	v_mov_b32_e32 v13, v14
	v_pk_add_f32 v[28:29], v[12:13], v[30:31] neg_lo:[0,1] neg_hi:[0,1]
	s_nop 0
	v_sub_f32_e32 v12, v12, v28
	v_pk_add_f32 v[8:9], v[8:9], v[28:29] neg_lo:[0,1] neg_hi:[0,1]
	v_sub_f32_e32 v12, v30, v12
	v_add_f32_e32 v8, v8, v12
	v_add_f32_e32 v8, v8, v9
	;; [unrolled: 1-line block ×3, first 2 shown]
	v_cndmask_b32_e32 v62, v8, v19, vcc
.LBB116_99:                             ;   in Loop: Header=BB116_13 Depth=1
	s_or_b64 exec, exec, s[54:55]
	v_cvt_f32_f16_e32 v8, v10
	v_readlane_b32 s0, v95, 2
	s_nop 1
	v_add_f32_e32 v63, s0, v8
	v_cmp_ge_f32_e32 vcc, s4, v63
	s_and_b64 s[0:1], s[6:7], vcc
	s_and_saveexec_b64 s[54:55], s[0:1]
	s_cbranch_execz .LBB116_101
; %bb.100:                              ;   in Loop: Header=BB116_13 Depth=1
	v_mul_f32_e32 v8, 0x3fb8aa3b, v63
	v_rndne_f32_e32 v9, v8
	v_sub_f32_e32 v12, v8, v9
	v_fma_f32 v8, v63, s5, -v8
	v_fmac_f32_e32 v8, 0x32a5705f, v63
	v_add_f32_e32 v8, v12, v8
	v_cvt_i32_f32_e32 v9, v9
	v_exp_f32_e32 v8, v8
	v_cmp_ngt_f32_e32 vcc, s8, v63
	v_ldexp_f32 v8, v8, v9
	s_nop 0
	v_cndmask_b32_e32 v8, 0, v8, vcc
	v_cmp_nlt_f32_e32 vcc, s9, v63
	s_nop 1
	v_cndmask_b32_e32 v19, v39, v8, vcc
	v_add_f32_e32 v12, 1.0, v19
	v_add_f32_e32 v8, -1.0, v12
	v_sub_f32_e32 v9, v8, v12
	v_add_f32_e32 v9, 1.0, v9
	v_sub_f32_e32 v8, v19, v8
	v_add_f32_e32 v13, v8, v9
	v_frexp_mant_f32_e32 v14, v12
	v_cvt_f64_f32_e32 v[8:9], v12
	v_frexp_exp_i32_f64_e32 v8, v[8:9]
	v_cmp_gt_f32_e32 vcc, s11, v14
	v_cmp_gt_f32_e64 s[52:53], s57, v19
	s_nop 0
	v_subbrev_co_u32_e32 v28, vcc, 0, v8, vcc
	v_sub_u32_e32 v8, 0, v28
	v_ldexp_f32 v9, v12, v8
	v_add_f32_e32 v12, -1.0, v9
	v_add_f32_e32 v14, 1.0, v9
	v_ldexp_f32 v8, v13, v8
	v_add_f32_e32 v13, 1.0, v12
	v_add_f32_e32 v15, -1.0, v14
	v_sub_f32_e32 v13, v9, v13
	v_sub_f32_e32 v9, v9, v15
	v_add_f32_e32 v13, v8, v13
	v_add_f32_e32 v8, v8, v9
	;; [unrolled: 1-line block ×3, first 2 shown]
	v_rcp_f32_e32 v31, v29
	v_sub_f32_e32 v9, v14, v29
	v_add_f32_e32 v30, v8, v9
	v_add_f32_e32 v9, v12, v13
	v_mul_f32_e32 v33, v9, v31
	v_sub_f32_e32 v8, v12, v9
	v_mul_f32_e32 v12, v29, v33
	v_fma_f32 v14, v33, v29, -v12
	v_fmac_f32_e32 v14, v33, v30
	v_add_f32_e32 v32, v13, v8
	v_add_f32_e32 v8, v12, v14
	v_sub_f32_e32 v13, v9, v8
	v_pk_add_f32 v[26:27], v[8:9], v[12:13] neg_lo:[0,1] neg_hi:[0,1]
	v_mov_b32_e32 v15, v8
	v_pk_add_f32 v[8:9], v[26:27], v[14:15] neg_lo:[0,1] neg_hi:[0,1]
	v_cmp_eq_f32_e32 vcc, s10, v19
	v_add_f32_e32 v9, v32, v9
	v_add_f32_e32 v8, v8, v9
	;; [unrolled: 1-line block ×3, first 2 shown]
	v_mul_f32_e32 v32, v31, v9
	v_mul_f32_e32 v12, v29, v32
	v_fma_f32 v14, v32, v29, -v12
	v_fmac_f32_e32 v14, v32, v30
	v_sub_f32_e32 v13, v13, v9
	v_add_f32_e32 v29, v8, v13
	v_add_f32_e32 v8, v12, v14
	v_sub_f32_e32 v13, v9, v8
	v_pk_add_f32 v[26:27], v[8:9], v[12:13] neg_lo:[0,1] neg_hi:[0,1]
	v_mov_b32_e32 v15, v8
	v_pk_add_f32 v[8:9], v[26:27], v[14:15] neg_lo:[0,1] neg_hi:[0,1]
	scratch_load_dwordx2 v[26:27], off, off offset:164 ; 8-byte Folded Reload
	v_add_f32_e32 v9, v29, v9
	v_add_f32_e32 v8, v8, v9
	;; [unrolled: 1-line block ×4, first 2 shown]
	v_sub_f32_e32 v12, v9, v33
	v_mul_f32_e32 v8, v31, v8
	v_sub_f32_e32 v12, v32, v12
	v_add_f32_e32 v12, v12, v8
	v_add_f32_e32 v14, v9, v12
	v_mul_f32_e32 v15, v14, v14
	v_mov_b32_e32 v8, 0x3ecc95a3
	v_fmamk_f32 v8, v15, 0x3e9b6dac, v8
	v_fmaak_f32 v31, v15, v8, 0x3f2aaada
	v_cvt_f32_i32_e32 v8, v28
	v_sub_f32_e32 v9, v14, v9
	v_sub_f32_e32 v9, v12, v9
	v_ldexp_f32 v13, v14, 1
	s_or_b64 vcc, s[52:53], vcc
	s_waitcnt vmcnt(0)
	v_mov_b32_e32 v30, v26
	v_ldexp_f32 v26, v9, 1
	v_mul_f32_e32 v9, v14, v15
	v_mov_b32_e32 v12, v30
	v_pk_mul_f32 v[14:15], v[8:9], v[30:31]
	scratch_store_dwordx2 off, v[12:13], off offset:164 ; 8-byte Folded Spill
	v_fma_f32 v12, v8, s56, -v14
	v_fmac_f32_e32 v12, 0xb102e308, v8
	v_pk_add_f32 v[8:9], v[14:15], v[12:13]
	s_nop 0
	v_sub_f32_e32 v13, v9, v13
	v_sub_f32_e32 v13, v15, v13
	v_add_f32_e32 v27, v26, v13
	v_mov_b32_e32 v26, v14
	v_pk_add_f32 v[14:15], v[8:9], v[14:15] neg_lo:[0,1] neg_hi:[0,1]
	v_pk_add_f32 v[28:29], v[8:9], v[26:27]
	v_mov_b32_e32 v13, v8
	v_mov_b32_e32 v15, v29
	v_pk_add_f32 v[30:31], v[12:13], v[14:15] neg_lo:[0,1] neg_hi:[0,1]
	v_pk_add_f32 v[12:13], v[12:13], v[14:15]
	v_mov_b32_e32 v26, v27
	v_mov_b32_e32 v14, v13
	v_pk_add_f32 v[32:33], v[14:15], v[8:9] neg_lo:[0,1] neg_hi:[0,1]
	v_mov_b32_e32 v12, v29
	v_mov_b32_e32 v15, v32
	v_pk_add_f32 v[34:35], v[28:29], v[14:15] neg_lo:[0,1] neg_hi:[0,1]
	v_mov_b32_e32 v28, v9
	v_mov_b32_e32 v29, v32
	;; [unrolled: 1-line block ×3, first 2 shown]
	v_pk_add_f32 v[12:13], v[12:13], v[28:29] neg_lo:[0,1] neg_hi:[0,1]
	v_mov_b32_e32 v27, v8
	v_pk_add_f32 v[8:9], v[26:27], v[12:13] neg_lo:[0,1] neg_hi:[0,1]
	v_mov_b32_e32 v34, v30
	v_pk_add_f32 v[12:13], v[34:35], v[8:9]
	s_nop 0
	v_mov_b32_e32 v26, v13
	v_pk_add_f32 v[26:27], v[12:13], v[26:27]
	s_nop 0
	v_pk_add_f32 v[14:15], v[14:15], v[26:27]
	v_mov_b32_e32 v9, v26
	v_mov_b32_e32 v13, v14
	v_pk_add_f32 v[28:29], v[12:13], v[30:31] neg_lo:[0,1] neg_hi:[0,1]
	s_nop 0
	v_sub_f32_e32 v12, v12, v28
	v_pk_add_f32 v[8:9], v[8:9], v[28:29] neg_lo:[0,1] neg_hi:[0,1]
	v_sub_f32_e32 v12, v30, v12
	v_add_f32_e32 v8, v8, v12
	v_add_f32_e32 v8, v8, v9
	;; [unrolled: 1-line block ×3, first 2 shown]
	v_cndmask_b32_e32 v63, v8, v19, vcc
.LBB116_101:                            ;   in Loop: Header=BB116_13 Depth=1
	s_or_b64 exec, exec, s[54:55]
	v_cvt_f32_f16_sdwa v8, v10 dst_sel:DWORD dst_unused:UNUSED_PAD src0_sel:WORD_1
	v_readlane_b32 s0, v95, 2
	s_nop 1
	v_add_f32_e32 v64, s0, v8
	v_cmp_ge_f32_e32 vcc, s4, v64
	s_and_b64 s[0:1], s[6:7], vcc
	s_and_saveexec_b64 s[54:55], s[0:1]
	s_cbranch_execz .LBB116_103
; %bb.102:                              ;   in Loop: Header=BB116_13 Depth=1
	v_mul_f32_e32 v8, 0x3fb8aa3b, v64
	v_rndne_f32_e32 v9, v8
	v_sub_f32_e32 v10, v8, v9
	v_fma_f32 v8, v64, s5, -v8
	v_fmac_f32_e32 v8, 0x32a5705f, v64
	v_add_f32_e32 v8, v10, v8
	v_cvt_i32_f32_e32 v9, v9
	v_exp_f32_e32 v8, v8
	v_cmp_ngt_f32_e32 vcc, s8, v64
	v_ldexp_f32 v8, v8, v9
	s_nop 0
	v_cndmask_b32_e32 v8, 0, v8, vcc
	v_cmp_nlt_f32_e32 vcc, s9, v64
	s_nop 1
	v_cndmask_b32_e32 v19, v39, v8, vcc
	v_add_f32_e32 v10, 1.0, v19
	v_add_f32_e32 v8, -1.0, v10
	v_sub_f32_e32 v9, v8, v10
	v_add_f32_e32 v9, 1.0, v9
	v_sub_f32_e32 v8, v19, v8
	v_add_f32_e32 v12, v8, v9
	v_frexp_mant_f32_e32 v13, v10
	v_cvt_f64_f32_e32 v[8:9], v10
	v_frexp_exp_i32_f64_e32 v8, v[8:9]
	v_cmp_gt_f32_e32 vcc, s11, v13
	v_cmp_gt_f32_e64 s[52:53], s57, v19
	s_nop 0
	v_subbrev_co_u32_e32 v28, vcc, 0, v8, vcc
	v_sub_u32_e32 v8, 0, v28
	v_ldexp_f32 v9, v10, v8
	v_add_f32_e32 v10, -1.0, v9
	v_add_f32_e32 v13, 1.0, v9
	v_ldexp_f32 v8, v12, v8
	v_add_f32_e32 v12, 1.0, v10
	v_add_f32_e32 v14, -1.0, v13
	v_sub_f32_e32 v12, v9, v12
	v_sub_f32_e32 v9, v9, v14
	v_add_f32_e32 v12, v8, v12
	v_add_f32_e32 v8, v8, v9
	v_add_f32_e32 v29, v13, v8
	v_rcp_f32_e32 v31, v29
	v_sub_f32_e32 v9, v13, v29
	v_add_f32_e32 v30, v8, v9
	v_add_f32_e32 v9, v10, v12
	v_sub_f32_e32 v8, v10, v9
	v_mul_f32_e32 v32, v9, v31
	v_add_f32_e32 v10, v12, v8
	v_mul_f32_e32 v12, v29, v32
	v_fma_f32 v14, v32, v29, -v12
	v_fmac_f32_e32 v14, v32, v30
	v_add_f32_e32 v8, v12, v14
	v_sub_f32_e32 v13, v9, v8
	v_pk_add_f32 v[26:27], v[8:9], v[12:13] neg_lo:[0,1] neg_hi:[0,1]
	v_mov_b32_e32 v15, v8
	v_pk_add_f32 v[8:9], v[26:27], v[14:15] neg_lo:[0,1] neg_hi:[0,1]
	v_cmp_eq_f32_e32 vcc, s10, v19
	v_add_f32_e32 v9, v10, v9
	v_add_f32_e32 v8, v8, v9
	v_add_f32_e32 v9, v13, v8
	v_mul_f32_e32 v10, v31, v9
	v_mul_f32_e32 v12, v29, v10
	v_fma_f32 v14, v10, v29, -v12
	v_fmac_f32_e32 v14, v10, v30
	v_sub_f32_e32 v13, v13, v9
	v_add_f32_e32 v29, v8, v13
	v_add_f32_e32 v8, v12, v14
	v_sub_f32_e32 v13, v9, v8
	v_pk_add_f32 v[26:27], v[8:9], v[12:13] neg_lo:[0,1] neg_hi:[0,1]
	v_mov_b32_e32 v15, v8
	v_pk_add_f32 v[8:9], v[26:27], v[14:15] neg_lo:[0,1] neg_hi:[0,1]
	scratch_load_dwordx2 v[26:27], off, off offset:164 ; 8-byte Folded Reload
	v_add_f32_e32 v9, v29, v9
	v_add_f32_e32 v8, v8, v9
	;; [unrolled: 1-line block ×4, first 2 shown]
	v_sub_f32_e32 v12, v9, v32
	v_mul_f32_e32 v8, v31, v8
	v_sub_f32_e32 v10, v10, v12
	v_add_f32_e32 v10, v10, v8
	v_add_f32_e32 v12, v9, v10
	v_mul_f32_e32 v14, v12, v12
	v_mov_b32_e32 v8, 0x3ecc95a3
	v_fmamk_f32 v8, v14, 0x3e9b6dac, v8
	s_waitcnt vmcnt(0)
	v_fmaak_f32 v27, v14, v8, 0x3f2aaada
	v_cvt_f32_i32_e32 v8, v28
	v_sub_f32_e32 v9, v12, v9
	v_sub_f32_e32 v9, v10, v9
	v_ldexp_f32 v10, v9, 1
	v_mul_f32_e32 v9, v12, v14
	v_ldexp_f32 v13, v12, 1
	s_or_b64 vcc, s[52:53], vcc
	v_mov_b32_e32 v12, v26
	v_pk_mul_f32 v[14:15], v[8:9], v[26:27]
	scratch_store_dwordx2 off, v[12:13], off offset:164 ; 8-byte Folded Spill
	v_fma_f32 v12, v8, s56, -v14
	v_fmac_f32_e32 v12, 0xb102e308, v8
	v_pk_add_f32 v[8:9], v[14:15], v[12:13]
	v_mov_b32_e32 v26, v14
	v_sub_f32_e32 v13, v9, v13
	v_sub_f32_e32 v13, v15, v13
	v_add_f32_e32 v27, v10, v13
	v_pk_add_f32 v[14:15], v[8:9], v[14:15] neg_lo:[0,1] neg_hi:[0,1]
	v_pk_add_f32 v[28:29], v[8:9], v[26:27]
	v_mov_b32_e32 v13, v8
	v_mov_b32_e32 v15, v29
	v_pk_add_f32 v[30:31], v[12:13], v[14:15] neg_lo:[0,1] neg_hi:[0,1]
	v_pk_add_f32 v[12:13], v[12:13], v[14:15]
	s_nop 0
	v_mov_b32_e32 v10, v13
	v_pk_add_f32 v[14:15], v[10:11], v[8:9] neg_lo:[0,1] neg_hi:[0,1]
	v_mov_b32_e32 v12, v29
	v_mov_b32_e32 v15, v14
	v_pk_add_f32 v[32:33], v[28:29], v[14:15] neg_lo:[0,1] neg_hi:[0,1]
	v_mov_b32_e32 v28, v9
	v_mov_b32_e32 v29, v14
	;; [unrolled: 1-line block ×3, first 2 shown]
	v_pk_add_f32 v[12:13], v[12:13], v[28:29] neg_lo:[0,1] neg_hi:[0,1]
	v_mov_b32_e32 v14, v27
	v_mov_b32_e32 v15, v8
	v_pk_add_f32 v[8:9], v[14:15], v[12:13] neg_lo:[0,1] neg_hi:[0,1]
	v_mov_b32_e32 v32, v30
	v_pk_add_f32 v[12:13], v[32:33], v[8:9]
	s_nop 0
	v_mov_b32_e32 v14, v13
	v_pk_add_f32 v[14:15], v[12:13], v[14:15]
	s_nop 0
	v_pk_add_f32 v[26:27], v[10:11], v[14:15]
	v_mov_b32_e32 v9, v14
	v_mov_b32_e32 v13, v26
	v_pk_add_f32 v[28:29], v[12:13], v[30:31] neg_lo:[0,1] neg_hi:[0,1]
	s_nop 0
	v_sub_f32_e32 v10, v12, v28
	v_pk_add_f32 v[8:9], v[8:9], v[28:29] neg_lo:[0,1] neg_hi:[0,1]
	v_sub_f32_e32 v10, v30, v10
	v_add_f32_e32 v8, v8, v10
	v_add_f32_e32 v8, v8, v9
	v_add_f32_e32 v8, v26, v8
	v_cndmask_b32_e32 v64, v8, v19, vcc
.LBB116_103:                            ;   in Loop: Header=BB116_13 Depth=1
	s_or_b64 exec, exec, s[54:55]
	v_cvt_f32_f16_e32 v8, v11
	v_readlane_b32 s0, v95, 2
	s_nop 1
	v_add_f32_e32 v65, s0, v8
	v_cmp_ge_f32_e32 vcc, s4, v65
	s_and_b64 s[0:1], s[6:7], vcc
	s_and_saveexec_b64 s[54:55], s[0:1]
	s_cbranch_execz .LBB116_105
; %bb.104:                              ;   in Loop: Header=BB116_13 Depth=1
	v_mul_f32_e32 v8, 0x3fb8aa3b, v65
	v_rndne_f32_e32 v9, v8
	v_sub_f32_e32 v10, v8, v9
	v_fma_f32 v8, v65, s5, -v8
	v_fmac_f32_e32 v8, 0x32a5705f, v65
	v_add_f32_e32 v8, v10, v8
	v_cvt_i32_f32_e32 v9, v9
	v_exp_f32_e32 v8, v8
	v_cmp_ngt_f32_e32 vcc, s8, v65
	v_ldexp_f32 v8, v8, v9
	s_nop 0
	v_cndmask_b32_e32 v8, 0, v8, vcc
	v_cmp_nlt_f32_e32 vcc, s9, v65
	s_nop 1
	v_cndmask_b32_e32 v19, v39, v8, vcc
	v_add_f32_e32 v10, 1.0, v19
	v_add_f32_e32 v8, -1.0, v10
	v_sub_f32_e32 v9, v8, v10
	v_add_f32_e32 v9, 1.0, v9
	v_sub_f32_e32 v8, v19, v8
	v_add_f32_e32 v12, v8, v9
	v_frexp_mant_f32_e32 v13, v10
	v_cvt_f64_f32_e32 v[8:9], v10
	v_frexp_exp_i32_f64_e32 v8, v[8:9]
	v_cmp_gt_f32_e32 vcc, s11, v13
	v_cmp_gt_f32_e64 s[52:53], s57, v19
	s_nop 0
	v_subbrev_co_u32_e32 v28, vcc, 0, v8, vcc
	v_sub_u32_e32 v8, 0, v28
	v_ldexp_f32 v9, v10, v8
	v_add_f32_e32 v10, -1.0, v9
	v_add_f32_e32 v13, 1.0, v9
	v_ldexp_f32 v8, v12, v8
	v_add_f32_e32 v12, 1.0, v10
	v_add_f32_e32 v14, -1.0, v13
	v_sub_f32_e32 v12, v9, v12
	v_sub_f32_e32 v9, v9, v14
	v_add_f32_e32 v12, v8, v12
	v_add_f32_e32 v8, v8, v9
	;; [unrolled: 1-line block ×3, first 2 shown]
	v_rcp_f32_e32 v31, v29
	v_sub_f32_e32 v9, v13, v29
	v_add_f32_e32 v30, v8, v9
	v_add_f32_e32 v9, v10, v12
	v_sub_f32_e32 v8, v10, v9
	v_mul_f32_e32 v32, v9, v31
	v_add_f32_e32 v10, v12, v8
	v_mul_f32_e32 v12, v29, v32
	v_fma_f32 v14, v32, v29, -v12
	v_fmac_f32_e32 v14, v32, v30
	v_add_f32_e32 v8, v12, v14
	v_sub_f32_e32 v13, v9, v8
	v_pk_add_f32 v[26:27], v[8:9], v[12:13] neg_lo:[0,1] neg_hi:[0,1]
	v_mov_b32_e32 v15, v8
	v_pk_add_f32 v[8:9], v[26:27], v[14:15] neg_lo:[0,1] neg_hi:[0,1]
	v_cmp_eq_f32_e32 vcc, s10, v19
	v_add_f32_e32 v9, v10, v9
	v_add_f32_e32 v8, v8, v9
	;; [unrolled: 1-line block ×3, first 2 shown]
	v_mul_f32_e32 v10, v31, v9
	v_mul_f32_e32 v12, v29, v10
	v_fma_f32 v14, v10, v29, -v12
	v_fmac_f32_e32 v14, v10, v30
	v_sub_f32_e32 v13, v13, v9
	v_add_f32_e32 v29, v8, v13
	v_add_f32_e32 v8, v12, v14
	v_sub_f32_e32 v13, v9, v8
	v_pk_add_f32 v[26:27], v[8:9], v[12:13] neg_lo:[0,1] neg_hi:[0,1]
	v_mov_b32_e32 v15, v8
	v_pk_add_f32 v[8:9], v[26:27], v[14:15] neg_lo:[0,1] neg_hi:[0,1]
	scratch_load_dwordx2 v[26:27], off, off offset:164 ; 8-byte Folded Reload
	v_add_f32_e32 v9, v29, v9
	v_add_f32_e32 v8, v8, v9
	;; [unrolled: 1-line block ×4, first 2 shown]
	v_sub_f32_e32 v12, v9, v32
	v_mul_f32_e32 v8, v31, v8
	v_sub_f32_e32 v10, v10, v12
	v_add_f32_e32 v10, v10, v8
	v_add_f32_e32 v12, v9, v10
	v_mul_f32_e32 v14, v12, v12
	v_mov_b32_e32 v8, 0x3ecc95a3
	v_fmamk_f32 v8, v14, 0x3e9b6dac, v8
	s_waitcnt vmcnt(0)
	v_fmaak_f32 v27, v14, v8, 0x3f2aaada
	v_cvt_f32_i32_e32 v8, v28
	v_sub_f32_e32 v9, v12, v9
	v_sub_f32_e32 v9, v10, v9
	v_ldexp_f32 v10, v9, 1
	v_mul_f32_e32 v9, v12, v14
	v_ldexp_f32 v13, v12, 1
	s_or_b64 vcc, s[52:53], vcc
	v_mov_b32_e32 v12, v26
	v_pk_mul_f32 v[14:15], v[8:9], v[26:27]
	scratch_store_dwordx2 off, v[12:13], off offset:164 ; 8-byte Folded Spill
	v_fma_f32 v12, v8, s56, -v14
	v_fmac_f32_e32 v12, 0xb102e308, v8
	v_pk_add_f32 v[8:9], v[14:15], v[12:13]
	v_mov_b32_e32 v26, v14
	v_sub_f32_e32 v13, v9, v13
	v_sub_f32_e32 v13, v15, v13
	v_add_f32_e32 v27, v10, v13
	v_pk_add_f32 v[14:15], v[8:9], v[14:15] neg_lo:[0,1] neg_hi:[0,1]
	v_pk_add_f32 v[28:29], v[8:9], v[26:27]
	v_mov_b32_e32 v13, v8
	v_mov_b32_e32 v15, v29
	v_pk_add_f32 v[30:31], v[12:13], v[14:15] neg_lo:[0,1] neg_hi:[0,1]
	v_pk_add_f32 v[12:13], v[12:13], v[14:15]
	s_nop 0
	v_mov_b32_e32 v10, v13
	v_pk_add_f32 v[14:15], v[10:11], v[8:9] neg_lo:[0,1] neg_hi:[0,1]
	v_mov_b32_e32 v12, v29
	v_mov_b32_e32 v15, v14
	v_pk_add_f32 v[32:33], v[28:29], v[14:15] neg_lo:[0,1] neg_hi:[0,1]
	v_mov_b32_e32 v28, v9
	v_mov_b32_e32 v29, v14
	;; [unrolled: 1-line block ×3, first 2 shown]
	v_pk_add_f32 v[12:13], v[12:13], v[28:29] neg_lo:[0,1] neg_hi:[0,1]
	v_mov_b32_e32 v14, v27
	v_mov_b32_e32 v15, v8
	v_pk_add_f32 v[8:9], v[14:15], v[12:13] neg_lo:[0,1] neg_hi:[0,1]
	v_mov_b32_e32 v32, v30
	v_pk_add_f32 v[12:13], v[32:33], v[8:9]
	s_nop 0
	v_mov_b32_e32 v14, v13
	v_pk_add_f32 v[14:15], v[12:13], v[14:15]
	s_nop 0
	v_pk_add_f32 v[26:27], v[10:11], v[14:15]
	v_mov_b32_e32 v9, v14
	v_mov_b32_e32 v13, v26
	v_pk_add_f32 v[28:29], v[12:13], v[30:31] neg_lo:[0,1] neg_hi:[0,1]
	s_nop 0
	v_sub_f32_e32 v10, v12, v28
	v_pk_add_f32 v[8:9], v[8:9], v[28:29] neg_lo:[0,1] neg_hi:[0,1]
	v_sub_f32_e32 v10, v30, v10
	v_add_f32_e32 v8, v8, v10
	v_add_f32_e32 v8, v8, v9
	;; [unrolled: 1-line block ×3, first 2 shown]
	v_cndmask_b32_e32 v65, v8, v19, vcc
.LBB116_105:                            ;   in Loop: Header=BB116_13 Depth=1
	s_or_b64 exec, exec, s[54:55]
	v_cvt_f32_f16_sdwa v8, v11 dst_sel:DWORD dst_unused:UNUSED_PAD src0_sel:WORD_1
	v_readlane_b32 s0, v95, 2
	s_nop 1
	v_add_f32_e32 v27, s0, v8
	v_cmp_ge_f32_e32 vcc, s4, v27
	s_and_b64 s[0:1], s[6:7], vcc
	s_and_saveexec_b64 s[54:55], s[0:1]
	s_cbranch_execz .LBB116_107
; %bb.106:                              ;   in Loop: Header=BB116_13 Depth=1
	v_mul_f32_e32 v8, 0x3fb8aa3b, v27
	v_rndne_f32_e32 v9, v8
	v_sub_f32_e32 v10, v8, v9
	v_fma_f32 v8, v27, s5, -v8
	v_fmac_f32_e32 v8, 0x32a5705f, v27
	v_add_f32_e32 v8, v10, v8
	v_cvt_i32_f32_e32 v9, v9
	v_exp_f32_e32 v8, v8
	v_cmp_ngt_f32_e32 vcc, s8, v27
	v_ldexp_f32 v8, v8, v9
	s_nop 0
	v_cndmask_b32_e32 v8, 0, v8, vcc
	v_cmp_nlt_f32_e32 vcc, s9, v27
	s_nop 1
	v_cndmask_b32_e32 v19, v39, v8, vcc
	v_add_f32_e32 v10, 1.0, v19
	v_add_f32_e32 v8, -1.0, v10
	v_sub_f32_e32 v9, v8, v10
	v_add_f32_e32 v9, 1.0, v9
	v_sub_f32_e32 v8, v19, v8
	v_add_f32_e32 v11, v8, v9
	v_frexp_mant_f32_e32 v12, v10
	v_cvt_f64_f32_e32 v[8:9], v10
	v_frexp_exp_i32_f64_e32 v8, v[8:9]
	v_cmp_gt_f32_e32 vcc, s11, v12
	v_cmp_gt_f32_e64 s[52:53], s57, v19
	s_nop 0
	v_subbrev_co_u32_e32 v26, vcc, 0, v8, vcc
	v_sub_u32_e32 v8, 0, v26
	v_ldexp_f32 v9, v10, v8
	v_add_f32_e32 v10, -1.0, v9
	v_add_f32_e32 v12, 1.0, v9
	v_ldexp_f32 v8, v11, v8
	v_add_f32_e32 v11, 1.0, v10
	v_add_f32_e32 v13, -1.0, v12
	v_sub_f32_e32 v11, v9, v11
	v_sub_f32_e32 v9, v9, v13
	v_add_f32_e32 v11, v8, v11
	v_add_f32_e32 v8, v8, v9
	;; [unrolled: 1-line block ×3, first 2 shown]
	v_rcp_f32_e32 v29, v27
	v_sub_f32_e32 v9, v12, v27
	v_add_f32_e32 v28, v8, v9
	v_add_f32_e32 v9, v10, v11
	v_mul_f32_e32 v31, v9, v29
	v_sub_f32_e32 v8, v10, v9
	v_mul_f32_e32 v10, v27, v31
	v_fma_f32 v12, v31, v27, -v10
	v_fmac_f32_e32 v12, v31, v28
	v_add_f32_e32 v30, v11, v8
	v_add_f32_e32 v8, v10, v12
	v_sub_f32_e32 v11, v9, v8
	v_pk_add_f32 v[14:15], v[8:9], v[10:11] neg_lo:[0,1] neg_hi:[0,1]
	v_mov_b32_e32 v13, v8
	v_pk_add_f32 v[8:9], v[14:15], v[12:13] neg_lo:[0,1] neg_hi:[0,1]
	v_cmp_eq_f32_e32 vcc, s10, v19
	v_add_f32_e32 v9, v30, v9
	v_add_f32_e32 v8, v8, v9
	;; [unrolled: 1-line block ×3, first 2 shown]
	v_mul_f32_e32 v30, v29, v9
	v_mul_f32_e32 v10, v27, v30
	v_fma_f32 v12, v30, v27, -v10
	v_fmac_f32_e32 v12, v30, v28
	v_sub_f32_e32 v11, v11, v9
	v_add_f32_e32 v27, v8, v11
	v_add_f32_e32 v8, v10, v12
	v_sub_f32_e32 v11, v9, v8
	v_pk_add_f32 v[14:15], v[8:9], v[10:11] neg_lo:[0,1] neg_hi:[0,1]
	v_mov_b32_e32 v13, v8
	v_pk_add_f32 v[8:9], v[14:15], v[12:13] neg_lo:[0,1] neg_hi:[0,1]
	scratch_load_dwordx2 v[14:15], off, off offset:164 ; 8-byte Folded Reload
	v_add_f32_e32 v9, v27, v9
	v_add_f32_e32 v8, v8, v9
	;; [unrolled: 1-line block ×4, first 2 shown]
	v_sub_f32_e32 v10, v9, v31
	v_mul_f32_e32 v8, v29, v8
	v_sub_f32_e32 v10, v30, v10
	v_add_f32_e32 v10, v10, v8
	v_add_f32_e32 v12, v9, v10
	v_mul_f32_e32 v13, v12, v12
	v_mov_b32_e32 v8, 0x3ecc95a3
	v_fmamk_f32 v8, v13, 0x3e9b6dac, v8
	v_fmaak_f32 v29, v13, v8, 0x3f2aaada
	v_cvt_f32_i32_e32 v8, v26
	v_sub_f32_e32 v9, v12, v9
	v_sub_f32_e32 v9, v10, v9
	v_ldexp_f32 v11, v12, 1
	s_or_b64 vcc, s[52:53], vcc
	s_waitcnt vmcnt(0)
	v_mov_b32_e32 v28, v14
	v_ldexp_f32 v14, v9, 1
	v_mul_f32_e32 v9, v12, v13
	v_mov_b32_e32 v10, v28
	v_pk_mul_f32 v[12:13], v[8:9], v[28:29]
	scratch_store_dwordx2 off, v[10:11], off offset:164 ; 8-byte Folded Spill
	v_fma_f32 v10, v8, s56, -v12
	v_fmac_f32_e32 v10, 0xb102e308, v8
	v_pk_add_f32 v[8:9], v[12:13], v[10:11]
	s_nop 0
	v_sub_f32_e32 v11, v9, v11
	v_sub_f32_e32 v11, v13, v11
	v_add_f32_e32 v15, v14, v11
	v_mov_b32_e32 v14, v12
	v_pk_add_f32 v[12:13], v[8:9], v[12:13] neg_lo:[0,1] neg_hi:[0,1]
	v_pk_add_f32 v[26:27], v[8:9], v[14:15]
	v_mov_b32_e32 v11, v8
	v_mov_b32_e32 v13, v27
	v_pk_add_f32 v[28:29], v[10:11], v[12:13] neg_lo:[0,1] neg_hi:[0,1]
	v_pk_add_f32 v[10:11], v[10:11], v[12:13]
	v_mov_b32_e32 v14, v15
	v_mov_b32_e32 v12, v11
	v_pk_add_f32 v[30:31], v[12:13], v[8:9] neg_lo:[0,1] neg_hi:[0,1]
	v_mov_b32_e32 v10, v27
	v_mov_b32_e32 v13, v30
	v_pk_add_f32 v[32:33], v[26:27], v[12:13] neg_lo:[0,1] neg_hi:[0,1]
	v_mov_b32_e32 v26, v9
	v_mov_b32_e32 v27, v30
	;; [unrolled: 1-line block ×3, first 2 shown]
	v_pk_add_f32 v[10:11], v[10:11], v[26:27] neg_lo:[0,1] neg_hi:[0,1]
	v_mov_b32_e32 v15, v8
	v_pk_add_f32 v[8:9], v[14:15], v[10:11] neg_lo:[0,1] neg_hi:[0,1]
	v_mov_b32_e32 v32, v28
	v_pk_add_f32 v[10:11], v[32:33], v[8:9]
	s_nop 0
	v_mov_b32_e32 v14, v11
	v_pk_add_f32 v[14:15], v[10:11], v[14:15]
	s_nop 0
	v_pk_add_f32 v[12:13], v[12:13], v[14:15]
	v_mov_b32_e32 v9, v14
	v_mov_b32_e32 v11, v12
	v_pk_add_f32 v[26:27], v[10:11], v[28:29] neg_lo:[0,1] neg_hi:[0,1]
	s_nop 0
	v_sub_f32_e32 v10, v10, v26
	v_pk_add_f32 v[8:9], v[8:9], v[26:27] neg_lo:[0,1] neg_hi:[0,1]
	v_sub_f32_e32 v10, v28, v10
	v_add_f32_e32 v8, v8, v10
	v_add_f32_e32 v8, v8, v9
	;; [unrolled: 1-line block ×3, first 2 shown]
	v_cndmask_b32_e32 v27, v8, v19, vcc
.LBB116_107:                            ;   in Loop: Header=BB116_13 Depth=1
	s_or_b64 exec, exec, s[54:55]
	v_cvt_f32_f16_e32 v8, v7
	v_cvt_f32_f16_sdwa v9, v6 dst_sel:DWORD dst_unused:UNUSED_PAD src0_sel:WORD_1
	v_cvt_f32_f16_e32 v6, v6
	v_cvt_f32_f16_sdwa v11, v7 dst_sel:DWORD dst_unused:UNUSED_PAD src0_sel:WORD_1
	v_cvt_f32_f16_sdwa v7, v5 dst_sel:DWORD dst_unused:UNUSED_PAD src0_sel:WORD_1
	v_cvt_f32_f16_e32 v5, v5
	v_cvt_f32_f16_sdwa v10, v4 dst_sel:DWORD dst_unused:UNUSED_PAD src0_sel:WORD_1
	v_cvt_f32_f16_e32 v4, v4
	;; [unrolled: 2-line block ×6, first 2 shown]
	v_readlane_b32 s0, v95, 3
	s_waitcnt lgkmcnt(0)
	; wave barrier
	s_nop 0
	v_mul_f32_e32 v30, s0, v8
	v_mul_f32_e32 v29, s0, v9
	;; [unrolled: 1-line block ×16, first 2 shown]
	v_readlane_b32 s0, v95, 23
	v_readlane_b32 s1, v95, 24
	s_and_b64 vcc, exec, s[0:1]
	s_cbranch_vccz .LBB116_200
; %bb.108:                              ;   in Loop: Header=BB116_13 Depth=1
	v_mul_f32_e32 v82, v22, v0
	scratch_load_dword v0, off, off offset:264 ; 4-byte Folded Reload
	v_readlane_b32 s0, v95, 8
	v_readlane_b32 s1, v95, 9
	v_mul_f32_e32 v8, v65, v8
	v_mul_f32_e32 v6, v63, v6
	v_lshl_add_u64 v[44:45], s[0:1], 0, v[16:17]
	v_readlane_b32 s0, v95, 18
	v_readlane_b32 s1, v95, 19
	v_mul_f32_e32 v5, v61, v5
	s_mov_b32 s98, 0
	v_lshl_add_u64 v[46:47], s[0:1], 0, v[16:17]
	v_readlane_b32 s1, v95, 52
	s_cmp_lg_u32 s1, 0
	v_readlane_b32 s0, v95, 29
	s_cselect_b64 s[86:87], -1, 0
	s_cmp_eq_u32 s1, s0
	v_readlane_b32 s0, v95, 26
	v_readlane_b32 s1, v95, 27
	s_cselect_b64 s[90:91], -1, 0
	v_mul_f32_e32 v11, v27, v11
	scratch_store_dword off, v8, off offset:72 ; 4-byte Folded Spill
	v_mul_f32_e32 v8, v64, v9
	scratch_store_dword off, v6, off offset:80 ; 4-byte Folded Spill
	v_mul_f32_e32 v6, v62, v7
	scratch_store_dword off, v5, off offset:88 ; 4-byte Folded Spill
	v_mul_f32_e32 v5, v60, v10
	v_mul_f32_e32 v72, v94, v4
	;; [unrolled: 1-line block ×9, first 2 shown]
	s_mov_b32 s92, s98
	s_mov_b32 s94, s98
	;; [unrolled: 1-line block ×3, first 2 shown]
	scratch_store_dword off, v11, off offset:68 ; 4-byte Folded Spill
	scratch_store_dword off, v8, off offset:76 ; 4-byte Folded Spill
	;; [unrolled: 1-line block ×4, first 2 shown]
	s_waitcnt vmcnt(7)
	v_cmp_gt_u32_e32 vcc, s82, v0
	scratch_load_dword v0, off, off offset:268 ; 4-byte Folded Reload
	s_or_b64 s[52:53], s[0:1], vcc
	s_waitcnt vmcnt(0)
	v_cmp_gt_u32_e32 vcc, s82, v0
	scratch_load_dword v0, off, off offset:272 ; 4-byte Folded Reload
	s_or_b64 s[54:55], s[0:1], vcc
	;; [unrolled: 4-line block ×15, first 2 shown]
	s_waitcnt vmcnt(0)
	v_cmp_gt_u32_e32 vcc, s82, v0
	s_or_b64 s[82:83], s[0:1], vcc
	v_readlane_b32 s0, v95, 22
	v_readlane_b32 s1, v95, 48
	s_branch .LBB116_110
.LBB116_109:                            ;   in Loop: Header=BB116_110 Depth=2
	s_or_b64 exec, exec, s[84:85]
	v_mul_f32_e32 v48, v83, v69
	v_fma_f32 v49, v83, v70, v8
	v_cndmask_b32_e64 v8, v49, v8, s[16:17]
	v_cndmask_b32_e64 v48, v48, v83, s[16:17]
	s_waitcnt lgkmcnt(0)
	v_fmac_f32_e32 v8, v58, v48
	v_fmac_f32_e32 v9, v8, v84
	;; [unrolled: 1-line block ×15, first 2 shown]
	v_readlane_b32 s4, v95, 38
	v_fmac_f32_e32 v57, v56, v68
	v_cvt_f32_f16_sdwa v49, v4 dst_sel:DWORD dst_unused:UNUSED_PAD src0_sel:WORD_1
	v_cvt_f32_f16_sdwa v59, v5 dst_sel:DWORD dst_unused:UNUSED_PAD src0_sel:WORD_1
	v_cvt_f32_f16_e32 v48, v4
	v_cvt_f32_f16_e32 v58, v5
	v_cvt_f32_f16_sdwa v5, v6 dst_sel:DWORD dst_unused:UNUSED_PAD src0_sel:WORD_1
	v_cvt_f32_f16_sdwa v67, v7 dst_sel:DWORD dst_unused:UNUSED_PAD src0_sel:WORD_1
	v_cvt_f32_f16_e32 v4, v6
	v_cvt_f32_f16_e32 v66, v7
	;; [unrolled: 4-line block ×4, first 2 shown]
	v_readlane_b32 s5, v95, 39
	v_readlane_b32 s6, v95, 40
	;; [unrolled: 1-line block ×7, first 2 shown]
	s_add_i32 s94, s94, s4
	v_readlane_b32 s4, v95, 10
	v_readlane_b32 s5, v95, 11
	;; [unrolled: 1-line block ×3, first 2 shown]
	s_add_i32 s1, s1, 8
	s_add_i32 s0, s0, -1
	s_add_i32 s96, s96, s97
	s_add_i32 s92, s92, s8
	;; [unrolled: 1-line block ×3, first 2 shown]
	v_pk_fma_f32 v[42:43], v[10:11], v[58:59], v[42:43]
	v_pk_fma_f32 v[40:41], v[8:9], v[48:49], v[40:41]
	;; [unrolled: 1-line block ×7, first 2 shown]
	s_cmp_eq_u32 s0, 0
	v_pk_fma_f32 v[28:29], v[50:51], v[0:1], v[28:29]
	v_readlane_b32 s6, v95, 12
	v_readlane_b32 s7, v95, 13
	;; [unrolled: 1-line block ×5, first 2 shown]
	s_cbranch_scc1 .LBB116_199
.LBB116_110:                            ;   Parent Loop BB116_13 Depth=1
                                        ; =>  This Inner Loop Header: Depth=2
	s_lshl_b64 s[84:85], s[98:99], 2
	v_readlane_b32 s4, v95, 6
	s_add_u32 s84, s4, s84
	v_readlane_b32 s4, v95, 7
	s_addc_u32 s85, s4, s85
	global_load_dword v50, v17, s[84:85]
	s_mov_b32 s93, s99
	v_lshl_add_u64 v[0:1], s[92:93], 1, v[44:45]
	v_mov_b32_e32 v2, 0
	v_mov_b32_e32 v3, 0
	s_and_saveexec_b64 s[84:85], s[18:19]
	s_cbranch_execnz .LBB116_146
; %bb.111:                              ;   in Loop: Header=BB116_110 Depth=2
	s_or_b64 exec, exec, s[84:85]
	s_and_saveexec_b64 s[84:85], s[20:21]
	s_cbranch_execnz .LBB116_147
.LBB116_112:                            ;   in Loop: Header=BB116_110 Depth=2
	s_or_b64 exec, exec, s[84:85]
	v_mov_b32_e32 v4, 0
	s_and_saveexec_b64 s[84:85], s[22:23]
	s_cbranch_execnz .LBB116_148
.LBB116_113:                            ;   in Loop: Header=BB116_110 Depth=2
	s_or_b64 exec, exec, s[84:85]
	s_and_saveexec_b64 s[84:85], s[24:25]
	s_cbranch_execnz .LBB116_149
.LBB116_114:                            ;   in Loop: Header=BB116_110 Depth=2
	s_or_b64 exec, exec, s[84:85]
	v_mov_b32_e32 v5, 0
	s_and_saveexec_b64 s[84:85], s[26:27]
	s_cbranch_execnz .LBB116_150
.LBB116_115:                            ;   in Loop: Header=BB116_110 Depth=2
	s_or_b64 exec, exec, s[84:85]
	s_and_saveexec_b64 s[84:85], s[28:29]
	s_cbranch_execnz .LBB116_151
.LBB116_116:                            ;   in Loop: Header=BB116_110 Depth=2
	s_or_b64 exec, exec, s[84:85]
	v_mov_b32_e32 v6, 0
	s_and_saveexec_b64 s[84:85], s[30:31]
	s_cbranch_execnz .LBB116_152
.LBB116_117:                            ;   in Loop: Header=BB116_110 Depth=2
	s_or_b64 exec, exec, s[84:85]
	s_and_saveexec_b64 s[84:85], s[34:35]
	s_cbranch_execnz .LBB116_153
.LBB116_118:                            ;   in Loop: Header=BB116_110 Depth=2
	s_or_b64 exec, exec, s[84:85]
	v_mov_b32_e32 v7, 0
	s_and_saveexec_b64 s[84:85], s[36:37]
	s_cbranch_execnz .LBB116_154
.LBB116_119:                            ;   in Loop: Header=BB116_110 Depth=2
	s_or_b64 exec, exec, s[84:85]
	s_and_saveexec_b64 s[84:85], s[38:39]
	s_cbranch_execnz .LBB116_155
.LBB116_120:                            ;   in Loop: Header=BB116_110 Depth=2
	s_or_b64 exec, exec, s[84:85]
	v_mov_b32_e32 v8, 0
	s_and_saveexec_b64 s[84:85], s[40:41]
	s_cbranch_execnz .LBB116_156
.LBB116_121:                            ;   in Loop: Header=BB116_110 Depth=2
	s_or_b64 exec, exec, s[84:85]
	s_and_saveexec_b64 s[84:85], s[42:43]
	s_cbranch_execnz .LBB116_157
.LBB116_122:                            ;   in Loop: Header=BB116_110 Depth=2
	s_or_b64 exec, exec, s[84:85]
	v_mov_b32_e32 v9, 0
	s_and_saveexec_b64 s[84:85], s[44:45]
	s_cbranch_execnz .LBB116_158
.LBB116_123:                            ;   in Loop: Header=BB116_110 Depth=2
	s_or_b64 exec, exec, s[84:85]
	s_and_saveexec_b64 s[84:85], s[46:47]
	s_cbranch_execnz .LBB116_159
.LBB116_124:                            ;   in Loop: Header=BB116_110 Depth=2
	s_or_b64 exec, exec, s[84:85]
	v_mov_b32_e32 v10, 0
	s_and_saveexec_b64 s[84:85], s[48:49]
	s_cbranch_execnz .LBB116_160
.LBB116_125:                            ;   in Loop: Header=BB116_110 Depth=2
	s_or_b64 exec, exec, s[84:85]
	s_and_saveexec_b64 s[84:85], s[50:51]
	s_cbranch_execz .LBB116_127
.LBB116_126:                            ;   in Loop: Header=BB116_110 Depth=2
	global_load_ushort v0, v[0:1], off offset:1920
	s_waitcnt vmcnt(0)
	v_lshl_or_b32 v10, v0, 16, v10
.LBB116_127:                            ;   in Loop: Header=BB116_110 Depth=2
	s_or_b64 exec, exec, s[84:85]
	scratch_load_dword v0, off, off         ; 4-byte Folded Reload
	s_mov_b32 s95, s99
	s_waitcnt vmcnt(0)
	ds_write_b16 v0, v3
	scratch_load_dword v0, off, off offset:8 ; 4-byte Folded Reload
	v_mov_b32_e32 v3, 0
	s_waitcnt vmcnt(0)
	ds_write_b16 v0, v2 offset:128
	scratch_load_dword v0, off, off offset:12 ; 4-byte Folded Reload
	v_mov_b32_e32 v2, 0
	s_waitcnt vmcnt(0)
	ds_write_b16 v0, v4 offset:256
	scratch_load_dword v0, off, off offset:16 ; 4-byte Folded Reload
	s_waitcnt vmcnt(0)
	ds_write_b16_d16_hi v0, v4 offset:384
	scratch_load_dword v0, off, off offset:20 ; 4-byte Folded Reload
	s_waitcnt vmcnt(0)
	ds_write_b16 v0, v5 offset:512
	scratch_load_dword v0, off, off offset:24 ; 4-byte Folded Reload
	s_waitcnt vmcnt(0)
	ds_write_b16_d16_hi v0, v5 offset:640
	scratch_load_dword v0, off, off offset:28 ; 4-byte Folded Reload
	;; [unrolled: 6-line block ×6, first 2 shown]
	s_waitcnt vmcnt(0)
	ds_write_b16 v0, v10 offset:1792
	scratch_load_dword v0, off, off offset:64 ; 4-byte Folded Reload
	s_waitcnt vmcnt(0)
	ds_write_b16_d16_hi v0, v10 offset:1920
	; wave barrier
	scratch_load_dword v0, off, off offset:4 ; 4-byte Folded Reload
	s_waitcnt vmcnt(0)
	ds_read_b128 v[12:15], v0
	ds_read_b128 v[8:11], v0 offset:16
	v_lshl_add_u64 v[0:1], s[94:95], 1, v[46:47]
	s_and_saveexec_b64 s[84:85], s[18:19]
	s_cbranch_execnz .LBB116_161
; %bb.128:                              ;   in Loop: Header=BB116_110 Depth=2
	s_or_b64 exec, exec, s[84:85]
	s_and_saveexec_b64 s[84:85], s[20:21]
	s_cbranch_execnz .LBB116_162
.LBB116_129:                            ;   in Loop: Header=BB116_110 Depth=2
	s_or_b64 exec, exec, s[84:85]
	v_mov_b32_e32 v4, 0
	s_and_saveexec_b64 s[84:85], s[22:23]
	s_cbranch_execnz .LBB116_163
.LBB116_130:                            ;   in Loop: Header=BB116_110 Depth=2
	s_or_b64 exec, exec, s[84:85]
	s_and_saveexec_b64 s[84:85], s[24:25]
	s_cbranch_execnz .LBB116_164
.LBB116_131:                            ;   in Loop: Header=BB116_110 Depth=2
	s_or_b64 exec, exec, s[84:85]
	v_mov_b32_e32 v5, 0
	s_and_saveexec_b64 s[84:85], s[26:27]
	s_cbranch_execnz .LBB116_165
.LBB116_132:                            ;   in Loop: Header=BB116_110 Depth=2
	s_or_b64 exec, exec, s[84:85]
	s_and_saveexec_b64 s[84:85], s[28:29]
	s_cbranch_execnz .LBB116_166
.LBB116_133:                            ;   in Loop: Header=BB116_110 Depth=2
	s_or_b64 exec, exec, s[84:85]
	v_mov_b32_e32 v6, 0
	s_and_saveexec_b64 s[84:85], s[30:31]
	s_cbranch_execnz .LBB116_167
.LBB116_134:                            ;   in Loop: Header=BB116_110 Depth=2
	s_or_b64 exec, exec, s[84:85]
	s_and_saveexec_b64 s[84:85], s[34:35]
	s_cbranch_execnz .LBB116_168
.LBB116_135:                            ;   in Loop: Header=BB116_110 Depth=2
	s_or_b64 exec, exec, s[84:85]
	v_mov_b32_e32 v7, 0
	s_and_saveexec_b64 s[84:85], s[36:37]
	s_cbranch_execnz .LBB116_169
.LBB116_136:                            ;   in Loop: Header=BB116_110 Depth=2
	s_or_b64 exec, exec, s[84:85]
	s_and_saveexec_b64 s[84:85], s[38:39]
	s_cbranch_execnz .LBB116_170
.LBB116_137:                            ;   in Loop: Header=BB116_110 Depth=2
	s_or_b64 exec, exec, s[84:85]
	v_mov_b32_e32 v16, 0
	s_and_saveexec_b64 s[84:85], s[40:41]
	s_cbranch_execnz .LBB116_171
.LBB116_138:                            ;   in Loop: Header=BB116_110 Depth=2
	s_or_b64 exec, exec, s[84:85]
	s_and_saveexec_b64 s[84:85], s[42:43]
	s_cbranch_execnz .LBB116_172
.LBB116_139:                            ;   in Loop: Header=BB116_110 Depth=2
	s_or_b64 exec, exec, s[84:85]
	v_mov_b32_e32 v26, 0
	s_and_saveexec_b64 s[84:85], s[44:45]
	s_cbranch_execnz .LBB116_173
.LBB116_140:                            ;   in Loop: Header=BB116_110 Depth=2
	s_or_b64 exec, exec, s[84:85]
	s_and_saveexec_b64 s[84:85], s[46:47]
	s_cbranch_execnz .LBB116_174
.LBB116_141:                            ;   in Loop: Header=BB116_110 Depth=2
	s_or_b64 exec, exec, s[84:85]
	v_mov_b32_e32 v48, 0
	s_and_saveexec_b64 s[84:85], s[48:49]
	s_cbranch_execnz .LBB116_175
.LBB116_142:                            ;   in Loop: Header=BB116_110 Depth=2
	s_or_b64 exec, exec, s[84:85]
	s_and_saveexec_b64 s[84:85], s[50:51]
	s_cbranch_execz .LBB116_144
.LBB116_143:                            ;   in Loop: Header=BB116_110 Depth=2
	global_load_ushort v0, v[0:1], off offset:1920
	s_waitcnt vmcnt(0)
	v_lshl_or_b32 v48, v0, 16, v48
.LBB116_144:                            ;   in Loop: Header=BB116_110 Depth=2
	s_or_b64 exec, exec, s[84:85]
	scratch_load_dword v0, off, off         ; 4-byte Folded Reload
	s_andn2_b64 vcc, exec, s[86:87]
	s_waitcnt vmcnt(0)
	ds_write_b16 v0, v3 offset:2112
	scratch_load_dword v0, off, off offset:96 ; 4-byte Folded Reload
	s_waitcnt vmcnt(0)
	ds_write_b16 v0, v2 offset:128
	scratch_load_dword v0, off, off offset:100 ; 4-byte Folded Reload
	;; [unrolled: 3-line block ×3, first 2 shown]
	s_waitcnt vmcnt(0)
	ds_write_b16_d16_hi v0, v4 offset:384
	scratch_load_dword v0, off, off offset:108 ; 4-byte Folded Reload
	s_waitcnt vmcnt(0)
	ds_write_b16 v0, v5 offset:512
	scratch_load_dword v0, off, off offset:112 ; 4-byte Folded Reload
	s_waitcnt vmcnt(0)
	ds_write_b16_d16_hi v0, v5 offset:640
	scratch_load_dword v0, off, off offset:116 ; 4-byte Folded Reload
	s_waitcnt vmcnt(0)
	ds_write_b16 v0, v6 offset:768
	scratch_load_dword v0, off, off offset:120 ; 4-byte Folded Reload
	;; [unrolled: 6-line block ×6, first 2 shown]
	s_waitcnt vmcnt(0)
	ds_write_b16_d16_hi v0, v48 offset:1920
	; wave barrier
	scratch_load_dword v0, off, off offset:4 ; 4-byte Folded Reload
	s_waitcnt vmcnt(0)
	ds_read_b128 v[4:7], v0 offset:2112
	scratch_load_dword v0, off, off offset:156 ; 4-byte Folded Reload
	s_waitcnt vmcnt(0)
	ds_read_b128 v[0:3], v0 offset:16
	s_cbranch_vccnz .LBB116_176
; %bb.145:                              ;   in Loop: Header=BB116_110 Depth=2
	v_mov_b32_e32 v16, s1
	ds_read_b64 v[48:49], v16
	s_cbranch_execz .LBB116_177
	s_branch .LBB116_180
.LBB116_146:                            ;   in Loop: Header=BB116_110 Depth=2
	global_load_ushort v3, v[0:1], off
	s_or_b64 exec, exec, s[84:85]
	s_and_saveexec_b64 s[84:85], s[20:21]
	s_cbranch_execz .LBB116_112
.LBB116_147:                            ;   in Loop: Header=BB116_110 Depth=2
	global_load_ushort v2, v[0:1], off offset:128
	s_or_b64 exec, exec, s[84:85]
	v_mov_b32_e32 v4, 0
	s_and_saveexec_b64 s[84:85], s[22:23]
	s_cbranch_execz .LBB116_113
.LBB116_148:                            ;   in Loop: Header=BB116_110 Depth=2
	global_load_ushort v4, v[0:1], off offset:256
	s_or_b64 exec, exec, s[84:85]
	s_and_saveexec_b64 s[84:85], s[24:25]
	s_cbranch_execz .LBB116_114
.LBB116_149:                            ;   in Loop: Header=BB116_110 Depth=2
	global_load_ushort v5, v[0:1], off offset:384
	s_waitcnt vmcnt(0)
	v_lshl_or_b32 v4, v5, 16, v4
	s_or_b64 exec, exec, s[84:85]
	v_mov_b32_e32 v5, 0
	s_and_saveexec_b64 s[84:85], s[26:27]
	s_cbranch_execz .LBB116_115
.LBB116_150:                            ;   in Loop: Header=BB116_110 Depth=2
	global_load_ushort v5, v[0:1], off offset:512
	s_or_b64 exec, exec, s[84:85]
	s_and_saveexec_b64 s[84:85], s[28:29]
	s_cbranch_execz .LBB116_116
.LBB116_151:                            ;   in Loop: Header=BB116_110 Depth=2
	global_load_ushort v6, v[0:1], off offset:640
	s_waitcnt vmcnt(0)
	v_lshl_or_b32 v5, v6, 16, v5
	s_or_b64 exec, exec, s[84:85]
	v_mov_b32_e32 v6, 0
	s_and_saveexec_b64 s[84:85], s[30:31]
	s_cbranch_execz .LBB116_117
.LBB116_152:                            ;   in Loop: Header=BB116_110 Depth=2
	global_load_ushort v6, v[0:1], off offset:768
	s_or_b64 exec, exec, s[84:85]
	s_and_saveexec_b64 s[84:85], s[34:35]
	s_cbranch_execz .LBB116_118
.LBB116_153:                            ;   in Loop: Header=BB116_110 Depth=2
	global_load_ushort v7, v[0:1], off offset:896
	s_waitcnt vmcnt(0)
	v_lshl_or_b32 v6, v7, 16, v6
	s_or_b64 exec, exec, s[84:85]
	v_mov_b32_e32 v7, 0
	s_and_saveexec_b64 s[84:85], s[36:37]
	s_cbranch_execz .LBB116_119
.LBB116_154:                            ;   in Loop: Header=BB116_110 Depth=2
	global_load_ushort v7, v[0:1], off offset:1024
	s_or_b64 exec, exec, s[84:85]
	s_and_saveexec_b64 s[84:85], s[38:39]
	s_cbranch_execz .LBB116_120
.LBB116_155:                            ;   in Loop: Header=BB116_110 Depth=2
	global_load_ushort v8, v[0:1], off offset:1152
	s_waitcnt vmcnt(0)
	v_lshl_or_b32 v7, v8, 16, v7
	s_or_b64 exec, exec, s[84:85]
	v_mov_b32_e32 v8, 0
	s_and_saveexec_b64 s[84:85], s[40:41]
	s_cbranch_execz .LBB116_121
.LBB116_156:                            ;   in Loop: Header=BB116_110 Depth=2
	global_load_ushort v8, v[0:1], off offset:1280
	s_or_b64 exec, exec, s[84:85]
	s_and_saveexec_b64 s[84:85], s[42:43]
	s_cbranch_execz .LBB116_122
.LBB116_157:                            ;   in Loop: Header=BB116_110 Depth=2
	global_load_ushort v9, v[0:1], off offset:1408
	s_waitcnt vmcnt(0)
	v_lshl_or_b32 v8, v9, 16, v8
	s_or_b64 exec, exec, s[84:85]
	v_mov_b32_e32 v9, 0
	s_and_saveexec_b64 s[84:85], s[44:45]
	s_cbranch_execz .LBB116_123
.LBB116_158:                            ;   in Loop: Header=BB116_110 Depth=2
	global_load_ushort v9, v[0:1], off offset:1536
	s_or_b64 exec, exec, s[84:85]
	s_and_saveexec_b64 s[84:85], s[46:47]
	s_cbranch_execz .LBB116_124
.LBB116_159:                            ;   in Loop: Header=BB116_110 Depth=2
	global_load_ushort v10, v[0:1], off offset:1664
	s_waitcnt vmcnt(0)
	v_lshl_or_b32 v9, v10, 16, v9
	s_or_b64 exec, exec, s[84:85]
	v_mov_b32_e32 v10, 0
	s_and_saveexec_b64 s[84:85], s[48:49]
	s_cbranch_execz .LBB116_125
.LBB116_160:                            ;   in Loop: Header=BB116_110 Depth=2
	global_load_ushort v10, v[0:1], off offset:1792
	s_or_b64 exec, exec, s[84:85]
	s_and_saveexec_b64 s[84:85], s[50:51]
	s_cbranch_execnz .LBB116_126
	s_branch .LBB116_127
.LBB116_161:                            ;   in Loop: Header=BB116_110 Depth=2
	global_load_ushort v3, v[0:1], off
	s_or_b64 exec, exec, s[84:85]
	s_and_saveexec_b64 s[84:85], s[20:21]
	s_cbranch_execz .LBB116_129
.LBB116_162:                            ;   in Loop: Header=BB116_110 Depth=2
	global_load_ushort v2, v[0:1], off offset:128
	s_or_b64 exec, exec, s[84:85]
	v_mov_b32_e32 v4, 0
	s_and_saveexec_b64 s[84:85], s[22:23]
	s_cbranch_execz .LBB116_130
.LBB116_163:                            ;   in Loop: Header=BB116_110 Depth=2
	global_load_ushort v4, v[0:1], off offset:256
	s_or_b64 exec, exec, s[84:85]
	s_and_saveexec_b64 s[84:85], s[24:25]
	s_cbranch_execz .LBB116_131
.LBB116_164:                            ;   in Loop: Header=BB116_110 Depth=2
	global_load_ushort v5, v[0:1], off offset:384
	s_waitcnt vmcnt(0)
	v_lshl_or_b32 v4, v5, 16, v4
	s_or_b64 exec, exec, s[84:85]
	v_mov_b32_e32 v5, 0
	s_and_saveexec_b64 s[84:85], s[26:27]
	s_cbranch_execz .LBB116_132
.LBB116_165:                            ;   in Loop: Header=BB116_110 Depth=2
	global_load_ushort v5, v[0:1], off offset:512
	s_or_b64 exec, exec, s[84:85]
	s_and_saveexec_b64 s[84:85], s[28:29]
	s_cbranch_execz .LBB116_133
.LBB116_166:                            ;   in Loop: Header=BB116_110 Depth=2
	global_load_ushort v6, v[0:1], off offset:640
	s_waitcnt vmcnt(0)
	v_lshl_or_b32 v5, v6, 16, v5
	s_or_b64 exec, exec, s[84:85]
	v_mov_b32_e32 v6, 0
	s_and_saveexec_b64 s[84:85], s[30:31]
	s_cbranch_execz .LBB116_134
.LBB116_167:                            ;   in Loop: Header=BB116_110 Depth=2
	global_load_ushort v6, v[0:1], off offset:768
	s_or_b64 exec, exec, s[84:85]
	s_and_saveexec_b64 s[84:85], s[34:35]
	s_cbranch_execz .LBB116_135
.LBB116_168:                            ;   in Loop: Header=BB116_110 Depth=2
	global_load_ushort v7, v[0:1], off offset:896
	s_waitcnt vmcnt(0)
	v_lshl_or_b32 v6, v7, 16, v6
	s_or_b64 exec, exec, s[84:85]
	v_mov_b32_e32 v7, 0
	s_and_saveexec_b64 s[84:85], s[36:37]
	s_cbranch_execz .LBB116_136
.LBB116_169:                            ;   in Loop: Header=BB116_110 Depth=2
	global_load_ushort v7, v[0:1], off offset:1024
	s_or_b64 exec, exec, s[84:85]
	s_and_saveexec_b64 s[84:85], s[38:39]
	s_cbranch_execz .LBB116_137
.LBB116_170:                            ;   in Loop: Header=BB116_110 Depth=2
	global_load_ushort v16, v[0:1], off offset:1152
	s_waitcnt vmcnt(0)
	v_lshl_or_b32 v7, v16, 16, v7
	s_or_b64 exec, exec, s[84:85]
	v_mov_b32_e32 v16, 0
	s_and_saveexec_b64 s[84:85], s[40:41]
	s_cbranch_execz .LBB116_138
.LBB116_171:                            ;   in Loop: Header=BB116_110 Depth=2
	global_load_ushort v16, v[0:1], off offset:1280
	s_or_b64 exec, exec, s[84:85]
	s_and_saveexec_b64 s[84:85], s[42:43]
	s_cbranch_execz .LBB116_139
.LBB116_172:                            ;   in Loop: Header=BB116_110 Depth=2
	global_load_ushort v26, v[0:1], off offset:1408
	s_waitcnt vmcnt(0)
	v_lshl_or_b32 v16, v26, 16, v16
	s_or_b64 exec, exec, s[84:85]
	v_mov_b32_e32 v26, 0
	s_and_saveexec_b64 s[84:85], s[44:45]
	s_cbranch_execz .LBB116_140
.LBB116_173:                            ;   in Loop: Header=BB116_110 Depth=2
	global_load_ushort v26, v[0:1], off offset:1536
	s_or_b64 exec, exec, s[84:85]
	s_and_saveexec_b64 s[84:85], s[46:47]
	s_cbranch_execz .LBB116_141
.LBB116_174:                            ;   in Loop: Header=BB116_110 Depth=2
	global_load_ushort v48, v[0:1], off offset:1664
	s_waitcnt vmcnt(0)
	v_lshl_or_b32 v26, v48, 16, v26
	s_or_b64 exec, exec, s[84:85]
	v_mov_b32_e32 v48, 0
	s_and_saveexec_b64 s[84:85], s[48:49]
	s_cbranch_execz .LBB116_142
.LBB116_175:                            ;   in Loop: Header=BB116_110 Depth=2
	global_load_ushort v48, v[0:1], off offset:1792
	s_or_b64 exec, exec, s[84:85]
	s_and_saveexec_b64 s[84:85], s[50:51]
	s_cbranch_execnz .LBB116_143
	s_branch .LBB116_144
.LBB116_176:                            ;   in Loop: Header=BB116_110 Depth=2
                                        ; implicit-def: $vgpr49
.LBB116_177:                            ;   in Loop: Header=BB116_110 Depth=2
	v_readlane_b32 s84, v95, 0
	v_readlane_b32 s85, v95, 1
	s_andn2_b64 vcc, exec, s[84:85]
	s_waitcnt lgkmcnt(0)
	v_mov_b32_e32 v49, 0
	s_cbranch_vccnz .LBB116_179
; %bb.178:                              ;   in Loop: Header=BB116_110 Depth=2
	s_mov_b32 s97, s99
	s_lshl_b64 s[84:85], s[96:97], 2
	v_readlane_b32 s4, v95, 20
	s_add_u32 s84, s4, s84
	v_readlane_b32 s4, v95, 21
	s_addc_u32 s85, s4, s85
	global_load_dword v49, v17, s[84:85]
	v_readlane_b32 s97, v95, 49
.LBB116_179:                            ;   in Loop: Header=BB116_110 Depth=2
	v_mov_b32_e32 v48, 1.0
.LBB116_180:                            ;   in Loop: Header=BB116_110 Depth=2
	v_mul_f32_e32 v56, 0x3fb8aa3b, v50
	s_waitcnt lgkmcnt(14)
	v_cvt_f32_f16_e32 v53, v8
	v_cvt_f32_f16_sdwa v54, v8 dst_sel:DWORD dst_unused:UNUSED_PAD src0_sel:WORD_1
	v_mul_f32_e32 v8, v56, v22
	v_cmp_gt_f32_e32 vcc, s33, v8
	v_cvt_f32_f16_e32 v59, v10
	v_cvt_f32_f16_sdwa v67, v10 dst_sel:DWORD dst_unused:UNUSED_PAD src0_sel:WORD_1
	v_cndmask_b32_e32 v8, 0, v20, vcc
	v_mul_f32_e32 v10, v56, v23
	v_cvt_f32_f16_e32 v55, v9
	v_cvt_f32_f16_sdwa v58, v9 dst_sel:DWORD dst_unused:UNUSED_PAD src0_sel:WORD_1
	v_fmac_f32_e32 v8, v56, v22
	v_cndmask_b32_e32 v9, 1.0, v21, vcc
	v_cmp_gt_f32_e32 vcc, s33, v10
	v_exp_f32_e32 v8, v8
	v_cvt_f32_f16_e32 v16, v12
	v_cndmask_b32_e32 v10, 0, v20, vcc
	v_fmac_f32_e32 v10, v56, v23
	v_cvt_f32_f16_sdwa v12, v12 dst_sel:DWORD dst_unused:UNUSED_PAD src0_sel:WORD_1
	v_exp_f32_e32 v10, v10
	v_cvt_f32_f16_e32 v68, v11
	v_cvt_f32_f16_sdwa v57, v11 dst_sel:DWORD dst_unused:UNUSED_PAD src0_sel:WORD_1
	v_mul_f32_e32 v9, v8, v9
	v_mul_f32_e32 v11, v56, v24
	v_cndmask_b32_e64 v83, 1.0, v9, s[52:53]
	v_cndmask_b32_e32 v9, 1.0, v21, vcc
	v_cmp_gt_f32_e32 vcc, s33, v11
	v_mul_f32_e32 v10, v10, v9
	v_mul_f32_e32 v9, v81, v12
	v_cndmask_b32_e32 v11, 0, v20, vcc
	v_mul_f32_e32 v12, v56, v25
	v_fmac_f32_e32 v11, v56, v24
	v_cndmask_b32_e64 v84, 1.0, v10, s[54:55]
	v_cndmask_b32_e32 v10, 1.0, v21, vcc
	v_cmp_gt_f32_e32 vcc, s33, v12
	v_exp_f32_e32 v11, v11
	v_cvt_f32_f16_e32 v26, v13
	v_cndmask_b32_e32 v12, 0, v20, vcc
	v_fmac_f32_e32 v12, v56, v25
	v_cvt_f32_f16_sdwa v13, v13 dst_sel:DWORD dst_unused:UNUSED_PAD src0_sel:WORD_1
	v_exp_f32_e32 v12, v12
	v_mul_f32_e32 v11, v11, v10
	v_cndmask_b32_e64 v85, 1.0, v11, s[56:57]
	v_cndmask_b32_e32 v11, 1.0, v21, vcc
	v_mul_f32_e32 v12, v12, v11
	v_mul_f32_e32 v11, v79, v13
	;; [unrolled: 1-line block ×3, first 2 shown]
	v_cmp_gt_f32_e32 vcc, s33, v13
	v_mul_f32_e32 v8, v82, v16
	v_mul_f32_e32 v16, v56, v74
	v_cndmask_b32_e32 v13, 0, v20, vcc
	v_fmac_f32_e32 v13, v56, v18
	v_cndmask_b32_e64 v86, 1.0, v12, s[58:59]
	v_cndmask_b32_e32 v12, 1.0, v21, vcc
	v_cmp_gt_f32_e32 vcc, s33, v16
	v_exp_f32_e32 v13, v13
	v_cvt_f32_f16_e32 v51, v14
	v_cndmask_b32_e32 v16, 0, v20, vcc
	v_fmac_f32_e32 v16, v56, v74
	v_cvt_f32_f16_sdwa v14, v14 dst_sel:DWORD dst_unused:UNUSED_PAD src0_sel:WORD_1
	v_exp_f32_e32 v16, v16
	v_mul_f32_e32 v13, v13, v12
	v_cndmask_b32_e64 v87, 1.0, v13, s[60:61]
	v_cndmask_b32_e32 v13, 1.0, v21, vcc
	v_mul_f32_e32 v16, v16, v13
	v_mul_f32_e32 v13, v77, v14
	;; [unrolled: 1-line block ×3, first 2 shown]
	v_cmp_gt_f32_e32 vcc, s33, v14
	v_mul_f32_e32 v10, v80, v26
	v_mul_f32_e32 v26, v56, v93
	v_cndmask_b32_e32 v14, 0, v20, vcc
	v_fmac_f32_e32 v14, v56, v92
	v_cndmask_b32_e64 v88, 1.0, v16, s[62:63]
	v_cndmask_b32_e32 v16, 1.0, v21, vcc
	v_cmp_gt_f32_e32 vcc, s33, v26
	v_exp_f32_e32 v14, v14
	v_cvt_f32_f16_e32 v52, v15
	v_cndmask_b32_e32 v26, 0, v20, vcc
	v_fmac_f32_e32 v26, v56, v93
	v_exp_f32_e32 v26, v26
	v_mul_f32_e32 v16, v14, v16
	v_cndmask_b32_e64 v89, 1.0, v16, s[64:65]
	v_cndmask_b32_e32 v16, 1.0, v21, vcc
	v_mul_f32_e32 v16, v26, v16
	v_mul_f32_e32 v26, v56, v94
	v_cmp_gt_f32_e32 vcc, s33, v26
	v_cndmask_b32_e64 v90, 1.0, v16, s[66:67]
	v_mul_f32_e32 v14, v76, v52
	v_cndmask_b32_e32 v26, 0, v20, vcc
	v_fmac_f32_e32 v26, v56, v94
	v_exp_f32_e32 v26, v26
	v_cndmask_b32_e32 v16, 1.0, v21, vcc
	v_mul_f32_e32 v50, v56, v60
	v_cmp_gt_f32_e32 vcc, s33, v50
	v_mul_f32_e32 v16, v26, v16
	v_mul_f32_e32 v26, v72, v53
	v_cndmask_b32_e64 v52, 0, v26, s[68:69]
	scratch_load_dword v26, off, off offset:92 ; 4-byte Folded Reload
	v_cndmask_b32_e32 v50, 0, v20, vcc
	v_fmac_f32_e32 v50, v56, v60
	v_exp_f32_e32 v50, v50
	v_cndmask_b32_e64 v73, 1.0, v16, s[68:69]
	v_cndmask_b32_e32 v16, 1.0, v21, vcc
	v_mul_f32_e32 v12, v78, v51
	v_mul_f32_e32 v16, v50, v16
	;; [unrolled: 1-line block ×3, first 2 shown]
	v_cmp_gt_f32_e32 vcc, s33, v50
	v_cndmask_b32_e64 v75, 1.0, v16, s[70:71]
	v_mul_f32_e32 v51, v56, v63
	v_cndmask_b32_e32 v50, 0, v20, vcc
	v_fmac_f32_e32 v50, v56, v61
	v_exp_f32_e32 v50, v50
	v_cndmask_b32_e32 v16, 1.0, v21, vcc
	v_cndmask_b32_e64 v8, 0, v8, s[52:53]
	v_cndmask_b32_e64 v9, 0, v9, s[54:55]
	v_mul_f32_e32 v16, v50, v16
	v_mul_f32_e32 v50, v56, v62
	v_cmp_gt_f32_e32 vcc, s33, v50
	v_cvt_f32_f16_sdwa v15, v15 dst_sel:DWORD dst_unused:UNUSED_PAD src0_sel:WORD_1
	v_cndmask_b32_e64 v10, 0, v10, s[56:57]
	v_cndmask_b32_e32 v50, 0, v20, vcc
	v_fmac_f32_e32 v50, v56, v62
	v_exp_f32_e32 v50, v50
	v_cndmask_b32_e64 v11, 0, v11, s[58:59]
	v_cndmask_b32_e64 v12, 0, v12, s[60:61]
	;; [unrolled: 1-line block ×4, first 2 shown]
	v_mul_f32_e32 v15, v19, v15
	v_cndmask_b32_e64 v15, 0, v15, s[66:67]
	v_readlane_b32 s4, v95, 30
	v_readlane_b32 s5, v95, 31
	s_waitcnt vmcnt(0)
	v_mul_f32_e32 v26, v26, v54
	v_cndmask_b32_e64 v53, 0, v26, s[70:71]
	scratch_load_dword v26, off, off offset:88 ; 4-byte Folded Reload
	s_waitcnt vmcnt(0)
	v_mul_f32_e32 v26, v26, v55
	v_cndmask_b32_e64 v54, 0, v26, s[72:73]
	v_cndmask_b32_e64 v26, 1.0, v16, s[72:73]
	v_cndmask_b32_e32 v16, 1.0, v21, vcc
	v_mul_f32_e32 v16, v50, v16
	scratch_load_dword v50, off, off offset:84 ; 4-byte Folded Reload
	v_cmp_gt_f32_e32 vcc, s33, v51
	v_cndmask_b32_e64 v91, 1.0, v16, s[74:75]
	s_waitcnt vmcnt(0)
	v_mul_f32_e32 v50, v50, v58
	v_cndmask_b32_e64 v55, 0, v50, s[74:75]
	scratch_load_dword v50, off, off offset:80 ; 4-byte Folded Reload
	v_cndmask_b32_e32 v51, 0, v20, vcc
	v_fmac_f32_e32 v51, v56, v63
	v_exp_f32_e32 v51, v51
	v_cndmask_b32_e32 v16, 1.0, v21, vcc
	v_mul_f32_e32 v58, v56, v65
	v_mul_f32_e32 v16, v51, v16
	;; [unrolled: 1-line block ×3, first 2 shown]
	v_cmp_gt_f32_e32 vcc, s33, v51
	v_cndmask_b32_e64 v66, 1.0, v16, s[76:77]
	s_nop 0
	v_cndmask_b32_e32 v51, 0, v20, vcc
	v_fmac_f32_e32 v51, v56, v64
	v_cndmask_b32_e32 v16, 1.0, v21, vcc
	v_cmp_gt_f32_e32 vcc, s33, v58
	v_exp_f32_e32 v51, v51
	s_nop 0
	v_cndmask_b32_e32 v58, 0, v20, vcc
	v_fmac_f32_e32 v58, v56, v65
	v_exp_f32_e32 v58, v58
	v_mul_f32_e32 v16, v51, v16
	scratch_load_dword v51, off, off offset:76 ; 4-byte Folded Reload
	v_cndmask_b32_e64 v16, 1.0, v16, s[78:79]
	s_waitcnt vmcnt(1)
	v_mul_f32_e32 v50, v50, v59
	v_cndmask_b32_e32 v59, 1.0, v21, vcc
	v_mul_f32_e32 v58, v58, v59
	scratch_load_dword v59, off, off offset:72 ; 4-byte Folded Reload
	v_cndmask_b32_e64 v50, 0, v50, s[76:77]
	s_waitcnt vmcnt(1)
	v_mul_f32_e32 v51, v51, v67
	v_mul_f32_e32 v67, v56, v27
	v_cmp_gt_f32_e32 vcc, s33, v67
	v_cndmask_b32_e64 v51, 0, v51, s[78:79]
	s_waitcnt vmcnt(0)
	v_mul_f32_e32 v59, v59, v68
	v_cndmask_b32_e32 v67, 0, v20, vcc
	v_fmac_f32_e32 v67, v56, v27
	v_cndmask_b32_e64 v56, 0, v59, s[80:81]
	scratch_load_dword v59, off, off offset:68 ; 4-byte Folded Reload
	v_exp_f32_e32 v68, v67
	v_cndmask_b32_e64 v67, 1.0, v58, s[80:81]
	v_cndmask_b32_e32 v58, 1.0, v21, vcc
	v_mul_f32_e32 v58, v68, v58
	v_cndmask_b32_e64 v68, 1.0, v58, s[82:83]
	v_mul_f32_e32 v58, v84, v83
	v_mul_f32_e32 v58, v58, v85
	v_mul_f32_e32 v58, v58, v86
	v_mul_f32_e32 v58, v58, v87
	v_mul_f32_e32 v58, v58, v88
	v_mul_f32_e32 v58, v58, v89
	v_mul_f32_e32 v58, v58, v90
	v_mul_f32_e32 v58, v58, v73
	v_mul_f32_e32 v58, v58, v75
	v_mul_f32_e32 v58, v58, v26
	v_mul_f32_e32 v58, v58, v91
	v_mul_f32_e32 v58, v58, v66
	v_mul_f32_e32 v58, v58, v16
	v_mul_f32_e32 v58, v58, v67
	v_mul_f32_e32 v58, v58, v68
	s_waitcnt vmcnt(0)
	v_mul_f32_e32 v57, v59, v57
	v_fma_f32 v59, v84, v8, v9
	v_fma_f32 v59, v59, v85, v10
	;; [unrolled: 1-line block ×13, first 2 shown]
	v_cndmask_b32_e64 v57, 0, v57, s[82:83]
	v_fma_f32 v59, v59, v67, v56
	v_fma_f32 v71, v59, v68, v57
	v_mov_b32_dpp v70, v58 row_shr:1 row_mask:0xf bank_mask:0xf
	s_nop 0
	v_mov_b32_dpp v69, v71 row_shr:1 row_mask:0xf bank_mask:0xf
	s_and_saveexec_b64 s[84:85], s[4:5]
; %bb.181:                              ;   in Loop: Header=BB116_110 Depth=2
	v_mul_f32_e32 v70, v58, v70
	v_fmac_f32_e32 v71, v58, v69
	v_mov_b32_e32 v58, v70
; %bb.182:                              ;   in Loop: Header=BB116_110 Depth=2
	s_or_b64 exec, exec, s[84:85]
	v_readlane_b32 s4, v95, 32
	v_mov_b32_dpp v69, v58 row_shr:2 row_mask:0xf bank_mask:0xf
	v_mov_b32_dpp v70, v71 row_shr:2 row_mask:0xf bank_mask:0xf
	v_readlane_b32 s5, v95, 33
	s_and_saveexec_b64 s[84:85], s[4:5]
; %bb.183:                              ;   in Loop: Header=BB116_110 Depth=2
	v_fmac_f32_e32 v71, v58, v70
	v_mul_f32_e32 v58, v58, v69
; %bb.184:                              ;   in Loop: Header=BB116_110 Depth=2
	s_or_b64 exec, exec, s[84:85]
	s_nop 0
	v_mov_b32_dpp v69, v58 row_shr:4 row_mask:0xf bank_mask:0xf
	v_mov_b32_dpp v70, v71 row_shr:4 row_mask:0xf bank_mask:0xf
	s_and_saveexec_b64 s[84:85], s[2:3]
; %bb.185:                              ;   in Loop: Header=BB116_110 Depth=2
	v_fmac_f32_e32 v71, v58, v70
	v_mul_f32_e32 v58, v58, v69
; %bb.186:                              ;   in Loop: Header=BB116_110 Depth=2
	s_or_b64 exec, exec, s[84:85]
	v_readlane_b32 s4, v95, 34
	v_mov_b32_dpp v69, v58 row_shr:8 row_mask:0xf bank_mask:0xf
	v_mov_b32_dpp v70, v71 row_shr:8 row_mask:0xf bank_mask:0xf
	v_readlane_b32 s5, v95, 35
	s_and_saveexec_b64 s[84:85], s[4:5]
; %bb.187:                              ;   in Loop: Header=BB116_110 Depth=2
	v_fmac_f32_e32 v71, v58, v70
	v_mul_f32_e32 v58, v58, v69
; %bb.188:                              ;   in Loop: Header=BB116_110 Depth=2
	s_or_b64 exec, exec, s[84:85]
	v_readlane_b32 s4, v95, 36
	v_mov_b32_dpp v69, v58 row_bcast:15 row_mask:0xf bank_mask:0xf
	v_mov_b32_dpp v70, v71 row_bcast:15 row_mask:0xf bank_mask:0xf
	v_readlane_b32 s5, v95, 37
	s_and_saveexec_b64 s[84:85], s[4:5]
; %bb.189:                              ;   in Loop: Header=BB116_110 Depth=2
	v_fmac_f32_e32 v71, v58, v70
	v_mul_f32_e32 v58, v58, v69
; %bb.190:                              ;   in Loop: Header=BB116_110 Depth=2
	s_or_b64 exec, exec, s[84:85]
	s_nop 0
	v_mov_b32_dpp v69, v58 row_bcast:31 row_mask:0xf bank_mask:0xf
	v_mov_b32_dpp v70, v71 row_bcast:31 row_mask:0xf bank_mask:0xf
	v_mov_b32_e32 v59, v71
	v_mul_f32_e32 v69, v58, v69
	v_fmac_f32_e32 v59, v58, v70
	v_readlane_b32 s4, v95, 46
	v_cndmask_b32_e64 v58, v58, v69, s[12:13]
	v_cndmask_b32_e64 v59, v71, v59, s[12:13]
	v_readlane_b32 s5, v95, 47
	s_and_saveexec_b64 s[84:85], s[4:5]
	s_cbranch_execz .LBB116_192
; %bb.191:                              ;   in Loop: Header=BB116_110 Depth=2
	ds_write_b64 v17, v[58:59] offset:4224
.LBB116_192:                            ;   in Loop: Header=BB116_110 Depth=2
	s_or_b64 exec, exec, s[84:85]
	scratch_load_dword v70, off, off offset:160 ; 4-byte Folded Reload
	s_waitcnt lgkmcnt(0)
	; wave barrier
	s_waitcnt vmcnt(0) lgkmcnt(0)
	ds_bpermute_b32 v69, v70, v58
	ds_bpermute_b32 v70, v70, v59
	v_mov_b32_e32 v59, v49
	s_and_saveexec_b64 s[84:85], s[14:15]
	s_cbranch_execz .LBB116_196
; %bb.193:                              ;   in Loop: Header=BB116_110 Depth=2
	ds_read_b64 v[58:59], v17 offset:4224
	s_and_saveexec_b64 s[88:89], s[16:17]
	s_cbranch_execz .LBB116_195
; %bb.194:                              ;   in Loop: Header=BB116_110 Depth=2
	ds_write_b64 v17, v[48:49] offset:4224
.LBB116_195:                            ;   in Loop: Header=BB116_110 Depth=2
	s_or_b64 exec, exec, s[88:89]
	s_waitcnt lgkmcnt(0)
	v_fmac_f32_e32 v59, v49, v58
	v_mul_f32_e32 v48, v48, v58
	v_mov_b32_e32 v49, v59
.LBB116_196:                            ;   in Loop: Header=BB116_110 Depth=2
	s_or_b64 exec, exec, s[84:85]
	s_waitcnt lgkmcnt(0)
	; wave barrier
	s_waitcnt lgkmcnt(0)
	ds_read_b32 v58, v17 offset:4228
	s_and_saveexec_b64 s[84:85], s[16:17]
	s_cbranch_execz .LBB116_109
; %bb.197:                              ;   in Loop: Header=BB116_110 Depth=2
	v_mov_b32_e32 v71, s1
	s_andn2_b64 vcc, exec, s[90:91]
	ds_write_b64 v71, v[48:49]
	s_cbranch_vccnz .LBB116_109
; %bb.198:                              ;   in Loop: Header=BB116_110 Depth=2
	s_mov_b32 s97, s99
	s_lshl_b64 s[88:89], s[96:97], 2
	v_readlane_b32 s4, v95, 20
	s_add_u32 s88, s4, s88
	v_readlane_b32 s4, v95, 21
	v_readlane_b32 s97, v95, 49
	s_addc_u32 s89, s4, s89
	global_store_dword v17, v59, s[88:89]
	s_branch .LBB116_109
.LBB116_199:                            ;   in Loop: Header=BB116_13 Depth=1
	v_readlane_b32 s6, v95, 50
	v_readlane_b32 s7, v95, 51
	s_mov_b32 s4, 0x41a00000
	s_mov_b32 s5, 0x3fb8aa3b
	;; [unrolled: 1-line block ×8, first 2 shown]
.LBB116_200:                            ;   in Loop: Header=BB116_13 Depth=1
	v_cvt_f16_f32_e32 v0, v40
	v_cvt_f16_f32_e32 v4, v41
	s_waitcnt lgkmcnt(0)
	; wave barrier
	v_cvt_f16_f32_e32 v1, v42
	v_pack_b32_f16 v0, v0, v4
	scratch_load_dword v4, off, off offset:4 ; 4-byte Folded Reload
	v_cvt_f16_f32_e32 v5, v43
	v_cvt_f16_f32_e32 v2, v36
	;; [unrolled: 1-line block ×13, first 2 shown]
	v_pack_b32_f16 v3, v3, v7
	v_pack_b32_f16 v2, v2, v6
	;; [unrolled: 1-line block ×3, first 2 shown]
	v_readlane_b32 s0, v95, 53
	v_readlane_b32 s1, v95, 54
	s_mov_b32 s1, s99
	s_mov_b64 s[58:59], s[0:1]
	s_waitcnt vmcnt(0)
	ds_write_b128 v4, v[0:3]
	v_pack_b32_f16 v3, v14, v15
	v_pack_b32_f16 v2, v12, v13
	;; [unrolled: 1-line block ×4, first 2 shown]
	ds_write_b128 v4, v[0:3] offset:16
	; wave barrier
	scratch_load_dword v0, off, off offset:8 ; 4-byte Folded Reload
	s_waitcnt vmcnt(0)
	ds_read_u16 v16, v0 offset:128
	scratch_load_dword v0, off, off offset:12 ; 4-byte Folded Reload
	s_waitcnt vmcnt(0)
	ds_read_u16 v15, v0 offset:256
	;; [unrolled: 3-line block ×15, first 2 shown]
	scratch_load_dwordx2 v[0:1], off, off offset:240 ; 8-byte Folded Reload
	s_waitcnt vmcnt(0)
	v_lshl_add_u64 v[0:1], s[0:1], 1, v[0:1]
	s_and_saveexec_b64 s[52:53], s[18:19]
	s_cbranch_execnz .LBB116_269
; %bb.201:                              ;   in Loop: Header=BB116_13 Depth=1
	s_or_b64 exec, exec, s[52:53]
	s_and_saveexec_b64 s[52:53], s[20:21]
	s_cbranch_execnz .LBB116_270
.LBB116_202:                            ;   in Loop: Header=BB116_13 Depth=1
	s_or_b64 exec, exec, s[52:53]
	s_and_saveexec_b64 s[52:53], s[22:23]
	s_cbranch_execnz .LBB116_271
.LBB116_203:                            ;   in Loop: Header=BB116_13 Depth=1
	s_or_b64 exec, exec, s[52:53]
	s_and_saveexec_b64 s[52:53], s[24:25]
	s_cbranch_execnz .LBB116_272
.LBB116_204:                            ;   in Loop: Header=BB116_13 Depth=1
	s_or_b64 exec, exec, s[52:53]
	s_and_saveexec_b64 s[52:53], s[26:27]
	s_cbranch_execnz .LBB116_273
.LBB116_205:                            ;   in Loop: Header=BB116_13 Depth=1
	s_or_b64 exec, exec, s[52:53]
	s_and_saveexec_b64 s[52:53], s[28:29]
	s_cbranch_execnz .LBB116_274
.LBB116_206:                            ;   in Loop: Header=BB116_13 Depth=1
	s_or_b64 exec, exec, s[52:53]
	s_and_saveexec_b64 s[52:53], s[30:31]
	s_cbranch_execnz .LBB116_275
.LBB116_207:                            ;   in Loop: Header=BB116_13 Depth=1
	s_or_b64 exec, exec, s[52:53]
	s_and_saveexec_b64 s[52:53], s[34:35]
	s_cbranch_execnz .LBB116_276
.LBB116_208:                            ;   in Loop: Header=BB116_13 Depth=1
	s_or_b64 exec, exec, s[52:53]
	s_and_saveexec_b64 s[52:53], s[36:37]
	s_cbranch_execnz .LBB116_277
.LBB116_209:                            ;   in Loop: Header=BB116_13 Depth=1
	s_or_b64 exec, exec, s[52:53]
	s_and_saveexec_b64 s[52:53], s[38:39]
	s_cbranch_execnz .LBB116_278
.LBB116_210:                            ;   in Loop: Header=BB116_13 Depth=1
	s_or_b64 exec, exec, s[52:53]
	s_and_saveexec_b64 s[52:53], s[40:41]
	s_cbranch_execnz .LBB116_279
.LBB116_211:                            ;   in Loop: Header=BB116_13 Depth=1
	s_or_b64 exec, exec, s[52:53]
	s_and_saveexec_b64 s[52:53], s[42:43]
	s_cbranch_execnz .LBB116_280
.LBB116_212:                            ;   in Loop: Header=BB116_13 Depth=1
	s_or_b64 exec, exec, s[52:53]
	s_and_saveexec_b64 s[52:53], s[44:45]
	s_cbranch_execnz .LBB116_281
.LBB116_213:                            ;   in Loop: Header=BB116_13 Depth=1
	s_or_b64 exec, exec, s[52:53]
	s_and_saveexec_b64 s[52:53], s[46:47]
	s_cbranch_execnz .LBB116_282
.LBB116_214:                            ;   in Loop: Header=BB116_13 Depth=1
	s_or_b64 exec, exec, s[52:53]
	s_and_saveexec_b64 s[52:53], s[48:49]
	s_cbranch_execnz .LBB116_283
.LBB116_215:                            ;   in Loop: Header=BB116_13 Depth=1
	s_or_b64 exec, exec, s[52:53]
	s_and_saveexec_b64 s[52:53], s[50:51]
	s_cbranch_execz .LBB116_217
.LBB116_216:                            ;   in Loop: Header=BB116_13 Depth=1
	s_waitcnt lgkmcnt(0)
	global_store_short v[0:1], v2, off offset:1920
.LBB116_217:                            ;   in Loop: Header=BB116_13 Depth=1
	s_or_b64 exec, exec, s[52:53]
	s_waitcnt lgkmcnt(0)
	; wave barrier
	s_waitcnt lgkmcnt(0)
	scratch_load_dwordx2 v[0:1], off, off offset:248 ; 8-byte Folded Reload
	v_mov_b32_e32 v2, 0
	v_mov_b32_e32 v3, 0
	s_waitcnt vmcnt(0)
	v_lshl_add_u64 v[0:1], s[58:59], 1, v[0:1]
	s_and_saveexec_b64 s[52:53], s[18:19]
	s_cbranch_execz .LBB116_219
; %bb.218:                              ;   in Loop: Header=BB116_13 Depth=1
	global_load_ushort v3, v[0:1], off
.LBB116_219:                            ;   in Loop: Header=BB116_13 Depth=1
	s_or_b64 exec, exec, s[52:53]
	s_and_saveexec_b64 s[52:53], s[20:21]
	s_cbranch_execz .LBB116_221
; %bb.220:                              ;   in Loop: Header=BB116_13 Depth=1
	global_load_ushort v2, v[0:1], off offset:128
.LBB116_221:                            ;   in Loop: Header=BB116_13 Depth=1
	s_or_b64 exec, exec, s[52:53]
	v_mov_b32_e32 v4, 0
	v_mov_b32_e32 v5, 0
	s_and_saveexec_b64 s[52:53], s[22:23]
	s_cbranch_execz .LBB116_223
; %bb.222:                              ;   in Loop: Header=BB116_13 Depth=1
	global_load_ushort v5, v[0:1], off offset:256
.LBB116_223:                            ;   in Loop: Header=BB116_13 Depth=1
	s_or_b64 exec, exec, s[52:53]
	s_and_saveexec_b64 s[52:53], s[24:25]
	s_cbranch_execz .LBB116_225
; %bb.224:                              ;   in Loop: Header=BB116_13 Depth=1
	global_load_ushort v4, v[0:1], off offset:384
.LBB116_225:                            ;   in Loop: Header=BB116_13 Depth=1
	s_or_b64 exec, exec, s[52:53]
	v_mov_b32_e32 v6, 0
	v_mov_b32_e32 v7, 0
	s_and_saveexec_b64 s[52:53], s[26:27]
	s_cbranch_execz .LBB116_227
; %bb.226:                              ;   in Loop: Header=BB116_13 Depth=1
	global_load_ushort v7, v[0:1], off offset:512
.LBB116_227:                            ;   in Loop: Header=BB116_13 Depth=1
	;; [unrolled: 14-line block ×7, first 2 shown]
	s_or_b64 exec, exec, s[52:53]
	s_and_saveexec_b64 s[52:53], s[50:51]
	s_cbranch_execz .LBB116_249
; %bb.248:                              ;   in Loop: Header=BB116_13 Depth=1
	global_load_ushort v16, v[0:1], off offset:1920
.LBB116_249:                            ;   in Loop: Header=BB116_13 Depth=1
	s_or_b64 exec, exec, s[52:53]
	scratch_load_dword v0, off, off         ; 4-byte Folded Reload
	scratch_load_dword v44, off, off offset:8 ; 4-byte Folded Reload
	scratch_load_dword v45, off, off offset:12 ; 4-byte Folded Reload
	;; [unrolled: 1-line block ×15, first 2 shown]
	s_mov_b32 s52, 0xbfb8aa3b
	s_mov_b32 s53, 0xb2a5705f
	;; [unrolled: 1-line block ×4, first 2 shown]
	v_mov_b32_e32 v26, 0x7f800000
	s_waitcnt vmcnt(15)
	ds_write_b16 v0, v3
	s_waitcnt vmcnt(14)
	ds_write_b16 v44, v2 offset:128
	s_waitcnt vmcnt(13)
	ds_write_b16 v45, v5 offset:256
	;; [unrolled: 2-line block ×15, first 2 shown]
	; wave barrier
	scratch_load_dword v59, off, off offset:4 ; 4-byte Folded Reload
	s_waitcnt vmcnt(0)
	ds_read_b128 v[4:7], v59
	ds_read_b128 v[0:3], v59 offset:16
	s_waitcnt lgkmcnt(0)
	; wave barrier
	s_waitcnt lgkmcnt(0)
	v_cvt_f32_f16_e32 v12, v4
	v_cvt_f32_f16_sdwa v13, v4 dst_sel:DWORD dst_unused:UNUSED_PAD src0_sel:WORD_1
	v_cvt_f32_f16_e32 v10, v5
	v_cvt_f32_f16_sdwa v11, v5 dst_sel:DWORD dst_unused:UNUSED_PAD src0_sel:WORD_1
	v_mul_f32_e32 v8, 0xbfb8aa3b, v12
	v_rndne_f32_e32 v9, v8
	v_sub_f32_e32 v14, v8, v9
	v_fma_mix_f32 v8, v4, s52, -v8 op_sel_hi:[1,0,0]
	v_cvt_i32_f32_e32 v9, v9
	v_fma_mix_f32 v8, v4, s53, v8 op_sel_hi:[1,0,0]
	v_cmp_nlt_f32_e32 vcc, s54, v12
	v_add_f32_e32 v8, v14, v8
	v_exp_f32_e32 v8, v8
	s_nop 0
	v_ldexp_f32 v8, v8, v9
	v_mul_f32_e32 v9, 0xbfb8aa3b, v13
	v_rndne_f32_e32 v14, v9
	v_sub_f32_e32 v15, v9, v14
	v_fma_mix_f32 v9, v4, s52, -v9 op_sel:[1,0,0] op_sel_hi:[1,0,0]
	v_cndmask_b32_e32 v8, 0, v8, vcc
	v_fma_mix_f32 v4, v4, s53, v9 op_sel:[1,0,0] op_sel_hi:[1,0,0]
	v_cvt_i32_f32_e32 v9, v14
	v_add_f32_e32 v4, v15, v4
	v_exp_f32_e32 v4, v4
	v_cmp_ngt_f32_e32 vcc, s55, v12
	v_ldexp_f32 v4, v4, v9
	s_nop 0
	v_cndmask_b32_e32 v8, v26, v8, vcc
	v_cmp_nlt_f32_e32 vcc, s54, v13
	s_nop 1
	v_cndmask_b32_e32 v4, 0, v4, vcc
	v_cmp_ngt_f32_e32 vcc, s55, v13
	s_nop 1
	v_cndmask_b32_e32 v9, v26, v4, vcc
	v_mul_f32_e32 v4, 0xbfb8aa3b, v10
	v_rndne_f32_e32 v14, v4
	v_sub_f32_e32 v15, v4, v14
	v_fma_mix_f32 v4, v5, s52, -v4 op_sel_hi:[1,0,0]
	v_cvt_i32_f32_e32 v14, v14
	v_fma_mix_f32 v4, v5, s53, v4 op_sel_hi:[1,0,0]
	v_pk_add_f32 v[8:9], v[8:9], 1.0 op_sel_hi:[1,0]
	v_add_f32_e32 v4, v15, v4
	v_exp_f32_e32 v4, v4
	v_cmp_nlt_f32_e32 vcc, s54, v10
	v_ldexp_f32 v4, v4, v14
	v_mul_f32_e32 v14, 0xbfb8aa3b, v11
	v_rndne_f32_e32 v15, v14
	v_sub_f32_e32 v16, v14, v15
	v_fma_mix_f32 v14, v5, s52, -v14 op_sel:[1,0,0] op_sel_hi:[1,0,0]
	v_cndmask_b32_e32 v4, 0, v4, vcc
	v_fma_mix_f32 v5, v5, s53, v14 op_sel:[1,0,0] op_sel_hi:[1,0,0]
	v_cvt_i32_f32_e32 v14, v15
	v_add_f32_e32 v5, v16, v5
	v_exp_f32_e32 v5, v5
	v_cmp_ngt_f32_e32 vcc, s55, v10
	v_ldexp_f32 v5, v5, v14
	v_div_scale_f32 v14, s[0:1], v9, v9, v13
	v_rcp_f32_e32 v15, v14
	v_cndmask_b32_e32 v4, v26, v4, vcc
	v_cmp_nlt_f32_e32 vcc, s54, v11
	v_fma_f32 v16, -v14, v15, 1.0
	s_nop 0
	v_cndmask_b32_e32 v5, 0, v5, vcc
	v_cmp_ngt_f32_e32 vcc, s55, v11
	v_fmac_f32_e32 v15, v16, v15
	s_nop 0
	v_cndmask_b32_e32 v5, v26, v5, vcc
	v_div_scale_f32 v16, vcc, v13, v9, v13
	v_mul_f32_e32 v18, v16, v15
	v_fma_f32 v19, -v14, v18, v16
	v_fmac_f32_e32 v18, v19, v15
	v_fma_f32 v14, -v14, v18, v16
	v_div_fmas_f32 v14, v14, v15, v18
	v_div_fixup_f32 v9, v14, v9, v13
	v_div_scale_f32 v13, s[0:1], v8, v8, v12
	v_rcp_f32_e32 v14, v13
	v_pk_add_f32 v[4:5], v[4:5], 1.0 op_sel_hi:[1,0]
	v_fma_f32 v15, -v13, v14, 1.0
	v_fmac_f32_e32 v14, v15, v14
	v_div_scale_f32 v15, vcc, v12, v8, v12
	v_mul_f32_e32 v16, v15, v14
	v_fma_f32 v18, -v13, v16, v15
	v_fmac_f32_e32 v16, v18, v14
	v_fma_f32 v13, -v13, v16, v15
	v_div_fmas_f32 v13, v13, v14, v16
	v_div_fixup_f32 v8, v13, v8, v12
	v_div_scale_f32 v12, s[0:1], v5, v5, v11
	v_rcp_f32_e32 v13, v12
	v_pk_mul_f32 v[8:9], v[40:41], v[8:9]
	v_cvt_f32_f16_sdwa v18, v6 dst_sel:DWORD dst_unused:UNUSED_PAD src0_sel:WORD_1
	v_fma_f32 v14, -v12, v13, 1.0
	v_fmac_f32_e32 v13, v14, v13
	v_div_scale_f32 v14, vcc, v11, v5, v11
	v_mul_f32_e32 v15, v14, v13
	v_fma_f32 v16, -v12, v15, v14
	v_fmac_f32_e32 v15, v16, v13
	v_fma_f32 v12, -v12, v15, v14
	v_div_fmas_f32 v12, v12, v13, v15
	v_div_fixup_f32 v5, v12, v5, v11
	v_div_scale_f32 v11, s[0:1], v4, v4, v10
	v_rcp_f32_e32 v12, v11
	v_cvt_f32_f16_e32 v16, v6
	v_fma_f32 v13, -v11, v12, 1.0
	v_fmac_f32_e32 v12, v13, v12
	v_div_scale_f32 v13, vcc, v10, v4, v10
	v_mul_f32_e32 v14, v13, v12
	v_fma_f32 v15, -v11, v14, v13
	v_fmac_f32_e32 v14, v15, v12
	v_fma_f32 v11, -v11, v14, v13
	v_div_fmas_f32 v11, v11, v12, v14
	v_div_fixup_f32 v4, v11, v4, v10
	v_pk_mul_f32 v[4:5], v[42:43], v[4:5]
	v_cvt_f16_f32_e32 v11, v8
	v_cvt_f16_f32_e32 v13, v4
	v_mul_f32_e32 v4, 0xbfb8aa3b, v16
	v_cvt_f16_f32_e32 v12, v5
	v_rndne_f32_e32 v5, v4
	v_sub_f32_e32 v8, v4, v5
	v_fma_mix_f32 v4, v6, s52, -v4 op_sel_hi:[1,0,0]
	v_cvt_i32_f32_e32 v5, v5
	v_fma_mix_f32 v4, v6, s53, v4 op_sel_hi:[1,0,0]
	v_cmp_nlt_f32_e32 vcc, s54, v16
	v_add_f32_e32 v4, v8, v4
	v_exp_f32_e32 v4, v4
	v_cvt_f16_f32_e32 v10, v9
	v_cvt_f32_f16_e32 v14, v7
	v_cvt_f32_f16_sdwa v15, v7 dst_sel:DWORD dst_unused:UNUSED_PAD src0_sel:WORD_1
	v_ldexp_f32 v4, v4, v5
	v_cndmask_b32_e32 v4, 0, v4, vcc
	v_cmp_ngt_f32_e32 vcc, s55, v16
	s_nop 1
	v_cndmask_b32_e32 v8, v26, v4, vcc
	v_mul_f32_e32 v4, 0xbfb8aa3b, v18
	v_rndne_f32_e32 v5, v4
	v_sub_f32_e32 v9, v4, v5
	v_fma_mix_f32 v4, v6, s52, -v4 op_sel:[1,0,0] op_sel_hi:[1,0,0]
	v_cvt_i32_f32_e32 v5, v5
	v_fma_mix_f32 v4, v6, s53, v4 op_sel:[1,0,0] op_sel_hi:[1,0,0]
	v_cmp_nlt_f32_e32 vcc, s54, v18
	v_add_f32_e32 v4, v9, v4
	v_exp_f32_e32 v4, v4
	s_nop 0
	v_ldexp_f32 v4, v4, v5
	v_cndmask_b32_e32 v4, 0, v4, vcc
	v_cmp_ngt_f32_e32 vcc, s55, v18
	s_nop 1
	v_cndmask_b32_e32 v9, v26, v4, vcc
	v_mul_f32_e32 v4, 0xbfb8aa3b, v14
	v_rndne_f32_e32 v5, v4
	v_sub_f32_e32 v6, v4, v5
	v_fma_mix_f32 v4, v7, s52, -v4 op_sel_hi:[1,0,0]
	v_cvt_i32_f32_e32 v5, v5
	v_fma_mix_f32 v4, v7, s53, v4 op_sel_hi:[1,0,0]
	v_cmp_nlt_f32_e32 vcc, s54, v14
	v_add_f32_e32 v4, v6, v4
	v_exp_f32_e32 v4, v4
	s_nop 0
	v_ldexp_f32 v4, v4, v5
	v_mul_f32_e32 v5, 0xbfb8aa3b, v15
	v_rndne_f32_e32 v6, v5
	v_sub_f32_e32 v19, v5, v6
	v_fma_mix_f32 v5, v7, s52, -v5 op_sel:[1,0,0] op_sel_hi:[1,0,0]
	v_cvt_i32_f32_e32 v6, v6
	v_fma_mix_f32 v5, v7, s53, v5 op_sel:[1,0,0] op_sel_hi:[1,0,0]
	v_cndmask_b32_e32 v4, 0, v4, vcc
	v_add_f32_e32 v5, v19, v5
	v_exp_f32_e32 v5, v5
	v_cmp_ngt_f32_e32 vcc, s55, v14
	v_ldexp_f32 v5, v5, v6
	v_pk_add_f32 v[6:7], v[8:9], 1.0 op_sel_hi:[1,0]
	v_cndmask_b32_e32 v4, v26, v4, vcc
	v_div_scale_f32 v8, s[0:1], v7, v7, v18
	v_rcp_f32_e32 v9, v8
	v_cmp_nlt_f32_e32 vcc, s54, v15
	v_fma_f32 v19, -v8, v9, 1.0
	s_nop 0
	v_cndmask_b32_e32 v5, 0, v5, vcc
	v_cmp_ngt_f32_e32 vcc, s55, v15
	v_fmac_f32_e32 v9, v19, v9
	s_nop 0
	v_cndmask_b32_e32 v5, v26, v5, vcc
	v_div_scale_f32 v19, vcc, v18, v7, v18
	v_mul_f32_e32 v22, v19, v9
	v_fma_f32 v23, -v8, v22, v19
	v_fmac_f32_e32 v22, v23, v9
	v_fma_f32 v8, -v8, v22, v19
	v_div_fmas_f32 v8, v8, v9, v22
	v_div_fixup_f32 v7, v8, v7, v18
	v_div_scale_f32 v8, s[0:1], v6, v6, v16
	v_rcp_f32_e32 v9, v8
	v_pk_add_f32 v[4:5], v[4:5], 1.0 op_sel_hi:[1,0]
	v_fma_f32 v18, -v8, v9, 1.0
	v_fmac_f32_e32 v9, v18, v9
	v_div_scale_f32 v18, vcc, v16, v6, v16
	v_mul_f32_e32 v19, v18, v9
	v_fma_f32 v22, -v8, v19, v18
	v_fmac_f32_e32 v19, v22, v9
	v_fma_f32 v8, -v8, v19, v18
	v_div_fmas_f32 v8, v8, v9, v19
	v_div_fixup_f32 v6, v8, v6, v16
	v_div_scale_f32 v8, s[0:1], v5, v5, v15
	v_rcp_f32_e32 v9, v8
	s_nop 0
	v_fma_f32 v16, -v8, v9, 1.0
	v_fmac_f32_e32 v9, v16, v9
	v_div_scale_f32 v16, vcc, v15, v5, v15
	v_mul_f32_e32 v18, v16, v9
	v_fma_f32 v19, -v8, v18, v16
	v_fmac_f32_e32 v18, v19, v9
	v_fma_f32 v8, -v8, v18, v16
	v_div_fmas_f32 v8, v8, v9, v18
	v_div_fixup_f32 v5, v8, v5, v15
	v_div_scale_f32 v8, s[0:1], v4, v4, v14
	v_rcp_f32_e32 v9, v8
	s_nop 0
	v_fma_f32 v15, -v8, v9, 1.0
	v_fmac_f32_e32 v9, v15, v9
	v_div_scale_f32 v15, vcc, v14, v4, v14
	v_mul_f32_e32 v16, v15, v9
	v_fma_f32 v18, -v8, v16, v15
	v_fmac_f32_e32 v16, v18, v9
	v_fma_f32 v8, -v8, v16, v15
	v_div_fmas_f32 v8, v8, v9, v16
	v_cvt_f32_f16_e32 v16, v0
	v_div_fixup_f32 v4, v8, v4, v14
	v_pk_mul_f32 v[4:5], v[38:39], v[4:5]
	v_pk_mul_f32 v[8:9], v[36:37], v[6:7]
	v_cvt_f32_f16_sdwa v18, v0 dst_sel:DWORD dst_unused:UNUSED_PAD src0_sel:WORD_1
	v_cvt_f16_f32_e32 v6, v9
	v_cvt_f16_f32_e32 v9, v4
	v_mul_f32_e32 v4, 0xbfb8aa3b, v16
	v_cvt_f16_f32_e32 v7, v8
	v_cvt_f16_f32_e32 v8, v5
	v_rndne_f32_e32 v5, v4
	v_sub_f32_e32 v19, v4, v5
	v_fma_mix_f32 v4, v0, s52, -v4 op_sel_hi:[1,0,0]
	v_cvt_i32_f32_e32 v5, v5
	v_fma_mix_f32 v4, v0, s53, v4 op_sel_hi:[1,0,0]
	v_cvt_f32_f16_e32 v14, v1
	v_add_f32_e32 v4, v19, v4
	v_exp_f32_e32 v4, v4
	v_cmp_nlt_f32_e32 vcc, s54, v16
	v_cvt_f32_f16_sdwa v15, v1 dst_sel:DWORD dst_unused:UNUSED_PAD src0_sel:WORD_1
	v_ldexp_f32 v4, v4, v5
	v_mul_f32_e32 v5, 0xbfb8aa3b, v18
	v_rndne_f32_e32 v19, v5
	v_sub_f32_e32 v22, v5, v19
	v_fma_mix_f32 v5, v0, s52, -v5 op_sel:[1,0,0] op_sel_hi:[1,0,0]
	v_cndmask_b32_e32 v4, 0, v4, vcc
	v_fma_mix_f32 v0, v0, s53, v5 op_sel:[1,0,0] op_sel_hi:[1,0,0]
	v_cvt_i32_f32_e32 v5, v19
	v_add_f32_e32 v0, v22, v0
	v_exp_f32_e32 v0, v0
	v_cmp_ngt_f32_e32 vcc, s55, v16
	v_ldexp_f32 v0, v0, v5
	s_nop 0
	v_cndmask_b32_e32 v4, v26, v4, vcc
	v_cmp_nlt_f32_e32 vcc, s54, v18
	s_nop 1
	v_cndmask_b32_e32 v0, 0, v0, vcc
	v_cmp_ngt_f32_e32 vcc, s55, v18
	s_nop 1
	v_cndmask_b32_e32 v5, v26, v0, vcc
	v_mul_f32_e32 v0, 0xbfb8aa3b, v14
	v_rndne_f32_e32 v19, v0
	v_sub_f32_e32 v22, v0, v19
	v_fma_mix_f32 v0, v1, s52, -v0 op_sel_hi:[1,0,0]
	v_cvt_i32_f32_e32 v19, v19
	v_fma_mix_f32 v0, v1, s53, v0 op_sel_hi:[1,0,0]
	v_pk_add_f32 v[4:5], v[4:5], 1.0 op_sel_hi:[1,0]
	v_add_f32_e32 v0, v22, v0
	v_exp_f32_e32 v0, v0
	v_cmp_nlt_f32_e32 vcc, s54, v14
	v_ldexp_f32 v0, v0, v19
	v_mul_f32_e32 v19, 0xbfb8aa3b, v15
	v_rndne_f32_e32 v22, v19
	v_sub_f32_e32 v23, v19, v22
	v_fma_mix_f32 v19, v1, s52, -v19 op_sel:[1,0,0] op_sel_hi:[1,0,0]
	v_cndmask_b32_e32 v0, 0, v0, vcc
	v_fma_mix_f32 v1, v1, s53, v19 op_sel:[1,0,0] op_sel_hi:[1,0,0]
	v_cvt_i32_f32_e32 v19, v22
	v_add_f32_e32 v1, v23, v1
	v_exp_f32_e32 v1, v1
	v_cmp_ngt_f32_e32 vcc, s55, v14
	v_ldexp_f32 v1, v1, v19
	v_div_scale_f32 v19, s[0:1], v5, v5, v18
	v_rcp_f32_e32 v22, v19
	v_cndmask_b32_e32 v0, v26, v0, vcc
	v_cmp_nlt_f32_e32 vcc, s54, v15
	v_fma_f32 v23, -v19, v22, 1.0
	s_nop 0
	v_cndmask_b32_e32 v1, 0, v1, vcc
	v_cmp_ngt_f32_e32 vcc, s55, v15
	v_fmac_f32_e32 v22, v23, v22
	s_nop 0
	v_cndmask_b32_e32 v1, v26, v1, vcc
	v_div_scale_f32 v23, vcc, v18, v5, v18
	v_mul_f32_e32 v24, v23, v22
	v_fma_f32 v25, -v19, v24, v23
	v_fmac_f32_e32 v24, v25, v22
	v_fma_f32 v19, -v19, v24, v23
	v_div_fmas_f32 v19, v19, v22, v24
	v_div_fixup_f32 v5, v19, v5, v18
	v_div_scale_f32 v18, s[0:1], v4, v4, v16
	v_rcp_f32_e32 v19, v18
	v_pk_add_f32 v[0:1], v[0:1], 1.0 op_sel_hi:[1,0]
	v_fma_f32 v22, -v18, v19, 1.0
	v_fmac_f32_e32 v19, v22, v19
	v_div_scale_f32 v22, vcc, v16, v4, v16
	v_mul_f32_e32 v23, v22, v19
	v_fma_f32 v24, -v18, v23, v22
	v_fmac_f32_e32 v23, v24, v19
	v_fma_f32 v18, -v18, v23, v22
	v_div_fmas_f32 v18, v18, v19, v23
	v_div_fixup_f32 v4, v18, v4, v16
	v_div_scale_f32 v16, s[0:1], v1, v1, v15
	v_rcp_f32_e32 v18, v16
	v_pk_mul_f32 v[4:5], v[32:33], v[4:5]
	v_cvt_f32_f16_sdwa v24, v2 dst_sel:DWORD dst_unused:UNUSED_PAD src0_sel:WORD_1
	v_fma_f32 v19, -v16, v18, 1.0
	v_fmac_f32_e32 v18, v19, v18
	v_div_scale_f32 v19, vcc, v15, v1, v15
	v_mul_f32_e32 v22, v19, v18
	v_fma_f32 v23, -v16, v22, v19
	v_fmac_f32_e32 v22, v23, v18
	v_fma_f32 v16, -v16, v22, v19
	v_div_fmas_f32 v16, v16, v18, v22
	v_div_fixup_f32 v1, v16, v1, v15
	v_div_scale_f32 v15, s[0:1], v0, v0, v14
	v_rcp_f32_e32 v16, v15
	v_cvt_f32_f16_e32 v23, v2
	v_fma_f32 v18, -v15, v16, 1.0
	v_fmac_f32_e32 v16, v18, v16
	v_div_scale_f32 v18, vcc, v14, v0, v14
	v_mul_f32_e32 v19, v18, v16
	v_fma_f32 v22, -v15, v19, v18
	v_fmac_f32_e32 v19, v22, v16
	v_fma_f32 v15, -v15, v19, v18
	v_div_fmas_f32 v15, v15, v16, v19
	v_div_fixup_f32 v0, v15, v0, v14
	v_pk_mul_f32 v[0:1], v[34:35], v[0:1]
	v_cvt_f16_f32_e32 v15, v4
	v_cvt_f16_f32_e32 v18, v0
	v_mul_f32_e32 v0, 0xbfb8aa3b, v23
	v_cvt_f16_f32_e32 v16, v1
	v_rndne_f32_e32 v1, v0
	v_sub_f32_e32 v4, v0, v1
	v_fma_mix_f32 v0, v2, s52, -v0 op_sel_hi:[1,0,0]
	v_cvt_i32_f32_e32 v1, v1
	v_fma_mix_f32 v0, v2, s53, v0 op_sel_hi:[1,0,0]
	v_cmp_nlt_f32_e32 vcc, s54, v23
	v_add_f32_e32 v0, v4, v0
	v_exp_f32_e32 v0, v0
	v_cvt_f16_f32_e32 v14, v5
	v_cvt_f32_f16_e32 v19, v3
	v_cvt_f32_f16_sdwa v22, v3 dst_sel:DWORD dst_unused:UNUSED_PAD src0_sel:WORD_1
	v_ldexp_f32 v0, v0, v1
	v_cndmask_b32_e32 v0, 0, v0, vcc
	v_cmp_ngt_f32_e32 vcc, s55, v23
	s_nop 1
	v_cndmask_b32_e32 v4, v26, v0, vcc
	v_mul_f32_e32 v0, 0xbfb8aa3b, v24
	v_rndne_f32_e32 v1, v0
	v_sub_f32_e32 v5, v0, v1
	v_fma_mix_f32 v0, v2, s52, -v0 op_sel:[1,0,0] op_sel_hi:[1,0,0]
	v_cvt_i32_f32_e32 v1, v1
	v_fma_mix_f32 v0, v2, s53, v0 op_sel:[1,0,0] op_sel_hi:[1,0,0]
	v_cmp_nlt_f32_e32 vcc, s54, v24
	v_add_f32_e32 v0, v5, v0
	v_exp_f32_e32 v0, v0
	s_nop 0
	v_ldexp_f32 v0, v0, v1
	v_cndmask_b32_e32 v0, 0, v0, vcc
	v_cmp_ngt_f32_e32 vcc, s55, v24
	s_nop 1
	v_cndmask_b32_e32 v5, v26, v0, vcc
	v_mul_f32_e32 v0, 0xbfb8aa3b, v19
	v_rndne_f32_e32 v1, v0
	v_sub_f32_e32 v2, v0, v1
	v_fma_mix_f32 v0, v3, s52, -v0 op_sel_hi:[1,0,0]
	v_cvt_i32_f32_e32 v1, v1
	v_fma_mix_f32 v0, v3, s53, v0 op_sel_hi:[1,0,0]
	v_cmp_nlt_f32_e32 vcc, s54, v19
	v_add_f32_e32 v0, v2, v0
	v_exp_f32_e32 v0, v0
	s_nop 0
	v_ldexp_f32 v0, v0, v1
	v_mul_f32_e32 v1, 0xbfb8aa3b, v22
	v_rndne_f32_e32 v2, v1
	v_sub_f32_e32 v25, v1, v2
	v_fma_mix_f32 v1, v3, s52, -v1 op_sel:[1,0,0] op_sel_hi:[1,0,0]
	v_cvt_i32_f32_e32 v2, v2
	v_fma_mix_f32 v1, v3, s53, v1 op_sel:[1,0,0] op_sel_hi:[1,0,0]
	v_cndmask_b32_e32 v0, 0, v0, vcc
	v_add_f32_e32 v1, v25, v1
	v_exp_f32_e32 v1, v1
	v_cmp_ngt_f32_e32 vcc, s55, v19
	v_ldexp_f32 v1, v1, v2
	v_pk_add_f32 v[2:3], v[4:5], 1.0 op_sel_hi:[1,0]
	v_cndmask_b32_e32 v0, v26, v0, vcc
	v_div_scale_f32 v4, s[0:1], v3, v3, v24
	v_rcp_f32_e32 v5, v4
	v_cmp_nlt_f32_e32 vcc, s54, v22
	v_fma_f32 v25, -v4, v5, 1.0
	s_nop 0
	v_cndmask_b32_e32 v1, 0, v1, vcc
	v_cmp_ngt_f32_e32 vcc, s55, v22
	v_fmac_f32_e32 v5, v25, v5
	s_nop 0
	v_cndmask_b32_e32 v1, v26, v1, vcc
	v_div_scale_f32 v25, vcc, v24, v3, v24
	v_mul_f32_e32 v26, v25, v5
	v_fma_f32 v27, -v4, v26, v25
	v_fmac_f32_e32 v26, v27, v5
	v_fma_f32 v4, -v4, v26, v25
	v_div_fmas_f32 v4, v4, v5, v26
	v_div_fixup_f32 v3, v4, v3, v24
	v_div_scale_f32 v4, s[0:1], v2, v2, v23
	v_rcp_f32_e32 v5, v4
	v_pk_add_f32 v[0:1], v[0:1], 1.0 op_sel_hi:[1,0]
	v_fma_f32 v24, -v4, v5, 1.0
	v_fmac_f32_e32 v5, v24, v5
	v_div_scale_f32 v24, vcc, v23, v2, v23
	v_mul_f32_e32 v25, v24, v5
	v_fma_f32 v26, -v4, v25, v24
	v_fmac_f32_e32 v25, v26, v5
	v_fma_f32 v4, -v4, v25, v24
	v_div_fmas_f32 v4, v4, v5, v25
	v_div_fixup_f32 v2, v4, v2, v23
	v_div_scale_f32 v4, s[0:1], v1, v1, v22
	v_rcp_f32_e32 v5, v4
	v_pk_mul_f32 v[2:3], v[28:29], v[2:3]
	v_fma_f32 v23, -v4, v5, 1.0
	v_fmac_f32_e32 v5, v23, v5
	v_div_scale_f32 v23, vcc, v22, v1, v22
	v_mul_f32_e32 v24, v23, v5
	v_fma_f32 v25, -v4, v24, v23
	v_fmac_f32_e32 v24, v25, v5
	v_fma_f32 v4, -v4, v24, v23
	v_div_fmas_f32 v4, v4, v5, v24
	v_div_fixup_f32 v1, v4, v1, v22
	v_div_scale_f32 v4, s[0:1], v0, v0, v19
	v_rcp_f32_e32 v5, v4
	s_nop 0
	v_fma_f32 v22, -v4, v5, 1.0
	v_fmac_f32_e32 v5, v22, v5
	v_div_scale_f32 v22, vcc, v19, v0, v19
	v_mul_f32_e32 v23, v22, v5
	v_fma_f32 v24, -v4, v23, v22
	v_fmac_f32_e32 v23, v24, v5
	v_fma_f32 v4, -v4, v23, v22
	v_div_fmas_f32 v4, v4, v5, v23
	v_div_fixup_f32 v0, v4, v0, v19
	v_pk_mul_f32 v[0:1], v[30:31], v[0:1]
	v_cvt_f16_f32_e32 v4, v3
	v_cvt_f16_f32_e32 v5, v2
	;; [unrolled: 1-line block ×4, first 2 shown]
	v_pack_b32_f16 v3, v9, v8
	v_pack_b32_f16 v2, v7, v6
	;; [unrolled: 1-line block ×4, first 2 shown]
	ds_write_b128 v59, v[0:3]
	v_pack_b32_f16 v3, v22, v19
	v_pack_b32_f16 v2, v5, v4
	;; [unrolled: 1-line block ×4, first 2 shown]
	ds_write_b128 v59, v[0:3] offset:16
	; wave barrier
	ds_read_u16 v16, v44 offset:128
	ds_read_u16 v15, v45 offset:256
	;; [unrolled: 1-line block ×15, first 2 shown]
	scratch_load_dwordx2 v[0:1], off, off offset:256 ; 8-byte Folded Reload
	s_waitcnt vmcnt(0)
	v_lshl_add_u64 v[0:1], s[58:59], 1, v[0:1]
	s_and_saveexec_b64 s[52:53], s[18:19]
	s_cbranch_execz .LBB116_251
; %bb.250:                              ;   in Loop: Header=BB116_13 Depth=1
	scratch_load_dword v18, off, off        ; 4-byte Folded Reload
	s_waitcnt vmcnt(0)
	ds_read_u16 v18, v18
	s_waitcnt lgkmcnt(0)
	global_store_short v[0:1], v18, off
.LBB116_251:                            ;   in Loop: Header=BB116_13 Depth=1
	s_or_b64 exec, exec, s[52:53]
	s_and_saveexec_b64 s[18:19], s[20:21]
	s_cbranch_execz .LBB116_253
; %bb.252:                              ;   in Loop: Header=BB116_13 Depth=1
	s_waitcnt lgkmcnt(14)
	global_store_short v[0:1], v16, off offset:128
.LBB116_253:                            ;   in Loop: Header=BB116_13 Depth=1
	s_or_b64 exec, exec, s[18:19]
	s_mov_b64 s[18:19], exec
	s_and_b64 s[0:1], s[18:19], s[22:23]
	v_mov_b32_e32 v39, 0x7f800000
	s_mov_b64 exec, s[0:1]
	s_cbranch_execnz .LBB116_284
; %bb.254:                              ;   in Loop: Header=BB116_13 Depth=1
	s_or_b64 exec, exec, s[18:19]
	s_and_saveexec_b64 s[18:19], s[24:25]
	s_cbranch_execnz .LBB116_285
.LBB116_255:                            ;   in Loop: Header=BB116_13 Depth=1
	s_or_b64 exec, exec, s[18:19]
	s_and_saveexec_b64 s[18:19], s[26:27]
	s_cbranch_execnz .LBB116_286
.LBB116_256:                            ;   in Loop: Header=BB116_13 Depth=1
	s_or_b64 exec, exec, s[18:19]
	s_and_saveexec_b64 s[18:19], s[28:29]
	s_cbranch_execnz .LBB116_287
.LBB116_257:                            ;   in Loop: Header=BB116_13 Depth=1
	s_or_b64 exec, exec, s[18:19]
	s_and_saveexec_b64 s[18:19], s[30:31]
	s_cbranch_execnz .LBB116_288
.LBB116_258:                            ;   in Loop: Header=BB116_13 Depth=1
	s_or_b64 exec, exec, s[18:19]
	s_and_saveexec_b64 s[18:19], s[34:35]
	s_cbranch_execnz .LBB116_289
.LBB116_259:                            ;   in Loop: Header=BB116_13 Depth=1
	s_or_b64 exec, exec, s[18:19]
	s_and_saveexec_b64 s[18:19], s[36:37]
	s_cbranch_execnz .LBB116_290
.LBB116_260:                            ;   in Loop: Header=BB116_13 Depth=1
	s_or_b64 exec, exec, s[18:19]
	s_and_saveexec_b64 s[18:19], s[38:39]
	s_cbranch_execnz .LBB116_291
.LBB116_261:                            ;   in Loop: Header=BB116_13 Depth=1
	s_or_b64 exec, exec, s[18:19]
	s_and_saveexec_b64 s[18:19], s[40:41]
	s_cbranch_execnz .LBB116_292
.LBB116_262:                            ;   in Loop: Header=BB116_13 Depth=1
	s_or_b64 exec, exec, s[18:19]
	s_and_saveexec_b64 s[18:19], s[42:43]
	s_cbranch_execnz .LBB116_293
.LBB116_263:                            ;   in Loop: Header=BB116_13 Depth=1
	s_or_b64 exec, exec, s[18:19]
	s_and_saveexec_b64 s[18:19], s[44:45]
	s_cbranch_execnz .LBB116_294
.LBB116_264:                            ;   in Loop: Header=BB116_13 Depth=1
	s_or_b64 exec, exec, s[18:19]
	s_and_saveexec_b64 s[18:19], s[46:47]
	s_cbranch_execnz .LBB116_295
.LBB116_265:                            ;   in Loop: Header=BB116_13 Depth=1
	s_or_b64 exec, exec, s[18:19]
	s_and_saveexec_b64 s[18:19], s[48:49]
	s_cbranch_execnz .LBB116_296
.LBB116_266:                            ;   in Loop: Header=BB116_13 Depth=1
	s_or_b64 exec, exec, s[18:19]
	s_and_saveexec_b64 s[18:19], s[50:51]
	s_cbranch_execz .LBB116_12
	s_branch .LBB116_297
.LBB116_267:                            ;   in Loop: Header=BB116_13 Depth=1
	global_load_ushort v28, v[8:9], off offset:1664
	s_or_b64 exec, exec, s[52:53]
	s_and_saveexec_b64 s[52:53], s[48:49]
	s_cbranch_execz .LBB116_73
.LBB116_268:                            ;   in Loop: Header=BB116_13 Depth=1
	global_load_ushort v27, v[8:9], off offset:1792
	s_or_b64 exec, exec, s[52:53]
	v_mov_b32_e32 v29, 0
	s_and_saveexec_b64 s[52:53], s[50:51]
	s_cbranch_execnz .LBB116_74
	s_branch .LBB116_75
.LBB116_269:                            ;   in Loop: Header=BB116_13 Depth=1
	scratch_load_dword v18, off, off        ; 4-byte Folded Reload
	s_waitcnt vmcnt(0)
	ds_read_u16 v18, v18
	s_waitcnt lgkmcnt(0)
	global_store_short v[0:1], v18, off
	s_or_b64 exec, exec, s[52:53]
	s_and_saveexec_b64 s[52:53], s[20:21]
	s_cbranch_execz .LBB116_202
.LBB116_270:                            ;   in Loop: Header=BB116_13 Depth=1
	s_waitcnt lgkmcnt(14)
	global_store_short v[0:1], v16, off offset:128
	s_or_b64 exec, exec, s[52:53]
	s_and_saveexec_b64 s[52:53], s[22:23]
	s_cbranch_execz .LBB116_203
.LBB116_271:                            ;   in Loop: Header=BB116_13 Depth=1
	s_waitcnt lgkmcnt(13)
	global_store_short v[0:1], v15, off offset:256
	s_or_b64 exec, exec, s[52:53]
	s_and_saveexec_b64 s[52:53], s[24:25]
	s_cbranch_execz .LBB116_204
.LBB116_272:                            ;   in Loop: Header=BB116_13 Depth=1
	s_waitcnt lgkmcnt(12)
	global_store_short v[0:1], v14, off offset:384
	s_or_b64 exec, exec, s[52:53]
	s_and_saveexec_b64 s[52:53], s[26:27]
	s_cbranch_execz .LBB116_205
.LBB116_273:                            ;   in Loop: Header=BB116_13 Depth=1
	s_waitcnt lgkmcnt(11)
	global_store_short v[0:1], v13, off offset:512
	s_or_b64 exec, exec, s[52:53]
	s_and_saveexec_b64 s[52:53], s[28:29]
	s_cbranch_execz .LBB116_206
.LBB116_274:                            ;   in Loop: Header=BB116_13 Depth=1
	s_waitcnt lgkmcnt(10)
	global_store_short v[0:1], v12, off offset:640
	s_or_b64 exec, exec, s[52:53]
	s_and_saveexec_b64 s[52:53], s[30:31]
	s_cbranch_execz .LBB116_207
.LBB116_275:                            ;   in Loop: Header=BB116_13 Depth=1
	s_waitcnt lgkmcnt(9)
	global_store_short v[0:1], v11, off offset:768
	s_or_b64 exec, exec, s[52:53]
	s_and_saveexec_b64 s[52:53], s[34:35]
	s_cbranch_execz .LBB116_208
.LBB116_276:                            ;   in Loop: Header=BB116_13 Depth=1
	s_waitcnt lgkmcnt(8)
	global_store_short v[0:1], v10, off offset:896
	s_or_b64 exec, exec, s[52:53]
	s_and_saveexec_b64 s[52:53], s[36:37]
	s_cbranch_execz .LBB116_209
.LBB116_277:                            ;   in Loop: Header=BB116_13 Depth=1
	s_waitcnt lgkmcnt(7)
	global_store_short v[0:1], v9, off offset:1024
	s_or_b64 exec, exec, s[52:53]
	s_and_saveexec_b64 s[52:53], s[38:39]
	s_cbranch_execz .LBB116_210
.LBB116_278:                            ;   in Loop: Header=BB116_13 Depth=1
	s_waitcnt lgkmcnt(6)
	global_store_short v[0:1], v8, off offset:1152
	s_or_b64 exec, exec, s[52:53]
	s_and_saveexec_b64 s[52:53], s[40:41]
	s_cbranch_execz .LBB116_211
.LBB116_279:                            ;   in Loop: Header=BB116_13 Depth=1
	s_waitcnt lgkmcnt(5)
	global_store_short v[0:1], v7, off offset:1280
	s_or_b64 exec, exec, s[52:53]
	s_and_saveexec_b64 s[52:53], s[42:43]
	s_cbranch_execz .LBB116_212
.LBB116_280:                            ;   in Loop: Header=BB116_13 Depth=1
	s_waitcnt lgkmcnt(4)
	global_store_short v[0:1], v6, off offset:1408
	s_or_b64 exec, exec, s[52:53]
	s_and_saveexec_b64 s[52:53], s[44:45]
	s_cbranch_execz .LBB116_213
.LBB116_281:                            ;   in Loop: Header=BB116_13 Depth=1
	s_waitcnt lgkmcnt(3)
	global_store_short v[0:1], v5, off offset:1536
	s_or_b64 exec, exec, s[52:53]
	s_and_saveexec_b64 s[52:53], s[46:47]
	s_cbranch_execz .LBB116_214
.LBB116_282:                            ;   in Loop: Header=BB116_13 Depth=1
	s_waitcnt lgkmcnt(2)
	global_store_short v[0:1], v4, off offset:1664
	s_or_b64 exec, exec, s[52:53]
	s_and_saveexec_b64 s[52:53], s[48:49]
	s_cbranch_execz .LBB116_215
.LBB116_283:                            ;   in Loop: Header=BB116_13 Depth=1
	s_waitcnt lgkmcnt(1)
	global_store_short v[0:1], v3, off offset:1792
	s_or_b64 exec, exec, s[52:53]
	s_and_saveexec_b64 s[52:53], s[50:51]
	s_cbranch_execnz .LBB116_216
	s_branch .LBB116_217
.LBB116_284:                            ;   in Loop: Header=BB116_13 Depth=1
	s_waitcnt lgkmcnt(13)
	global_store_short v[0:1], v15, off offset:256
	s_or_b64 exec, exec, s[18:19]
	s_and_saveexec_b64 s[18:19], s[24:25]
	s_cbranch_execz .LBB116_255
.LBB116_285:                            ;   in Loop: Header=BB116_13 Depth=1
	s_waitcnt lgkmcnt(12)
	global_store_short v[0:1], v14, off offset:384
	s_or_b64 exec, exec, s[18:19]
	s_and_saveexec_b64 s[18:19], s[26:27]
	s_cbranch_execz .LBB116_256
.LBB116_286:                            ;   in Loop: Header=BB116_13 Depth=1
	s_waitcnt lgkmcnt(11)
	global_store_short v[0:1], v13, off offset:512
	s_or_b64 exec, exec, s[18:19]
	s_and_saveexec_b64 s[18:19], s[28:29]
	s_cbranch_execz .LBB116_257
.LBB116_287:                            ;   in Loop: Header=BB116_13 Depth=1
	s_waitcnt lgkmcnt(10)
	global_store_short v[0:1], v12, off offset:640
	s_or_b64 exec, exec, s[18:19]
	s_and_saveexec_b64 s[18:19], s[30:31]
	s_cbranch_execz .LBB116_258
.LBB116_288:                            ;   in Loop: Header=BB116_13 Depth=1
	s_waitcnt lgkmcnt(9)
	global_store_short v[0:1], v11, off offset:768
	s_or_b64 exec, exec, s[18:19]
	s_and_saveexec_b64 s[18:19], s[34:35]
	s_cbranch_execz .LBB116_259
.LBB116_289:                            ;   in Loop: Header=BB116_13 Depth=1
	s_waitcnt lgkmcnt(8)
	global_store_short v[0:1], v10, off offset:896
	s_or_b64 exec, exec, s[18:19]
	s_and_saveexec_b64 s[18:19], s[36:37]
	s_cbranch_execz .LBB116_260
.LBB116_290:                            ;   in Loop: Header=BB116_13 Depth=1
	s_waitcnt lgkmcnt(7)
	global_store_short v[0:1], v9, off offset:1024
	s_or_b64 exec, exec, s[18:19]
	s_and_saveexec_b64 s[18:19], s[38:39]
	s_cbranch_execz .LBB116_261
.LBB116_291:                            ;   in Loop: Header=BB116_13 Depth=1
	s_waitcnt lgkmcnt(6)
	global_store_short v[0:1], v8, off offset:1152
	s_or_b64 exec, exec, s[18:19]
	s_and_saveexec_b64 s[18:19], s[40:41]
	s_cbranch_execz .LBB116_262
.LBB116_292:                            ;   in Loop: Header=BB116_13 Depth=1
	s_waitcnt lgkmcnt(5)
	global_store_short v[0:1], v7, off offset:1280
	s_or_b64 exec, exec, s[18:19]
	s_and_saveexec_b64 s[18:19], s[42:43]
	s_cbranch_execz .LBB116_263
.LBB116_293:                            ;   in Loop: Header=BB116_13 Depth=1
	s_waitcnt lgkmcnt(4)
	global_store_short v[0:1], v6, off offset:1408
	s_or_b64 exec, exec, s[18:19]
	s_and_saveexec_b64 s[18:19], s[44:45]
	s_cbranch_execz .LBB116_264
.LBB116_294:                            ;   in Loop: Header=BB116_13 Depth=1
	s_waitcnt lgkmcnt(3)
	global_store_short v[0:1], v5, off offset:1536
	s_or_b64 exec, exec, s[18:19]
	s_and_saveexec_b64 s[18:19], s[46:47]
	s_cbranch_execz .LBB116_265
.LBB116_295:                            ;   in Loop: Header=BB116_13 Depth=1
	s_waitcnt lgkmcnt(2)
	global_store_short v[0:1], v4, off offset:1664
	s_or_b64 exec, exec, s[18:19]
	s_and_saveexec_b64 s[18:19], s[48:49]
	s_cbranch_execz .LBB116_266
.LBB116_296:                            ;   in Loop: Header=BB116_13 Depth=1
	s_waitcnt lgkmcnt(1)
	global_store_short v[0:1], v3, off offset:1792
	s_or_b64 exec, exec, s[18:19]
	s_and_saveexec_b64 s[18:19], s[50:51]
	s_cbranch_execz .LBB116_12
.LBB116_297:                            ;   in Loop: Header=BB116_13 Depth=1
	s_waitcnt lgkmcnt(0)
	global_store_short v[0:1], v2, off offset:1920
	s_branch .LBB116_12
.LBB116_298:
	s_endpgm
	.section	.rodata,"a",@progbits
	.p2align	6, 0x0
	.amdhsa_kernel _Z25selective_scan_fwd_kernelI32Selective_Scan_fwd_kernel_traitsILi64ELi16ELi1ELb0ELb1ELb1ELb1ELb1EN3c104HalfEffEEv13SSMParamsBase
		.amdhsa_group_segment_fixed_size 0
		.amdhsa_private_segment_fixed_size 332
		.amdhsa_kernarg_size 248
		.amdhsa_user_sgpr_count 2
		.amdhsa_user_sgpr_dispatch_ptr 0
		.amdhsa_user_sgpr_queue_ptr 0
		.amdhsa_user_sgpr_kernarg_segment_ptr 1
		.amdhsa_user_sgpr_dispatch_id 0
		.amdhsa_user_sgpr_kernarg_preload_length 0
		.amdhsa_user_sgpr_kernarg_preload_offset 0
		.amdhsa_user_sgpr_private_segment_size 0
		.amdhsa_uses_dynamic_stack 0
		.amdhsa_enable_private_segment 1
		.amdhsa_system_sgpr_workgroup_id_x 1
		.amdhsa_system_sgpr_workgroup_id_y 1
		.amdhsa_system_sgpr_workgroup_id_z 0
		.amdhsa_system_sgpr_workgroup_info 0
		.amdhsa_system_vgpr_workitem_id 0
		.amdhsa_next_free_vgpr 96
		.amdhsa_next_free_sgpr 100
		.amdhsa_accum_offset 96
		.amdhsa_reserve_vcc 1
		.amdhsa_float_round_mode_32 0
		.amdhsa_float_round_mode_16_64 0
		.amdhsa_float_denorm_mode_32 3
		.amdhsa_float_denorm_mode_16_64 3
		.amdhsa_dx10_clamp 1
		.amdhsa_ieee_mode 1
		.amdhsa_fp16_overflow 0
		.amdhsa_tg_split 0
		.amdhsa_exception_fp_ieee_invalid_op 0
		.amdhsa_exception_fp_denorm_src 0
		.amdhsa_exception_fp_ieee_div_zero 0
		.amdhsa_exception_fp_ieee_overflow 0
		.amdhsa_exception_fp_ieee_underflow 0
		.amdhsa_exception_fp_ieee_inexact 0
		.amdhsa_exception_int_div_zero 0
	.end_amdhsa_kernel
	.section	.text._Z25selective_scan_fwd_kernelI32Selective_Scan_fwd_kernel_traitsILi64ELi16ELi1ELb0ELb1ELb1ELb1ELb1EN3c104HalfEffEEv13SSMParamsBase,"axG",@progbits,_Z25selective_scan_fwd_kernelI32Selective_Scan_fwd_kernel_traitsILi64ELi16ELi1ELb0ELb1ELb1ELb1ELb1EN3c104HalfEffEEv13SSMParamsBase,comdat
.Lfunc_end116:
	.size	_Z25selective_scan_fwd_kernelI32Selective_Scan_fwd_kernel_traitsILi64ELi16ELi1ELb0ELb1ELb1ELb1ELb1EN3c104HalfEffEEv13SSMParamsBase, .Lfunc_end116-_Z25selective_scan_fwd_kernelI32Selective_Scan_fwd_kernel_traitsILi64ELi16ELi1ELb0ELb1ELb1ELb1ELb1EN3c104HalfEffEEv13SSMParamsBase
                                        ; -- End function
	.section	.AMDGPU.csdata,"",@progbits
; Kernel info:
; codeLenInByte = 27176
; NumSgprs: 106
; NumVgprs: 96
; NumAgprs: 0
; TotalNumVgprs: 96
; ScratchSize: 332
; MemoryBound: 0
; FloatMode: 240
; IeeeMode: 1
; LDSByteSize: 0 bytes/workgroup (compile time only)
; SGPRBlocks: 13
; VGPRBlocks: 11
; NumSGPRsForWavesPerEU: 106
; NumVGPRsForWavesPerEU: 96
; AccumOffset: 96
; Occupancy: 5
; WaveLimiterHint : 1
; COMPUTE_PGM_RSRC2:SCRATCH_EN: 1
; COMPUTE_PGM_RSRC2:USER_SGPR: 2
; COMPUTE_PGM_RSRC2:TRAP_HANDLER: 0
; COMPUTE_PGM_RSRC2:TGID_X_EN: 1
; COMPUTE_PGM_RSRC2:TGID_Y_EN: 1
; COMPUTE_PGM_RSRC2:TGID_Z_EN: 0
; COMPUTE_PGM_RSRC2:TIDIG_COMP_CNT: 0
; COMPUTE_PGM_RSRC3_GFX90A:ACCUM_OFFSET: 23
; COMPUTE_PGM_RSRC3_GFX90A:TG_SPLIT: 0
	.section	.text._Z25selective_scan_fwd_kernelI32Selective_Scan_fwd_kernel_traitsILi64ELi16ELi1ELb0ELb1ELb1ELb1ELb0EN3c104HalfEffEEv13SSMParamsBase,"axG",@progbits,_Z25selective_scan_fwd_kernelI32Selective_Scan_fwd_kernel_traitsILi64ELi16ELi1ELb0ELb1ELb1ELb1ELb0EN3c104HalfEffEEv13SSMParamsBase,comdat
	.protected	_Z25selective_scan_fwd_kernelI32Selective_Scan_fwd_kernel_traitsILi64ELi16ELi1ELb0ELb1ELb1ELb1ELb0EN3c104HalfEffEEv13SSMParamsBase ; -- Begin function _Z25selective_scan_fwd_kernelI32Selective_Scan_fwd_kernel_traitsILi64ELi16ELi1ELb0ELb1ELb1ELb1ELb0EN3c104HalfEffEEv13SSMParamsBase
	.globl	_Z25selective_scan_fwd_kernelI32Selective_Scan_fwd_kernel_traitsILi64ELi16ELi1ELb0ELb1ELb1ELb1ELb0EN3c104HalfEffEEv13SSMParamsBase
	.p2align	8
	.type	_Z25selective_scan_fwd_kernelI32Selective_Scan_fwd_kernel_traitsILi64ELi16ELi1ELb0ELb1ELb1ELb1ELb0EN3c104HalfEffEEv13SSMParamsBase,@function
_Z25selective_scan_fwd_kernelI32Selective_Scan_fwd_kernel_traitsILi64ELi16ELi1ELb0ELb1ELb1ELb1ELb0EN3c104HalfEffEEv13SSMParamsBase: ; @_Z25selective_scan_fwd_kernelI32Selective_Scan_fwd_kernel_traitsILi64ELi16ELi1ELb0ELb1ELb1ELb1ELb0EN3c104HalfEffEEv13SSMParamsBase
; %bb.0:
	s_load_dword s36, s[0:1], 0x18
	s_load_dwordx4 s[4:7], s[0:1], 0xe8
	s_mov_b32 s28, s3
                                        ; implicit-def: $vgpr95 : SGPR spill to VGPR lane
	s_waitcnt lgkmcnt(0)
	s_abs_i32 s33, s36
	v_cvt_f32_u32_e32 v1, s33
	s_cmp_eq_u64 s[6:7], 0
	v_rcp_iflag_f32_e32 v1, v1
	s_nop 0
	v_mul_f32_e32 v1, 0x4f7ffffe, v1
	v_cvt_u32_f32_e32 v1, v1
	s_nop 0
	v_readfirstlane_b32 s24, v1
	s_cbranch_scc1 .LBB117_2
; %bb.1:
	s_ashr_i32 s3, s2, 31
	s_add_u32 s6, s6, s2
	s_addc_u32 s7, s7, s3
	v_mov_b32_e32 v1, 0
	global_load_ubyte v1, v1, s[6:7]
	s_waitcnt vmcnt(0)
	v_and_b32_e32 v1, 1, v1
	v_cmp_eq_u32_e64 s[6:7], 1, v1
	s_branch .LBB117_3
.LBB117_2:
	s_mov_b64 s[6:7], 0
.LBB117_3:
	s_nop 0
	v_writelane_b32 v95, s6, 0
	s_cmp_eq_u64 s[4:5], 0
	s_nop 0
	v_writelane_b32 v95, s7, 1
	s_load_dwordx2 s[6:7], s[0:1], 0x20
	s_cbranch_scc1 .LBB117_5
; %bb.4:
	s_ashr_i32 s3, s2, 31
	s_lshl_b64 s[8:9], s[2:3], 2
	s_add_u32 s4, s4, s8
	s_addc_u32 s5, s5, s9
	s_load_dword s34, s[4:5], 0x0
	s_waitcnt lgkmcnt(0)
	s_ashr_i32 s35, s34, 31
	s_cmp_eq_u64 s[6:7], s[34:35]
	s_cbranch_scc0 .LBB117_6
	s_branch .LBB117_298
.LBB117_5:
	s_mov_b32 s34, s2
	s_ashr_i32 s35, s34, 31
	s_waitcnt lgkmcnt(0)
	s_cmp_eq_u64 s[6:7], s[34:35]
	s_cbranch_scc1 .LBB117_298
.LBB117_6:
	s_load_dwordx16 s[4:19], s[0:1], 0x88
	s_load_dwordx2 s[38:39], s[0:1], 0x8
	s_mov_b32 s3, 0
	v_writelane_b32 v95, s3, 2
	v_writelane_b32 v95, s3, 3
	s_waitcnt lgkmcnt(0)
	s_cmp_eq_u64 s[10:11], 0
	s_cbranch_scc1 .LBB117_8
; %bb.7:
	s_ashr_i32 s29, s28, 31
	s_lshl_b64 s[20:21], s[28:29], 2
	s_add_u32 s10, s10, s20
	s_addc_u32 s11, s11, s21
	s_load_dword s3, s[10:11], 0x0
	s_waitcnt lgkmcnt(0)
	v_writelane_b32 v95, s3, 3
.LBB117_8:
	s_cmp_eq_u64 s[16:17], 0
	s_cbranch_scc1 .LBB117_10
; %bb.9:
	s_ashr_i32 s29, s28, 31
	s_lshl_b64 s[10:11], s[28:29], 2
	s_add_u32 s10, s16, s10
	s_addc_u32 s11, s17, s11
	s_load_dword s3, s[10:11], 0x0
	s_waitcnt lgkmcnt(0)
	v_writelane_b32 v95, s3, 2
.LBB117_10:
	s_cmp_lt_i32 s38, 1
	s_cbranch_scc1 .LBB117_298
; %bb.11:
	v_mbcnt_lo_u32_b32 v1, -1, 0
	v_mbcnt_hi_u32_b32 v20, -1, v1
	v_lshrrev_b32_e32 v1, 5, v20
	s_sub_i32 s3, 0, s33
	v_and_b32_e32 v1, 2, v1
	s_mul_i32 s3, s3, s24
	v_add_u32_e32 v1, v1, v20
	s_mul_hi_u32 s3, s24, s3
	v_add_u32_e32 v2, 64, v20
	v_lshl_add_u32 v1, v1, 1, 0
	s_load_dwordx8 s[40:47], s[0:1], 0x2c
	s_load_dwordx2 s[10:11], s[0:1], 0x7c
	s_load_dwordx4 s[20:23], s[0:1], 0x6c
	s_load_dwordx8 s[48:55], s[0:1], 0x4c
	s_load_dwordx2 s[30:31], s[0:1], 0xd8
	s_add_i32 s3, s24, s3
	s_load_dwordx4 s[24:27], s[0:1], 0xc8
	s_load_dword s87, s[0:1], 0x84
	scratch_store_dword off, v1, off        ; 4-byte Folded Spill
	scratch_store_dword off, v2, off offset:180 ; 4-byte Folded Spill
	v_lshrrev_b32_e32 v1, 5, v2
	v_and_b32_e32 v1, 6, v1
	v_add_lshl_u32 v1, v1, v20, 1
	v_or_b32_e32 v3, 0x80, v20
	v_add_u32_e32 v2, 0, v1
	scratch_store_dword off, v2, off offset:8 ; 4-byte Folded Spill
	scratch_store_dword off, v3, off offset:184 ; 4-byte Folded Spill
	v_lshrrev_b32_e32 v2, 5, v3
	s_abs_i32 s16, s28
	v_and_b32_e32 v2, 6, v2
	s_mul_hi_u32 s3, s16, s3
	s_load_dword s17, s[0:1], 0x28
	s_ashr_i32 s0, s28, 31
	s_ashr_i32 s1, s36, 31
	v_add_lshl_u32 v2, v2, v20, 1
	s_xor_b32 s0, s0, s1
	s_mul_i32 s1, s3, s33
	v_add_u32_e32 v4, 0xc0, v20
	v_add_u32_e32 v3, 0, v2
	s_sub_i32 s1, s16, s1
	scratch_store_dword off, v3, off offset:12 ; 4-byte Folded Spill
	scratch_store_dword off, v4, off offset:188 ; 4-byte Folded Spill
	v_lshrrev_b32_e32 v3, 5, v4
	s_add_i32 s16, s3, 1
	s_sub_i32 s29, s1, s33
	v_and_b32_e32 v3, 14, v3
	s_cmp_ge_u32 s1, s33
	v_add_lshl_u32 v3, v3, v20, 1
	s_cselect_b32 s3, s16, s3
	v_or_b32_e32 v5, 0x100, v20
	v_add_u32_e32 v4, 0, v3
	s_cselect_b32 s1, s29, s1
	s_add_i32 s16, s3, 1
	scratch_store_dword off, v4, off offset:16 ; 4-byte Folded Spill
	scratch_store_dword off, v5, off offset:192 ; 4-byte Folded Spill
	v_lshrrev_b32_e32 v4, 5, v5
	s_cmp_ge_u32 s1, s33
	v_and_b32_e32 v4, 10, v4
	s_cselect_b32 s1, s16, s3
	v_add_lshl_u32 v4, v4, v20, 1
	s_xor_b32 s1, s1, s0
	s_waitcnt lgkmcnt(0)
	s_mul_i32 s88, s50, s2
	s_mov_b32 s89, 0
	v_add_u32_e32 v6, 0x140, v20
	v_add_u32_e32 v5, 0, v4
	s_sub_i32 s3, s1, s0
	s_lshl_b64 s[0:1], s[88:89], 1
	scratch_store_dword off, v5, off offset:20 ; 4-byte Folded Spill
	scratch_store_dword off, v6, off offset:196 ; 4-byte Folded Spill
	v_lshrrev_b32_e32 v5, 5, v6
	s_add_u32 s12, s12, s0
	s_mul_i32 s88, s51, s28
	v_and_b32_e32 v5, 14, v5
	s_addc_u32 s13, s13, s1
	s_lshl_b64 s[0:1], s[88:89], 1
	v_add_lshl_u32 v5, v5, v20, 1
	s_add_u32 s36, s12, s0
	s_mul_i32 s88, s52, s2
	v_or_b32_e32 v7, 0x180, v20
	v_add_u32_e32 v6, 0, v5
	s_addc_u32 s37, s13, s1
	s_lshl_b64 s[0:1], s[88:89], 1
	scratch_store_dword off, v6, off offset:24 ; 4-byte Folded Spill
	scratch_store_dword off, v7, off offset:200 ; 4-byte Folded Spill
	v_lshrrev_b32_e32 v6, 5, v7
	s_add_u32 s12, s14, s0
	s_mul_i32 s88, s53, s28
	v_and_b32_e32 v6, 14, v6
	s_addc_u32 s13, s15, s1
	s_lshl_b64 s[0:1], s[88:89], 1
	v_add_lshl_u32 v6, v6, v20, 1
	s_add_u32 s0, s12, s0
	v_add_u32_e32 v8, 0x1c0, v20
	v_add_u32_e32 v7, 0, v6
	s_addc_u32 s1, s13, s1
	scratch_store_dword off, v7, off offset:28 ; 4-byte Folded Spill
	scratch_store_dword off, v8, off offset:204 ; 4-byte Folded Spill
	v_lshrrev_b32_e32 v7, 5, v8
	v_writelane_b32 v95, s0, 4
	s_mul_i32 s88, s40, s28
	v_and_b32_e32 v7, 30, v7
	v_writelane_b32 v95, s1, 5
	s_lshl_b64 s[0:1], s[88:89], 2
	v_add_lshl_u32 v7, v7, v20, 1
	s_add_u32 s0, s4, s0
	v_or_b32_e32 v9, 0x200, v20
	v_add_u32_e32 v8, 0, v7
	v_writelane_b32 v95, s0, 6
	s_addc_u32 s0, s5, s1
	s_mul_i32 s88, s42, s2
	scratch_store_dword off, v8, off offset:32 ; 4-byte Folded Spill
	scratch_store_dword off, v9, off offset:208 ; 4-byte Folded Spill
	v_lshrrev_b32_e32 v8, 5, v9
	v_writelane_b32 v95, s0, 7
	s_lshl_b64 s[0:1], s[88:89], 1
	v_and_b32_e32 v8, 18, v8
	s_add_u32 s4, s6, s0
	s_mul_i32 s88, s3, s45
	v_add_lshl_u32 v8, v8, v20, 1
	s_addc_u32 s5, s7, s1
	s_lshl_b64 s[0:1], s[88:89], 1
	v_add_u32_e32 v10, 0x240, v20
	v_add_u32_e32 v9, 0, v8
	s_add_u32 s0, s4, s0
	scratch_store_dword off, v9, off offset:36 ; 4-byte Folded Spill
	scratch_store_dword off, v10, off offset:212 ; 4-byte Folded Spill
	v_lshrrev_b32_e32 v9, 5, v10
	s_addc_u32 s1, s5, s1
	v_and_b32_e32 v9, 22, v9
	v_writelane_b32 v95, s0, 8
	v_add_lshl_u32 v9, v9, v20, 1
	v_or_b32_e32 v11, 0x280, v20
	v_writelane_b32 v95, s1, 9
	v_add_u32_e32 v10, 0, v9
	v_writelane_b32 v95, s40, 10
	scratch_store_dword off, v10, off offset:40 ; 4-byte Folded Spill
	scratch_store_dword off, v11, off offset:216 ; 4-byte Folded Spill
	v_lshrrev_b32_e32 v10, 5, v11
	v_writelane_b32 v95, s41, 11
	v_and_b32_e32 v10, 22, v10
	v_writelane_b32 v95, s42, 12
	s_mul_i32 s88, s46, s2
	v_add_lshl_u32 v10, v10, v20, 1
	v_writelane_b32 v95, s43, 13
	s_lshl_b64 s[0:1], s[88:89], 1
	v_add_u32_e32 v12, 0x2c0, v20
	v_add_u32_e32 v11, 0, v10
	v_writelane_b32 v95, s44, 14
	s_add_u32 s4, s8, s0
	s_mul_i32 s88, s3, s49
	scratch_store_dword off, v11, off offset:44 ; 4-byte Folded Spill
	scratch_store_dword off, v12, off offset:220 ; 4-byte Folded Spill
	v_lshrrev_b32_e32 v11, 5, v12
	v_writelane_b32 v95, s45, 15
	s_addc_u32 s5, s9, s1
	s_lshl_b64 s[0:1], s[88:89], 1
	v_and_b32_e32 v11, 30, v11
	v_writelane_b32 v95, s46, 16
	s_add_u32 s0, s4, s0
	v_add_lshl_u32 v11, v11, v20, 1
	v_writelane_b32 v95, s47, 17
	s_addc_u32 s1, s5, s1
	v_or_b32_e32 v13, 0x300, v20
	v_add_u32_e32 v12, 0, v11
	v_writelane_b32 v95, s0, 18
	s_mul_i32 s88, s34, s10
	scratch_store_dword off, v12, off offset:48 ; 4-byte Folded Spill
	scratch_store_dword off, v13, off offset:224 ; 4-byte Folded Spill
	v_lshrrev_b32_e32 v12, 5, v13
	v_writelane_b32 v95, s1, 19
	s_lshl_b64 s[0:1], s[88:89], 2
	v_and_b32_e32 v12, 26, v12
	s_add_u32 s3, s24, s0
	s_mul_i32 s88, s11, s28
	v_add_lshl_u32 v12, v12, v20, 1
	s_addc_u32 s4, s25, s1
	s_lshl_b64 s[0:1], s[88:89], 2
	v_add_u32_e32 v14, 0x340, v20
	v_add_u32_e32 v13, 0, v12
	s_add_u32 s0, s3, s0
	scratch_store_dword off, v13, off offset:52 ; 4-byte Folded Spill
	scratch_store_dword off, v14, off offset:228 ; 4-byte Folded Spill
	v_lshrrev_b32_e32 v13, 5, v14
	v_writelane_b32 v95, s0, 20
	s_addc_u32 s0, s4, s1
	v_and_b32_e32 v13, 30, v13
	v_writelane_b32 v95, s0, 21
	s_add_i32 s0, s38, 0x7ff
	v_add_lshl_u32 v13, v13, v20, 1
	s_lshr_b32 s1, s0, 11
	v_or_b32_e32 v15, 0x380, v20
	v_add_u32_e32 v14, 0, v13
	scratch_store_dword off, v14, off offset:56 ; 4-byte Folded Spill
	scratch_store_dword off, v15, off offset:232 ; 4-byte Folded Spill
	v_lshrrev_b32_e32 v14, 5, v15
	s_bitcmp1_b32 s17, 0
	v_and_b32_e32 v14, 30, v14
	s_cselect_b64 s[6:7], -1, 0
	s_cmp_gt_i32 s39, 0
	v_add_lshl_u32 v14, v14, v20, 1
	s_cselect_b64 s[4:5], -1, 0
	s_add_i32 s0, 0, 0x840
	v_add_u32_e32 v15, 0, v14
	v_add_u32_e32 v1, s0, v1
	;; [unrolled: 1-line block ×3, first 2 shown]
	scratch_store_dword off, v15, off offset:60 ; 4-byte Folded Spill
	scratch_store_dword off, v16, off offset:236 ; 4-byte Folded Spill
	;; [unrolled: 1-line block ×3, first 2 shown]
	v_add_u32_e32 v1, s0, v2
	scratch_store_dword off, v1, off offset:100 ; 4-byte Folded Spill
	v_add_u32_e32 v1, s0, v3
	scratch_store_dword off, v1, off offset:104 ; 4-byte Folded Spill
	v_add_u32_e32 v1, s0, v4
	scratch_store_dword off, v1, off offset:108 ; 4-byte Folded Spill
	v_add_u32_e32 v1, s0, v5
	scratch_store_dword off, v1, off offset:112 ; 4-byte Folded Spill
	v_add_u32_e32 v1, s0, v6
	scratch_store_dword off, v1, off offset:116 ; 4-byte Folded Spill
	v_add_u32_e32 v1, s0, v7
	scratch_store_dword off, v1, off offset:120 ; 4-byte Folded Spill
	v_add_u32_e32 v1, s0, v8
	scratch_store_dword off, v1, off offset:124 ; 4-byte Folded Spill
	v_add_u32_e32 v1, s0, v9
	v_lshrrev_b32_e32 v15, 5, v16
	scratch_store_dword off, v1, off offset:128 ; 4-byte Folded Spill
	v_add_u32_e32 v1, s0, v10
	v_and_b32_e32 v15, 62, v15
	scratch_store_dword off, v1, off offset:132 ; 4-byte Folded Spill
	v_add_u32_e32 v1, s0, v11
	v_add_lshl_u32 v15, v15, v20, 1
	scratch_store_dword off, v1, off offset:136 ; 4-byte Folded Spill
	v_add_u32_e32 v1, s0, v12
	v_add_u32_e32 v16, 0, v15
	v_lshrrev_b32_e32 v18, 1, v20
	scratch_store_dword off, v1, off offset:140 ; 4-byte Folded Spill
	v_add_u32_e32 v1, s0, v13
	scratch_store_dword off, v16, off offset:64 ; 4-byte Folded Spill
	v_lshlrev_b32_e32 v16, 4, v20
	v_and_b32_e32 v18, 62, v18
	v_writelane_b32 v95, s4, 22
	scratch_store_dword off, v1, off offset:144 ; 4-byte Folded Spill
	v_add_u32_e32 v1, s0, v14
	v_add_lshl_u32 v16, v18, v16, 1
	v_writelane_b32 v95, s5, 23
	scratch_store_dword off, v1, off offset:148 ; 4-byte Folded Spill
	v_add_u32_e32 v1, s0, v15
	scratch_store_dword off, v1, off offset:152 ; 4-byte Folded Spill
	v_add_u32_e32 v1, s0, v16
	v_writelane_b32 v95, s38, 24
	s_and_b32 s0, s38, 0x3ff
	s_cmp_eq_u32 s0, 0
	v_writelane_b32 v95, s39, 25
	s_cselect_b64 s[4:5], -1, 0
	scratch_store_dword off, v1, off offset:156 ; 4-byte Folded Spill
	v_writelane_b32 v95, s4, 26
	v_and_b32_e32 v1, 15, v20
	s_mul_i32 s88, s20, s2
	v_writelane_b32 v95, s5, 27
	v_cmp_ne_u32_e64 s[4:5], 0, v1
	s_add_i32 s0, s1, -1
	v_cmp_lt_u32_e64 s[84:85], 3, v1
	v_writelane_b32 v95, s4, 28
	v_and_b32_e32 v2, 64, v20
	v_lshlrev_b32_e32 v19, 4, v0
	v_writelane_b32 v95, s5, 29
	v_writelane_b32 v95, s1, 30
	s_lshl_b64 s[4:5], s[88:89], 1
	v_writelane_b32 v95, s0, 31
	s_add_u32 s0, s18, s4
	s_addc_u32 s1, s19, s5
	v_cmp_lt_u32_e64 s[4:5], 1, v1
	s_mul_i32 s88, s21, s28
	s_lshl_b64 s[16:17], s[88:89], 1
	v_writelane_b32 v95, s4, 32
	s_add_u32 s18, s0, s16
	s_mul_i32 s88, s54, s2
	v_writelane_b32 v95, s5, 33
	v_cmp_lt_u32_e64 s[4:5], 7, v1
	v_and_b32_e32 v1, 16, v20
	s_addc_u32 s19, s1, s17
	v_writelane_b32 v95, s4, 34
	s_lshl_b64 s[16:17], s[88:89], 1
	s_add_u32 s0, s26, s16
	v_writelane_b32 v95, s5, 35
	v_cmp_ne_u32_e64 s[4:5], 0, v1
	v_add_u32_e32 v1, -1, v20
	v_cmp_lt_i32_e32 vcc, v1, v2
	v_writelane_b32 v95, s4, 36
	v_cmp_gt_u32_e64 s[14:15], 64, v0
	v_cndmask_b32_e32 v1, v1, v20, vcc
	v_writelane_b32 v95, s5, 37
	v_cmp_eq_u32_e64 s[4:5], 63, v0
	v_lshlrev_b32_e32 v1, 2, v1
	s_addc_u32 s1, s27, s17
	v_cmp_eq_u32_e64 s[16:17], 0, v0
	v_mov_b32_e32 v0, v20
	scratch_store_dwordx2 off, v[0:1], off offset:172 ; 8-byte Folded Spill
	v_or_b32_e32 v0, 1, v19
	scratch_store_dword off, v0, off offset:268 ; 4-byte Folded Spill
	v_or_b32_e32 v0, 2, v19
	scratch_store_dword off, v0, off offset:272 ; 4-byte Folded Spill
	;; [unrolled: 2-line block ×5, first 2 shown]
	v_or_b32_e32 v0, 6, v19
	v_writelane_b32 v95, s4, 38
	scratch_store_dword off, v0, off offset:288 ; 4-byte Folded Spill
                                        ; implicit-def: $vgpr0
	v_add_u32_e32 v18, 0, v16
	v_writelane_b32 v95, s5, 39
	v_or_b32_e32 v0, 7, v19
	v_writelane_b32 v95, s48, 40
	s_mul_i32 s88, s55, s28
	scratch_store_dword off, v0, off offset:292 ; 4-byte Folded Spill
	v_or_b32_e32 v0, 8, v19
	v_writelane_b32 v95, s49, 41
	s_lshl_b64 s[20:21], s[88:89], 1
	scratch_store_dword off, v0, off offset:296 ; 4-byte Folded Spill
	v_or_b32_e32 v0, 9, v19
	v_writelane_b32 v95, s50, 42
	s_add_u32 s20, s0, s20
	s_mul_i32 s88, s22, s2
	scratch_store_dword off, v0, off offset:300 ; 4-byte Folded Spill
	v_or_b32_e32 v0, 10, v19
	v_writelane_b32 v95, s51, 43
	s_addc_u32 s21, s1, s21
	s_lshl_b64 s[2:3], s[88:89], 1
	scratch_store_dword off, v0, off offset:304 ; 4-byte Folded Spill
	v_or_b32_e32 v0, 11, v19
	v_writelane_b32 v95, s52, 44
	s_add_u32 s0, s30, s2
	s_mul_i32 s88, s23, s28
	scratch_store_dword off, v0, off offset:308 ; 4-byte Folded Spill
	v_or_b32_e32 v0, 12, v19
	v_writelane_b32 v95, s53, 45
	s_addc_u32 s1, s31, s3
	s_lshl_b64 s[2:3], s[88:89], 1
	scratch_store_dword off, v0, off offset:312 ; 4-byte Folded Spill
	v_or_b32_e32 v0, 13, v19
	v_writelane_b32 v95, s54, 46
	s_add_u32 s2, s0, s2
	scratch_store_dword off, v0, off offset:316 ; 4-byte Folded Spill
	v_or_b32_e32 v0, 14, v19
	v_mov_b32_e32 v17, 0
	scratch_store_dword off, v18, off offset:4 ; 4-byte Folded Spill
	scratch_store_dword off, v1, off offset:160 ; 4-byte Folded Spill
	v_lshlrev_b32_e32 v16, 1, v20
	v_writelane_b32 v95, s55, 47
	s_addc_u32 s3, s1, s3
	s_add_i32 s0, 0, 0x1088
	scratch_store_dword off, v0, off offset:320 ; 4-byte Folded Spill
	scratch_store_dword off, v19, off offset:264 ; 4-byte Folded Spill
	v_or_b32_e32 v0, 15, v19
	v_writelane_b32 v95, s0, 48
	scratch_store_dword off, v0, off offset:324 ; 4-byte Folded Spill
	v_lshl_add_u64 v[0:1], s[18:19], 0, v[16:17]
	scratch_store_dwordx2 off, v[0:1], off offset:240 ; 8-byte Folded Spill
	v_lshl_add_u64 v[0:1], s[20:21], 0, v[16:17]
	v_writelane_b32 v95, s87, 49
	scratch_store_dwordx2 off, v[0:1], off offset:248 ; 8-byte Folded Spill
	v_lshl_add_u64 v[0:1], s[2:3], 0, v[16:17]
	v_writelane_b32 v95, s6, 50
	v_cmp_lt_u32_e64 s[12:13], 31, v20
	s_mov_b32 s4, 0x41a00000
	s_mov_b32 s5, 0x3fb8aa3b
	s_mov_b32 s8, 0xc2ce8ed0
	s_mov_b32 s9, 0x42b17218
	s_mov_b32 s10, 0x7f800000
	s_mov_b32 s11, 0x3f2aaaab
	s_mov_b32 s33, 0x3f317218
	s_mov_b32 s54, 0x33800000
	s_mov_b32 s91, 0xc2fc0000
	s_mov_b32 s1, 0
	v_mov_b32_e32 v39, 0x7f800000
	v_mov_b32_e32 v20, 0x42800000
	;; [unrolled: 1-line block ×3, first 2 shown]
	scratch_store_dwordx2 off, v[0:1], off offset:256 ; 8-byte Folded Spill
	v_mov_b32_e32 v0, 0x3f317218
	v_writelane_b32 v95, s7, 51
	scratch_store_dwordx2 off, v[0:1], off offset:164 ; 8-byte Folded Spill
	s_branch .LBB117_13
.LBB117_12:                             ;   in Loop: Header=BB117_13 Depth=1
	s_or_b64 exec, exec, s[2:3]
	v_readlane_b32 s0, v95, 4
	v_readlane_b32 s1, v95, 5
	s_add_u32 s0, s0, 0x800
	s_addc_u32 s1, s1, 0
	v_writelane_b32 v95, s0, 4
	s_nop 1
	v_writelane_b32 v95, s1, 5
	s_nop 0
	v_readlane_b32 s36, v95, 55
	v_readlane_b32 s37, v95, 56
	s_add_u32 s36, s36, 0x800
	s_addc_u32 s37, s37, 0
	v_readlane_b32 s0, v95, 8
	v_readlane_b32 s1, v95, 9
	s_add_u32 s0, s0, 0x800
	s_addc_u32 s1, s1, 0
	v_writelane_b32 v95, s0, 8
	s_nop 1
	v_writelane_b32 v95, s1, 9
	s_nop 0
	v_readlane_b32 s0, v95, 18
	v_readlane_b32 s1, v95, 19
	s_add_u32 s0, s0, 0x800
	s_addc_u32 s1, s1, 0
	v_writelane_b32 v95, s0, 18
	s_nop 1
	v_writelane_b32 v95, s1, 19
	s_nop 0
	v_readlane_b32 s1, v95, 52
	s_add_i32 s1, s1, 1
	v_readlane_b32 s0, v95, 30
	s_cmp_lg_u32 s1, s0
	s_cbranch_scc0 .LBB117_298
.LBB117_13:                             ; =>This Loop Header: Depth=1
                                        ;     Child Loop BB117_110 Depth 2
	s_waitcnt lgkmcnt(0)
	; wave barrier
	s_waitcnt vmcnt(63) expcnt(7) lgkmcnt(15)
	scratch_load_dwordx2 v[0:1], off, off offset:172 ; 8-byte Folded Reload
	v_writelane_b32 v95, s1, 52
	s_lshl_b32 s18, s1, 10
	v_readlane_b32 s0, v95, 24
	s_mov_b32 s2, s18
	v_readlane_b32 s1, v95, 25
	v_writelane_b32 v95, s2, 53
	s_sub_i32 s82, s0, s18
	s_waitcnt vmcnt(0) lgkmcnt(0)
	v_mov_b32_e32 v2, v0
	v_writelane_b32 v95, s3, 54
	v_lshlrev_b32_e32 v16, 1, v2
	v_writelane_b32 v95, s36, 55
	v_cmp_gt_u32_e64 s[18:19], s82, v2
	v_mov_b32_e32 v2, 0
	v_writelane_b32 v95, s37, 56
	v_lshl_add_u64 v[0:1], s[36:37], 0, v[16:17]
	s_and_saveexec_b64 s[2:3], s[18:19]
	s_cbranch_execz .LBB117_15
; %bb.14:                               ;   in Loop: Header=BB117_13 Depth=1
	global_load_ushort v2, v[0:1], off
.LBB117_15:                             ;   in Loop: Header=BB117_13 Depth=1
	s_or_b64 exec, exec, s[2:3]
	scratch_load_dword v3, off, off offset:180 ; 4-byte Folded Reload
	v_mov_b32_e32 v4, 0
	s_waitcnt vmcnt(0)
	v_cmp_gt_u32_e64 s[20:21], s82, v3
	v_mov_b32_e32 v3, 0
	s_and_saveexec_b64 s[2:3], s[20:21]
	s_cbranch_execz .LBB117_17
; %bb.16:                               ;   in Loop: Header=BB117_13 Depth=1
	global_load_ushort v4, v[0:1], off offset:128
.LBB117_17:                             ;   in Loop: Header=BB117_13 Depth=1
	s_or_b64 exec, exec, s[2:3]
	scratch_load_dword v5, off, off offset:184 ; 4-byte Folded Reload
	s_waitcnt vmcnt(0)
	v_cmp_gt_u32_e64 s[22:23], s82, v5
	s_and_saveexec_b64 s[2:3], s[22:23]
	s_cbranch_execz .LBB117_19
; %bb.18:                               ;   in Loop: Header=BB117_13 Depth=1
	global_load_ushort v3, v[0:1], off offset:256
.LBB117_19:                             ;   in Loop: Header=BB117_13 Depth=1
	s_or_b64 exec, exec, s[2:3]
	scratch_load_dword v5, off, off offset:188 ; 4-byte Folded Reload
	v_mov_b32_e32 v6, 0
	s_waitcnt vmcnt(0)
	v_cmp_gt_u32_e64 s[24:25], s82, v5
	v_mov_b32_e32 v5, 0
	s_and_saveexec_b64 s[2:3], s[24:25]
	s_cbranch_execz .LBB117_21
; %bb.20:                               ;   in Loop: Header=BB117_13 Depth=1
	global_load_ushort v6, v[0:1], off offset:384
.LBB117_21:                             ;   in Loop: Header=BB117_13 Depth=1
	s_or_b64 exec, exec, s[2:3]
	scratch_load_dword v7, off, off offset:192 ; 4-byte Folded Reload
	s_waitcnt vmcnt(0)
	v_cmp_gt_u32_e64 s[26:27], s82, v7
	s_and_saveexec_b64 s[2:3], s[26:27]
	s_cbranch_execz .LBB117_23
; %bb.22:                               ;   in Loop: Header=BB117_13 Depth=1
	global_load_ushort v5, v[0:1], off offset:512
.LBB117_23:                             ;   in Loop: Header=BB117_13 Depth=1
	;; [unrolled: 20-line block ×4, first 2 shown]
	s_or_b64 exec, exec, s[2:3]
	scratch_load_dword v10, off, off offset:212 ; 4-byte Folded Reload
	v_mov_b32_e32 v12, 0
	v_mov_b32_e32 v13, 0
	s_waitcnt vmcnt(0)
	v_cmp_gt_u32_e64 s[38:39], s82, v10
	s_and_saveexec_b64 s[2:3], s[38:39]
	s_cbranch_execz .LBB117_33
; %bb.32:                               ;   in Loop: Header=BB117_13 Depth=1
	global_load_ushort v13, v[0:1], off offset:1152
.LBB117_33:                             ;   in Loop: Header=BB117_13 Depth=1
	s_or_b64 exec, exec, s[2:3]
	scratch_load_dword v10, off, off offset:216 ; 4-byte Folded Reload
	s_waitcnt vmcnt(0)
	v_cmp_gt_u32_e64 s[40:41], s82, v10
	s_and_saveexec_b64 s[2:3], s[40:41]
	s_cbranch_execz .LBB117_35
; %bb.34:                               ;   in Loop: Header=BB117_13 Depth=1
	global_load_ushort v12, v[0:1], off offset:1280
.LBB117_35:                             ;   in Loop: Header=BB117_13 Depth=1
	s_or_b64 exec, exec, s[2:3]
	scratch_load_dword v10, off, off offset:220 ; 4-byte Folded Reload
	v_mov_b32_e32 v14, 0
	v_mov_b32_e32 v15, 0
	s_waitcnt vmcnt(0)
	v_cmp_gt_u32_e64 s[42:43], s82, v10
	s_and_saveexec_b64 s[2:3], s[42:43]
	s_cbranch_execz .LBB117_37
; %bb.36:                               ;   in Loop: Header=BB117_13 Depth=1
	global_load_ushort v15, v[0:1], off offset:1408
.LBB117_37:                             ;   in Loop: Header=BB117_13 Depth=1
	s_or_b64 exec, exec, s[2:3]
	scratch_load_dword v10, off, off offset:224 ; 4-byte Folded Reload
	s_waitcnt vmcnt(0)
	v_cmp_gt_u32_e64 s[44:45], s82, v10
	s_and_saveexec_b64 s[2:3], s[44:45]
	s_cbranch_execz .LBB117_39
; %bb.38:                               ;   in Loop: Header=BB117_13 Depth=1
	global_load_ushort v14, v[0:1], off offset:1536
.LBB117_39:                             ;   in Loop: Header=BB117_13 Depth=1
	;; [unrolled: 20-line block ×3, first 2 shown]
	s_or_b64 exec, exec, s[2:3]
	scratch_load_dword v10, off, off offset:236 ; 4-byte Folded Reload
	v_mov_b32_e32 v22, 0
	s_waitcnt vmcnt(0)
	v_cmp_gt_u32_e64 s[50:51], s82, v10
	v_mov_b32_e32 v10, 0
	s_and_saveexec_b64 s[2:3], s[50:51]
	s_cbranch_execz .LBB117_45
; %bb.44:                               ;   in Loop: Header=BB117_13 Depth=1
	global_load_ushort v22, v[0:1], off offset:1920
.LBB117_45:                             ;   in Loop: Header=BB117_13 Depth=1
	s_or_b64 exec, exec, s[2:3]
	scratch_load_dword v0, off, off         ; 4-byte Folded Reload
	v_readlane_b32 s0, v95, 4
	v_readlane_b32 s1, v95, 5
	s_waitcnt vmcnt(0)
	ds_write_b16 v0, v2
	scratch_load_dword v0, off, off offset:8 ; 4-byte Folded Reload
	s_waitcnt vmcnt(0)
	ds_write_b16 v0, v4 offset:128
	scratch_load_dword v0, off, off offset:12 ; 4-byte Folded Reload
	s_waitcnt vmcnt(0)
	ds_write_b16 v0, v3 offset:256
	;; [unrolled: 3-line block ×8, first 2 shown]
	scratch_load_dword v0, off, off offset:40 ; 4-byte Folded Reload
	v_lshl_add_u64 v[8:9], s[0:1], 0, v[16:17]
	s_waitcnt vmcnt(0)
	ds_write_b16 v0, v13 offset:1152
	scratch_load_dword v0, off, off offset:44 ; 4-byte Folded Reload
	s_waitcnt vmcnt(0)
	ds_write_b16 v0, v12 offset:1280
	scratch_load_dword v0, off, off offset:48 ; 4-byte Folded Reload
	;; [unrolled: 3-line block ×6, first 2 shown]
	s_waitcnt vmcnt(0)
	ds_write_b16 v0, v22 offset:1920
	; wave barrier
	scratch_load_dword v4, off, off offset:4 ; 4-byte Folded Reload
	s_waitcnt vmcnt(0)
	ds_read_b128 v[0:3], v4
	ds_read_b128 v[4:7], v4 offset:16
	s_waitcnt lgkmcnt(0)
	; wave barrier
	s_waitcnt lgkmcnt(0)
	s_and_saveexec_b64 s[2:3], s[18:19]
	s_cbranch_execz .LBB117_47
; %bb.46:                               ;   in Loop: Header=BB117_13 Depth=1
	global_load_ushort v10, v[8:9], off
.LBB117_47:                             ;   in Loop: Header=BB117_13 Depth=1
	s_or_b64 exec, exec, s[2:3]
	v_mov_b32_e32 v11, 0
	v_mov_b32_e32 v12, 0
	s_and_saveexec_b64 s[2:3], s[20:21]
	s_cbranch_execz .LBB117_49
; %bb.48:                               ;   in Loop: Header=BB117_13 Depth=1
	global_load_ushort v12, v[8:9], off offset:128
.LBB117_49:                             ;   in Loop: Header=BB117_13 Depth=1
	s_or_b64 exec, exec, s[2:3]
	s_and_saveexec_b64 s[2:3], s[22:23]
	s_cbranch_execz .LBB117_51
; %bb.50:                               ;   in Loop: Header=BB117_13 Depth=1
	global_load_ushort v11, v[8:9], off offset:256
.LBB117_51:                             ;   in Loop: Header=BB117_13 Depth=1
	s_or_b64 exec, exec, s[2:3]
	v_mov_b32_e32 v13, 0
	v_mov_b32_e32 v14, 0
	s_and_saveexec_b64 s[2:3], s[24:25]
	s_cbranch_execz .LBB117_53
; %bb.52:                               ;   in Loop: Header=BB117_13 Depth=1
	global_load_ushort v14, v[8:9], off offset:384
.LBB117_53:                             ;   in Loop: Header=BB117_13 Depth=1
	s_or_b64 exec, exec, s[2:3]
	s_and_saveexec_b64 s[2:3], s[26:27]
	s_cbranch_execz .LBB117_55
; %bb.54:                               ;   in Loop: Header=BB117_13 Depth=1
	global_load_ushort v13, v[8:9], off offset:512
.LBB117_55:                             ;   in Loop: Header=BB117_13 Depth=1
	;; [unrolled: 14-line block ×6, first 2 shown]
	s_or_b64 exec, exec, s[2:3]
	v_mov_b32_e32 v27, 0
	v_mov_b32_e32 v28, 0
	s_and_saveexec_b64 s[2:3], s[46:47]
	s_cbranch_execnz .LBB117_267
; %bb.72:                               ;   in Loop: Header=BB117_13 Depth=1
	s_or_b64 exec, exec, s[2:3]
	s_and_saveexec_b64 s[2:3], s[48:49]
	s_cbranch_execnz .LBB117_268
.LBB117_73:                             ;   in Loop: Header=BB117_13 Depth=1
	s_or_b64 exec, exec, s[2:3]
	v_mov_b32_e32 v29, 0
	s_and_saveexec_b64 s[2:3], s[50:51]
	s_cbranch_execz .LBB117_75
.LBB117_74:                             ;   in Loop: Header=BB117_13 Depth=1
	global_load_ushort v29, v[8:9], off offset:1920
.LBB117_75:                             ;   in Loop: Header=BB117_13 Depth=1
	s_or_b64 exec, exec, s[2:3]
	scratch_load_dword v8, off, off         ; 4-byte Folded Reload
	v_readlane_b32 s0, v95, 2
	s_waitcnt vmcnt(0)
	ds_write_b16 v8, v10
	scratch_load_dword v8, off, off offset:8 ; 4-byte Folded Reload
	s_waitcnt vmcnt(0)
	ds_write_b16 v8, v12 offset:128
	scratch_load_dword v8, off, off offset:12 ; 4-byte Folded Reload
	s_waitcnt vmcnt(0)
	ds_write_b16 v8, v11 offset:256
	;; [unrolled: 3-line block ×15, first 2 shown]
	; wave barrier
	scratch_load_dword v8, off, off offset:4 ; 4-byte Folded Reload
	s_waitcnt vmcnt(0)
	ds_read_b128 v[12:15], v8
	ds_read_b128 v[8:11], v8 offset:16
	s_waitcnt lgkmcnt(1)
	v_cvt_f32_f16_e32 v18, v12
	v_add_f32_e32 v22, s0, v18
	v_cmp_ge_f32_e32 vcc, s4, v22
	s_and_b64 s[2:3], s[6:7], vcc
	s_and_saveexec_b64 s[52:53], s[2:3]
	s_cbranch_execz .LBB117_77
; %bb.76:                               ;   in Loop: Header=BB117_13 Depth=1
	v_mul_f32_e32 v18, 0x3fb8aa3b, v22
	v_rndne_f32_e32 v19, v18
	v_sub_f32_e32 v23, v18, v19
	v_fma_f32 v18, v22, s5, -v18
	v_fmac_f32_e32 v18, 0x32a5705f, v22
	v_add_f32_e32 v18, v23, v18
	v_cvt_i32_f32_e32 v19, v19
	v_exp_f32_e32 v18, v18
	v_cmp_ngt_f32_e32 vcc, s8, v22
	v_ldexp_f32 v18, v18, v19
	s_nop 0
	v_cndmask_b32_e32 v18, 0, v18, vcc
	v_cmp_nlt_f32_e32 vcc, s9, v22
	s_nop 1
	v_cndmask_b32_e32 v36, v39, v18, vcc
	v_add_f32_e32 v22, 1.0, v36
	v_add_f32_e32 v18, -1.0, v22
	v_sub_f32_e32 v19, v18, v22
	v_add_f32_e32 v19, 1.0, v19
	v_sub_f32_e32 v18, v36, v18
	v_add_f32_e32 v23, v18, v19
	v_frexp_mant_f32_e32 v24, v22
	v_cvt_f64_f32_e32 v[18:19], v22
	v_frexp_exp_i32_f64_e32 v18, v[18:19]
	v_cmp_gt_f32_e32 vcc, s11, v24
	v_cmp_gt_f32_e64 s[2:3], s54, v36
	s_nop 0
	v_subbrev_co_u32_e32 v28, vcc, 0, v18, vcc
	v_sub_u32_e32 v18, 0, v28
	v_ldexp_f32 v19, v22, v18
	v_add_f32_e32 v22, -1.0, v19
	v_add_f32_e32 v24, 1.0, v19
	v_ldexp_f32 v18, v23, v18
	v_add_f32_e32 v23, 1.0, v22
	v_add_f32_e32 v25, -1.0, v24
	v_sub_f32_e32 v23, v19, v23
	v_sub_f32_e32 v19, v19, v25
	v_add_f32_e32 v23, v18, v23
	v_add_f32_e32 v18, v18, v19
	;; [unrolled: 1-line block ×3, first 2 shown]
	v_rcp_f32_e32 v31, v29
	v_sub_f32_e32 v19, v24, v29
	v_add_f32_e32 v30, v18, v19
	v_add_f32_e32 v19, v22, v23
	v_mul_f32_e32 v33, v19, v31
	v_sub_f32_e32 v18, v22, v19
	v_mul_f32_e32 v22, v29, v33
	v_fma_f32 v24, v33, v29, -v22
	v_fmac_f32_e32 v24, v33, v30
	v_add_f32_e32 v32, v23, v18
	v_add_f32_e32 v18, v22, v24
	v_sub_f32_e32 v23, v19, v18
	v_pk_add_f32 v[26:27], v[18:19], v[22:23] neg_lo:[0,1] neg_hi:[0,1]
	v_mov_b32_e32 v25, v18
	v_pk_add_f32 v[18:19], v[26:27], v[24:25] neg_lo:[0,1] neg_hi:[0,1]
	v_cmp_eq_f32_e32 vcc, s10, v36
	v_add_f32_e32 v19, v32, v19
	v_add_f32_e32 v18, v18, v19
	v_add_f32_e32 v19, v23, v18
	v_mul_f32_e32 v32, v31, v19
	v_mul_f32_e32 v22, v29, v32
	v_fma_f32 v24, v32, v29, -v22
	v_fmac_f32_e32 v24, v32, v30
	v_sub_f32_e32 v23, v23, v19
	v_add_f32_e32 v29, v18, v23
	v_add_f32_e32 v18, v22, v24
	v_sub_f32_e32 v23, v19, v18
	v_pk_add_f32 v[26:27], v[18:19], v[22:23] neg_lo:[0,1] neg_hi:[0,1]
	v_mov_b32_e32 v25, v18
	v_pk_add_f32 v[18:19], v[26:27], v[24:25] neg_lo:[0,1] neg_hi:[0,1]
	scratch_load_dwordx2 v[26:27], off, off offset:164 ; 8-byte Folded Reload
	v_add_f32_e32 v19, v29, v19
	v_add_f32_e32 v18, v18, v19
	;; [unrolled: 1-line block ×4, first 2 shown]
	v_sub_f32_e32 v22, v19, v33
	v_mul_f32_e32 v18, v31, v18
	v_sub_f32_e32 v22, v32, v22
	v_add_f32_e32 v22, v22, v18
	v_add_f32_e32 v24, v19, v22
	v_mul_f32_e32 v25, v24, v24
	v_mov_b32_e32 v18, 0x3ecc95a3
	v_fmamk_f32 v18, v25, 0x3e9b6dac, v18
	v_fmaak_f32 v31, v25, v18, 0x3f2aaada
	v_cvt_f32_i32_e32 v18, v28
	v_sub_f32_e32 v19, v24, v19
	v_sub_f32_e32 v19, v22, v19
	v_ldexp_f32 v23, v24, 1
	s_or_b64 vcc, s[2:3], vcc
	s_waitcnt vmcnt(0)
	v_mov_b32_e32 v30, v26
	v_ldexp_f32 v26, v19, 1
	v_mul_f32_e32 v19, v24, v25
	v_mov_b32_e32 v22, v30
	v_pk_mul_f32 v[24:25], v[18:19], v[30:31]
	scratch_store_dwordx2 off, v[22:23], off offset:164 ; 8-byte Folded Spill
	v_fma_f32 v22, v18, s33, -v24
	v_fmac_f32_e32 v22, 0xb102e308, v18
	v_pk_add_f32 v[18:19], v[24:25], v[22:23]
	s_nop 0
	v_sub_f32_e32 v23, v19, v23
	v_sub_f32_e32 v23, v25, v23
	v_add_f32_e32 v27, v26, v23
	v_mov_b32_e32 v26, v24
	v_pk_add_f32 v[24:25], v[18:19], v[24:25] neg_lo:[0,1] neg_hi:[0,1]
	v_pk_add_f32 v[28:29], v[18:19], v[26:27]
	v_mov_b32_e32 v23, v18
	v_mov_b32_e32 v25, v29
	v_pk_add_f32 v[30:31], v[22:23], v[24:25] neg_lo:[0,1] neg_hi:[0,1]
	v_pk_add_f32 v[22:23], v[22:23], v[24:25]
	v_mov_b32_e32 v26, v27
	v_mov_b32_e32 v24, v23
	v_pk_add_f32 v[32:33], v[24:25], v[18:19] neg_lo:[0,1] neg_hi:[0,1]
	v_mov_b32_e32 v22, v29
	v_mov_b32_e32 v25, v32
	v_pk_add_f32 v[34:35], v[28:29], v[24:25] neg_lo:[0,1] neg_hi:[0,1]
	v_mov_b32_e32 v28, v19
	v_mov_b32_e32 v29, v32
	;; [unrolled: 1-line block ×3, first 2 shown]
	v_pk_add_f32 v[22:23], v[22:23], v[28:29] neg_lo:[0,1] neg_hi:[0,1]
	v_mov_b32_e32 v27, v18
	v_pk_add_f32 v[18:19], v[26:27], v[22:23] neg_lo:[0,1] neg_hi:[0,1]
	v_mov_b32_e32 v34, v30
	v_pk_add_f32 v[22:23], v[34:35], v[18:19]
	s_nop 0
	v_mov_b32_e32 v26, v23
	v_pk_add_f32 v[26:27], v[22:23], v[26:27]
	s_nop 0
	v_pk_add_f32 v[24:25], v[24:25], v[26:27]
	v_mov_b32_e32 v19, v26
	v_mov_b32_e32 v23, v24
	v_pk_add_f32 v[28:29], v[22:23], v[30:31] neg_lo:[0,1] neg_hi:[0,1]
	s_nop 0
	v_sub_f32_e32 v22, v22, v28
	v_pk_add_f32 v[18:19], v[18:19], v[28:29] neg_lo:[0,1] neg_hi:[0,1]
	v_sub_f32_e32 v22, v30, v22
	v_add_f32_e32 v18, v18, v22
	v_add_f32_e32 v18, v18, v19
	;; [unrolled: 1-line block ×3, first 2 shown]
	v_cndmask_b32_e32 v22, v18, v36, vcc
.LBB117_77:                             ;   in Loop: Header=BB117_13 Depth=1
	s_or_b64 exec, exec, s[52:53]
	v_cvt_f32_f16_sdwa v12, v12 dst_sel:DWORD dst_unused:UNUSED_PAD src0_sel:WORD_1
	v_readlane_b32 s0, v95, 2
	s_nop 1
	v_add_f32_e32 v23, s0, v12
	v_cmp_ge_f32_e32 vcc, s4, v23
	s_and_b64 s[2:3], s[6:7], vcc
	s_and_saveexec_b64 s[52:53], s[2:3]
	s_cbranch_execz .LBB117_79
; %bb.78:                               ;   in Loop: Header=BB117_13 Depth=1
	v_mul_f32_e32 v12, 0x3fb8aa3b, v23
	v_rndne_f32_e32 v18, v12
	v_sub_f32_e32 v19, v12, v18
	v_fma_f32 v12, v23, s5, -v12
	v_fmac_f32_e32 v12, 0x32a5705f, v23
	v_add_f32_e32 v12, v19, v12
	v_cvt_i32_f32_e32 v18, v18
	v_exp_f32_e32 v12, v12
	v_cmp_ngt_f32_e32 vcc, s8, v23
	v_ldexp_f32 v12, v12, v18
	s_nop 0
	v_cndmask_b32_e32 v12, 0, v12, vcc
	v_cmp_nlt_f32_e32 vcc, s9, v23
	s_nop 1
	v_cndmask_b32_e32 v36, v39, v12, vcc
	v_add_f32_e32 v12, 1.0, v36
	v_add_f32_e32 v18, -1.0, v12
	v_sub_f32_e32 v19, v18, v12
	v_add_f32_e32 v19, 1.0, v19
	v_sub_f32_e32 v18, v36, v18
	v_add_f32_e32 v23, v18, v19
	v_frexp_mant_f32_e32 v24, v12
	v_cvt_f64_f32_e32 v[18:19], v12
	v_frexp_exp_i32_f64_e32 v18, v[18:19]
	v_cmp_gt_f32_e32 vcc, s11, v24
	v_cmp_gt_f32_e64 s[2:3], s54, v36
	s_nop 0
	v_subbrev_co_u32_e32 v30, vcc, 0, v18, vcc
	v_sub_u32_e32 v18, 0, v30
	v_ldexp_f32 v12, v12, v18
	v_ldexp_f32 v18, v23, v18
	v_add_f32_e32 v23, -1.0, v12
	v_add_f32_e32 v19, 1.0, v23
	v_sub_f32_e32 v19, v12, v19
	v_add_f32_e32 v24, v18, v19
	v_add_f32_e32 v19, 1.0, v12
	v_add_f32_e32 v25, -1.0, v19
	v_sub_f32_e32 v12, v12, v25
	v_add_f32_e32 v12, v18, v12
	v_add_f32_e32 v31, v19, v12
	v_rcp_f32_e32 v32, v31
	v_sub_f32_e32 v18, v19, v31
	v_add_f32_e32 v19, v23, v24
	v_add_f32_e32 v12, v12, v18
	v_sub_f32_e32 v18, v23, v19
	v_mul_f32_e32 v33, v19, v32
	v_add_f32_e32 v23, v24, v18
	v_mul_f32_e32 v24, v31, v33
	v_fma_f32 v26, v33, v31, -v24
	v_fmac_f32_e32 v26, v33, v12
	v_add_f32_e32 v18, v24, v26
	v_sub_f32_e32 v25, v19, v18
	v_pk_add_f32 v[28:29], v[18:19], v[24:25] neg_lo:[0,1] neg_hi:[0,1]
	v_mov_b32_e32 v27, v18
	v_pk_add_f32 v[18:19], v[28:29], v[26:27] neg_lo:[0,1] neg_hi:[0,1]
	v_cmp_eq_f32_e32 vcc, s10, v36
	v_add_f32_e32 v19, v23, v19
	v_add_f32_e32 v18, v18, v19
	;; [unrolled: 1-line block ×3, first 2 shown]
	v_mul_f32_e32 v23, v32, v19
	v_mul_f32_e32 v24, v31, v23
	v_fma_f32 v26, v23, v31, -v24
	v_fmac_f32_e32 v26, v23, v12
	v_sub_f32_e32 v12, v25, v19
	v_add_f32_e32 v12, v18, v12
	v_add_f32_e32 v18, v24, v26
	v_sub_f32_e32 v25, v19, v18
	v_pk_add_f32 v[28:29], v[18:19], v[24:25] neg_lo:[0,1] neg_hi:[0,1]
	v_mov_b32_e32 v27, v18
	v_pk_add_f32 v[18:19], v[28:29], v[26:27] neg_lo:[0,1] neg_hi:[0,1]
	scratch_load_dwordx2 v[26:27], off, off offset:164 ; 8-byte Folded Reload
	v_add_f32_e32 v12, v12, v19
	v_add_f32_e32 v12, v18, v12
	;; [unrolled: 1-line block ×4, first 2 shown]
	v_sub_f32_e32 v18, v19, v33
	v_mul_f32_e32 v12, v32, v12
	v_sub_f32_e32 v18, v23, v18
	v_add_f32_e32 v12, v18, v12
	v_add_f32_e32 v23, v19, v12
	v_mul_f32_e32 v24, v23, v23
	v_mov_b32_e32 v18, 0x3ecc95a3
	v_fmamk_f32 v18, v24, 0x3e9b6dac, v18
	s_waitcnt vmcnt(0)
	v_fmaak_f32 v27, v24, v18, 0x3f2aaada
	v_cvt_f32_i32_e32 v18, v30
	v_sub_f32_e32 v19, v23, v19
	v_sub_f32_e32 v12, v12, v19
	v_mul_f32_e32 v19, v23, v24
	v_ldexp_f32 v25, v23, 1
	v_ldexp_f32 v12, v12, 1
	s_or_b64 vcc, s[2:3], vcc
	v_mov_b32_e32 v24, v26
	v_pk_mul_f32 v[26:27], v[18:19], v[26:27]
	scratch_store_dwordx2 off, v[24:25], off offset:164 ; 8-byte Folded Spill
	v_fma_f32 v24, v18, s33, -v26
	v_fmac_f32_e32 v24, 0xb102e308, v18
	v_pk_add_f32 v[18:19], v[26:27], v[24:25]
	v_mov_b32_e32 v28, v26
	v_sub_f32_e32 v23, v19, v25
	v_sub_f32_e32 v23, v27, v23
	v_add_f32_e32 v29, v12, v23
	v_pk_add_f32 v[26:27], v[18:19], v[26:27] neg_lo:[0,1] neg_hi:[0,1]
	v_pk_add_f32 v[30:31], v[18:19], v[28:29]
	v_mov_b32_e32 v25, v18
	v_mov_b32_e32 v27, v31
	v_pk_add_f32 v[32:33], v[24:25], v[26:27] neg_lo:[0,1] neg_hi:[0,1]
	v_pk_add_f32 v[24:25], v[24:25], v[26:27]
	s_nop 0
	v_mov_b32_e32 v12, v25
	v_pk_add_f32 v[26:27], v[12:13], v[18:19] neg_lo:[0,1] neg_hi:[0,1]
	v_mov_b32_e32 v24, v31
	v_mov_b32_e32 v23, v26
	v_pk_add_f32 v[34:35], v[30:31], v[22:23] neg_lo:[0,1] neg_hi:[0,1]
	v_mov_b32_e32 v30, v19
	v_mov_b32_e32 v31, v26
	v_mov_b32_e32 v33, v25
	v_pk_add_f32 v[24:25], v[24:25], v[30:31] neg_lo:[0,1] neg_hi:[0,1]
	v_mov_b32_e32 v26, v29
	v_mov_b32_e32 v27, v18
	v_pk_add_f32 v[18:19], v[26:27], v[24:25] neg_lo:[0,1] neg_hi:[0,1]
	v_mov_b32_e32 v34, v32
	v_pk_add_f32 v[24:25], v[34:35], v[18:19]
	s_nop 0
	v_mov_b32_e32 v26, v25
	v_pk_add_f32 v[26:27], v[24:25], v[26:27]
	s_nop 0
	v_pk_add_f32 v[28:29], v[12:13], v[26:27]
	v_mov_b32_e32 v19, v26
	v_mov_b32_e32 v25, v28
	v_pk_add_f32 v[30:31], v[24:25], v[32:33] neg_lo:[0,1] neg_hi:[0,1]
	s_nop 0
	v_sub_f32_e32 v12, v24, v30
	v_pk_add_f32 v[18:19], v[18:19], v[30:31] neg_lo:[0,1] neg_hi:[0,1]
	v_sub_f32_e32 v12, v32, v12
	v_add_f32_e32 v12, v18, v12
	v_add_f32_e32 v12, v12, v19
	;; [unrolled: 1-line block ×3, first 2 shown]
	v_cndmask_b32_e32 v23, v12, v36, vcc
.LBB117_79:                             ;   in Loop: Header=BB117_13 Depth=1
	s_or_b64 exec, exec, s[52:53]
	v_cvt_f32_f16_e32 v12, v13
	v_readlane_b32 s0, v95, 2
	s_nop 1
	v_add_f32_e32 v24, s0, v12
	v_cmp_ge_f32_e32 vcc, s4, v24
	s_and_b64 s[2:3], s[6:7], vcc
	s_and_saveexec_b64 s[52:53], s[2:3]
	s_cbranch_execz .LBB117_81
; %bb.80:                               ;   in Loop: Header=BB117_13 Depth=1
	v_mul_f32_e32 v12, 0x3fb8aa3b, v24
	v_rndne_f32_e32 v18, v12
	v_sub_f32_e32 v19, v12, v18
	v_fma_f32 v12, v24, s5, -v12
	v_fmac_f32_e32 v12, 0x32a5705f, v24
	v_add_f32_e32 v12, v19, v12
	v_cvt_i32_f32_e32 v18, v18
	v_exp_f32_e32 v12, v12
	v_cmp_ngt_f32_e32 vcc, s8, v24
	v_ldexp_f32 v12, v12, v18
	s_nop 0
	v_cndmask_b32_e32 v12, 0, v12, vcc
	v_cmp_nlt_f32_e32 vcc, s9, v24
	s_nop 1
	v_cndmask_b32_e32 v36, v39, v12, vcc
	v_add_f32_e32 v12, 1.0, v36
	v_add_f32_e32 v18, -1.0, v12
	v_sub_f32_e32 v19, v18, v12
	v_add_f32_e32 v19, 1.0, v19
	v_sub_f32_e32 v18, v36, v18
	v_add_f32_e32 v24, v18, v19
	v_frexp_mant_f32_e32 v25, v12
	v_cvt_f64_f32_e32 v[18:19], v12
	v_frexp_exp_i32_f64_e32 v18, v[18:19]
	v_cmp_gt_f32_e32 vcc, s11, v25
	v_cmp_gt_f32_e64 s[2:3], s54, v36
	s_nop 0
	v_subbrev_co_u32_e32 v30, vcc, 0, v18, vcc
	v_sub_u32_e32 v18, 0, v30
	v_ldexp_f32 v12, v12, v18
	v_ldexp_f32 v18, v24, v18
	v_add_f32_e32 v24, -1.0, v12
	v_add_f32_e32 v19, 1.0, v24
	v_sub_f32_e32 v19, v12, v19
	v_add_f32_e32 v25, v18, v19
	v_add_f32_e32 v19, 1.0, v12
	v_add_f32_e32 v26, -1.0, v19
	v_sub_f32_e32 v12, v12, v26
	v_add_f32_e32 v12, v18, v12
	v_add_f32_e32 v31, v19, v12
	v_rcp_f32_e32 v32, v31
	v_sub_f32_e32 v18, v19, v31
	v_add_f32_e32 v19, v24, v25
	v_add_f32_e32 v12, v12, v18
	v_mul_f32_e32 v34, v19, v32
	v_sub_f32_e32 v18, v24, v19
	v_mul_f32_e32 v24, v31, v34
	v_fma_f32 v26, v34, v31, -v24
	v_fmac_f32_e32 v26, v34, v12
	v_add_f32_e32 v33, v25, v18
	v_add_f32_e32 v18, v24, v26
	v_sub_f32_e32 v25, v19, v18
	v_pk_add_f32 v[28:29], v[18:19], v[24:25] neg_lo:[0,1] neg_hi:[0,1]
	v_mov_b32_e32 v27, v18
	v_pk_add_f32 v[18:19], v[28:29], v[26:27] neg_lo:[0,1] neg_hi:[0,1]
	v_cmp_eq_f32_e32 vcc, s10, v36
	v_add_f32_e32 v19, v33, v19
	v_add_f32_e32 v18, v18, v19
	;; [unrolled: 1-line block ×3, first 2 shown]
	v_mul_f32_e32 v33, v32, v19
	v_mul_f32_e32 v24, v31, v33
	v_fma_f32 v26, v33, v31, -v24
	v_fmac_f32_e32 v26, v33, v12
	v_sub_f32_e32 v12, v25, v19
	v_add_f32_e32 v12, v18, v12
	v_add_f32_e32 v18, v24, v26
	v_sub_f32_e32 v25, v19, v18
	v_pk_add_f32 v[28:29], v[18:19], v[24:25] neg_lo:[0,1] neg_hi:[0,1]
	v_mov_b32_e32 v27, v18
	v_pk_add_f32 v[18:19], v[28:29], v[26:27] neg_lo:[0,1] neg_hi:[0,1]
	scratch_load_dwordx2 v[28:29], off, off offset:164 ; 8-byte Folded Reload
	v_add_f32_e32 v12, v12, v19
	v_add_f32_e32 v12, v18, v12
	;; [unrolled: 1-line block ×4, first 2 shown]
	v_sub_f32_e32 v18, v19, v34
	v_mul_f32_e32 v12, v32, v12
	v_sub_f32_e32 v18, v33, v18
	v_add_f32_e32 v12, v18, v12
	v_add_f32_e32 v24, v19, v12
	v_mul_f32_e32 v26, v24, v24
	v_mov_b32_e32 v18, 0x3ecc95a3
	v_fmamk_f32 v18, v26, 0x3e9b6dac, v18
	s_waitcnt vmcnt(0)
	v_fmaak_f32 v29, v26, v18, 0x3f2aaada
	v_cvt_f32_i32_e32 v18, v30
	v_sub_f32_e32 v19, v24, v19
	v_sub_f32_e32 v12, v12, v19
	v_mul_f32_e32 v19, v24, v26
	v_ldexp_f32 v25, v24, 1
	v_ldexp_f32 v12, v12, 1
	s_or_b64 vcc, s[2:3], vcc
	v_mov_b32_e32 v24, v28
	v_pk_mul_f32 v[26:27], v[18:19], v[28:29]
	scratch_store_dwordx2 off, v[24:25], off offset:164 ; 8-byte Folded Spill
	v_fma_f32 v24, v18, s33, -v26
	v_fmac_f32_e32 v24, 0xb102e308, v18
	v_pk_add_f32 v[18:19], v[26:27], v[24:25]
	v_mov_b32_e32 v28, v26
	v_sub_f32_e32 v25, v19, v25
	v_sub_f32_e32 v25, v27, v25
	v_add_f32_e32 v29, v12, v25
	v_pk_add_f32 v[26:27], v[18:19], v[26:27] neg_lo:[0,1] neg_hi:[0,1]
	v_pk_add_f32 v[30:31], v[18:19], v[28:29]
	v_mov_b32_e32 v25, v18
	v_mov_b32_e32 v27, v31
	v_pk_add_f32 v[32:33], v[24:25], v[26:27] neg_lo:[0,1] neg_hi:[0,1]
	v_pk_add_f32 v[24:25], v[24:25], v[26:27]
	s_nop 0
	v_mov_b32_e32 v12, v25
	v_pk_add_f32 v[26:27], v[12:13], v[18:19] neg_lo:[0,1] neg_hi:[0,1]
	v_mov_b32_e32 v24, v31
	v_mov_b32_e32 v27, v26
	v_pk_add_f32 v[34:35], v[30:31], v[26:27] neg_lo:[0,1] neg_hi:[0,1]
	v_mov_b32_e32 v30, v19
	v_mov_b32_e32 v31, v26
	;; [unrolled: 1-line block ×3, first 2 shown]
	v_pk_add_f32 v[24:25], v[24:25], v[30:31] neg_lo:[0,1] neg_hi:[0,1]
	v_mov_b32_e32 v26, v29
	v_mov_b32_e32 v27, v18
	v_pk_add_f32 v[18:19], v[26:27], v[24:25] neg_lo:[0,1] neg_hi:[0,1]
	v_mov_b32_e32 v34, v32
	v_pk_add_f32 v[24:25], v[34:35], v[18:19]
	s_nop 0
	v_mov_b32_e32 v26, v25
	v_pk_add_f32 v[26:27], v[24:25], v[26:27]
	s_nop 0
	v_pk_add_f32 v[28:29], v[12:13], v[26:27]
	v_mov_b32_e32 v19, v26
	v_mov_b32_e32 v25, v28
	v_pk_add_f32 v[30:31], v[24:25], v[32:33] neg_lo:[0,1] neg_hi:[0,1]
	s_nop 0
	v_sub_f32_e32 v12, v24, v30
	v_pk_add_f32 v[18:19], v[18:19], v[30:31] neg_lo:[0,1] neg_hi:[0,1]
	v_sub_f32_e32 v12, v32, v12
	v_add_f32_e32 v12, v18, v12
	v_add_f32_e32 v12, v12, v19
	;; [unrolled: 1-line block ×3, first 2 shown]
	v_cndmask_b32_e32 v24, v12, v36, vcc
.LBB117_81:                             ;   in Loop: Header=BB117_13 Depth=1
	s_or_b64 exec, exec, s[52:53]
	v_cvt_f32_f16_sdwa v12, v13 dst_sel:DWORD dst_unused:UNUSED_PAD src0_sel:WORD_1
	v_readlane_b32 s0, v95, 2
	s_nop 1
	v_add_f32_e32 v25, s0, v12
	v_cmp_ge_f32_e32 vcc, s4, v25
	s_and_b64 s[2:3], s[6:7], vcc
	s_and_saveexec_b64 s[52:53], s[2:3]
	s_cbranch_execz .LBB117_83
; %bb.82:                               ;   in Loop: Header=BB117_13 Depth=1
	v_mul_f32_e32 v12, 0x3fb8aa3b, v25
	v_rndne_f32_e32 v13, v12
	v_sub_f32_e32 v18, v12, v13
	v_fma_f32 v12, v25, s5, -v12
	v_fmac_f32_e32 v12, 0x32a5705f, v25
	v_add_f32_e32 v12, v18, v12
	v_cvt_i32_f32_e32 v13, v13
	v_exp_f32_e32 v12, v12
	v_cmp_ngt_f32_e32 vcc, s8, v25
	v_ldexp_f32 v12, v12, v13
	s_nop 0
	v_cndmask_b32_e32 v12, 0, v12, vcc
	v_cmp_nlt_f32_e32 vcc, s9, v25
	s_nop 1
	v_cndmask_b32_e32 v38, v39, v12, vcc
	v_add_f32_e32 v18, 1.0, v38
	v_add_f32_e32 v12, -1.0, v18
	v_sub_f32_e32 v13, v12, v18
	v_add_f32_e32 v13, 1.0, v13
	v_sub_f32_e32 v12, v38, v12
	v_add_f32_e32 v19, v12, v13
	v_frexp_mant_f32_e32 v25, v18
	v_cvt_f64_f32_e32 v[12:13], v18
	v_frexp_exp_i32_f64_e32 v12, v[12:13]
	v_cmp_gt_f32_e32 vcc, s11, v25
	v_cmp_gt_f32_e64 s[2:3], s54, v38
	s_nop 0
	v_subbrev_co_u32_e32 v25, vcc, 0, v12, vcc
	v_sub_u32_e32 v12, 0, v25
	v_ldexp_f32 v13, v18, v12
	v_add_f32_e32 v18, -1.0, v13
	v_add_f32_e32 v26, 1.0, v13
	v_ldexp_f32 v12, v19, v12
	v_add_f32_e32 v19, 1.0, v18
	v_add_f32_e32 v27, -1.0, v26
	v_sub_f32_e32 v19, v13, v19
	v_sub_f32_e32 v13, v13, v27
	v_add_f32_e32 v19, v12, v19
	v_add_f32_e32 v12, v12, v13
	;; [unrolled: 1-line block ×3, first 2 shown]
	v_rcp_f32_e32 v32, v30
	v_sub_f32_e32 v13, v26, v30
	v_add_f32_e32 v31, v12, v13
	v_add_f32_e32 v13, v18, v19
	v_mul_f32_e32 v34, v13, v32
	v_sub_f32_e32 v12, v18, v13
	v_mul_f32_e32 v18, v30, v34
	v_fma_f32 v26, v34, v30, -v18
	v_fmac_f32_e32 v26, v34, v31
	v_add_f32_e32 v33, v19, v12
	v_add_f32_e32 v12, v18, v26
	v_sub_f32_e32 v19, v13, v12
	v_pk_add_f32 v[28:29], v[12:13], v[18:19] neg_lo:[0,1] neg_hi:[0,1]
	v_mov_b32_e32 v27, v12
	v_pk_add_f32 v[12:13], v[28:29], v[26:27] neg_lo:[0,1] neg_hi:[0,1]
	v_cmp_eq_f32_e32 vcc, s10, v38
	v_add_f32_e32 v13, v33, v13
	v_add_f32_e32 v12, v12, v13
	;; [unrolled: 1-line block ×3, first 2 shown]
	v_mul_f32_e32 v33, v32, v13
	v_mul_f32_e32 v18, v30, v33
	v_fma_f32 v26, v33, v30, -v18
	v_fmac_f32_e32 v26, v33, v31
	v_sub_f32_e32 v19, v19, v13
	v_add_f32_e32 v30, v12, v19
	v_add_f32_e32 v12, v18, v26
	v_sub_f32_e32 v19, v13, v12
	v_pk_add_f32 v[28:29], v[12:13], v[18:19] neg_lo:[0,1] neg_hi:[0,1]
	v_mov_b32_e32 v27, v12
	v_pk_add_f32 v[12:13], v[28:29], v[26:27] neg_lo:[0,1] neg_hi:[0,1]
	scratch_load_dwordx2 v[28:29], off, off offset:164 ; 8-byte Folded Reload
	v_add_f32_e32 v13, v30, v13
	v_add_f32_e32 v12, v12, v13
	;; [unrolled: 1-line block ×4, first 2 shown]
	v_sub_f32_e32 v18, v13, v34
	v_mul_f32_e32 v12, v32, v12
	v_sub_f32_e32 v18, v33, v18
	v_add_f32_e32 v18, v18, v12
	v_add_f32_e32 v26, v13, v18
	v_mul_f32_e32 v27, v26, v26
	v_mov_b32_e32 v12, 0x3ecc95a3
	v_fmamk_f32 v12, v27, 0x3e9b6dac, v12
	s_waitcnt vmcnt(0)
	v_fmaak_f32 v29, v27, v12, 0x3f2aaada
	v_cvt_f32_i32_e32 v12, v25
	v_sub_f32_e32 v13, v26, v13
	v_sub_f32_e32 v13, v18, v13
	v_ldexp_f32 v25, v13, 1
	v_mul_f32_e32 v13, v26, v27
	v_ldexp_f32 v19, v26, 1
	s_or_b64 vcc, s[2:3], vcc
	v_mov_b32_e32 v18, v28
	v_pk_mul_f32 v[26:27], v[12:13], v[28:29]
	scratch_store_dwordx2 off, v[18:19], off offset:164 ; 8-byte Folded Spill
	v_fma_f32 v18, v12, s33, -v26
	v_fmac_f32_e32 v18, 0xb102e308, v12
	v_pk_add_f32 v[12:13], v[26:27], v[18:19]
	v_mov_b32_e32 v28, v26
	v_sub_f32_e32 v19, v13, v19
	v_sub_f32_e32 v19, v27, v19
	v_add_f32_e32 v29, v25, v19
	v_pk_add_f32 v[26:27], v[12:13], v[26:27] neg_lo:[0,1] neg_hi:[0,1]
	v_pk_add_f32 v[30:31], v[12:13], v[28:29]
	v_mov_b32_e32 v19, v12
	v_mov_b32_e32 v27, v31
	v_pk_add_f32 v[32:33], v[18:19], v[26:27] neg_lo:[0,1] neg_hi:[0,1]
	v_pk_add_f32 v[18:19], v[18:19], v[26:27]
	v_mov_b32_e32 v28, v29
	v_mov_b32_e32 v26, v19
	v_pk_add_f32 v[34:35], v[26:27], v[12:13] neg_lo:[0,1] neg_hi:[0,1]
	v_mov_b32_e32 v18, v31
	v_mov_b32_e32 v25, v34
	v_pk_add_f32 v[36:37], v[30:31], v[24:25] neg_lo:[0,1] neg_hi:[0,1]
	v_mov_b32_e32 v30, v13
	v_mov_b32_e32 v31, v34
	;; [unrolled: 1-line block ×3, first 2 shown]
	v_pk_add_f32 v[18:19], v[18:19], v[30:31] neg_lo:[0,1] neg_hi:[0,1]
	v_mov_b32_e32 v29, v12
	v_pk_add_f32 v[12:13], v[28:29], v[18:19] neg_lo:[0,1] neg_hi:[0,1]
	v_mov_b32_e32 v36, v32
	v_pk_add_f32 v[18:19], v[36:37], v[12:13]
	s_nop 0
	v_mov_b32_e32 v28, v19
	v_pk_add_f32 v[28:29], v[18:19], v[28:29]
	s_nop 0
	v_pk_add_f32 v[26:27], v[26:27], v[28:29]
	v_mov_b32_e32 v13, v28
	v_mov_b32_e32 v19, v26
	v_pk_add_f32 v[30:31], v[18:19], v[32:33] neg_lo:[0,1] neg_hi:[0,1]
	s_nop 0
	v_sub_f32_e32 v18, v18, v30
	v_pk_add_f32 v[12:13], v[12:13], v[30:31] neg_lo:[0,1] neg_hi:[0,1]
	v_sub_f32_e32 v18, v32, v18
	v_add_f32_e32 v12, v12, v18
	v_add_f32_e32 v12, v12, v13
	;; [unrolled: 1-line block ×3, first 2 shown]
	v_cndmask_b32_e32 v25, v12, v38, vcc
.LBB117_83:                             ;   in Loop: Header=BB117_13 Depth=1
	s_or_b64 exec, exec, s[52:53]
	v_cvt_f32_f16_e32 v12, v14
	v_readlane_b32 s0, v95, 2
	s_nop 1
	v_add_f32_e32 v18, s0, v12
	v_cmp_ge_f32_e32 vcc, s4, v18
	s_and_b64 s[2:3], s[6:7], vcc
	s_and_saveexec_b64 s[52:53], s[2:3]
	s_cbranch_execz .LBB117_85
; %bb.84:                               ;   in Loop: Header=BB117_13 Depth=1
	v_mul_f32_e32 v12, 0x3fb8aa3b, v18
	v_rndne_f32_e32 v13, v12
	v_sub_f32_e32 v19, v12, v13
	v_fma_f32 v12, v18, s5, -v12
	v_fmac_f32_e32 v12, 0x32a5705f, v18
	v_add_f32_e32 v12, v19, v12
	v_cvt_i32_f32_e32 v13, v13
	v_exp_f32_e32 v12, v12
	v_cmp_ngt_f32_e32 vcc, s8, v18
	v_ldexp_f32 v12, v12, v13
	s_nop 0
	v_cndmask_b32_e32 v12, 0, v12, vcc
	v_cmp_nlt_f32_e32 vcc, s9, v18
	s_nop 1
	v_cndmask_b32_e32 v38, v39, v12, vcc
	v_add_f32_e32 v18, 1.0, v38
	v_add_f32_e32 v12, -1.0, v18
	v_sub_f32_e32 v13, v12, v18
	v_add_f32_e32 v13, 1.0, v13
	v_sub_f32_e32 v12, v38, v12
	v_add_f32_e32 v19, v12, v13
	v_frexp_mant_f32_e32 v26, v18
	v_cvt_f64_f32_e32 v[12:13], v18
	v_frexp_exp_i32_f64_e32 v12, v[12:13]
	v_cmp_gt_f32_e32 vcc, s11, v26
	v_cmp_gt_f32_e64 s[2:3], s54, v38
	s_nop 0
	v_subbrev_co_u32_e32 v30, vcc, 0, v12, vcc
	v_sub_u32_e32 v12, 0, v30
	v_ldexp_f32 v13, v18, v12
	v_add_f32_e32 v18, -1.0, v13
	v_add_f32_e32 v26, 1.0, v13
	v_ldexp_f32 v12, v19, v12
	v_add_f32_e32 v19, 1.0, v18
	v_add_f32_e32 v27, -1.0, v26
	v_sub_f32_e32 v19, v13, v19
	v_sub_f32_e32 v13, v13, v27
	v_add_f32_e32 v19, v12, v19
	v_add_f32_e32 v12, v12, v13
	;; [unrolled: 1-line block ×3, first 2 shown]
	v_rcp_f32_e32 v33, v31
	v_sub_f32_e32 v13, v26, v31
	v_add_f32_e32 v32, v12, v13
	v_add_f32_e32 v13, v18, v19
	v_mul_f32_e32 v35, v13, v33
	v_sub_f32_e32 v12, v18, v13
	v_mul_f32_e32 v18, v31, v35
	v_fma_f32 v26, v35, v31, -v18
	v_fmac_f32_e32 v26, v35, v32
	v_add_f32_e32 v34, v19, v12
	v_add_f32_e32 v12, v18, v26
	v_sub_f32_e32 v19, v13, v12
	v_pk_add_f32 v[28:29], v[12:13], v[18:19] neg_lo:[0,1] neg_hi:[0,1]
	v_mov_b32_e32 v27, v12
	v_pk_add_f32 v[12:13], v[28:29], v[26:27] neg_lo:[0,1] neg_hi:[0,1]
	v_cmp_eq_f32_e32 vcc, s10, v38
	v_add_f32_e32 v13, v34, v13
	v_add_f32_e32 v12, v12, v13
	;; [unrolled: 1-line block ×3, first 2 shown]
	v_mul_f32_e32 v34, v33, v13
	v_mul_f32_e32 v18, v31, v34
	v_fma_f32 v26, v34, v31, -v18
	v_fmac_f32_e32 v26, v34, v32
	v_sub_f32_e32 v19, v19, v13
	v_add_f32_e32 v31, v12, v19
	v_add_f32_e32 v12, v18, v26
	v_sub_f32_e32 v19, v13, v12
	v_pk_add_f32 v[28:29], v[12:13], v[18:19] neg_lo:[0,1] neg_hi:[0,1]
	v_mov_b32_e32 v27, v12
	v_pk_add_f32 v[12:13], v[28:29], v[26:27] neg_lo:[0,1] neg_hi:[0,1]
	scratch_load_dwordx2 v[28:29], off, off offset:164 ; 8-byte Folded Reload
	v_add_f32_e32 v13, v31, v13
	v_add_f32_e32 v12, v12, v13
	v_add_f32_e32 v13, v35, v34
	v_add_f32_e32 v12, v19, v12
	v_sub_f32_e32 v18, v13, v35
	v_mul_f32_e32 v12, v33, v12
	v_sub_f32_e32 v18, v34, v18
	v_add_f32_e32 v18, v18, v12
	v_add_f32_e32 v26, v13, v18
	v_mul_f32_e32 v27, v26, v26
	v_mov_b32_e32 v12, 0x3ecc95a3
	v_fmamk_f32 v12, v27, 0x3e9b6dac, v12
	v_fmaak_f32 v33, v27, v12, 0x3f2aaada
	v_cvt_f32_i32_e32 v12, v30
	v_sub_f32_e32 v13, v26, v13
	v_sub_f32_e32 v13, v18, v13
	v_ldexp_f32 v19, v26, 1
	s_or_b64 vcc, s[2:3], vcc
	s_waitcnt vmcnt(0)
	v_mov_b32_e32 v32, v28
	v_ldexp_f32 v28, v13, 1
	v_mul_f32_e32 v13, v26, v27
	v_mov_b32_e32 v18, v32
	v_pk_mul_f32 v[26:27], v[12:13], v[32:33]
	scratch_store_dwordx2 off, v[18:19], off offset:164 ; 8-byte Folded Spill
	v_fma_f32 v18, v12, s33, -v26
	v_fmac_f32_e32 v18, 0xb102e308, v12
	v_pk_add_f32 v[12:13], v[26:27], v[18:19]
	s_nop 0
	v_sub_f32_e32 v19, v13, v19
	v_sub_f32_e32 v19, v27, v19
	v_add_f32_e32 v29, v28, v19
	v_mov_b32_e32 v28, v26
	v_pk_add_f32 v[26:27], v[12:13], v[26:27] neg_lo:[0,1] neg_hi:[0,1]
	v_pk_add_f32 v[30:31], v[12:13], v[28:29]
	v_mov_b32_e32 v19, v12
	v_mov_b32_e32 v27, v31
	v_pk_add_f32 v[32:33], v[18:19], v[26:27] neg_lo:[0,1] neg_hi:[0,1]
	v_pk_add_f32 v[18:19], v[18:19], v[26:27]
	v_mov_b32_e32 v28, v29
	v_mov_b32_e32 v26, v19
	v_pk_add_f32 v[34:35], v[26:27], v[12:13] neg_lo:[0,1] neg_hi:[0,1]
	v_mov_b32_e32 v18, v31
	v_mov_b32_e32 v27, v34
	v_pk_add_f32 v[36:37], v[30:31], v[26:27] neg_lo:[0,1] neg_hi:[0,1]
	v_mov_b32_e32 v30, v13
	v_mov_b32_e32 v31, v34
	;; [unrolled: 1-line block ×3, first 2 shown]
	v_pk_add_f32 v[18:19], v[18:19], v[30:31] neg_lo:[0,1] neg_hi:[0,1]
	v_mov_b32_e32 v29, v12
	v_pk_add_f32 v[12:13], v[28:29], v[18:19] neg_lo:[0,1] neg_hi:[0,1]
	v_mov_b32_e32 v36, v32
	v_pk_add_f32 v[18:19], v[36:37], v[12:13]
	s_nop 0
	v_mov_b32_e32 v28, v19
	v_pk_add_f32 v[28:29], v[18:19], v[28:29]
	s_nop 0
	v_pk_add_f32 v[26:27], v[26:27], v[28:29]
	v_mov_b32_e32 v13, v28
	v_mov_b32_e32 v19, v26
	v_pk_add_f32 v[30:31], v[18:19], v[32:33] neg_lo:[0,1] neg_hi:[0,1]
	s_nop 0
	v_sub_f32_e32 v18, v18, v30
	v_pk_add_f32 v[12:13], v[12:13], v[30:31] neg_lo:[0,1] neg_hi:[0,1]
	v_sub_f32_e32 v18, v32, v18
	v_add_f32_e32 v12, v12, v18
	v_add_f32_e32 v12, v12, v13
	v_add_f32_e32 v12, v26, v12
	v_cndmask_b32_e32 v18, v12, v38, vcc
.LBB117_85:                             ;   in Loop: Header=BB117_13 Depth=1
	s_or_b64 exec, exec, s[52:53]
	v_cvt_f32_f16_sdwa v12, v14 dst_sel:DWORD dst_unused:UNUSED_PAD src0_sel:WORD_1
	v_readlane_b32 s0, v95, 2
	s_nop 1
	v_add_f32_e32 v74, s0, v12
	v_cmp_ge_f32_e32 vcc, s4, v74
	s_and_b64 s[2:3], s[6:7], vcc
	s_and_saveexec_b64 s[52:53], s[2:3]
	s_cbranch_execz .LBB117_87
; %bb.86:                               ;   in Loop: Header=BB117_13 Depth=1
	v_mul_f32_e32 v12, 0x3fb8aa3b, v74
	v_rndne_f32_e32 v13, v12
	v_sub_f32_e32 v14, v12, v13
	v_fma_f32 v12, v74, s5, -v12
	v_fmac_f32_e32 v12, 0x32a5705f, v74
	v_add_f32_e32 v12, v14, v12
	v_cvt_i32_f32_e32 v13, v13
	v_exp_f32_e32 v12, v12
	v_cmp_ngt_f32_e32 vcc, s8, v74
	v_ldexp_f32 v12, v12, v13
	s_nop 0
	v_cndmask_b32_e32 v12, 0, v12, vcc
	v_cmp_nlt_f32_e32 vcc, s9, v74
	s_nop 1
	v_cndmask_b32_e32 v38, v39, v12, vcc
	v_add_f32_e32 v14, 1.0, v38
	v_add_f32_e32 v12, -1.0, v14
	v_sub_f32_e32 v13, v12, v14
	v_add_f32_e32 v13, 1.0, v13
	v_sub_f32_e32 v12, v38, v12
	v_add_f32_e32 v19, v12, v13
	v_frexp_mant_f32_e32 v26, v14
	v_cvt_f64_f32_e32 v[12:13], v14
	v_frexp_exp_i32_f64_e32 v12, v[12:13]
	v_cmp_gt_f32_e32 vcc, s11, v26
	v_cmp_gt_f32_e64 s[2:3], s54, v38
	s_nop 0
	v_subbrev_co_u32_e32 v32, vcc, 0, v12, vcc
	v_sub_u32_e32 v12, 0, v32
	v_ldexp_f32 v13, v14, v12
	v_add_f32_e32 v14, -1.0, v13
	v_add_f32_e32 v26, 1.0, v13
	v_ldexp_f32 v12, v19, v12
	v_add_f32_e32 v19, 1.0, v14
	v_add_f32_e32 v27, -1.0, v26
	v_sub_f32_e32 v19, v13, v19
	v_sub_f32_e32 v13, v13, v27
	v_add_f32_e32 v19, v12, v19
	v_add_f32_e32 v12, v12, v13
	;; [unrolled: 1-line block ×3, first 2 shown]
	v_rcp_f32_e32 v35, v33
	v_sub_f32_e32 v13, v26, v33
	v_add_f32_e32 v34, v12, v13
	v_add_f32_e32 v13, v14, v19
	v_sub_f32_e32 v12, v14, v13
	v_add_f32_e32 v14, v19, v12
	v_mul_f32_e32 v19, v13, v35
	v_mul_f32_e32 v26, v33, v19
	v_fma_f32 v28, v19, v33, -v26
	v_fmac_f32_e32 v28, v19, v34
	v_add_f32_e32 v12, v26, v28
	v_sub_f32_e32 v27, v13, v12
	v_pk_add_f32 v[30:31], v[12:13], v[26:27] neg_lo:[0,1] neg_hi:[0,1]
	v_mov_b32_e32 v29, v12
	v_pk_add_f32 v[12:13], v[30:31], v[28:29] neg_lo:[0,1] neg_hi:[0,1]
	v_cmp_eq_f32_e32 vcc, s10, v38
	v_add_f32_e32 v13, v14, v13
	v_add_f32_e32 v12, v12, v13
	;; [unrolled: 1-line block ×3, first 2 shown]
	v_mul_f32_e32 v14, v35, v13
	v_mul_f32_e32 v26, v33, v14
	v_fma_f32 v28, v14, v33, -v26
	v_fmac_f32_e32 v28, v14, v34
	v_sub_f32_e32 v27, v27, v13
	v_add_f32_e32 v33, v12, v27
	v_add_f32_e32 v12, v26, v28
	v_sub_f32_e32 v27, v13, v12
	v_pk_add_f32 v[30:31], v[12:13], v[26:27] neg_lo:[0,1] neg_hi:[0,1]
	v_mov_b32_e32 v29, v12
	v_pk_add_f32 v[12:13], v[30:31], v[28:29] neg_lo:[0,1] neg_hi:[0,1]
	scratch_load_dwordx2 v[28:29], off, off offset:164 ; 8-byte Folded Reload
	v_add_f32_e32 v13, v33, v13
	v_add_f32_e32 v12, v12, v13
	;; [unrolled: 1-line block ×4, first 2 shown]
	v_sub_f32_e32 v19, v13, v19
	v_mul_f32_e32 v12, v35, v12
	v_sub_f32_e32 v14, v14, v19
	v_add_f32_e32 v14, v14, v12
	v_add_f32_e32 v19, v13, v14
	v_mul_f32_e32 v26, v19, v19
	v_mov_b32_e32 v12, 0x3ecc95a3
	v_fmamk_f32 v12, v26, 0x3e9b6dac, v12
	s_waitcnt vmcnt(0)
	v_fmaak_f32 v29, v26, v12, 0x3f2aaada
	v_cvt_f32_i32_e32 v12, v32
	v_sub_f32_e32 v13, v19, v13
	v_sub_f32_e32 v13, v14, v13
	v_ldexp_f32 v14, v13, 1
	v_mul_f32_e32 v13, v19, v26
	v_ldexp_f32 v27, v19, 1
	s_or_b64 vcc, s[2:3], vcc
	v_mov_b32_e32 v26, v28
	v_pk_mul_f32 v[28:29], v[12:13], v[28:29]
	scratch_store_dwordx2 off, v[26:27], off offset:164 ; 8-byte Folded Spill
	v_fma_f32 v26, v12, s33, -v28
	v_fmac_f32_e32 v26, 0xb102e308, v12
	v_pk_add_f32 v[12:13], v[28:29], v[26:27]
	v_mov_b32_e32 v30, v28
	v_sub_f32_e32 v19, v13, v27
	v_sub_f32_e32 v19, v29, v19
	v_add_f32_e32 v31, v14, v19
	v_pk_add_f32 v[28:29], v[12:13], v[28:29] neg_lo:[0,1] neg_hi:[0,1]
	v_pk_add_f32 v[32:33], v[12:13], v[30:31]
	v_mov_b32_e32 v27, v12
	v_mov_b32_e32 v29, v33
	v_pk_add_f32 v[34:35], v[26:27], v[28:29] neg_lo:[0,1] neg_hi:[0,1]
	v_pk_add_f32 v[26:27], v[26:27], v[28:29]
	s_nop 0
	v_mov_b32_e32 v14, v27
	v_pk_add_f32 v[28:29], v[14:15], v[12:13] neg_lo:[0,1] neg_hi:[0,1]
	v_mov_b32_e32 v26, v33
	v_mov_b32_e32 v19, v28
	v_pk_add_f32 v[36:37], v[32:33], v[18:19] neg_lo:[0,1] neg_hi:[0,1]
	v_mov_b32_e32 v32, v13
	v_mov_b32_e32 v33, v28
	;; [unrolled: 1-line block ×3, first 2 shown]
	v_pk_add_f32 v[26:27], v[26:27], v[32:33] neg_lo:[0,1] neg_hi:[0,1]
	v_mov_b32_e32 v28, v31
	v_mov_b32_e32 v29, v12
	v_pk_add_f32 v[12:13], v[28:29], v[26:27] neg_lo:[0,1] neg_hi:[0,1]
	v_mov_b32_e32 v36, v34
	v_pk_add_f32 v[26:27], v[36:37], v[12:13]
	s_nop 0
	v_mov_b32_e32 v28, v27
	v_pk_add_f32 v[28:29], v[26:27], v[28:29]
	s_nop 0
	v_pk_add_f32 v[30:31], v[14:15], v[28:29]
	v_mov_b32_e32 v13, v28
	v_mov_b32_e32 v27, v30
	v_pk_add_f32 v[32:33], v[26:27], v[34:35] neg_lo:[0,1] neg_hi:[0,1]
	s_nop 0
	v_sub_f32_e32 v14, v26, v32
	v_pk_add_f32 v[12:13], v[12:13], v[32:33] neg_lo:[0,1] neg_hi:[0,1]
	v_sub_f32_e32 v14, v34, v14
	v_add_f32_e32 v12, v12, v14
	v_add_f32_e32 v12, v12, v13
	;; [unrolled: 1-line block ×3, first 2 shown]
	v_cndmask_b32_e32 v74, v12, v38, vcc
.LBB117_87:                             ;   in Loop: Header=BB117_13 Depth=1
	s_or_b64 exec, exec, s[52:53]
	v_cvt_f32_f16_e32 v12, v15
	v_readlane_b32 s0, v95, 2
	s_nop 1
	v_add_f32_e32 v92, s0, v12
	v_cmp_ge_f32_e32 vcc, s4, v92
	s_and_b64 s[2:3], s[6:7], vcc
	s_and_saveexec_b64 s[52:53], s[2:3]
	s_cbranch_execz .LBB117_89
; %bb.88:                               ;   in Loop: Header=BB117_13 Depth=1
	v_mul_f32_e32 v12, 0x3fb8aa3b, v92
	v_rndne_f32_e32 v13, v12
	v_sub_f32_e32 v14, v12, v13
	v_fma_f32 v12, v92, s5, -v12
	v_fmac_f32_e32 v12, 0x32a5705f, v92
	v_add_f32_e32 v12, v14, v12
	v_cvt_i32_f32_e32 v13, v13
	v_exp_f32_e32 v12, v12
	v_cmp_ngt_f32_e32 vcc, s8, v92
	v_ldexp_f32 v12, v12, v13
	s_nop 0
	v_cndmask_b32_e32 v12, 0, v12, vcc
	v_cmp_nlt_f32_e32 vcc, s9, v92
	s_nop 1
	v_cndmask_b32_e32 v38, v39, v12, vcc
	v_add_f32_e32 v14, 1.0, v38
	v_add_f32_e32 v12, -1.0, v14
	v_sub_f32_e32 v13, v12, v14
	v_add_f32_e32 v13, 1.0, v13
	v_sub_f32_e32 v12, v38, v12
	v_add_f32_e32 v19, v12, v13
	v_frexp_mant_f32_e32 v26, v14
	v_cvt_f64_f32_e32 v[12:13], v14
	v_frexp_exp_i32_f64_e32 v12, v[12:13]
	v_cmp_gt_f32_e32 vcc, s11, v26
	v_cmp_gt_f32_e64 s[2:3], s54, v38
	s_nop 0
	v_subbrev_co_u32_e32 v32, vcc, 0, v12, vcc
	v_sub_u32_e32 v12, 0, v32
	v_ldexp_f32 v13, v14, v12
	v_add_f32_e32 v14, -1.0, v13
	v_add_f32_e32 v26, 1.0, v13
	v_ldexp_f32 v12, v19, v12
	v_add_f32_e32 v19, 1.0, v14
	v_add_f32_e32 v27, -1.0, v26
	v_sub_f32_e32 v19, v13, v19
	v_sub_f32_e32 v13, v13, v27
	v_add_f32_e32 v19, v12, v19
	v_add_f32_e32 v12, v12, v13
	;; [unrolled: 1-line block ×3, first 2 shown]
	v_rcp_f32_e32 v35, v33
	v_sub_f32_e32 v13, v26, v33
	v_add_f32_e32 v34, v12, v13
	v_add_f32_e32 v13, v14, v19
	v_sub_f32_e32 v12, v14, v13
	v_add_f32_e32 v14, v19, v12
	v_mul_f32_e32 v19, v13, v35
	v_mul_f32_e32 v26, v33, v19
	v_fma_f32 v28, v19, v33, -v26
	v_fmac_f32_e32 v28, v19, v34
	v_add_f32_e32 v12, v26, v28
	v_sub_f32_e32 v27, v13, v12
	v_pk_add_f32 v[30:31], v[12:13], v[26:27] neg_lo:[0,1] neg_hi:[0,1]
	v_mov_b32_e32 v29, v12
	v_pk_add_f32 v[12:13], v[30:31], v[28:29] neg_lo:[0,1] neg_hi:[0,1]
	v_cmp_eq_f32_e32 vcc, s10, v38
	v_add_f32_e32 v13, v14, v13
	v_add_f32_e32 v12, v12, v13
	;; [unrolled: 1-line block ×3, first 2 shown]
	v_mul_f32_e32 v14, v35, v13
	v_mul_f32_e32 v26, v33, v14
	v_fma_f32 v28, v14, v33, -v26
	v_fmac_f32_e32 v28, v14, v34
	v_sub_f32_e32 v27, v27, v13
	v_add_f32_e32 v33, v12, v27
	v_add_f32_e32 v12, v26, v28
	v_sub_f32_e32 v27, v13, v12
	v_pk_add_f32 v[30:31], v[12:13], v[26:27] neg_lo:[0,1] neg_hi:[0,1]
	v_mov_b32_e32 v29, v12
	v_pk_add_f32 v[12:13], v[30:31], v[28:29] neg_lo:[0,1] neg_hi:[0,1]
	scratch_load_dwordx2 v[28:29], off, off offset:164 ; 8-byte Folded Reload
	v_add_f32_e32 v13, v33, v13
	v_add_f32_e32 v12, v12, v13
	;; [unrolled: 1-line block ×4, first 2 shown]
	v_sub_f32_e32 v19, v13, v19
	v_mul_f32_e32 v12, v35, v12
	v_sub_f32_e32 v14, v14, v19
	v_add_f32_e32 v14, v14, v12
	v_add_f32_e32 v19, v13, v14
	v_mul_f32_e32 v26, v19, v19
	v_mov_b32_e32 v12, 0x3ecc95a3
	v_fmamk_f32 v12, v26, 0x3e9b6dac, v12
	s_waitcnt vmcnt(0)
	v_fmaak_f32 v29, v26, v12, 0x3f2aaada
	v_cvt_f32_i32_e32 v12, v32
	v_sub_f32_e32 v13, v19, v13
	v_sub_f32_e32 v13, v14, v13
	v_ldexp_f32 v14, v13, 1
	v_mul_f32_e32 v13, v19, v26
	v_ldexp_f32 v27, v19, 1
	s_or_b64 vcc, s[2:3], vcc
	v_mov_b32_e32 v26, v28
	v_pk_mul_f32 v[28:29], v[12:13], v[28:29]
	scratch_store_dwordx2 off, v[26:27], off offset:164 ; 8-byte Folded Spill
	v_fma_f32 v26, v12, s33, -v28
	v_fmac_f32_e32 v26, 0xb102e308, v12
	v_pk_add_f32 v[12:13], v[28:29], v[26:27]
	v_mov_b32_e32 v30, v28
	v_sub_f32_e32 v19, v13, v27
	v_sub_f32_e32 v19, v29, v19
	v_add_f32_e32 v31, v14, v19
	v_pk_add_f32 v[28:29], v[12:13], v[28:29] neg_lo:[0,1] neg_hi:[0,1]
	v_pk_add_f32 v[32:33], v[12:13], v[30:31]
	v_mov_b32_e32 v27, v12
	v_mov_b32_e32 v29, v33
	v_pk_add_f32 v[34:35], v[26:27], v[28:29] neg_lo:[0,1] neg_hi:[0,1]
	v_pk_add_f32 v[26:27], v[26:27], v[28:29]
	s_nop 0
	v_mov_b32_e32 v14, v27
	v_pk_add_f32 v[28:29], v[14:15], v[12:13] neg_lo:[0,1] neg_hi:[0,1]
	v_mov_b32_e32 v26, v33
	v_mov_b32_e32 v19, v28
	v_pk_add_f32 v[36:37], v[32:33], v[18:19] neg_lo:[0,1] neg_hi:[0,1]
	v_mov_b32_e32 v32, v13
	v_mov_b32_e32 v33, v28
	;; [unrolled: 1-line block ×3, first 2 shown]
	v_pk_add_f32 v[26:27], v[26:27], v[32:33] neg_lo:[0,1] neg_hi:[0,1]
	v_mov_b32_e32 v28, v31
	v_mov_b32_e32 v29, v12
	v_pk_add_f32 v[12:13], v[28:29], v[26:27] neg_lo:[0,1] neg_hi:[0,1]
	v_mov_b32_e32 v36, v34
	v_pk_add_f32 v[26:27], v[36:37], v[12:13]
	s_nop 0
	v_mov_b32_e32 v28, v27
	v_pk_add_f32 v[28:29], v[26:27], v[28:29]
	s_nop 0
	v_pk_add_f32 v[30:31], v[14:15], v[28:29]
	v_mov_b32_e32 v13, v28
	v_mov_b32_e32 v27, v30
	v_pk_add_f32 v[32:33], v[26:27], v[34:35] neg_lo:[0,1] neg_hi:[0,1]
	s_nop 0
	v_sub_f32_e32 v14, v26, v32
	v_pk_add_f32 v[12:13], v[12:13], v[32:33] neg_lo:[0,1] neg_hi:[0,1]
	v_sub_f32_e32 v14, v34, v14
	v_add_f32_e32 v12, v12, v14
	v_add_f32_e32 v12, v12, v13
	;; [unrolled: 1-line block ×3, first 2 shown]
	v_cndmask_b32_e32 v92, v12, v38, vcc
.LBB117_89:                             ;   in Loop: Header=BB117_13 Depth=1
	s_or_b64 exec, exec, s[52:53]
	v_cvt_f32_f16_sdwa v12, v15 dst_sel:DWORD dst_unused:UNUSED_PAD src0_sel:WORD_1
	v_readlane_b32 s0, v95, 2
	s_nop 1
	v_add_f32_e32 v93, s0, v12
	v_cmp_ge_f32_e32 vcc, s4, v93
	s_and_b64 s[2:3], s[6:7], vcc
	s_and_saveexec_b64 s[52:53], s[2:3]
	s_cbranch_execz .LBB117_91
; %bb.90:                               ;   in Loop: Header=BB117_13 Depth=1
	v_mul_f32_e32 v12, 0x3fb8aa3b, v93
	v_rndne_f32_e32 v13, v12
	v_sub_f32_e32 v14, v12, v13
	v_fma_f32 v12, v93, s5, -v12
	v_fmac_f32_e32 v12, 0x32a5705f, v93
	v_add_f32_e32 v12, v14, v12
	v_cvt_i32_f32_e32 v13, v13
	v_exp_f32_e32 v12, v12
	v_cmp_ngt_f32_e32 vcc, s8, v93
	v_ldexp_f32 v12, v12, v13
	s_nop 0
	v_cndmask_b32_e32 v12, 0, v12, vcc
	v_cmp_nlt_f32_e32 vcc, s9, v93
	s_nop 1
	v_cndmask_b32_e32 v38, v39, v12, vcc
	v_add_f32_e32 v14, 1.0, v38
	v_add_f32_e32 v12, -1.0, v14
	v_sub_f32_e32 v13, v12, v14
	v_add_f32_e32 v13, 1.0, v13
	v_sub_f32_e32 v12, v38, v12
	v_add_f32_e32 v15, v12, v13
	v_frexp_mant_f32_e32 v19, v14
	v_cvt_f64_f32_e32 v[12:13], v14
	v_frexp_exp_i32_f64_e32 v12, v[12:13]
	v_cmp_gt_f32_e32 vcc, s11, v19
	v_cmp_gt_f32_e64 s[2:3], s54, v38
	s_nop 0
	v_subbrev_co_u32_e32 v19, vcc, 0, v12, vcc
	v_sub_u32_e32 v12, 0, v19
	v_ldexp_f32 v13, v14, v12
	v_add_f32_e32 v14, -1.0, v13
	v_add_f32_e32 v26, 1.0, v13
	v_ldexp_f32 v12, v15, v12
	v_add_f32_e32 v15, 1.0, v14
	v_add_f32_e32 v27, -1.0, v26
	v_sub_f32_e32 v15, v13, v15
	v_sub_f32_e32 v13, v13, v27
	v_add_f32_e32 v15, v12, v15
	v_add_f32_e32 v12, v12, v13
	;; [unrolled: 1-line block ×3, first 2 shown]
	v_rcp_f32_e32 v32, v30
	v_sub_f32_e32 v13, v26, v30
	v_add_f32_e32 v31, v12, v13
	v_add_f32_e32 v13, v14, v15
	v_mul_f32_e32 v34, v13, v32
	v_sub_f32_e32 v12, v14, v13
	v_mul_f32_e32 v14, v30, v34
	v_fma_f32 v26, v34, v30, -v14
	v_fmac_f32_e32 v26, v34, v31
	v_add_f32_e32 v33, v15, v12
	v_add_f32_e32 v12, v14, v26
	v_sub_f32_e32 v15, v13, v12
	v_pk_add_f32 v[28:29], v[12:13], v[14:15] neg_lo:[0,1] neg_hi:[0,1]
	v_mov_b32_e32 v27, v12
	v_pk_add_f32 v[12:13], v[28:29], v[26:27] neg_lo:[0,1] neg_hi:[0,1]
	v_cmp_eq_f32_e32 vcc, s10, v38
	v_add_f32_e32 v13, v33, v13
	v_add_f32_e32 v12, v12, v13
	v_add_f32_e32 v13, v15, v12
	v_mul_f32_e32 v33, v32, v13
	v_mul_f32_e32 v14, v30, v33
	v_fma_f32 v26, v33, v30, -v14
	v_fmac_f32_e32 v26, v33, v31
	v_sub_f32_e32 v15, v15, v13
	v_add_f32_e32 v30, v12, v15
	v_add_f32_e32 v12, v14, v26
	v_sub_f32_e32 v15, v13, v12
	v_pk_add_f32 v[28:29], v[12:13], v[14:15] neg_lo:[0,1] neg_hi:[0,1]
	v_mov_b32_e32 v27, v12
	v_pk_add_f32 v[12:13], v[28:29], v[26:27] neg_lo:[0,1] neg_hi:[0,1]
	scratch_load_dwordx2 v[28:29], off, off offset:164 ; 8-byte Folded Reload
	v_add_f32_e32 v13, v30, v13
	v_add_f32_e32 v12, v12, v13
	v_add_f32_e32 v13, v34, v33
	v_add_f32_e32 v12, v15, v12
	v_sub_f32_e32 v14, v13, v34
	v_mul_f32_e32 v12, v32, v12
	v_sub_f32_e32 v14, v33, v14
	v_add_f32_e32 v14, v14, v12
	v_add_f32_e32 v26, v13, v14
	v_mul_f32_e32 v27, v26, v26
	v_mov_b32_e32 v12, 0x3ecc95a3
	v_fmamk_f32 v12, v27, 0x3e9b6dac, v12
	s_waitcnt vmcnt(0)
	v_fmaak_f32 v29, v27, v12, 0x3f2aaada
	v_cvt_f32_i32_e32 v12, v19
	v_sub_f32_e32 v13, v26, v13
	v_sub_f32_e32 v13, v14, v13
	v_ldexp_f32 v19, v13, 1
	v_mul_f32_e32 v13, v26, v27
	v_ldexp_f32 v15, v26, 1
	s_or_b64 vcc, s[2:3], vcc
	v_mov_b32_e32 v14, v28
	v_pk_mul_f32 v[26:27], v[12:13], v[28:29]
	scratch_store_dwordx2 off, v[14:15], off offset:164 ; 8-byte Folded Spill
	v_fma_f32 v14, v12, s33, -v26
	v_fmac_f32_e32 v14, 0xb102e308, v12
	v_pk_add_f32 v[12:13], v[26:27], v[14:15]
	v_mov_b32_e32 v28, v26
	v_sub_f32_e32 v15, v13, v15
	v_sub_f32_e32 v15, v27, v15
	v_add_f32_e32 v29, v19, v15
	v_pk_add_f32 v[26:27], v[12:13], v[26:27] neg_lo:[0,1] neg_hi:[0,1]
	v_pk_add_f32 v[30:31], v[12:13], v[28:29]
	v_mov_b32_e32 v15, v12
	v_mov_b32_e32 v27, v31
	v_pk_add_f32 v[32:33], v[14:15], v[26:27] neg_lo:[0,1] neg_hi:[0,1]
	v_pk_add_f32 v[14:15], v[14:15], v[26:27]
	v_mov_b32_e32 v28, v29
	v_mov_b32_e32 v26, v15
	v_pk_add_f32 v[34:35], v[26:27], v[12:13] neg_lo:[0,1] neg_hi:[0,1]
	v_mov_b32_e32 v14, v31
	v_mov_b32_e32 v19, v34
	v_pk_add_f32 v[36:37], v[30:31], v[18:19] neg_lo:[0,1] neg_hi:[0,1]
	v_mov_b32_e32 v30, v13
	v_mov_b32_e32 v31, v34
	;; [unrolled: 1-line block ×3, first 2 shown]
	v_pk_add_f32 v[14:15], v[14:15], v[30:31] neg_lo:[0,1] neg_hi:[0,1]
	v_mov_b32_e32 v29, v12
	v_pk_add_f32 v[12:13], v[28:29], v[14:15] neg_lo:[0,1] neg_hi:[0,1]
	v_mov_b32_e32 v36, v32
	v_pk_add_f32 v[14:15], v[36:37], v[12:13]
	s_nop 0
	v_mov_b32_e32 v28, v15
	v_pk_add_f32 v[28:29], v[14:15], v[28:29]
	s_nop 0
	v_pk_add_f32 v[26:27], v[26:27], v[28:29]
	v_mov_b32_e32 v13, v28
	v_mov_b32_e32 v15, v26
	v_pk_add_f32 v[30:31], v[14:15], v[32:33] neg_lo:[0,1] neg_hi:[0,1]
	s_nop 0
	v_sub_f32_e32 v14, v14, v30
	v_pk_add_f32 v[12:13], v[12:13], v[30:31] neg_lo:[0,1] neg_hi:[0,1]
	v_sub_f32_e32 v14, v32, v14
	v_add_f32_e32 v12, v12, v14
	v_add_f32_e32 v12, v12, v13
	;; [unrolled: 1-line block ×3, first 2 shown]
	v_cndmask_b32_e32 v93, v12, v38, vcc
.LBB117_91:                             ;   in Loop: Header=BB117_13 Depth=1
	s_or_b64 exec, exec, s[52:53]
	s_waitcnt lgkmcnt(0)
	v_cvt_f32_f16_e32 v12, v8
	v_readlane_b32 s0, v95, 2
	s_nop 1
	v_add_f32_e32 v94, s0, v12
	v_cmp_ge_f32_e32 vcc, s4, v94
	s_and_b64 s[2:3], s[6:7], vcc
	s_and_saveexec_b64 s[52:53], s[2:3]
	s_cbranch_execz .LBB117_93
; %bb.92:                               ;   in Loop: Header=BB117_13 Depth=1
	v_mul_f32_e32 v12, 0x3fb8aa3b, v94
	v_rndne_f32_e32 v13, v12
	v_sub_f32_e32 v14, v12, v13
	v_fma_f32 v12, v94, s5, -v12
	v_fmac_f32_e32 v12, 0x32a5705f, v94
	v_add_f32_e32 v12, v14, v12
	v_cvt_i32_f32_e32 v13, v13
	v_exp_f32_e32 v12, v12
	v_cmp_ngt_f32_e32 vcc, s8, v94
	v_ldexp_f32 v12, v12, v13
	s_nop 0
	v_cndmask_b32_e32 v12, 0, v12, vcc
	v_cmp_nlt_f32_e32 vcc, s9, v94
	s_nop 1
	v_cndmask_b32_e32 v38, v39, v12, vcc
	v_add_f32_e32 v14, 1.0, v38
	v_add_f32_e32 v12, -1.0, v14
	v_sub_f32_e32 v13, v12, v14
	v_add_f32_e32 v13, 1.0, v13
	v_sub_f32_e32 v12, v38, v12
	v_add_f32_e32 v15, v12, v13
	v_frexp_mant_f32_e32 v19, v14
	v_cvt_f64_f32_e32 v[12:13], v14
	v_frexp_exp_i32_f64_e32 v12, v[12:13]
	v_cmp_gt_f32_e32 vcc, s11, v19
	v_cmp_gt_f32_e64 s[2:3], s54, v38
	s_nop 0
	v_subbrev_co_u32_e32 v19, vcc, 0, v12, vcc
	v_sub_u32_e32 v12, 0, v19
	v_ldexp_f32 v13, v14, v12
	v_add_f32_e32 v14, -1.0, v13
	v_add_f32_e32 v26, 1.0, v13
	v_ldexp_f32 v12, v15, v12
	v_add_f32_e32 v15, 1.0, v14
	v_add_f32_e32 v27, -1.0, v26
	v_sub_f32_e32 v15, v13, v15
	v_sub_f32_e32 v13, v13, v27
	v_add_f32_e32 v15, v12, v15
	v_add_f32_e32 v12, v12, v13
	;; [unrolled: 1-line block ×3, first 2 shown]
	v_rcp_f32_e32 v32, v30
	v_sub_f32_e32 v13, v26, v30
	v_add_f32_e32 v31, v12, v13
	v_add_f32_e32 v13, v14, v15
	v_mul_f32_e32 v34, v13, v32
	v_sub_f32_e32 v12, v14, v13
	v_mul_f32_e32 v14, v30, v34
	v_fma_f32 v26, v34, v30, -v14
	v_fmac_f32_e32 v26, v34, v31
	v_add_f32_e32 v33, v15, v12
	v_add_f32_e32 v12, v14, v26
	v_sub_f32_e32 v15, v13, v12
	v_pk_add_f32 v[28:29], v[12:13], v[14:15] neg_lo:[0,1] neg_hi:[0,1]
	v_mov_b32_e32 v27, v12
	v_pk_add_f32 v[12:13], v[28:29], v[26:27] neg_lo:[0,1] neg_hi:[0,1]
	v_cmp_eq_f32_e32 vcc, s10, v38
	v_add_f32_e32 v13, v33, v13
	v_add_f32_e32 v12, v12, v13
	;; [unrolled: 1-line block ×3, first 2 shown]
	v_mul_f32_e32 v33, v32, v13
	v_mul_f32_e32 v14, v30, v33
	v_fma_f32 v26, v33, v30, -v14
	v_fmac_f32_e32 v26, v33, v31
	v_sub_f32_e32 v15, v15, v13
	v_add_f32_e32 v30, v12, v15
	v_add_f32_e32 v12, v14, v26
	v_sub_f32_e32 v15, v13, v12
	v_pk_add_f32 v[28:29], v[12:13], v[14:15] neg_lo:[0,1] neg_hi:[0,1]
	v_mov_b32_e32 v27, v12
	v_pk_add_f32 v[12:13], v[28:29], v[26:27] neg_lo:[0,1] neg_hi:[0,1]
	scratch_load_dwordx2 v[28:29], off, off offset:164 ; 8-byte Folded Reload
	v_add_f32_e32 v13, v30, v13
	v_add_f32_e32 v12, v12, v13
	;; [unrolled: 1-line block ×4, first 2 shown]
	v_sub_f32_e32 v14, v13, v34
	v_mul_f32_e32 v12, v32, v12
	v_sub_f32_e32 v14, v33, v14
	v_add_f32_e32 v14, v14, v12
	v_add_f32_e32 v26, v13, v14
	v_mul_f32_e32 v27, v26, v26
	v_mov_b32_e32 v12, 0x3ecc95a3
	v_fmamk_f32 v12, v27, 0x3e9b6dac, v12
	s_waitcnt vmcnt(0)
	v_fmaak_f32 v29, v27, v12, 0x3f2aaada
	v_cvt_f32_i32_e32 v12, v19
	v_sub_f32_e32 v13, v26, v13
	v_sub_f32_e32 v13, v14, v13
	v_ldexp_f32 v19, v13, 1
	v_mul_f32_e32 v13, v26, v27
	v_ldexp_f32 v15, v26, 1
	s_or_b64 vcc, s[2:3], vcc
	v_mov_b32_e32 v14, v28
	v_pk_mul_f32 v[26:27], v[12:13], v[28:29]
	scratch_store_dwordx2 off, v[14:15], off offset:164 ; 8-byte Folded Spill
	v_fma_f32 v14, v12, s33, -v26
	v_fmac_f32_e32 v14, 0xb102e308, v12
	v_pk_add_f32 v[12:13], v[26:27], v[14:15]
	v_mov_b32_e32 v28, v26
	v_sub_f32_e32 v15, v13, v15
	v_sub_f32_e32 v15, v27, v15
	v_add_f32_e32 v29, v19, v15
	v_pk_add_f32 v[26:27], v[12:13], v[26:27] neg_lo:[0,1] neg_hi:[0,1]
	v_pk_add_f32 v[30:31], v[12:13], v[28:29]
	v_mov_b32_e32 v15, v12
	v_mov_b32_e32 v27, v31
	v_pk_add_f32 v[32:33], v[14:15], v[26:27] neg_lo:[0,1] neg_hi:[0,1]
	v_pk_add_f32 v[14:15], v[14:15], v[26:27]
	v_mov_b32_e32 v28, v29
	v_mov_b32_e32 v26, v15
	v_pk_add_f32 v[34:35], v[26:27], v[12:13] neg_lo:[0,1] neg_hi:[0,1]
	v_mov_b32_e32 v14, v31
	v_mov_b32_e32 v19, v34
	v_pk_add_f32 v[36:37], v[30:31], v[18:19] neg_lo:[0,1] neg_hi:[0,1]
	v_mov_b32_e32 v30, v13
	v_mov_b32_e32 v31, v34
	;; [unrolled: 1-line block ×3, first 2 shown]
	v_pk_add_f32 v[14:15], v[14:15], v[30:31] neg_lo:[0,1] neg_hi:[0,1]
	v_mov_b32_e32 v29, v12
	v_pk_add_f32 v[12:13], v[28:29], v[14:15] neg_lo:[0,1] neg_hi:[0,1]
	v_mov_b32_e32 v36, v32
	v_pk_add_f32 v[14:15], v[36:37], v[12:13]
	s_nop 0
	v_mov_b32_e32 v28, v15
	v_pk_add_f32 v[28:29], v[14:15], v[28:29]
	s_nop 0
	v_pk_add_f32 v[26:27], v[26:27], v[28:29]
	v_mov_b32_e32 v13, v28
	v_mov_b32_e32 v15, v26
	v_pk_add_f32 v[30:31], v[14:15], v[32:33] neg_lo:[0,1] neg_hi:[0,1]
	s_nop 0
	v_sub_f32_e32 v14, v14, v30
	v_pk_add_f32 v[12:13], v[12:13], v[30:31] neg_lo:[0,1] neg_hi:[0,1]
	v_sub_f32_e32 v14, v32, v14
	v_add_f32_e32 v12, v12, v14
	v_add_f32_e32 v12, v12, v13
	;; [unrolled: 1-line block ×3, first 2 shown]
	v_cndmask_b32_e32 v94, v12, v38, vcc
.LBB117_93:                             ;   in Loop: Header=BB117_13 Depth=1
	s_or_b64 exec, exec, s[52:53]
	v_cvt_f32_f16_sdwa v8, v8 dst_sel:DWORD dst_unused:UNUSED_PAD src0_sel:WORD_1
	v_readlane_b32 s0, v95, 2
	s_nop 1
	v_add_f32_e32 v60, s0, v8
	v_cmp_ge_f32_e32 vcc, s4, v60
	s_and_b64 s[2:3], s[6:7], vcc
	s_and_saveexec_b64 s[52:53], s[2:3]
	s_cbranch_execz .LBB117_95
; %bb.94:                               ;   in Loop: Header=BB117_13 Depth=1
	v_mul_f32_e32 v8, 0x3fb8aa3b, v60
	v_rndne_f32_e32 v12, v8
	v_sub_f32_e32 v13, v8, v12
	v_fma_f32 v8, v60, s5, -v8
	v_fmac_f32_e32 v8, 0x32a5705f, v60
	v_add_f32_e32 v8, v13, v8
	v_cvt_i32_f32_e32 v12, v12
	v_exp_f32_e32 v8, v8
	v_cmp_ngt_f32_e32 vcc, s8, v60
	v_ldexp_f32 v8, v8, v12
	s_nop 0
	v_cndmask_b32_e32 v8, 0, v8, vcc
	v_cmp_nlt_f32_e32 vcc, s9, v60
	s_nop 1
	v_cndmask_b32_e32 v36, v39, v8, vcc
	v_add_f32_e32 v8, 1.0, v36
	v_add_f32_e32 v12, -1.0, v8
	v_sub_f32_e32 v13, v12, v8
	v_add_f32_e32 v13, 1.0, v13
	v_sub_f32_e32 v12, v36, v12
	v_add_f32_e32 v14, v12, v13
	v_frexp_mant_f32_e32 v15, v8
	v_cvt_f64_f32_e32 v[12:13], v8
	v_frexp_exp_i32_f64_e32 v12, v[12:13]
	v_cmp_gt_f32_e32 vcc, s11, v15
	v_cmp_gt_f32_e64 s[2:3], s54, v36
	s_nop 0
	v_subbrev_co_u32_e32 v19, vcc, 0, v12, vcc
	v_sub_u32_e32 v12, 0, v19
	v_ldexp_f32 v8, v8, v12
	v_ldexp_f32 v12, v14, v12
	v_add_f32_e32 v14, -1.0, v8
	v_add_f32_e32 v13, 1.0, v14
	v_sub_f32_e32 v13, v8, v13
	v_add_f32_e32 v15, v12, v13
	v_add_f32_e32 v13, 1.0, v8
	v_add_f32_e32 v26, -1.0, v13
	v_sub_f32_e32 v8, v8, v26
	v_add_f32_e32 v8, v12, v8
	v_add_f32_e32 v30, v13, v8
	v_rcp_f32_e32 v31, v30
	v_sub_f32_e32 v12, v13, v30
	v_add_f32_e32 v13, v14, v15
	v_add_f32_e32 v8, v8, v12
	v_mul_f32_e32 v33, v13, v31
	v_sub_f32_e32 v12, v14, v13
	v_mul_f32_e32 v14, v30, v33
	v_fma_f32 v26, v33, v30, -v14
	v_fmac_f32_e32 v26, v33, v8
	v_add_f32_e32 v32, v15, v12
	v_add_f32_e32 v12, v14, v26
	v_sub_f32_e32 v15, v13, v12
	v_pk_add_f32 v[28:29], v[12:13], v[14:15] neg_lo:[0,1] neg_hi:[0,1]
	v_mov_b32_e32 v27, v12
	v_pk_add_f32 v[12:13], v[28:29], v[26:27] neg_lo:[0,1] neg_hi:[0,1]
	v_cmp_eq_f32_e32 vcc, s10, v36
	v_add_f32_e32 v13, v32, v13
	v_add_f32_e32 v12, v12, v13
	;; [unrolled: 1-line block ×3, first 2 shown]
	v_mul_f32_e32 v32, v31, v13
	v_mul_f32_e32 v14, v30, v32
	v_fma_f32 v26, v32, v30, -v14
	v_fmac_f32_e32 v26, v32, v8
	v_sub_f32_e32 v8, v15, v13
	v_add_f32_e32 v8, v12, v8
	v_add_f32_e32 v12, v14, v26
	v_sub_f32_e32 v15, v13, v12
	v_pk_add_f32 v[28:29], v[12:13], v[14:15] neg_lo:[0,1] neg_hi:[0,1]
	v_mov_b32_e32 v27, v12
	v_pk_add_f32 v[12:13], v[28:29], v[26:27] neg_lo:[0,1] neg_hi:[0,1]
	scratch_load_dwordx2 v[28:29], off, off offset:164 ; 8-byte Folded Reload
	v_add_f32_e32 v8, v8, v13
	v_add_f32_e32 v8, v12, v8
	v_add_f32_e32 v13, v33, v32
	v_add_f32_e32 v8, v15, v8
	v_sub_f32_e32 v12, v13, v33
	v_mul_f32_e32 v8, v31, v8
	v_sub_f32_e32 v12, v32, v12
	v_add_f32_e32 v8, v12, v8
	v_add_f32_e32 v14, v13, v8
	v_mul_f32_e32 v26, v14, v14
	v_mov_b32_e32 v12, 0x3ecc95a3
	v_fmamk_f32 v12, v26, 0x3e9b6dac, v12
	s_waitcnt vmcnt(0)
	v_fmaak_f32 v29, v26, v12, 0x3f2aaada
	v_cvt_f32_i32_e32 v12, v19
	v_sub_f32_e32 v13, v14, v13
	v_sub_f32_e32 v8, v8, v13
	v_mul_f32_e32 v13, v14, v26
	v_ldexp_f32 v15, v14, 1
	v_ldexp_f32 v8, v8, 1
	s_or_b64 vcc, s[2:3], vcc
	v_mov_b32_e32 v14, v28
	v_pk_mul_f32 v[26:27], v[12:13], v[28:29]
	scratch_store_dwordx2 off, v[14:15], off offset:164 ; 8-byte Folded Spill
	v_fma_f32 v14, v12, s33, -v26
	v_fmac_f32_e32 v14, 0xb102e308, v12
	v_pk_add_f32 v[12:13], v[26:27], v[14:15]
	v_mov_b32_e32 v28, v26
	v_sub_f32_e32 v15, v13, v15
	v_sub_f32_e32 v15, v27, v15
	v_add_f32_e32 v29, v8, v15
	v_pk_add_f32 v[26:27], v[12:13], v[26:27] neg_lo:[0,1] neg_hi:[0,1]
	v_pk_add_f32 v[30:31], v[12:13], v[28:29]
	v_mov_b32_e32 v15, v12
	v_mov_b32_e32 v27, v31
	v_pk_add_f32 v[32:33], v[14:15], v[26:27] neg_lo:[0,1] neg_hi:[0,1]
	v_pk_add_f32 v[14:15], v[14:15], v[26:27]
	s_nop 0
	v_mov_b32_e32 v8, v15
	v_pk_add_f32 v[26:27], v[8:9], v[12:13] neg_lo:[0,1] neg_hi:[0,1]
	v_mov_b32_e32 v14, v31
	v_mov_b32_e32 v19, v26
	v_pk_add_f32 v[34:35], v[30:31], v[18:19] neg_lo:[0,1] neg_hi:[0,1]
	v_mov_b32_e32 v30, v13
	v_mov_b32_e32 v31, v26
	;; [unrolled: 1-line block ×3, first 2 shown]
	v_pk_add_f32 v[14:15], v[14:15], v[30:31] neg_lo:[0,1] neg_hi:[0,1]
	v_mov_b32_e32 v26, v29
	v_mov_b32_e32 v27, v12
	v_pk_add_f32 v[12:13], v[26:27], v[14:15] neg_lo:[0,1] neg_hi:[0,1]
	v_mov_b32_e32 v34, v32
	v_pk_add_f32 v[14:15], v[34:35], v[12:13]
	s_nop 0
	v_mov_b32_e32 v26, v15
	v_pk_add_f32 v[26:27], v[14:15], v[26:27]
	s_nop 0
	v_pk_add_f32 v[28:29], v[8:9], v[26:27]
	v_mov_b32_e32 v13, v26
	v_mov_b32_e32 v15, v28
	v_pk_add_f32 v[30:31], v[14:15], v[32:33] neg_lo:[0,1] neg_hi:[0,1]
	s_nop 0
	v_sub_f32_e32 v8, v14, v30
	v_pk_add_f32 v[12:13], v[12:13], v[30:31] neg_lo:[0,1] neg_hi:[0,1]
	v_sub_f32_e32 v8, v32, v8
	v_add_f32_e32 v8, v12, v8
	v_add_f32_e32 v8, v8, v13
	;; [unrolled: 1-line block ×3, first 2 shown]
	v_cndmask_b32_e32 v60, v8, v36, vcc
.LBB117_95:                             ;   in Loop: Header=BB117_13 Depth=1
	s_or_b64 exec, exec, s[52:53]
	v_cvt_f32_f16_e32 v8, v9
	v_readlane_b32 s0, v95, 2
	s_nop 1
	v_add_f32_e32 v61, s0, v8
	v_cmp_ge_f32_e32 vcc, s4, v61
	s_and_b64 s[2:3], s[6:7], vcc
	s_and_saveexec_b64 s[52:53], s[2:3]
	s_cbranch_execz .LBB117_97
; %bb.96:                               ;   in Loop: Header=BB117_13 Depth=1
	v_mul_f32_e32 v8, 0x3fb8aa3b, v61
	v_rndne_f32_e32 v12, v8
	v_sub_f32_e32 v13, v8, v12
	v_fma_f32 v8, v61, s5, -v8
	v_fmac_f32_e32 v8, 0x32a5705f, v61
	v_add_f32_e32 v8, v13, v8
	v_cvt_i32_f32_e32 v12, v12
	v_exp_f32_e32 v8, v8
	v_cmp_ngt_f32_e32 vcc, s8, v61
	v_ldexp_f32 v8, v8, v12
	s_nop 0
	v_cndmask_b32_e32 v8, 0, v8, vcc
	v_cmp_nlt_f32_e32 vcc, s9, v61
	s_nop 1
	v_cndmask_b32_e32 v36, v39, v8, vcc
	v_add_f32_e32 v8, 1.0, v36
	v_add_f32_e32 v12, -1.0, v8
	v_sub_f32_e32 v13, v12, v8
	v_add_f32_e32 v13, 1.0, v13
	v_sub_f32_e32 v12, v36, v12
	v_add_f32_e32 v14, v12, v13
	v_frexp_mant_f32_e32 v15, v8
	v_cvt_f64_f32_e32 v[12:13], v8
	v_frexp_exp_i32_f64_e32 v12, v[12:13]
	v_cmp_gt_f32_e32 vcc, s11, v15
	v_cmp_gt_f32_e64 s[2:3], s54, v36
	s_nop 0
	v_subbrev_co_u32_e32 v19, vcc, 0, v12, vcc
	v_sub_u32_e32 v12, 0, v19
	v_ldexp_f32 v8, v8, v12
	v_ldexp_f32 v12, v14, v12
	v_add_f32_e32 v14, -1.0, v8
	v_add_f32_e32 v13, 1.0, v14
	v_sub_f32_e32 v13, v8, v13
	v_add_f32_e32 v15, v12, v13
	v_add_f32_e32 v13, 1.0, v8
	v_add_f32_e32 v26, -1.0, v13
	v_sub_f32_e32 v8, v8, v26
	v_add_f32_e32 v8, v12, v8
	v_add_f32_e32 v30, v13, v8
	v_rcp_f32_e32 v31, v30
	v_sub_f32_e32 v12, v13, v30
	v_add_f32_e32 v13, v14, v15
	v_add_f32_e32 v8, v8, v12
	v_mul_f32_e32 v33, v13, v31
	v_sub_f32_e32 v12, v14, v13
	v_mul_f32_e32 v14, v30, v33
	v_fma_f32 v26, v33, v30, -v14
	v_fmac_f32_e32 v26, v33, v8
	v_add_f32_e32 v32, v15, v12
	v_add_f32_e32 v12, v14, v26
	v_sub_f32_e32 v15, v13, v12
	v_pk_add_f32 v[28:29], v[12:13], v[14:15] neg_lo:[0,1] neg_hi:[0,1]
	v_mov_b32_e32 v27, v12
	v_pk_add_f32 v[12:13], v[28:29], v[26:27] neg_lo:[0,1] neg_hi:[0,1]
	v_cmp_eq_f32_e32 vcc, s10, v36
	v_add_f32_e32 v13, v32, v13
	v_add_f32_e32 v12, v12, v13
	;; [unrolled: 1-line block ×3, first 2 shown]
	v_mul_f32_e32 v32, v31, v13
	v_mul_f32_e32 v14, v30, v32
	v_fma_f32 v26, v32, v30, -v14
	v_fmac_f32_e32 v26, v32, v8
	v_sub_f32_e32 v8, v15, v13
	v_add_f32_e32 v8, v12, v8
	v_add_f32_e32 v12, v14, v26
	v_sub_f32_e32 v15, v13, v12
	v_pk_add_f32 v[28:29], v[12:13], v[14:15] neg_lo:[0,1] neg_hi:[0,1]
	v_mov_b32_e32 v27, v12
	v_pk_add_f32 v[12:13], v[28:29], v[26:27] neg_lo:[0,1] neg_hi:[0,1]
	scratch_load_dwordx2 v[28:29], off, off offset:164 ; 8-byte Folded Reload
	v_add_f32_e32 v8, v8, v13
	v_add_f32_e32 v8, v12, v8
	;; [unrolled: 1-line block ×4, first 2 shown]
	v_sub_f32_e32 v12, v13, v33
	v_mul_f32_e32 v8, v31, v8
	v_sub_f32_e32 v12, v32, v12
	v_add_f32_e32 v8, v12, v8
	v_add_f32_e32 v14, v13, v8
	v_mul_f32_e32 v26, v14, v14
	v_mov_b32_e32 v12, 0x3ecc95a3
	v_fmamk_f32 v12, v26, 0x3e9b6dac, v12
	s_waitcnt vmcnt(0)
	v_fmaak_f32 v29, v26, v12, 0x3f2aaada
	v_cvt_f32_i32_e32 v12, v19
	v_sub_f32_e32 v13, v14, v13
	v_sub_f32_e32 v8, v8, v13
	v_mul_f32_e32 v13, v14, v26
	v_ldexp_f32 v15, v14, 1
	v_ldexp_f32 v8, v8, 1
	s_or_b64 vcc, s[2:3], vcc
	v_mov_b32_e32 v14, v28
	v_pk_mul_f32 v[26:27], v[12:13], v[28:29]
	scratch_store_dwordx2 off, v[14:15], off offset:164 ; 8-byte Folded Spill
	v_fma_f32 v14, v12, s33, -v26
	v_fmac_f32_e32 v14, 0xb102e308, v12
	v_pk_add_f32 v[12:13], v[26:27], v[14:15]
	v_mov_b32_e32 v28, v26
	v_sub_f32_e32 v15, v13, v15
	v_sub_f32_e32 v15, v27, v15
	v_add_f32_e32 v29, v8, v15
	v_pk_add_f32 v[26:27], v[12:13], v[26:27] neg_lo:[0,1] neg_hi:[0,1]
	v_pk_add_f32 v[30:31], v[12:13], v[28:29]
	v_mov_b32_e32 v15, v12
	v_mov_b32_e32 v27, v31
	v_pk_add_f32 v[32:33], v[14:15], v[26:27] neg_lo:[0,1] neg_hi:[0,1]
	v_pk_add_f32 v[14:15], v[14:15], v[26:27]
	s_nop 0
	v_mov_b32_e32 v8, v15
	v_pk_add_f32 v[26:27], v[8:9], v[12:13] neg_lo:[0,1] neg_hi:[0,1]
	v_mov_b32_e32 v14, v31
	v_mov_b32_e32 v19, v26
	v_pk_add_f32 v[34:35], v[30:31], v[18:19] neg_lo:[0,1] neg_hi:[0,1]
	v_mov_b32_e32 v30, v13
	v_mov_b32_e32 v31, v26
	;; [unrolled: 1-line block ×3, first 2 shown]
	v_pk_add_f32 v[14:15], v[14:15], v[30:31] neg_lo:[0,1] neg_hi:[0,1]
	v_mov_b32_e32 v26, v29
	v_mov_b32_e32 v27, v12
	v_pk_add_f32 v[12:13], v[26:27], v[14:15] neg_lo:[0,1] neg_hi:[0,1]
	v_mov_b32_e32 v34, v32
	v_pk_add_f32 v[14:15], v[34:35], v[12:13]
	s_nop 0
	v_mov_b32_e32 v26, v15
	v_pk_add_f32 v[26:27], v[14:15], v[26:27]
	s_nop 0
	v_pk_add_f32 v[28:29], v[8:9], v[26:27]
	v_mov_b32_e32 v13, v26
	v_mov_b32_e32 v15, v28
	v_pk_add_f32 v[30:31], v[14:15], v[32:33] neg_lo:[0,1] neg_hi:[0,1]
	s_nop 0
	v_sub_f32_e32 v8, v14, v30
	v_pk_add_f32 v[12:13], v[12:13], v[30:31] neg_lo:[0,1] neg_hi:[0,1]
	v_sub_f32_e32 v8, v32, v8
	v_add_f32_e32 v8, v12, v8
	v_add_f32_e32 v8, v8, v13
	;; [unrolled: 1-line block ×3, first 2 shown]
	v_cndmask_b32_e32 v61, v8, v36, vcc
.LBB117_97:                             ;   in Loop: Header=BB117_13 Depth=1
	s_or_b64 exec, exec, s[52:53]
	v_cvt_f32_f16_sdwa v8, v9 dst_sel:DWORD dst_unused:UNUSED_PAD src0_sel:WORD_1
	v_readlane_b32 s0, v95, 2
	s_nop 1
	v_add_f32_e32 v62, s0, v8
	v_cmp_ge_f32_e32 vcc, s4, v62
	s_and_b64 s[2:3], s[6:7], vcc
	s_and_saveexec_b64 s[52:53], s[2:3]
	s_cbranch_execz .LBB117_99
; %bb.98:                               ;   in Loop: Header=BB117_13 Depth=1
	v_mul_f32_e32 v8, 0x3fb8aa3b, v62
	v_rndne_f32_e32 v9, v8
	v_sub_f32_e32 v12, v8, v9
	v_fma_f32 v8, v62, s5, -v8
	v_fmac_f32_e32 v8, 0x32a5705f, v62
	v_add_f32_e32 v8, v12, v8
	v_cvt_i32_f32_e32 v9, v9
	v_exp_f32_e32 v8, v8
	v_cmp_ngt_f32_e32 vcc, s8, v62
	v_ldexp_f32 v8, v8, v9
	s_nop 0
	v_cndmask_b32_e32 v8, 0, v8, vcc
	v_cmp_nlt_f32_e32 vcc, s9, v62
	s_nop 1
	v_cndmask_b32_e32 v19, v39, v8, vcc
	v_add_f32_e32 v12, 1.0, v19
	v_add_f32_e32 v8, -1.0, v12
	v_sub_f32_e32 v9, v8, v12
	v_add_f32_e32 v9, 1.0, v9
	v_sub_f32_e32 v8, v19, v8
	v_add_f32_e32 v13, v8, v9
	v_frexp_mant_f32_e32 v14, v12
	v_cvt_f64_f32_e32 v[8:9], v12
	v_frexp_exp_i32_f64_e32 v8, v[8:9]
	v_cmp_gt_f32_e32 vcc, s11, v14
	v_cmp_gt_f32_e64 s[2:3], s54, v19
	s_nop 0
	v_subbrev_co_u32_e32 v28, vcc, 0, v8, vcc
	v_sub_u32_e32 v8, 0, v28
	v_ldexp_f32 v9, v12, v8
	v_add_f32_e32 v12, -1.0, v9
	v_add_f32_e32 v14, 1.0, v9
	v_ldexp_f32 v8, v13, v8
	v_add_f32_e32 v13, 1.0, v12
	v_add_f32_e32 v15, -1.0, v14
	v_sub_f32_e32 v13, v9, v13
	v_sub_f32_e32 v9, v9, v15
	v_add_f32_e32 v13, v8, v13
	v_add_f32_e32 v8, v8, v9
	;; [unrolled: 1-line block ×3, first 2 shown]
	v_rcp_f32_e32 v31, v29
	v_sub_f32_e32 v9, v14, v29
	v_add_f32_e32 v30, v8, v9
	v_add_f32_e32 v9, v12, v13
	v_mul_f32_e32 v33, v9, v31
	v_sub_f32_e32 v8, v12, v9
	v_mul_f32_e32 v12, v29, v33
	v_fma_f32 v14, v33, v29, -v12
	v_fmac_f32_e32 v14, v33, v30
	v_add_f32_e32 v32, v13, v8
	v_add_f32_e32 v8, v12, v14
	v_sub_f32_e32 v13, v9, v8
	v_pk_add_f32 v[26:27], v[8:9], v[12:13] neg_lo:[0,1] neg_hi:[0,1]
	v_mov_b32_e32 v15, v8
	v_pk_add_f32 v[8:9], v[26:27], v[14:15] neg_lo:[0,1] neg_hi:[0,1]
	v_cmp_eq_f32_e32 vcc, s10, v19
	v_add_f32_e32 v9, v32, v9
	v_add_f32_e32 v8, v8, v9
	;; [unrolled: 1-line block ×3, first 2 shown]
	v_mul_f32_e32 v32, v31, v9
	v_mul_f32_e32 v12, v29, v32
	v_fma_f32 v14, v32, v29, -v12
	v_fmac_f32_e32 v14, v32, v30
	v_sub_f32_e32 v13, v13, v9
	v_add_f32_e32 v29, v8, v13
	v_add_f32_e32 v8, v12, v14
	v_sub_f32_e32 v13, v9, v8
	v_pk_add_f32 v[26:27], v[8:9], v[12:13] neg_lo:[0,1] neg_hi:[0,1]
	v_mov_b32_e32 v15, v8
	v_pk_add_f32 v[8:9], v[26:27], v[14:15] neg_lo:[0,1] neg_hi:[0,1]
	scratch_load_dwordx2 v[26:27], off, off offset:164 ; 8-byte Folded Reload
	v_add_f32_e32 v9, v29, v9
	v_add_f32_e32 v8, v8, v9
	;; [unrolled: 1-line block ×4, first 2 shown]
	v_sub_f32_e32 v12, v9, v33
	v_mul_f32_e32 v8, v31, v8
	v_sub_f32_e32 v12, v32, v12
	v_add_f32_e32 v12, v12, v8
	v_add_f32_e32 v14, v9, v12
	v_mul_f32_e32 v15, v14, v14
	v_mov_b32_e32 v8, 0x3ecc95a3
	v_fmamk_f32 v8, v15, 0x3e9b6dac, v8
	v_fmaak_f32 v31, v15, v8, 0x3f2aaada
	v_cvt_f32_i32_e32 v8, v28
	v_sub_f32_e32 v9, v14, v9
	v_sub_f32_e32 v9, v12, v9
	v_ldexp_f32 v13, v14, 1
	s_or_b64 vcc, s[2:3], vcc
	s_waitcnt vmcnt(0)
	v_mov_b32_e32 v30, v26
	v_ldexp_f32 v26, v9, 1
	v_mul_f32_e32 v9, v14, v15
	v_mov_b32_e32 v12, v30
	v_pk_mul_f32 v[14:15], v[8:9], v[30:31]
	scratch_store_dwordx2 off, v[12:13], off offset:164 ; 8-byte Folded Spill
	v_fma_f32 v12, v8, s33, -v14
	v_fmac_f32_e32 v12, 0xb102e308, v8
	v_pk_add_f32 v[8:9], v[14:15], v[12:13]
	s_nop 0
	v_sub_f32_e32 v13, v9, v13
	v_sub_f32_e32 v13, v15, v13
	v_add_f32_e32 v27, v26, v13
	v_mov_b32_e32 v26, v14
	v_pk_add_f32 v[14:15], v[8:9], v[14:15] neg_lo:[0,1] neg_hi:[0,1]
	v_pk_add_f32 v[28:29], v[8:9], v[26:27]
	v_mov_b32_e32 v13, v8
	v_mov_b32_e32 v15, v29
	v_pk_add_f32 v[30:31], v[12:13], v[14:15] neg_lo:[0,1] neg_hi:[0,1]
	v_pk_add_f32 v[12:13], v[12:13], v[14:15]
	v_mov_b32_e32 v26, v27
	v_mov_b32_e32 v14, v13
	v_pk_add_f32 v[32:33], v[14:15], v[8:9] neg_lo:[0,1] neg_hi:[0,1]
	v_mov_b32_e32 v12, v29
	v_mov_b32_e32 v15, v32
	v_pk_add_f32 v[34:35], v[28:29], v[14:15] neg_lo:[0,1] neg_hi:[0,1]
	v_mov_b32_e32 v28, v9
	v_mov_b32_e32 v29, v32
	;; [unrolled: 1-line block ×3, first 2 shown]
	v_pk_add_f32 v[12:13], v[12:13], v[28:29] neg_lo:[0,1] neg_hi:[0,1]
	v_mov_b32_e32 v27, v8
	v_pk_add_f32 v[8:9], v[26:27], v[12:13] neg_lo:[0,1] neg_hi:[0,1]
	v_mov_b32_e32 v34, v30
	v_pk_add_f32 v[12:13], v[34:35], v[8:9]
	s_nop 0
	v_mov_b32_e32 v26, v13
	v_pk_add_f32 v[26:27], v[12:13], v[26:27]
	s_nop 0
	v_pk_add_f32 v[14:15], v[14:15], v[26:27]
	v_mov_b32_e32 v9, v26
	v_mov_b32_e32 v13, v14
	v_pk_add_f32 v[28:29], v[12:13], v[30:31] neg_lo:[0,1] neg_hi:[0,1]
	s_nop 0
	v_sub_f32_e32 v12, v12, v28
	v_pk_add_f32 v[8:9], v[8:9], v[28:29] neg_lo:[0,1] neg_hi:[0,1]
	v_sub_f32_e32 v12, v30, v12
	v_add_f32_e32 v8, v8, v12
	v_add_f32_e32 v8, v8, v9
	;; [unrolled: 1-line block ×3, first 2 shown]
	v_cndmask_b32_e32 v62, v8, v19, vcc
.LBB117_99:                             ;   in Loop: Header=BB117_13 Depth=1
	s_or_b64 exec, exec, s[52:53]
	v_cvt_f32_f16_e32 v8, v10
	v_readlane_b32 s0, v95, 2
	s_nop 1
	v_add_f32_e32 v63, s0, v8
	v_cmp_ge_f32_e32 vcc, s4, v63
	s_and_b64 s[2:3], s[6:7], vcc
	s_and_saveexec_b64 s[52:53], s[2:3]
	s_cbranch_execz .LBB117_101
; %bb.100:                              ;   in Loop: Header=BB117_13 Depth=1
	v_mul_f32_e32 v8, 0x3fb8aa3b, v63
	v_rndne_f32_e32 v9, v8
	v_sub_f32_e32 v12, v8, v9
	v_fma_f32 v8, v63, s5, -v8
	v_fmac_f32_e32 v8, 0x32a5705f, v63
	v_add_f32_e32 v8, v12, v8
	v_cvt_i32_f32_e32 v9, v9
	v_exp_f32_e32 v8, v8
	v_cmp_ngt_f32_e32 vcc, s8, v63
	v_ldexp_f32 v8, v8, v9
	s_nop 0
	v_cndmask_b32_e32 v8, 0, v8, vcc
	v_cmp_nlt_f32_e32 vcc, s9, v63
	s_nop 1
	v_cndmask_b32_e32 v19, v39, v8, vcc
	v_add_f32_e32 v12, 1.0, v19
	v_add_f32_e32 v8, -1.0, v12
	v_sub_f32_e32 v9, v8, v12
	v_add_f32_e32 v9, 1.0, v9
	v_sub_f32_e32 v8, v19, v8
	v_add_f32_e32 v13, v8, v9
	v_frexp_mant_f32_e32 v14, v12
	v_cvt_f64_f32_e32 v[8:9], v12
	v_frexp_exp_i32_f64_e32 v8, v[8:9]
	v_cmp_gt_f32_e32 vcc, s11, v14
	v_cmp_gt_f32_e64 s[2:3], s54, v19
	s_nop 0
	v_subbrev_co_u32_e32 v28, vcc, 0, v8, vcc
	v_sub_u32_e32 v8, 0, v28
	v_ldexp_f32 v9, v12, v8
	v_add_f32_e32 v12, -1.0, v9
	v_add_f32_e32 v14, 1.0, v9
	v_ldexp_f32 v8, v13, v8
	v_add_f32_e32 v13, 1.0, v12
	v_add_f32_e32 v15, -1.0, v14
	v_sub_f32_e32 v13, v9, v13
	v_sub_f32_e32 v9, v9, v15
	v_add_f32_e32 v13, v8, v13
	v_add_f32_e32 v8, v8, v9
	;; [unrolled: 1-line block ×3, first 2 shown]
	v_rcp_f32_e32 v31, v29
	v_sub_f32_e32 v9, v14, v29
	v_add_f32_e32 v30, v8, v9
	v_add_f32_e32 v9, v12, v13
	v_mul_f32_e32 v33, v9, v31
	v_sub_f32_e32 v8, v12, v9
	v_mul_f32_e32 v12, v29, v33
	v_fma_f32 v14, v33, v29, -v12
	v_fmac_f32_e32 v14, v33, v30
	v_add_f32_e32 v32, v13, v8
	v_add_f32_e32 v8, v12, v14
	v_sub_f32_e32 v13, v9, v8
	v_pk_add_f32 v[26:27], v[8:9], v[12:13] neg_lo:[0,1] neg_hi:[0,1]
	v_mov_b32_e32 v15, v8
	v_pk_add_f32 v[8:9], v[26:27], v[14:15] neg_lo:[0,1] neg_hi:[0,1]
	v_cmp_eq_f32_e32 vcc, s10, v19
	v_add_f32_e32 v9, v32, v9
	v_add_f32_e32 v8, v8, v9
	;; [unrolled: 1-line block ×3, first 2 shown]
	v_mul_f32_e32 v32, v31, v9
	v_mul_f32_e32 v12, v29, v32
	v_fma_f32 v14, v32, v29, -v12
	v_fmac_f32_e32 v14, v32, v30
	v_sub_f32_e32 v13, v13, v9
	v_add_f32_e32 v29, v8, v13
	v_add_f32_e32 v8, v12, v14
	v_sub_f32_e32 v13, v9, v8
	v_pk_add_f32 v[26:27], v[8:9], v[12:13] neg_lo:[0,1] neg_hi:[0,1]
	v_mov_b32_e32 v15, v8
	v_pk_add_f32 v[8:9], v[26:27], v[14:15] neg_lo:[0,1] neg_hi:[0,1]
	scratch_load_dwordx2 v[26:27], off, off offset:164 ; 8-byte Folded Reload
	v_add_f32_e32 v9, v29, v9
	v_add_f32_e32 v8, v8, v9
	;; [unrolled: 1-line block ×4, first 2 shown]
	v_sub_f32_e32 v12, v9, v33
	v_mul_f32_e32 v8, v31, v8
	v_sub_f32_e32 v12, v32, v12
	v_add_f32_e32 v12, v12, v8
	v_add_f32_e32 v14, v9, v12
	v_mul_f32_e32 v15, v14, v14
	v_mov_b32_e32 v8, 0x3ecc95a3
	v_fmamk_f32 v8, v15, 0x3e9b6dac, v8
	v_fmaak_f32 v31, v15, v8, 0x3f2aaada
	v_cvt_f32_i32_e32 v8, v28
	v_sub_f32_e32 v9, v14, v9
	v_sub_f32_e32 v9, v12, v9
	v_ldexp_f32 v13, v14, 1
	s_or_b64 vcc, s[2:3], vcc
	s_waitcnt vmcnt(0)
	v_mov_b32_e32 v30, v26
	v_ldexp_f32 v26, v9, 1
	v_mul_f32_e32 v9, v14, v15
	v_mov_b32_e32 v12, v30
	v_pk_mul_f32 v[14:15], v[8:9], v[30:31]
	scratch_store_dwordx2 off, v[12:13], off offset:164 ; 8-byte Folded Spill
	v_fma_f32 v12, v8, s33, -v14
	v_fmac_f32_e32 v12, 0xb102e308, v8
	v_pk_add_f32 v[8:9], v[14:15], v[12:13]
	s_nop 0
	v_sub_f32_e32 v13, v9, v13
	v_sub_f32_e32 v13, v15, v13
	v_add_f32_e32 v27, v26, v13
	v_mov_b32_e32 v26, v14
	v_pk_add_f32 v[14:15], v[8:9], v[14:15] neg_lo:[0,1] neg_hi:[0,1]
	v_pk_add_f32 v[28:29], v[8:9], v[26:27]
	v_mov_b32_e32 v13, v8
	v_mov_b32_e32 v15, v29
	v_pk_add_f32 v[30:31], v[12:13], v[14:15] neg_lo:[0,1] neg_hi:[0,1]
	v_pk_add_f32 v[12:13], v[12:13], v[14:15]
	v_mov_b32_e32 v26, v27
	v_mov_b32_e32 v14, v13
	v_pk_add_f32 v[32:33], v[14:15], v[8:9] neg_lo:[0,1] neg_hi:[0,1]
	v_mov_b32_e32 v12, v29
	v_mov_b32_e32 v15, v32
	v_pk_add_f32 v[34:35], v[28:29], v[14:15] neg_lo:[0,1] neg_hi:[0,1]
	v_mov_b32_e32 v28, v9
	v_mov_b32_e32 v29, v32
	;; [unrolled: 1-line block ×3, first 2 shown]
	v_pk_add_f32 v[12:13], v[12:13], v[28:29] neg_lo:[0,1] neg_hi:[0,1]
	v_mov_b32_e32 v27, v8
	v_pk_add_f32 v[8:9], v[26:27], v[12:13] neg_lo:[0,1] neg_hi:[0,1]
	v_mov_b32_e32 v34, v30
	v_pk_add_f32 v[12:13], v[34:35], v[8:9]
	s_nop 0
	v_mov_b32_e32 v26, v13
	v_pk_add_f32 v[26:27], v[12:13], v[26:27]
	s_nop 0
	v_pk_add_f32 v[14:15], v[14:15], v[26:27]
	v_mov_b32_e32 v9, v26
	v_mov_b32_e32 v13, v14
	v_pk_add_f32 v[28:29], v[12:13], v[30:31] neg_lo:[0,1] neg_hi:[0,1]
	s_nop 0
	v_sub_f32_e32 v12, v12, v28
	v_pk_add_f32 v[8:9], v[8:9], v[28:29] neg_lo:[0,1] neg_hi:[0,1]
	v_sub_f32_e32 v12, v30, v12
	v_add_f32_e32 v8, v8, v12
	v_add_f32_e32 v8, v8, v9
	;; [unrolled: 1-line block ×3, first 2 shown]
	v_cndmask_b32_e32 v63, v8, v19, vcc
.LBB117_101:                            ;   in Loop: Header=BB117_13 Depth=1
	s_or_b64 exec, exec, s[52:53]
	v_cvt_f32_f16_sdwa v8, v10 dst_sel:DWORD dst_unused:UNUSED_PAD src0_sel:WORD_1
	v_readlane_b32 s0, v95, 2
	s_nop 1
	v_add_f32_e32 v64, s0, v8
	v_cmp_ge_f32_e32 vcc, s4, v64
	s_and_b64 s[2:3], s[6:7], vcc
	s_and_saveexec_b64 s[52:53], s[2:3]
	s_cbranch_execz .LBB117_103
; %bb.102:                              ;   in Loop: Header=BB117_13 Depth=1
	v_mul_f32_e32 v8, 0x3fb8aa3b, v64
	v_rndne_f32_e32 v9, v8
	v_sub_f32_e32 v10, v8, v9
	v_fma_f32 v8, v64, s5, -v8
	v_fmac_f32_e32 v8, 0x32a5705f, v64
	v_add_f32_e32 v8, v10, v8
	v_cvt_i32_f32_e32 v9, v9
	v_exp_f32_e32 v8, v8
	v_cmp_ngt_f32_e32 vcc, s8, v64
	v_ldexp_f32 v8, v8, v9
	s_nop 0
	v_cndmask_b32_e32 v8, 0, v8, vcc
	v_cmp_nlt_f32_e32 vcc, s9, v64
	s_nop 1
	v_cndmask_b32_e32 v19, v39, v8, vcc
	v_add_f32_e32 v10, 1.0, v19
	v_add_f32_e32 v8, -1.0, v10
	v_sub_f32_e32 v9, v8, v10
	v_add_f32_e32 v9, 1.0, v9
	v_sub_f32_e32 v8, v19, v8
	v_add_f32_e32 v12, v8, v9
	v_frexp_mant_f32_e32 v13, v10
	v_cvt_f64_f32_e32 v[8:9], v10
	v_frexp_exp_i32_f64_e32 v8, v[8:9]
	v_cmp_gt_f32_e32 vcc, s11, v13
	v_cmp_gt_f32_e64 s[2:3], s54, v19
	s_nop 0
	v_subbrev_co_u32_e32 v28, vcc, 0, v8, vcc
	v_sub_u32_e32 v8, 0, v28
	v_ldexp_f32 v9, v10, v8
	v_add_f32_e32 v10, -1.0, v9
	v_add_f32_e32 v13, 1.0, v9
	v_ldexp_f32 v8, v12, v8
	v_add_f32_e32 v12, 1.0, v10
	v_add_f32_e32 v14, -1.0, v13
	v_sub_f32_e32 v12, v9, v12
	v_sub_f32_e32 v9, v9, v14
	v_add_f32_e32 v12, v8, v12
	v_add_f32_e32 v8, v8, v9
	;; [unrolled: 1-line block ×3, first 2 shown]
	v_rcp_f32_e32 v31, v29
	v_sub_f32_e32 v9, v13, v29
	v_add_f32_e32 v30, v8, v9
	v_add_f32_e32 v9, v10, v12
	v_sub_f32_e32 v8, v10, v9
	v_mul_f32_e32 v32, v9, v31
	v_add_f32_e32 v10, v12, v8
	v_mul_f32_e32 v12, v29, v32
	v_fma_f32 v14, v32, v29, -v12
	v_fmac_f32_e32 v14, v32, v30
	v_add_f32_e32 v8, v12, v14
	v_sub_f32_e32 v13, v9, v8
	v_pk_add_f32 v[26:27], v[8:9], v[12:13] neg_lo:[0,1] neg_hi:[0,1]
	v_mov_b32_e32 v15, v8
	v_pk_add_f32 v[8:9], v[26:27], v[14:15] neg_lo:[0,1] neg_hi:[0,1]
	v_cmp_eq_f32_e32 vcc, s10, v19
	v_add_f32_e32 v9, v10, v9
	v_add_f32_e32 v8, v8, v9
	;; [unrolled: 1-line block ×3, first 2 shown]
	v_mul_f32_e32 v10, v31, v9
	v_mul_f32_e32 v12, v29, v10
	v_fma_f32 v14, v10, v29, -v12
	v_fmac_f32_e32 v14, v10, v30
	v_sub_f32_e32 v13, v13, v9
	v_add_f32_e32 v29, v8, v13
	v_add_f32_e32 v8, v12, v14
	v_sub_f32_e32 v13, v9, v8
	v_pk_add_f32 v[26:27], v[8:9], v[12:13] neg_lo:[0,1] neg_hi:[0,1]
	v_mov_b32_e32 v15, v8
	v_pk_add_f32 v[8:9], v[26:27], v[14:15] neg_lo:[0,1] neg_hi:[0,1]
	scratch_load_dwordx2 v[26:27], off, off offset:164 ; 8-byte Folded Reload
	v_add_f32_e32 v9, v29, v9
	v_add_f32_e32 v8, v8, v9
	v_add_f32_e32 v9, v32, v10
	v_add_f32_e32 v8, v13, v8
	v_sub_f32_e32 v12, v9, v32
	v_mul_f32_e32 v8, v31, v8
	v_sub_f32_e32 v10, v10, v12
	v_add_f32_e32 v10, v10, v8
	v_add_f32_e32 v12, v9, v10
	v_mul_f32_e32 v14, v12, v12
	v_mov_b32_e32 v8, 0x3ecc95a3
	v_fmamk_f32 v8, v14, 0x3e9b6dac, v8
	s_waitcnt vmcnt(0)
	v_fmaak_f32 v27, v14, v8, 0x3f2aaada
	v_cvt_f32_i32_e32 v8, v28
	v_sub_f32_e32 v9, v12, v9
	v_sub_f32_e32 v9, v10, v9
	v_ldexp_f32 v10, v9, 1
	v_mul_f32_e32 v9, v12, v14
	v_ldexp_f32 v13, v12, 1
	s_or_b64 vcc, s[2:3], vcc
	v_mov_b32_e32 v12, v26
	v_pk_mul_f32 v[14:15], v[8:9], v[26:27]
	scratch_store_dwordx2 off, v[12:13], off offset:164 ; 8-byte Folded Spill
	v_fma_f32 v12, v8, s33, -v14
	v_fmac_f32_e32 v12, 0xb102e308, v8
	v_pk_add_f32 v[8:9], v[14:15], v[12:13]
	v_mov_b32_e32 v26, v14
	v_sub_f32_e32 v13, v9, v13
	v_sub_f32_e32 v13, v15, v13
	v_add_f32_e32 v27, v10, v13
	v_pk_add_f32 v[14:15], v[8:9], v[14:15] neg_lo:[0,1] neg_hi:[0,1]
	v_pk_add_f32 v[28:29], v[8:9], v[26:27]
	v_mov_b32_e32 v13, v8
	v_mov_b32_e32 v15, v29
	v_pk_add_f32 v[30:31], v[12:13], v[14:15] neg_lo:[0,1] neg_hi:[0,1]
	v_pk_add_f32 v[12:13], v[12:13], v[14:15]
	s_nop 0
	v_mov_b32_e32 v10, v13
	v_pk_add_f32 v[14:15], v[10:11], v[8:9] neg_lo:[0,1] neg_hi:[0,1]
	v_mov_b32_e32 v12, v29
	v_mov_b32_e32 v15, v14
	v_pk_add_f32 v[32:33], v[28:29], v[14:15] neg_lo:[0,1] neg_hi:[0,1]
	v_mov_b32_e32 v28, v9
	v_mov_b32_e32 v29, v14
	;; [unrolled: 1-line block ×3, first 2 shown]
	v_pk_add_f32 v[12:13], v[12:13], v[28:29] neg_lo:[0,1] neg_hi:[0,1]
	v_mov_b32_e32 v14, v27
	v_mov_b32_e32 v15, v8
	v_pk_add_f32 v[8:9], v[14:15], v[12:13] neg_lo:[0,1] neg_hi:[0,1]
	v_mov_b32_e32 v32, v30
	v_pk_add_f32 v[12:13], v[32:33], v[8:9]
	s_nop 0
	v_mov_b32_e32 v14, v13
	v_pk_add_f32 v[14:15], v[12:13], v[14:15]
	s_nop 0
	v_pk_add_f32 v[26:27], v[10:11], v[14:15]
	v_mov_b32_e32 v9, v14
	v_mov_b32_e32 v13, v26
	v_pk_add_f32 v[28:29], v[12:13], v[30:31] neg_lo:[0,1] neg_hi:[0,1]
	s_nop 0
	v_sub_f32_e32 v10, v12, v28
	v_pk_add_f32 v[8:9], v[8:9], v[28:29] neg_lo:[0,1] neg_hi:[0,1]
	v_sub_f32_e32 v10, v30, v10
	v_add_f32_e32 v8, v8, v10
	v_add_f32_e32 v8, v8, v9
	v_add_f32_e32 v8, v26, v8
	v_cndmask_b32_e32 v64, v8, v19, vcc
.LBB117_103:                            ;   in Loop: Header=BB117_13 Depth=1
	s_or_b64 exec, exec, s[52:53]
	v_cvt_f32_f16_e32 v8, v11
	v_readlane_b32 s0, v95, 2
	s_nop 1
	v_add_f32_e32 v65, s0, v8
	v_cmp_ge_f32_e32 vcc, s4, v65
	s_and_b64 s[2:3], s[6:7], vcc
	s_and_saveexec_b64 s[52:53], s[2:3]
	s_cbranch_execz .LBB117_105
; %bb.104:                              ;   in Loop: Header=BB117_13 Depth=1
	v_mul_f32_e32 v8, 0x3fb8aa3b, v65
	v_rndne_f32_e32 v9, v8
	v_sub_f32_e32 v10, v8, v9
	v_fma_f32 v8, v65, s5, -v8
	v_fmac_f32_e32 v8, 0x32a5705f, v65
	v_add_f32_e32 v8, v10, v8
	v_cvt_i32_f32_e32 v9, v9
	v_exp_f32_e32 v8, v8
	v_cmp_ngt_f32_e32 vcc, s8, v65
	v_ldexp_f32 v8, v8, v9
	s_nop 0
	v_cndmask_b32_e32 v8, 0, v8, vcc
	v_cmp_nlt_f32_e32 vcc, s9, v65
	s_nop 1
	v_cndmask_b32_e32 v19, v39, v8, vcc
	v_add_f32_e32 v10, 1.0, v19
	v_add_f32_e32 v8, -1.0, v10
	v_sub_f32_e32 v9, v8, v10
	v_add_f32_e32 v9, 1.0, v9
	v_sub_f32_e32 v8, v19, v8
	v_add_f32_e32 v12, v8, v9
	v_frexp_mant_f32_e32 v13, v10
	v_cvt_f64_f32_e32 v[8:9], v10
	v_frexp_exp_i32_f64_e32 v8, v[8:9]
	v_cmp_gt_f32_e32 vcc, s11, v13
	v_cmp_gt_f32_e64 s[2:3], s54, v19
	s_nop 0
	v_subbrev_co_u32_e32 v28, vcc, 0, v8, vcc
	v_sub_u32_e32 v8, 0, v28
	v_ldexp_f32 v9, v10, v8
	v_add_f32_e32 v10, -1.0, v9
	v_add_f32_e32 v13, 1.0, v9
	v_ldexp_f32 v8, v12, v8
	v_add_f32_e32 v12, 1.0, v10
	v_add_f32_e32 v14, -1.0, v13
	v_sub_f32_e32 v12, v9, v12
	v_sub_f32_e32 v9, v9, v14
	v_add_f32_e32 v12, v8, v12
	v_add_f32_e32 v8, v8, v9
	;; [unrolled: 1-line block ×3, first 2 shown]
	v_rcp_f32_e32 v31, v29
	v_sub_f32_e32 v9, v13, v29
	v_add_f32_e32 v30, v8, v9
	v_add_f32_e32 v9, v10, v12
	v_sub_f32_e32 v8, v10, v9
	v_mul_f32_e32 v32, v9, v31
	v_add_f32_e32 v10, v12, v8
	v_mul_f32_e32 v12, v29, v32
	v_fma_f32 v14, v32, v29, -v12
	v_fmac_f32_e32 v14, v32, v30
	v_add_f32_e32 v8, v12, v14
	v_sub_f32_e32 v13, v9, v8
	v_pk_add_f32 v[26:27], v[8:9], v[12:13] neg_lo:[0,1] neg_hi:[0,1]
	v_mov_b32_e32 v15, v8
	v_pk_add_f32 v[8:9], v[26:27], v[14:15] neg_lo:[0,1] neg_hi:[0,1]
	v_cmp_eq_f32_e32 vcc, s10, v19
	v_add_f32_e32 v9, v10, v9
	v_add_f32_e32 v8, v8, v9
	;; [unrolled: 1-line block ×3, first 2 shown]
	v_mul_f32_e32 v10, v31, v9
	v_mul_f32_e32 v12, v29, v10
	v_fma_f32 v14, v10, v29, -v12
	v_fmac_f32_e32 v14, v10, v30
	v_sub_f32_e32 v13, v13, v9
	v_add_f32_e32 v29, v8, v13
	v_add_f32_e32 v8, v12, v14
	v_sub_f32_e32 v13, v9, v8
	v_pk_add_f32 v[26:27], v[8:9], v[12:13] neg_lo:[0,1] neg_hi:[0,1]
	v_mov_b32_e32 v15, v8
	v_pk_add_f32 v[8:9], v[26:27], v[14:15] neg_lo:[0,1] neg_hi:[0,1]
	scratch_load_dwordx2 v[26:27], off, off offset:164 ; 8-byte Folded Reload
	v_add_f32_e32 v9, v29, v9
	v_add_f32_e32 v8, v8, v9
	;; [unrolled: 1-line block ×4, first 2 shown]
	v_sub_f32_e32 v12, v9, v32
	v_mul_f32_e32 v8, v31, v8
	v_sub_f32_e32 v10, v10, v12
	v_add_f32_e32 v10, v10, v8
	v_add_f32_e32 v12, v9, v10
	v_mul_f32_e32 v14, v12, v12
	v_mov_b32_e32 v8, 0x3ecc95a3
	v_fmamk_f32 v8, v14, 0x3e9b6dac, v8
	s_waitcnt vmcnt(0)
	v_fmaak_f32 v27, v14, v8, 0x3f2aaada
	v_cvt_f32_i32_e32 v8, v28
	v_sub_f32_e32 v9, v12, v9
	v_sub_f32_e32 v9, v10, v9
	v_ldexp_f32 v10, v9, 1
	v_mul_f32_e32 v9, v12, v14
	v_ldexp_f32 v13, v12, 1
	s_or_b64 vcc, s[2:3], vcc
	v_mov_b32_e32 v12, v26
	v_pk_mul_f32 v[14:15], v[8:9], v[26:27]
	scratch_store_dwordx2 off, v[12:13], off offset:164 ; 8-byte Folded Spill
	v_fma_f32 v12, v8, s33, -v14
	v_fmac_f32_e32 v12, 0xb102e308, v8
	v_pk_add_f32 v[8:9], v[14:15], v[12:13]
	v_mov_b32_e32 v26, v14
	v_sub_f32_e32 v13, v9, v13
	v_sub_f32_e32 v13, v15, v13
	v_add_f32_e32 v27, v10, v13
	v_pk_add_f32 v[14:15], v[8:9], v[14:15] neg_lo:[0,1] neg_hi:[0,1]
	v_pk_add_f32 v[28:29], v[8:9], v[26:27]
	v_mov_b32_e32 v13, v8
	v_mov_b32_e32 v15, v29
	v_pk_add_f32 v[30:31], v[12:13], v[14:15] neg_lo:[0,1] neg_hi:[0,1]
	v_pk_add_f32 v[12:13], v[12:13], v[14:15]
	s_nop 0
	v_mov_b32_e32 v10, v13
	v_pk_add_f32 v[14:15], v[10:11], v[8:9] neg_lo:[0,1] neg_hi:[0,1]
	v_mov_b32_e32 v12, v29
	v_mov_b32_e32 v15, v14
	v_pk_add_f32 v[32:33], v[28:29], v[14:15] neg_lo:[0,1] neg_hi:[0,1]
	v_mov_b32_e32 v28, v9
	v_mov_b32_e32 v29, v14
	;; [unrolled: 1-line block ×3, first 2 shown]
	v_pk_add_f32 v[12:13], v[12:13], v[28:29] neg_lo:[0,1] neg_hi:[0,1]
	v_mov_b32_e32 v14, v27
	v_mov_b32_e32 v15, v8
	v_pk_add_f32 v[8:9], v[14:15], v[12:13] neg_lo:[0,1] neg_hi:[0,1]
	v_mov_b32_e32 v32, v30
	v_pk_add_f32 v[12:13], v[32:33], v[8:9]
	s_nop 0
	v_mov_b32_e32 v14, v13
	v_pk_add_f32 v[14:15], v[12:13], v[14:15]
	s_nop 0
	v_pk_add_f32 v[26:27], v[10:11], v[14:15]
	v_mov_b32_e32 v9, v14
	v_mov_b32_e32 v13, v26
	v_pk_add_f32 v[28:29], v[12:13], v[30:31] neg_lo:[0,1] neg_hi:[0,1]
	s_nop 0
	v_sub_f32_e32 v10, v12, v28
	v_pk_add_f32 v[8:9], v[8:9], v[28:29] neg_lo:[0,1] neg_hi:[0,1]
	v_sub_f32_e32 v10, v30, v10
	v_add_f32_e32 v8, v8, v10
	v_add_f32_e32 v8, v8, v9
	;; [unrolled: 1-line block ×3, first 2 shown]
	v_cndmask_b32_e32 v65, v8, v19, vcc
.LBB117_105:                            ;   in Loop: Header=BB117_13 Depth=1
	s_or_b64 exec, exec, s[52:53]
	v_cvt_f32_f16_sdwa v8, v11 dst_sel:DWORD dst_unused:UNUSED_PAD src0_sel:WORD_1
	v_readlane_b32 s0, v95, 2
	s_nop 1
	v_add_f32_e32 v27, s0, v8
	v_cmp_ge_f32_e32 vcc, s4, v27
	s_and_b64 s[2:3], s[6:7], vcc
	s_and_saveexec_b64 s[52:53], s[2:3]
	s_cbranch_execz .LBB117_107
; %bb.106:                              ;   in Loop: Header=BB117_13 Depth=1
	v_mul_f32_e32 v8, 0x3fb8aa3b, v27
	v_rndne_f32_e32 v9, v8
	v_sub_f32_e32 v10, v8, v9
	v_fma_f32 v8, v27, s5, -v8
	v_fmac_f32_e32 v8, 0x32a5705f, v27
	v_add_f32_e32 v8, v10, v8
	v_cvt_i32_f32_e32 v9, v9
	v_exp_f32_e32 v8, v8
	v_cmp_ngt_f32_e32 vcc, s8, v27
	v_ldexp_f32 v8, v8, v9
	s_nop 0
	v_cndmask_b32_e32 v8, 0, v8, vcc
	v_cmp_nlt_f32_e32 vcc, s9, v27
	s_nop 1
	v_cndmask_b32_e32 v19, v39, v8, vcc
	v_add_f32_e32 v10, 1.0, v19
	v_add_f32_e32 v8, -1.0, v10
	v_sub_f32_e32 v9, v8, v10
	v_add_f32_e32 v9, 1.0, v9
	v_sub_f32_e32 v8, v19, v8
	v_add_f32_e32 v11, v8, v9
	v_frexp_mant_f32_e32 v12, v10
	v_cvt_f64_f32_e32 v[8:9], v10
	v_frexp_exp_i32_f64_e32 v8, v[8:9]
	v_cmp_gt_f32_e32 vcc, s11, v12
	v_cmp_gt_f32_e64 s[2:3], s54, v19
	s_nop 0
	v_subbrev_co_u32_e32 v26, vcc, 0, v8, vcc
	v_sub_u32_e32 v8, 0, v26
	v_ldexp_f32 v9, v10, v8
	v_add_f32_e32 v10, -1.0, v9
	v_add_f32_e32 v12, 1.0, v9
	v_ldexp_f32 v8, v11, v8
	v_add_f32_e32 v11, 1.0, v10
	v_add_f32_e32 v13, -1.0, v12
	v_sub_f32_e32 v11, v9, v11
	v_sub_f32_e32 v9, v9, v13
	v_add_f32_e32 v11, v8, v11
	v_add_f32_e32 v8, v8, v9
	;; [unrolled: 1-line block ×3, first 2 shown]
	v_rcp_f32_e32 v29, v27
	v_sub_f32_e32 v9, v12, v27
	v_add_f32_e32 v28, v8, v9
	v_add_f32_e32 v9, v10, v11
	v_mul_f32_e32 v31, v9, v29
	v_sub_f32_e32 v8, v10, v9
	v_mul_f32_e32 v10, v27, v31
	v_fma_f32 v12, v31, v27, -v10
	v_fmac_f32_e32 v12, v31, v28
	v_add_f32_e32 v30, v11, v8
	v_add_f32_e32 v8, v10, v12
	v_sub_f32_e32 v11, v9, v8
	v_pk_add_f32 v[14:15], v[8:9], v[10:11] neg_lo:[0,1] neg_hi:[0,1]
	v_mov_b32_e32 v13, v8
	v_pk_add_f32 v[8:9], v[14:15], v[12:13] neg_lo:[0,1] neg_hi:[0,1]
	v_cmp_eq_f32_e32 vcc, s10, v19
	v_add_f32_e32 v9, v30, v9
	v_add_f32_e32 v8, v8, v9
	;; [unrolled: 1-line block ×3, first 2 shown]
	v_mul_f32_e32 v30, v29, v9
	v_mul_f32_e32 v10, v27, v30
	v_fma_f32 v12, v30, v27, -v10
	v_fmac_f32_e32 v12, v30, v28
	v_sub_f32_e32 v11, v11, v9
	v_add_f32_e32 v27, v8, v11
	v_add_f32_e32 v8, v10, v12
	v_sub_f32_e32 v11, v9, v8
	v_pk_add_f32 v[14:15], v[8:9], v[10:11] neg_lo:[0,1] neg_hi:[0,1]
	v_mov_b32_e32 v13, v8
	v_pk_add_f32 v[8:9], v[14:15], v[12:13] neg_lo:[0,1] neg_hi:[0,1]
	scratch_load_dwordx2 v[14:15], off, off offset:164 ; 8-byte Folded Reload
	v_add_f32_e32 v9, v27, v9
	v_add_f32_e32 v8, v8, v9
	v_add_f32_e32 v9, v31, v30
	v_add_f32_e32 v8, v11, v8
	v_sub_f32_e32 v10, v9, v31
	v_mul_f32_e32 v8, v29, v8
	v_sub_f32_e32 v10, v30, v10
	v_add_f32_e32 v10, v10, v8
	v_add_f32_e32 v12, v9, v10
	v_mul_f32_e32 v13, v12, v12
	v_mov_b32_e32 v8, 0x3ecc95a3
	v_fmamk_f32 v8, v13, 0x3e9b6dac, v8
	v_fmaak_f32 v29, v13, v8, 0x3f2aaada
	v_cvt_f32_i32_e32 v8, v26
	v_sub_f32_e32 v9, v12, v9
	v_sub_f32_e32 v9, v10, v9
	v_ldexp_f32 v11, v12, 1
	s_or_b64 vcc, s[2:3], vcc
	s_waitcnt vmcnt(0)
	v_mov_b32_e32 v28, v14
	v_ldexp_f32 v14, v9, 1
	v_mul_f32_e32 v9, v12, v13
	v_mov_b32_e32 v10, v28
	v_pk_mul_f32 v[12:13], v[8:9], v[28:29]
	scratch_store_dwordx2 off, v[10:11], off offset:164 ; 8-byte Folded Spill
	v_fma_f32 v10, v8, s33, -v12
	v_fmac_f32_e32 v10, 0xb102e308, v8
	v_pk_add_f32 v[8:9], v[12:13], v[10:11]
	s_nop 0
	v_sub_f32_e32 v11, v9, v11
	v_sub_f32_e32 v11, v13, v11
	v_add_f32_e32 v15, v14, v11
	v_mov_b32_e32 v14, v12
	v_pk_add_f32 v[12:13], v[8:9], v[12:13] neg_lo:[0,1] neg_hi:[0,1]
	v_pk_add_f32 v[26:27], v[8:9], v[14:15]
	v_mov_b32_e32 v11, v8
	v_mov_b32_e32 v13, v27
	v_pk_add_f32 v[28:29], v[10:11], v[12:13] neg_lo:[0,1] neg_hi:[0,1]
	v_pk_add_f32 v[10:11], v[10:11], v[12:13]
	v_mov_b32_e32 v14, v15
	v_mov_b32_e32 v12, v11
	v_pk_add_f32 v[30:31], v[12:13], v[8:9] neg_lo:[0,1] neg_hi:[0,1]
	v_mov_b32_e32 v10, v27
	v_mov_b32_e32 v13, v30
	v_pk_add_f32 v[32:33], v[26:27], v[12:13] neg_lo:[0,1] neg_hi:[0,1]
	v_mov_b32_e32 v26, v9
	v_mov_b32_e32 v27, v30
	;; [unrolled: 1-line block ×3, first 2 shown]
	v_pk_add_f32 v[10:11], v[10:11], v[26:27] neg_lo:[0,1] neg_hi:[0,1]
	v_mov_b32_e32 v15, v8
	v_pk_add_f32 v[8:9], v[14:15], v[10:11] neg_lo:[0,1] neg_hi:[0,1]
	v_mov_b32_e32 v32, v28
	v_pk_add_f32 v[10:11], v[32:33], v[8:9]
	s_nop 0
	v_mov_b32_e32 v14, v11
	v_pk_add_f32 v[14:15], v[10:11], v[14:15]
	s_nop 0
	v_pk_add_f32 v[12:13], v[12:13], v[14:15]
	v_mov_b32_e32 v9, v14
	v_mov_b32_e32 v11, v12
	v_pk_add_f32 v[26:27], v[10:11], v[28:29] neg_lo:[0,1] neg_hi:[0,1]
	s_nop 0
	v_sub_f32_e32 v10, v10, v26
	v_pk_add_f32 v[8:9], v[8:9], v[26:27] neg_lo:[0,1] neg_hi:[0,1]
	v_sub_f32_e32 v10, v28, v10
	v_add_f32_e32 v8, v8, v10
	v_add_f32_e32 v8, v8, v9
	;; [unrolled: 1-line block ×3, first 2 shown]
	v_cndmask_b32_e32 v27, v8, v19, vcc
.LBB117_107:                            ;   in Loop: Header=BB117_13 Depth=1
	s_or_b64 exec, exec, s[52:53]
	v_cvt_f32_f16_e32 v8, v7
	v_cvt_f32_f16_sdwa v9, v6 dst_sel:DWORD dst_unused:UNUSED_PAD src0_sel:WORD_1
	v_cvt_f32_f16_e32 v6, v6
	v_cvt_f32_f16_sdwa v11, v7 dst_sel:DWORD dst_unused:UNUSED_PAD src0_sel:WORD_1
	v_cvt_f32_f16_sdwa v7, v5 dst_sel:DWORD dst_unused:UNUSED_PAD src0_sel:WORD_1
	v_cvt_f32_f16_e32 v5, v5
	v_cvt_f32_f16_sdwa v10, v4 dst_sel:DWORD dst_unused:UNUSED_PAD src0_sel:WORD_1
	v_cvt_f32_f16_e32 v4, v4
	;; [unrolled: 2-line block ×6, first 2 shown]
	v_readlane_b32 s0, v95, 3
	s_waitcnt lgkmcnt(0)
	; wave barrier
	s_nop 0
	v_mul_f32_e32 v30, s0, v8
	v_mul_f32_e32 v29, s0, v9
	;; [unrolled: 1-line block ×16, first 2 shown]
	v_readlane_b32 s0, v95, 22
	v_readlane_b32 s1, v95, 23
	s_and_b64 vcc, exec, s[0:1]
	s_cbranch_vccz .LBB117_200
; %bb.108:                              ;   in Loop: Header=BB117_13 Depth=1
	v_mul_f32_e32 v82, v22, v0
	scratch_load_dword v0, off, off offset:264 ; 4-byte Folded Reload
	v_readlane_b32 s0, v95, 8
	v_readlane_b32 s1, v95, 9
	v_mul_f32_e32 v8, v65, v8
	v_mul_f32_e32 v6, v63, v6
	v_lshl_add_u64 v[44:45], s[0:1], 0, v[16:17]
	v_readlane_b32 s0, v95, 18
	v_readlane_b32 s1, v95, 19
	v_mul_f32_e32 v5, v61, v5
	s_mov_b32 s88, 0
	v_lshl_add_u64 v[46:47], s[0:1], 0, v[16:17]
	v_readlane_b32 s1, v95, 52
	s_cmp_lg_u32 s1, 0
	v_readlane_b32 s0, v95, 31
	s_cselect_b64 s[2:3], -1, 0
	s_cmp_eq_u32 s1, s0
	v_readlane_b32 s0, v95, 26
	v_readlane_b32 s1, v95, 27
	s_cselect_b64 s[94:95], -1, 0
	v_mul_f32_e32 v11, v27, v11
	scratch_store_dword off, v8, off offset:72 ; 4-byte Folded Spill
	v_mul_f32_e32 v8, v64, v9
	scratch_store_dword off, v6, off offset:80 ; 4-byte Folded Spill
	;; [unrolled: 2-line block ×3, first 2 shown]
	v_mul_f32_e32 v5, v60, v10
	v_mul_f32_e32 v72, v94, v4
	;; [unrolled: 1-line block ×9, first 2 shown]
	s_mov_b32 s98, s88
	s_mov_b32 s96, s88
	;; [unrolled: 1-line block ×3, first 2 shown]
	v_readlane_b32 s90, v95, 48
	scratch_store_dword off, v11, off offset:68 ; 4-byte Folded Spill
	scratch_store_dword off, v8, off offset:76 ; 4-byte Folded Spill
	;; [unrolled: 1-line block ×4, first 2 shown]
	s_waitcnt vmcnt(7)
	v_cmp_gt_u32_e32 vcc, s82, v0
	scratch_load_dword v0, off, off offset:268 ; 4-byte Folded Reload
	s_or_b64 s[52:53], s[0:1], vcc
	s_waitcnt vmcnt(0)
	v_cmp_gt_u32_e32 vcc, s82, v0
	scratch_load_dword v0, off, off offset:272 ; 4-byte Folded Reload
	s_or_b64 s[54:55], s[0:1], vcc
	;; [unrolled: 4-line block ×15, first 2 shown]
	s_waitcnt vmcnt(0)
	v_cmp_gt_u32_e32 vcc, s82, v0
	s_or_b64 s[82:83], s[0:1], vcc
	v_readlane_b32 s0, v95, 24
	v_readlane_b32 s1, v95, 25
	s_mov_b32 s33, s1
	s_branch .LBB117_110
.LBB117_109:                            ;   in Loop: Header=BB117_110 Depth=2
	s_or_b64 exec, exec, s[92:93]
	v_mul_f32_e32 v48, v83, v69
	v_fma_f32 v49, v83, v70, v8
	v_cndmask_b32_e64 v8, v49, v8, s[16:17]
	v_cndmask_b32_e64 v48, v48, v83, s[16:17]
	s_waitcnt lgkmcnt(0)
	v_fmac_f32_e32 v8, v58, v48
	v_fmac_f32_e32 v9, v8, v84
	;; [unrolled: 1-line block ×15, first 2 shown]
	v_readlane_b32 s4, v95, 40
	v_fmac_f32_e32 v57, v56, v68
	v_cvt_f32_f16_sdwa v49, v4 dst_sel:DWORD dst_unused:UNUSED_PAD src0_sel:WORD_1
	v_cvt_f32_f16_sdwa v59, v5 dst_sel:DWORD dst_unused:UNUSED_PAD src0_sel:WORD_1
	v_cvt_f32_f16_e32 v48, v4
	v_cvt_f32_f16_e32 v58, v5
	v_cvt_f32_f16_sdwa v5, v6 dst_sel:DWORD dst_unused:UNUSED_PAD src0_sel:WORD_1
	v_cvt_f32_f16_sdwa v67, v7 dst_sel:DWORD dst_unused:UNUSED_PAD src0_sel:WORD_1
	v_cvt_f32_f16_e32 v4, v6
	v_cvt_f32_f16_e32 v66, v7
	;; [unrolled: 4-line block ×4, first 2 shown]
	v_readlane_b32 s5, v95, 41
	v_readlane_b32 s6, v95, 42
	;; [unrolled: 1-line block ×7, first 2 shown]
	s_add_i32 s96, s96, s4
	v_readlane_b32 s4, v95, 10
	v_readlane_b32 s5, v95, 11
	;; [unrolled: 1-line block ×3, first 2 shown]
	s_add_i32 s90, s90, 8
	s_add_i32 s33, s33, -1
	s_add_i32 s86, s86, s87
	s_add_i32 s98, s98, s8
	;; [unrolled: 1-line block ×3, first 2 shown]
	v_pk_fma_f32 v[42:43], v[10:11], v[58:59], v[42:43]
	v_pk_fma_f32 v[40:41], v[8:9], v[48:49], v[40:41]
	;; [unrolled: 1-line block ×7, first 2 shown]
	s_cmp_eq_u32 s33, 0
	v_pk_fma_f32 v[28:29], v[14:15], v[0:1], v[28:29]
	v_readlane_b32 s6, v95, 12
	v_readlane_b32 s7, v95, 13
	;; [unrolled: 1-line block ×5, first 2 shown]
	s_cbranch_scc1 .LBB117_199
.LBB117_110:                            ;   Parent Loop BB117_13 Depth=1
                                        ; =>  This Inner Loop Header: Depth=2
	s_lshl_b64 s[92:93], s[88:89], 2
	v_readlane_b32 s0, v95, 6
	s_add_u32 s92, s0, s92
	v_readlane_b32 s0, v95, 7
	s_addc_u32 s93, s0, s93
	global_load_dword v50, v17, s[92:93]
	s_mov_b32 s99, s89
	v_lshl_add_u64 v[0:1], s[98:99], 1, v[44:45]
	v_mov_b32_e32 v2, 0
	v_mov_b32_e32 v3, 0
	s_and_saveexec_b64 s[92:93], s[18:19]
	s_cbranch_execnz .LBB117_146
; %bb.111:                              ;   in Loop: Header=BB117_110 Depth=2
	s_or_b64 exec, exec, s[92:93]
	s_and_saveexec_b64 s[92:93], s[20:21]
	s_cbranch_execnz .LBB117_147
.LBB117_112:                            ;   in Loop: Header=BB117_110 Depth=2
	s_or_b64 exec, exec, s[92:93]
	v_mov_b32_e32 v4, 0
	s_and_saveexec_b64 s[92:93], s[22:23]
	s_cbranch_execnz .LBB117_148
.LBB117_113:                            ;   in Loop: Header=BB117_110 Depth=2
	s_or_b64 exec, exec, s[92:93]
	s_and_saveexec_b64 s[92:93], s[24:25]
	s_cbranch_execnz .LBB117_149
.LBB117_114:                            ;   in Loop: Header=BB117_110 Depth=2
	s_or_b64 exec, exec, s[92:93]
	v_mov_b32_e32 v5, 0
	s_and_saveexec_b64 s[92:93], s[26:27]
	s_cbranch_execnz .LBB117_150
.LBB117_115:                            ;   in Loop: Header=BB117_110 Depth=2
	s_or_b64 exec, exec, s[92:93]
	s_and_saveexec_b64 s[92:93], s[28:29]
	s_cbranch_execnz .LBB117_151
.LBB117_116:                            ;   in Loop: Header=BB117_110 Depth=2
	s_or_b64 exec, exec, s[92:93]
	v_mov_b32_e32 v6, 0
	s_and_saveexec_b64 s[92:93], s[30:31]
	s_cbranch_execnz .LBB117_152
.LBB117_117:                            ;   in Loop: Header=BB117_110 Depth=2
	s_or_b64 exec, exec, s[92:93]
	s_and_saveexec_b64 s[92:93], s[34:35]
	s_cbranch_execnz .LBB117_153
.LBB117_118:                            ;   in Loop: Header=BB117_110 Depth=2
	s_or_b64 exec, exec, s[92:93]
	v_mov_b32_e32 v7, 0
	s_and_saveexec_b64 s[92:93], s[36:37]
	s_cbranch_execnz .LBB117_154
.LBB117_119:                            ;   in Loop: Header=BB117_110 Depth=2
	s_or_b64 exec, exec, s[92:93]
	s_and_saveexec_b64 s[92:93], s[38:39]
	s_cbranch_execnz .LBB117_155
.LBB117_120:                            ;   in Loop: Header=BB117_110 Depth=2
	s_or_b64 exec, exec, s[92:93]
	v_mov_b32_e32 v8, 0
	s_and_saveexec_b64 s[92:93], s[40:41]
	s_cbranch_execnz .LBB117_156
.LBB117_121:                            ;   in Loop: Header=BB117_110 Depth=2
	s_or_b64 exec, exec, s[92:93]
	s_and_saveexec_b64 s[92:93], s[42:43]
	s_cbranch_execnz .LBB117_157
.LBB117_122:                            ;   in Loop: Header=BB117_110 Depth=2
	s_or_b64 exec, exec, s[92:93]
	v_mov_b32_e32 v9, 0
	s_and_saveexec_b64 s[92:93], s[44:45]
	s_cbranch_execnz .LBB117_158
.LBB117_123:                            ;   in Loop: Header=BB117_110 Depth=2
	s_or_b64 exec, exec, s[92:93]
	s_and_saveexec_b64 s[92:93], s[46:47]
	s_cbranch_execnz .LBB117_159
.LBB117_124:                            ;   in Loop: Header=BB117_110 Depth=2
	s_or_b64 exec, exec, s[92:93]
	v_mov_b32_e32 v10, 0
	s_and_saveexec_b64 s[92:93], s[48:49]
	s_cbranch_execnz .LBB117_160
.LBB117_125:                            ;   in Loop: Header=BB117_110 Depth=2
	s_or_b64 exec, exec, s[92:93]
	s_and_saveexec_b64 s[92:93], s[50:51]
	s_cbranch_execz .LBB117_127
.LBB117_126:                            ;   in Loop: Header=BB117_110 Depth=2
	global_load_ushort v0, v[0:1], off offset:1920
	s_waitcnt vmcnt(0)
	v_lshl_or_b32 v10, v0, 16, v10
.LBB117_127:                            ;   in Loop: Header=BB117_110 Depth=2
	s_or_b64 exec, exec, s[92:93]
	scratch_load_dword v0, off, off         ; 4-byte Folded Reload
	s_mov_b32 s97, s89
	s_waitcnt vmcnt(0)
	ds_write_b16 v0, v3
	scratch_load_dword v0, off, off offset:8 ; 4-byte Folded Reload
	v_mov_b32_e32 v3, 0
	s_waitcnt vmcnt(0)
	ds_write_b16 v0, v2 offset:128
	scratch_load_dword v0, off, off offset:12 ; 4-byte Folded Reload
	v_mov_b32_e32 v2, 0
	s_waitcnt vmcnt(0)
	ds_write_b16 v0, v4 offset:256
	scratch_load_dword v0, off, off offset:16 ; 4-byte Folded Reload
	s_waitcnt vmcnt(0)
	ds_write_b16_d16_hi v0, v4 offset:384
	scratch_load_dword v0, off, off offset:20 ; 4-byte Folded Reload
	s_waitcnt vmcnt(0)
	ds_write_b16 v0, v5 offset:512
	scratch_load_dword v0, off, off offset:24 ; 4-byte Folded Reload
	s_waitcnt vmcnt(0)
	ds_write_b16_d16_hi v0, v5 offset:640
	scratch_load_dword v0, off, off offset:28 ; 4-byte Folded Reload
	;; [unrolled: 6-line block ×6, first 2 shown]
	s_waitcnt vmcnt(0)
	ds_write_b16 v0, v10 offset:1792
	scratch_load_dword v0, off, off offset:64 ; 4-byte Folded Reload
	s_waitcnt vmcnt(0)
	ds_write_b16_d16_hi v0, v10 offset:1920
	; wave barrier
	scratch_load_dword v0, off, off offset:4 ; 4-byte Folded Reload
	s_waitcnt vmcnt(0)
	ds_read_b128 v[12:15], v0
	ds_read_b128 v[8:11], v0 offset:16
	v_lshl_add_u64 v[0:1], s[96:97], 1, v[46:47]
	s_and_saveexec_b64 s[92:93], s[18:19]
	s_cbranch_execnz .LBB117_161
; %bb.128:                              ;   in Loop: Header=BB117_110 Depth=2
	s_or_b64 exec, exec, s[92:93]
	s_and_saveexec_b64 s[92:93], s[20:21]
	s_cbranch_execnz .LBB117_162
.LBB117_129:                            ;   in Loop: Header=BB117_110 Depth=2
	s_or_b64 exec, exec, s[92:93]
	v_mov_b32_e32 v4, 0
	s_and_saveexec_b64 s[92:93], s[22:23]
	s_cbranch_execnz .LBB117_163
.LBB117_130:                            ;   in Loop: Header=BB117_110 Depth=2
	s_or_b64 exec, exec, s[92:93]
	s_and_saveexec_b64 s[92:93], s[24:25]
	s_cbranch_execnz .LBB117_164
.LBB117_131:                            ;   in Loop: Header=BB117_110 Depth=2
	s_or_b64 exec, exec, s[92:93]
	v_mov_b32_e32 v5, 0
	s_and_saveexec_b64 s[92:93], s[26:27]
	s_cbranch_execnz .LBB117_165
.LBB117_132:                            ;   in Loop: Header=BB117_110 Depth=2
	s_or_b64 exec, exec, s[92:93]
	s_and_saveexec_b64 s[92:93], s[28:29]
	s_cbranch_execnz .LBB117_166
.LBB117_133:                            ;   in Loop: Header=BB117_110 Depth=2
	s_or_b64 exec, exec, s[92:93]
	v_mov_b32_e32 v6, 0
	s_and_saveexec_b64 s[92:93], s[30:31]
	s_cbranch_execnz .LBB117_167
.LBB117_134:                            ;   in Loop: Header=BB117_110 Depth=2
	s_or_b64 exec, exec, s[92:93]
	s_and_saveexec_b64 s[92:93], s[34:35]
	s_cbranch_execnz .LBB117_168
.LBB117_135:                            ;   in Loop: Header=BB117_110 Depth=2
	s_or_b64 exec, exec, s[92:93]
	v_mov_b32_e32 v7, 0
	s_and_saveexec_b64 s[92:93], s[36:37]
	s_cbranch_execnz .LBB117_169
.LBB117_136:                            ;   in Loop: Header=BB117_110 Depth=2
	s_or_b64 exec, exec, s[92:93]
	s_and_saveexec_b64 s[92:93], s[38:39]
	s_cbranch_execnz .LBB117_170
.LBB117_137:                            ;   in Loop: Header=BB117_110 Depth=2
	s_or_b64 exec, exec, s[92:93]
	v_mov_b32_e32 v16, 0
	s_and_saveexec_b64 s[92:93], s[40:41]
	s_cbranch_execnz .LBB117_171
.LBB117_138:                            ;   in Loop: Header=BB117_110 Depth=2
	s_or_b64 exec, exec, s[92:93]
	s_and_saveexec_b64 s[92:93], s[42:43]
	s_cbranch_execnz .LBB117_172
.LBB117_139:                            ;   in Loop: Header=BB117_110 Depth=2
	s_or_b64 exec, exec, s[92:93]
	v_mov_b32_e32 v26, 0
	s_and_saveexec_b64 s[92:93], s[44:45]
	s_cbranch_execnz .LBB117_173
.LBB117_140:                            ;   in Loop: Header=BB117_110 Depth=2
	s_or_b64 exec, exec, s[92:93]
	s_and_saveexec_b64 s[92:93], s[46:47]
	s_cbranch_execnz .LBB117_174
.LBB117_141:                            ;   in Loop: Header=BB117_110 Depth=2
	s_or_b64 exec, exec, s[92:93]
	v_mov_b32_e32 v48, 0
	s_and_saveexec_b64 s[92:93], s[48:49]
	s_cbranch_execnz .LBB117_175
.LBB117_142:                            ;   in Loop: Header=BB117_110 Depth=2
	s_or_b64 exec, exec, s[92:93]
	s_and_saveexec_b64 s[92:93], s[50:51]
	s_cbranch_execz .LBB117_144
.LBB117_143:                            ;   in Loop: Header=BB117_110 Depth=2
	global_load_ushort v0, v[0:1], off offset:1920
	s_waitcnt vmcnt(0)
	v_lshl_or_b32 v48, v0, 16, v48
.LBB117_144:                            ;   in Loop: Header=BB117_110 Depth=2
	s_or_b64 exec, exec, s[92:93]
	scratch_load_dword v0, off, off         ; 4-byte Folded Reload
	s_andn2_b64 vcc, exec, s[2:3]
	s_waitcnt vmcnt(0)
	ds_write_b16 v0, v3 offset:2112
	scratch_load_dword v0, off, off offset:96 ; 4-byte Folded Reload
	s_waitcnt vmcnt(0)
	ds_write_b16 v0, v2 offset:128
	scratch_load_dword v0, off, off offset:100 ; 4-byte Folded Reload
	;; [unrolled: 3-line block ×3, first 2 shown]
	s_waitcnt vmcnt(0)
	ds_write_b16_d16_hi v0, v4 offset:384
	scratch_load_dword v0, off, off offset:108 ; 4-byte Folded Reload
	s_waitcnt vmcnt(0)
	ds_write_b16 v0, v5 offset:512
	scratch_load_dword v0, off, off offset:112 ; 4-byte Folded Reload
	s_waitcnt vmcnt(0)
	ds_write_b16_d16_hi v0, v5 offset:640
	scratch_load_dword v0, off, off offset:116 ; 4-byte Folded Reload
	s_waitcnt vmcnt(0)
	ds_write_b16 v0, v6 offset:768
	scratch_load_dword v0, off, off offset:120 ; 4-byte Folded Reload
	;; [unrolled: 6-line block ×6, first 2 shown]
	s_waitcnt vmcnt(0)
	ds_write_b16_d16_hi v0, v48 offset:1920
	; wave barrier
	scratch_load_dword v0, off, off offset:4 ; 4-byte Folded Reload
	s_waitcnt vmcnt(0)
	ds_read_b128 v[4:7], v0 offset:2112
	scratch_load_dword v0, off, off offset:156 ; 4-byte Folded Reload
	s_waitcnt vmcnt(0)
	ds_read_b128 v[0:3], v0 offset:16
	s_cbranch_vccnz .LBB117_176
; %bb.145:                              ;   in Loop: Header=BB117_110 Depth=2
	v_mov_b32_e32 v16, s90
	ds_read_b64 v[48:49], v16
	s_cbranch_execz .LBB117_177
	s_branch .LBB117_180
.LBB117_146:                            ;   in Loop: Header=BB117_110 Depth=2
	global_load_ushort v3, v[0:1], off
	s_or_b64 exec, exec, s[92:93]
	s_and_saveexec_b64 s[92:93], s[20:21]
	s_cbranch_execz .LBB117_112
.LBB117_147:                            ;   in Loop: Header=BB117_110 Depth=2
	global_load_ushort v2, v[0:1], off offset:128
	s_or_b64 exec, exec, s[92:93]
	v_mov_b32_e32 v4, 0
	s_and_saveexec_b64 s[92:93], s[22:23]
	s_cbranch_execz .LBB117_113
.LBB117_148:                            ;   in Loop: Header=BB117_110 Depth=2
	global_load_ushort v4, v[0:1], off offset:256
	s_or_b64 exec, exec, s[92:93]
	s_and_saveexec_b64 s[92:93], s[24:25]
	s_cbranch_execz .LBB117_114
.LBB117_149:                            ;   in Loop: Header=BB117_110 Depth=2
	global_load_ushort v5, v[0:1], off offset:384
	s_waitcnt vmcnt(0)
	v_lshl_or_b32 v4, v5, 16, v4
	s_or_b64 exec, exec, s[92:93]
	v_mov_b32_e32 v5, 0
	s_and_saveexec_b64 s[92:93], s[26:27]
	s_cbranch_execz .LBB117_115
.LBB117_150:                            ;   in Loop: Header=BB117_110 Depth=2
	global_load_ushort v5, v[0:1], off offset:512
	s_or_b64 exec, exec, s[92:93]
	s_and_saveexec_b64 s[92:93], s[28:29]
	s_cbranch_execz .LBB117_116
.LBB117_151:                            ;   in Loop: Header=BB117_110 Depth=2
	global_load_ushort v6, v[0:1], off offset:640
	s_waitcnt vmcnt(0)
	v_lshl_or_b32 v5, v6, 16, v5
	s_or_b64 exec, exec, s[92:93]
	v_mov_b32_e32 v6, 0
	s_and_saveexec_b64 s[92:93], s[30:31]
	s_cbranch_execz .LBB117_117
.LBB117_152:                            ;   in Loop: Header=BB117_110 Depth=2
	global_load_ushort v6, v[0:1], off offset:768
	s_or_b64 exec, exec, s[92:93]
	s_and_saveexec_b64 s[92:93], s[34:35]
	s_cbranch_execz .LBB117_118
.LBB117_153:                            ;   in Loop: Header=BB117_110 Depth=2
	global_load_ushort v7, v[0:1], off offset:896
	s_waitcnt vmcnt(0)
	v_lshl_or_b32 v6, v7, 16, v6
	s_or_b64 exec, exec, s[92:93]
	v_mov_b32_e32 v7, 0
	s_and_saveexec_b64 s[92:93], s[36:37]
	s_cbranch_execz .LBB117_119
.LBB117_154:                            ;   in Loop: Header=BB117_110 Depth=2
	global_load_ushort v7, v[0:1], off offset:1024
	s_or_b64 exec, exec, s[92:93]
	s_and_saveexec_b64 s[92:93], s[38:39]
	s_cbranch_execz .LBB117_120
.LBB117_155:                            ;   in Loop: Header=BB117_110 Depth=2
	global_load_ushort v8, v[0:1], off offset:1152
	s_waitcnt vmcnt(0)
	v_lshl_or_b32 v7, v8, 16, v7
	s_or_b64 exec, exec, s[92:93]
	v_mov_b32_e32 v8, 0
	s_and_saveexec_b64 s[92:93], s[40:41]
	s_cbranch_execz .LBB117_121
.LBB117_156:                            ;   in Loop: Header=BB117_110 Depth=2
	global_load_ushort v8, v[0:1], off offset:1280
	s_or_b64 exec, exec, s[92:93]
	s_and_saveexec_b64 s[92:93], s[42:43]
	s_cbranch_execz .LBB117_122
.LBB117_157:                            ;   in Loop: Header=BB117_110 Depth=2
	global_load_ushort v9, v[0:1], off offset:1408
	s_waitcnt vmcnt(0)
	v_lshl_or_b32 v8, v9, 16, v8
	s_or_b64 exec, exec, s[92:93]
	v_mov_b32_e32 v9, 0
	s_and_saveexec_b64 s[92:93], s[44:45]
	s_cbranch_execz .LBB117_123
.LBB117_158:                            ;   in Loop: Header=BB117_110 Depth=2
	global_load_ushort v9, v[0:1], off offset:1536
	s_or_b64 exec, exec, s[92:93]
	s_and_saveexec_b64 s[92:93], s[46:47]
	s_cbranch_execz .LBB117_124
.LBB117_159:                            ;   in Loop: Header=BB117_110 Depth=2
	global_load_ushort v10, v[0:1], off offset:1664
	s_waitcnt vmcnt(0)
	v_lshl_or_b32 v9, v10, 16, v9
	s_or_b64 exec, exec, s[92:93]
	v_mov_b32_e32 v10, 0
	s_and_saveexec_b64 s[92:93], s[48:49]
	s_cbranch_execz .LBB117_125
.LBB117_160:                            ;   in Loop: Header=BB117_110 Depth=2
	global_load_ushort v10, v[0:1], off offset:1792
	s_or_b64 exec, exec, s[92:93]
	s_and_saveexec_b64 s[92:93], s[50:51]
	s_cbranch_execnz .LBB117_126
	s_branch .LBB117_127
.LBB117_161:                            ;   in Loop: Header=BB117_110 Depth=2
	global_load_ushort v3, v[0:1], off
	s_or_b64 exec, exec, s[92:93]
	s_and_saveexec_b64 s[92:93], s[20:21]
	s_cbranch_execz .LBB117_129
.LBB117_162:                            ;   in Loop: Header=BB117_110 Depth=2
	global_load_ushort v2, v[0:1], off offset:128
	s_or_b64 exec, exec, s[92:93]
	v_mov_b32_e32 v4, 0
	s_and_saveexec_b64 s[92:93], s[22:23]
	s_cbranch_execz .LBB117_130
.LBB117_163:                            ;   in Loop: Header=BB117_110 Depth=2
	global_load_ushort v4, v[0:1], off offset:256
	s_or_b64 exec, exec, s[92:93]
	s_and_saveexec_b64 s[92:93], s[24:25]
	s_cbranch_execz .LBB117_131
.LBB117_164:                            ;   in Loop: Header=BB117_110 Depth=2
	global_load_ushort v5, v[0:1], off offset:384
	s_waitcnt vmcnt(0)
	v_lshl_or_b32 v4, v5, 16, v4
	s_or_b64 exec, exec, s[92:93]
	v_mov_b32_e32 v5, 0
	s_and_saveexec_b64 s[92:93], s[26:27]
	s_cbranch_execz .LBB117_132
.LBB117_165:                            ;   in Loop: Header=BB117_110 Depth=2
	global_load_ushort v5, v[0:1], off offset:512
	s_or_b64 exec, exec, s[92:93]
	s_and_saveexec_b64 s[92:93], s[28:29]
	s_cbranch_execz .LBB117_133
.LBB117_166:                            ;   in Loop: Header=BB117_110 Depth=2
	global_load_ushort v6, v[0:1], off offset:640
	s_waitcnt vmcnt(0)
	v_lshl_or_b32 v5, v6, 16, v5
	s_or_b64 exec, exec, s[92:93]
	v_mov_b32_e32 v6, 0
	s_and_saveexec_b64 s[92:93], s[30:31]
	s_cbranch_execz .LBB117_134
.LBB117_167:                            ;   in Loop: Header=BB117_110 Depth=2
	global_load_ushort v6, v[0:1], off offset:768
	s_or_b64 exec, exec, s[92:93]
	s_and_saveexec_b64 s[92:93], s[34:35]
	s_cbranch_execz .LBB117_135
.LBB117_168:                            ;   in Loop: Header=BB117_110 Depth=2
	global_load_ushort v7, v[0:1], off offset:896
	s_waitcnt vmcnt(0)
	v_lshl_or_b32 v6, v7, 16, v6
	s_or_b64 exec, exec, s[92:93]
	v_mov_b32_e32 v7, 0
	s_and_saveexec_b64 s[92:93], s[36:37]
	s_cbranch_execz .LBB117_136
.LBB117_169:                            ;   in Loop: Header=BB117_110 Depth=2
	global_load_ushort v7, v[0:1], off offset:1024
	s_or_b64 exec, exec, s[92:93]
	s_and_saveexec_b64 s[92:93], s[38:39]
	s_cbranch_execz .LBB117_137
.LBB117_170:                            ;   in Loop: Header=BB117_110 Depth=2
	global_load_ushort v16, v[0:1], off offset:1152
	s_waitcnt vmcnt(0)
	v_lshl_or_b32 v7, v16, 16, v7
	s_or_b64 exec, exec, s[92:93]
	v_mov_b32_e32 v16, 0
	s_and_saveexec_b64 s[92:93], s[40:41]
	s_cbranch_execz .LBB117_138
.LBB117_171:                            ;   in Loop: Header=BB117_110 Depth=2
	global_load_ushort v16, v[0:1], off offset:1280
	s_or_b64 exec, exec, s[92:93]
	s_and_saveexec_b64 s[92:93], s[42:43]
	s_cbranch_execz .LBB117_139
.LBB117_172:                            ;   in Loop: Header=BB117_110 Depth=2
	global_load_ushort v26, v[0:1], off offset:1408
	s_waitcnt vmcnt(0)
	v_lshl_or_b32 v16, v26, 16, v16
	s_or_b64 exec, exec, s[92:93]
	v_mov_b32_e32 v26, 0
	s_and_saveexec_b64 s[92:93], s[44:45]
	s_cbranch_execz .LBB117_140
.LBB117_173:                            ;   in Loop: Header=BB117_110 Depth=2
	global_load_ushort v26, v[0:1], off offset:1536
	s_or_b64 exec, exec, s[92:93]
	s_and_saveexec_b64 s[92:93], s[46:47]
	s_cbranch_execz .LBB117_141
.LBB117_174:                            ;   in Loop: Header=BB117_110 Depth=2
	global_load_ushort v48, v[0:1], off offset:1664
	s_waitcnt vmcnt(0)
	v_lshl_or_b32 v26, v48, 16, v26
	s_or_b64 exec, exec, s[92:93]
	v_mov_b32_e32 v48, 0
	s_and_saveexec_b64 s[92:93], s[48:49]
	s_cbranch_execz .LBB117_142
.LBB117_175:                            ;   in Loop: Header=BB117_110 Depth=2
	global_load_ushort v48, v[0:1], off offset:1792
	s_or_b64 exec, exec, s[92:93]
	s_and_saveexec_b64 s[92:93], s[50:51]
	s_cbranch_execnz .LBB117_143
	s_branch .LBB117_144
.LBB117_176:                            ;   in Loop: Header=BB117_110 Depth=2
                                        ; implicit-def: $vgpr49
.LBB117_177:                            ;   in Loop: Header=BB117_110 Depth=2
	v_readlane_b32 s0, v95, 0
	v_readlane_b32 s1, v95, 1
	s_andn2_b64 vcc, exec, s[0:1]
	s_waitcnt lgkmcnt(0)
	v_mov_b32_e32 v49, 0
	s_cbranch_vccnz .LBB117_179
; %bb.178:                              ;   in Loop: Header=BB117_110 Depth=2
	s_mov_b32 s87, s89
	s_lshl_b64 s[92:93], s[86:87], 2
	v_readlane_b32 s0, v95, 20
	s_add_u32 s92, s0, s92
	v_readlane_b32 s0, v95, 21
	s_addc_u32 s93, s0, s93
	global_load_dword v49, v17, s[92:93]
	v_readlane_b32 s87, v95, 49
.LBB117_179:                            ;   in Loop: Header=BB117_110 Depth=2
	v_mov_b32_e32 v48, 1.0
.LBB117_180:                            ;   in Loop: Header=BB117_110 Depth=2
	v_mul_f32_e32 v56, 0x3fb8aa3b, v50
	s_waitcnt lgkmcnt(14)
	v_cvt_f32_f16_e32 v53, v8
	v_cvt_f32_f16_sdwa v54, v8 dst_sel:DWORD dst_unused:UNUSED_PAD src0_sel:WORD_1
	v_mul_f32_e32 v8, v56, v22
	v_cmp_gt_f32_e32 vcc, s91, v8
	v_cvt_f32_f16_e32 v59, v10
	v_cvt_f32_f16_sdwa v67, v10 dst_sel:DWORD dst_unused:UNUSED_PAD src0_sel:WORD_1
	v_cndmask_b32_e32 v8, 0, v20, vcc
	v_mul_f32_e32 v10, v56, v23
	v_cvt_f32_f16_e32 v55, v9
	v_cvt_f32_f16_sdwa v58, v9 dst_sel:DWORD dst_unused:UNUSED_PAD src0_sel:WORD_1
	v_fmac_f32_e32 v8, v56, v22
	v_cndmask_b32_e32 v9, 1.0, v21, vcc
	v_cmp_gt_f32_e32 vcc, s91, v10
	v_exp_f32_e32 v8, v8
	v_cvt_f32_f16_e32 v16, v12
	v_cndmask_b32_e32 v10, 0, v20, vcc
	v_fmac_f32_e32 v10, v56, v23
	v_cvt_f32_f16_sdwa v12, v12 dst_sel:DWORD dst_unused:UNUSED_PAD src0_sel:WORD_1
	v_exp_f32_e32 v10, v10
	v_cvt_f32_f16_e32 v68, v11
	v_cvt_f32_f16_sdwa v57, v11 dst_sel:DWORD dst_unused:UNUSED_PAD src0_sel:WORD_1
	v_mul_f32_e32 v9, v8, v9
	v_mul_f32_e32 v11, v56, v24
	v_cndmask_b32_e64 v83, 1.0, v9, s[52:53]
	v_cndmask_b32_e32 v9, 1.0, v21, vcc
	v_cmp_gt_f32_e32 vcc, s91, v11
	v_mul_f32_e32 v10, v10, v9
	v_mul_f32_e32 v9, v81, v12
	v_cndmask_b32_e32 v11, 0, v20, vcc
	v_mul_f32_e32 v12, v56, v25
	v_fmac_f32_e32 v11, v56, v24
	v_cndmask_b32_e64 v84, 1.0, v10, s[54:55]
	v_cndmask_b32_e32 v10, 1.0, v21, vcc
	v_cmp_gt_f32_e32 vcc, s91, v12
	v_exp_f32_e32 v11, v11
	v_cvt_f32_f16_e32 v26, v13
	v_cndmask_b32_e32 v12, 0, v20, vcc
	v_fmac_f32_e32 v12, v56, v25
	v_cvt_f32_f16_sdwa v13, v13 dst_sel:DWORD dst_unused:UNUSED_PAD src0_sel:WORD_1
	v_exp_f32_e32 v12, v12
	v_mul_f32_e32 v11, v11, v10
	v_cndmask_b32_e64 v85, 1.0, v11, s[56:57]
	v_cndmask_b32_e32 v11, 1.0, v21, vcc
	v_mul_f32_e32 v12, v12, v11
	v_mul_f32_e32 v11, v79, v13
	v_mul_f32_e32 v13, v56, v18
	v_cmp_gt_f32_e32 vcc, s91, v13
	v_mul_f32_e32 v8, v82, v16
	v_mul_f32_e32 v16, v56, v74
	v_cndmask_b32_e32 v13, 0, v20, vcc
	v_fmac_f32_e32 v13, v56, v18
	v_cndmask_b32_e64 v86, 1.0, v12, s[58:59]
	v_cndmask_b32_e32 v12, 1.0, v21, vcc
	v_cmp_gt_f32_e32 vcc, s91, v16
	v_exp_f32_e32 v13, v13
	v_cvt_f32_f16_e32 v51, v14
	v_cndmask_b32_e32 v16, 0, v20, vcc
	v_fmac_f32_e32 v16, v56, v74
	v_cvt_f32_f16_sdwa v14, v14 dst_sel:DWORD dst_unused:UNUSED_PAD src0_sel:WORD_1
	v_exp_f32_e32 v16, v16
	v_mul_f32_e32 v13, v13, v12
	v_cndmask_b32_e64 v87, 1.0, v13, s[60:61]
	v_cndmask_b32_e32 v13, 1.0, v21, vcc
	v_mul_f32_e32 v16, v16, v13
	v_mul_f32_e32 v13, v77, v14
	;; [unrolled: 1-line block ×3, first 2 shown]
	v_cmp_gt_f32_e32 vcc, s91, v14
	v_cvt_f32_f16_e32 v52, v15
	v_cvt_f32_f16_sdwa v15, v15 dst_sel:DWORD dst_unused:UNUSED_PAD src0_sel:WORD_1
	v_cndmask_b32_e32 v14, 0, v20, vcc
	v_fmac_f32_e32 v14, v56, v92
	v_exp_f32_e32 v14, v14
	v_mul_f32_e32 v15, v19, v15
	v_mul_f32_e32 v12, v78, v51
	v_cndmask_b32_e64 v88, 1.0, v16, s[62:63]
	v_cndmask_b32_e32 v16, 1.0, v21, vcc
	v_cndmask_b32_e64 v51, 0, v15, s[66:67]
	v_mul_f32_e32 v15, v72, v53
	v_mul_f32_e32 v14, v14, v16
	;; [unrolled: 1-line block ×3, first 2 shown]
	v_cndmask_b32_e64 v52, 0, v15, s[68:69]
	scratch_load_dword v15, off, off offset:92 ; 4-byte Folded Reload
	v_mul_f32_e32 v10, v80, v26
	v_mul_f32_e32 v26, v56, v93
	v_cmp_gt_f32_e32 vcc, s91, v26
	v_cndmask_b32_e64 v50, 0, v16, s[64:65]
	v_mul_f32_e32 v16, v56, v94
	v_cndmask_b32_e32 v26, 0, v20, vcc
	v_fmac_f32_e32 v26, v56, v93
	v_cndmask_b32_e64 v89, 1.0, v14, s[64:65]
	v_cndmask_b32_e32 v14, 1.0, v21, vcc
	v_cmp_gt_f32_e32 vcc, s91, v16
	v_exp_f32_e32 v26, v26
	v_cndmask_b32_e64 v8, 0, v8, s[52:53]
	v_cndmask_b32_e32 v16, 0, v20, vcc
	v_fmac_f32_e32 v16, v56, v94
	v_exp_f32_e32 v16, v16
	v_mul_f32_e32 v14, v26, v14
	v_cndmask_b32_e64 v90, 1.0, v14, s[66:67]
	v_cndmask_b32_e32 v14, 1.0, v21, vcc
	v_mul_f32_e32 v14, v16, v14
	v_mul_f32_e32 v16, v56, v60
	v_cmp_gt_f32_e32 vcc, s91, v16
	v_cndmask_b32_e64 v73, 1.0, v14, s[68:69]
	v_cndmask_b32_e64 v9, 0, v9, s[54:55]
	v_cndmask_b32_e32 v16, 0, v20, vcc
	v_fmac_f32_e32 v16, v56, v60
	v_exp_f32_e32 v16, v16
	v_cndmask_b32_e32 v14, 1.0, v21, vcc
	v_cndmask_b32_e64 v10, 0, v10, s[56:57]
	v_cndmask_b32_e64 v11, 0, v11, s[58:59]
	v_mul_f32_e32 v14, v16, v14
	v_mul_f32_e32 v16, v56, v61
	v_cmp_gt_f32_e32 vcc, s91, v16
	v_cndmask_b32_e64 v75, 1.0, v14, s[70:71]
	v_cndmask_b32_e64 v12, 0, v12, s[60:61]
	v_cndmask_b32_e32 v16, 0, v20, vcc
	v_fmac_f32_e32 v16, v56, v61
	v_exp_f32_e32 v16, v16
	v_cndmask_b32_e32 v14, 1.0, v21, vcc
	v_cndmask_b32_e64 v13, 0, v13, s[62:63]
	v_readlane_b32 s0, v95, 28
	v_mul_f32_e32 v14, v16, v14
	v_mul_f32_e32 v16, v56, v62
	v_cmp_gt_f32_e32 vcc, s91, v16
	v_cndmask_b32_e64 v26, 1.0, v14, s[72:73]
	v_readlane_b32 s1, v95, 29
	v_cndmask_b32_e32 v16, 0, v20, vcc
	v_fmac_f32_e32 v16, v56, v62
	v_exp_f32_e32 v16, v16
	v_cndmask_b32_e32 v14, 1.0, v21, vcc
	v_mul_f32_e32 v14, v16, v14
	v_mul_f32_e32 v16, v56, v63
	v_cmp_gt_f32_e32 vcc, s91, v16
	v_cndmask_b32_e64 v91, 1.0, v14, s[74:75]
	s_waitcnt vmcnt(0)
	v_mul_f32_e32 v15, v15, v54
	v_cndmask_b32_e64 v53, 0, v15, s[70:71]
	scratch_load_dword v15, off, off offset:88 ; 4-byte Folded Reload
	v_cndmask_b32_e32 v16, 0, v20, vcc
	v_fmac_f32_e32 v16, v56, v63
	v_exp_f32_e32 v16, v16
	v_cndmask_b32_e32 v14, 1.0, v21, vcc
	s_waitcnt vmcnt(0)
	v_mul_f32_e32 v15, v15, v55
	v_cndmask_b32_e64 v54, 0, v15, s[72:73]
	scratch_load_dword v15, off, off offset:84 ; 4-byte Folded Reload
	s_waitcnt vmcnt(0)
	v_mul_f32_e32 v15, v15, v58
	v_cndmask_b32_e64 v55, 0, v15, s[74:75]
	v_mul_f32_e32 v15, v16, v14
	scratch_load_dword v14, off, off offset:80 ; 4-byte Folded Reload
	v_mul_f32_e32 v16, v56, v64
	v_cmp_gt_f32_e32 vcc, s91, v16
	v_mul_f32_e32 v58, v56, v65
	v_cndmask_b32_e64 v66, 1.0, v15, s[76:77]
	v_cndmask_b32_e32 v16, 0, v20, vcc
	v_fmac_f32_e32 v16, v56, v64
	v_cndmask_b32_e32 v15, 1.0, v21, vcc
	v_cmp_gt_f32_e32 vcc, s91, v58
	v_exp_f32_e32 v16, v16
	s_nop 0
	v_cndmask_b32_e32 v58, 0, v20, vcc
	v_fmac_f32_e32 v58, v56, v65
	v_exp_f32_e32 v58, v58
	v_mul_f32_e32 v16, v16, v15
	scratch_load_dword v15, off, off offset:76 ; 4-byte Folded Reload
	v_cndmask_b32_e64 v16, 1.0, v16, s[78:79]
	s_waitcnt vmcnt(1)
	v_mul_f32_e32 v14, v14, v59
	v_cndmask_b32_e32 v59, 1.0, v21, vcc
	v_mul_f32_e32 v58, v58, v59
	scratch_load_dword v59, off, off offset:72 ; 4-byte Folded Reload
	v_cndmask_b32_e64 v14, 0, v14, s[76:77]
	s_waitcnt vmcnt(1)
	v_mul_f32_e32 v15, v15, v67
	v_mul_f32_e32 v67, v56, v27
	v_cmp_gt_f32_e32 vcc, s91, v67
	v_cndmask_b32_e64 v15, 0, v15, s[78:79]
	s_waitcnt vmcnt(0)
	v_mul_f32_e32 v59, v59, v68
	v_cndmask_b32_e32 v67, 0, v20, vcc
	v_fmac_f32_e32 v67, v56, v27
	v_cndmask_b32_e64 v56, 0, v59, s[80:81]
	scratch_load_dword v59, off, off offset:68 ; 4-byte Folded Reload
	v_exp_f32_e32 v68, v67
	v_cndmask_b32_e64 v67, 1.0, v58, s[80:81]
	v_cndmask_b32_e32 v58, 1.0, v21, vcc
	v_mul_f32_e32 v58, v68, v58
	v_cndmask_b32_e64 v68, 1.0, v58, s[82:83]
	v_mul_f32_e32 v58, v84, v83
	v_mul_f32_e32 v58, v58, v85
	;; [unrolled: 1-line block ×15, first 2 shown]
	s_waitcnt vmcnt(0)
	v_mul_f32_e32 v57, v59, v57
	v_fma_f32 v59, v84, v8, v9
	v_fma_f32 v59, v59, v85, v10
	;; [unrolled: 1-line block ×13, first 2 shown]
	v_cndmask_b32_e64 v57, 0, v57, s[82:83]
	v_fma_f32 v59, v59, v67, v56
	v_fma_f32 v71, v59, v68, v57
	v_mov_b32_dpp v70, v58 row_shr:1 row_mask:0xf bank_mask:0xf
	s_nop 0
	v_mov_b32_dpp v69, v71 row_shr:1 row_mask:0xf bank_mask:0xf
	s_and_saveexec_b64 s[92:93], s[0:1]
; %bb.181:                              ;   in Loop: Header=BB117_110 Depth=2
	v_mul_f32_e32 v70, v58, v70
	v_fmac_f32_e32 v71, v58, v69
	v_mov_b32_e32 v58, v70
; %bb.182:                              ;   in Loop: Header=BB117_110 Depth=2
	s_or_b64 exec, exec, s[92:93]
	v_readlane_b32 s0, v95, 32
	v_mov_b32_dpp v69, v58 row_shr:2 row_mask:0xf bank_mask:0xf
	v_mov_b32_dpp v70, v71 row_shr:2 row_mask:0xf bank_mask:0xf
	v_readlane_b32 s1, v95, 33
	s_and_saveexec_b64 s[92:93], s[0:1]
; %bb.183:                              ;   in Loop: Header=BB117_110 Depth=2
	v_fmac_f32_e32 v71, v58, v70
	v_mul_f32_e32 v58, v58, v69
; %bb.184:                              ;   in Loop: Header=BB117_110 Depth=2
	s_or_b64 exec, exec, s[92:93]
	s_nop 0
	v_mov_b32_dpp v69, v58 row_shr:4 row_mask:0xf bank_mask:0xf
	v_mov_b32_dpp v70, v71 row_shr:4 row_mask:0xf bank_mask:0xf
	s_and_saveexec_b64 s[92:93], s[84:85]
; %bb.185:                              ;   in Loop: Header=BB117_110 Depth=2
	v_fmac_f32_e32 v71, v58, v70
	v_mul_f32_e32 v58, v58, v69
; %bb.186:                              ;   in Loop: Header=BB117_110 Depth=2
	s_or_b64 exec, exec, s[92:93]
	v_readlane_b32 s0, v95, 34
	v_mov_b32_dpp v69, v58 row_shr:8 row_mask:0xf bank_mask:0xf
	v_mov_b32_dpp v70, v71 row_shr:8 row_mask:0xf bank_mask:0xf
	v_readlane_b32 s1, v95, 35
	s_and_saveexec_b64 s[92:93], s[0:1]
; %bb.187:                              ;   in Loop: Header=BB117_110 Depth=2
	v_fmac_f32_e32 v71, v58, v70
	v_mul_f32_e32 v58, v58, v69
; %bb.188:                              ;   in Loop: Header=BB117_110 Depth=2
	s_or_b64 exec, exec, s[92:93]
	v_readlane_b32 s0, v95, 36
	v_mov_b32_dpp v69, v58 row_bcast:15 row_mask:0xf bank_mask:0xf
	v_mov_b32_dpp v70, v71 row_bcast:15 row_mask:0xf bank_mask:0xf
	v_readlane_b32 s1, v95, 37
	s_and_saveexec_b64 s[92:93], s[0:1]
; %bb.189:                              ;   in Loop: Header=BB117_110 Depth=2
	v_fmac_f32_e32 v71, v58, v70
	v_mul_f32_e32 v58, v58, v69
; %bb.190:                              ;   in Loop: Header=BB117_110 Depth=2
	s_or_b64 exec, exec, s[92:93]
	s_nop 0
	v_mov_b32_dpp v69, v58 row_bcast:31 row_mask:0xf bank_mask:0xf
	v_mov_b32_dpp v70, v71 row_bcast:31 row_mask:0xf bank_mask:0xf
	v_mov_b32_e32 v59, v71
	v_mul_f32_e32 v69, v58, v69
	v_fmac_f32_e32 v59, v58, v70
	v_readlane_b32 s0, v95, 38
	v_cndmask_b32_e64 v58, v58, v69, s[12:13]
	v_cndmask_b32_e64 v59, v71, v59, s[12:13]
	v_readlane_b32 s1, v95, 39
	s_and_saveexec_b64 s[92:93], s[0:1]
	s_cbranch_execz .LBB117_192
; %bb.191:                              ;   in Loop: Header=BB117_110 Depth=2
	ds_write_b64 v17, v[58:59] offset:4224
.LBB117_192:                            ;   in Loop: Header=BB117_110 Depth=2
	s_or_b64 exec, exec, s[92:93]
	scratch_load_dword v70, off, off offset:160 ; 4-byte Folded Reload
	s_waitcnt lgkmcnt(0)
	; wave barrier
	s_waitcnt vmcnt(0) lgkmcnt(0)
	ds_bpermute_b32 v69, v70, v58
	ds_bpermute_b32 v70, v70, v59
	v_mov_b32_e32 v59, v49
	s_and_saveexec_b64 s[92:93], s[14:15]
	s_cbranch_execz .LBB117_196
; %bb.193:                              ;   in Loop: Header=BB117_110 Depth=2
	ds_read_b64 v[58:59], v17 offset:4224
	s_and_saveexec_b64 vcc, s[16:17]
	s_cbranch_execz .LBB117_195
; %bb.194:                              ;   in Loop: Header=BB117_110 Depth=2
	ds_write_b64 v17, v[48:49] offset:4224
.LBB117_195:                            ;   in Loop: Header=BB117_110 Depth=2
	s_or_b64 exec, exec, vcc
	s_waitcnt lgkmcnt(0)
	v_fmac_f32_e32 v59, v49, v58
	v_mul_f32_e32 v48, v48, v58
	v_mov_b32_e32 v49, v59
.LBB117_196:                            ;   in Loop: Header=BB117_110 Depth=2
	s_or_b64 exec, exec, s[92:93]
	s_waitcnt lgkmcnt(0)
	; wave barrier
	s_waitcnt lgkmcnt(0)
	ds_read_b32 v58, v17 offset:4228
	s_and_saveexec_b64 s[92:93], s[16:17]
	s_cbranch_execz .LBB117_109
; %bb.197:                              ;   in Loop: Header=BB117_110 Depth=2
	v_mov_b32_e32 v71, s90
	s_andn2_b64 vcc, exec, s[94:95]
	ds_write_b64 v71, v[48:49]
	s_cbranch_vccnz .LBB117_109
; %bb.198:                              ;   in Loop: Header=BB117_110 Depth=2
	s_mov_b32 s87, s89
	s_lshl_b64 s[0:1], s[86:87], 2
	v_readlane_b32 s4, v95, 20
	s_add_u32 s0, s4, s0
	v_readlane_b32 s4, v95, 21
	v_readlane_b32 s87, v95, 49
	s_addc_u32 s1, s4, s1
	global_store_dword v17, v59, s[0:1]
	s_branch .LBB117_109
.LBB117_199:                            ;   in Loop: Header=BB117_13 Depth=1
	v_readlane_b32 s6, v95, 50
	v_readlane_b32 s7, v95, 51
	s_mov_b32 s4, 0x41a00000
	s_mov_b32 s5, 0x3fb8aa3b
	;; [unrolled: 1-line block ×8, first 2 shown]
.LBB117_200:                            ;   in Loop: Header=BB117_13 Depth=1
	v_cvt_f16_f32_e32 v0, v40
	v_cvt_f16_f32_e32 v4, v41
	s_waitcnt lgkmcnt(0)
	; wave barrier
	v_cvt_f16_f32_e32 v1, v42
	v_pack_b32_f16 v0, v0, v4
	scratch_load_dword v4, off, off offset:4 ; 4-byte Folded Reload
	v_cvt_f16_f32_e32 v5, v43
	v_cvt_f16_f32_e32 v2, v36
	;; [unrolled: 1-line block ×13, first 2 shown]
	v_pack_b32_f16 v3, v3, v7
	v_pack_b32_f16 v2, v2, v6
	;; [unrolled: 1-line block ×3, first 2 shown]
	v_readlane_b32 s0, v95, 53
	v_readlane_b32 s1, v95, 54
	s_mov_b32 s1, s89
	s_mov_b64 s[56:57], s[0:1]
	s_waitcnt vmcnt(0)
	ds_write_b128 v4, v[0:3]
	v_pack_b32_f16 v3, v14, v15
	v_pack_b32_f16 v2, v12, v13
	;; [unrolled: 1-line block ×4, first 2 shown]
	ds_write_b128 v4, v[0:3] offset:16
	; wave barrier
	scratch_load_dword v0, off, off offset:8 ; 4-byte Folded Reload
	s_waitcnt vmcnt(0)
	ds_read_u16 v16, v0 offset:128
	scratch_load_dword v0, off, off offset:12 ; 4-byte Folded Reload
	s_waitcnt vmcnt(0)
	ds_read_u16 v15, v0 offset:256
	;; [unrolled: 3-line block ×15, first 2 shown]
	scratch_load_dwordx2 v[0:1], off, off offset:240 ; 8-byte Folded Reload
	s_waitcnt vmcnt(0)
	v_lshl_add_u64 v[0:1], s[0:1], 1, v[0:1]
	s_and_saveexec_b64 s[2:3], s[18:19]
	s_cbranch_execnz .LBB117_269
; %bb.201:                              ;   in Loop: Header=BB117_13 Depth=1
	s_or_b64 exec, exec, s[2:3]
	s_and_saveexec_b64 s[2:3], s[20:21]
	s_cbranch_execnz .LBB117_270
.LBB117_202:                            ;   in Loop: Header=BB117_13 Depth=1
	s_or_b64 exec, exec, s[2:3]
	s_and_saveexec_b64 s[2:3], s[22:23]
	s_cbranch_execnz .LBB117_271
.LBB117_203:                            ;   in Loop: Header=BB117_13 Depth=1
	s_or_b64 exec, exec, s[2:3]
	s_and_saveexec_b64 s[2:3], s[24:25]
	s_cbranch_execnz .LBB117_272
.LBB117_204:                            ;   in Loop: Header=BB117_13 Depth=1
	s_or_b64 exec, exec, s[2:3]
	s_and_saveexec_b64 s[2:3], s[26:27]
	s_cbranch_execnz .LBB117_273
.LBB117_205:                            ;   in Loop: Header=BB117_13 Depth=1
	s_or_b64 exec, exec, s[2:3]
	s_and_saveexec_b64 s[2:3], s[28:29]
	s_cbranch_execnz .LBB117_274
.LBB117_206:                            ;   in Loop: Header=BB117_13 Depth=1
	s_or_b64 exec, exec, s[2:3]
	s_and_saveexec_b64 s[2:3], s[30:31]
	s_cbranch_execnz .LBB117_275
.LBB117_207:                            ;   in Loop: Header=BB117_13 Depth=1
	s_or_b64 exec, exec, s[2:3]
	s_and_saveexec_b64 s[2:3], s[34:35]
	s_cbranch_execnz .LBB117_276
.LBB117_208:                            ;   in Loop: Header=BB117_13 Depth=1
	s_or_b64 exec, exec, s[2:3]
	s_and_saveexec_b64 s[2:3], s[36:37]
	s_cbranch_execnz .LBB117_277
.LBB117_209:                            ;   in Loop: Header=BB117_13 Depth=1
	s_or_b64 exec, exec, s[2:3]
	s_and_saveexec_b64 s[2:3], s[38:39]
	s_cbranch_execnz .LBB117_278
.LBB117_210:                            ;   in Loop: Header=BB117_13 Depth=1
	s_or_b64 exec, exec, s[2:3]
	s_and_saveexec_b64 s[2:3], s[40:41]
	s_cbranch_execnz .LBB117_279
.LBB117_211:                            ;   in Loop: Header=BB117_13 Depth=1
	s_or_b64 exec, exec, s[2:3]
	s_and_saveexec_b64 s[2:3], s[42:43]
	s_cbranch_execnz .LBB117_280
.LBB117_212:                            ;   in Loop: Header=BB117_13 Depth=1
	s_or_b64 exec, exec, s[2:3]
	s_and_saveexec_b64 s[2:3], s[44:45]
	s_cbranch_execnz .LBB117_281
.LBB117_213:                            ;   in Loop: Header=BB117_13 Depth=1
	s_or_b64 exec, exec, s[2:3]
	s_and_saveexec_b64 s[2:3], s[46:47]
	s_cbranch_execnz .LBB117_282
.LBB117_214:                            ;   in Loop: Header=BB117_13 Depth=1
	s_or_b64 exec, exec, s[2:3]
	s_and_saveexec_b64 s[2:3], s[48:49]
	s_cbranch_execnz .LBB117_283
.LBB117_215:                            ;   in Loop: Header=BB117_13 Depth=1
	s_or_b64 exec, exec, s[2:3]
	s_and_saveexec_b64 s[2:3], s[50:51]
	s_cbranch_execz .LBB117_217
.LBB117_216:                            ;   in Loop: Header=BB117_13 Depth=1
	s_waitcnt lgkmcnt(0)
	global_store_short v[0:1], v2, off offset:1920
.LBB117_217:                            ;   in Loop: Header=BB117_13 Depth=1
	s_or_b64 exec, exec, s[2:3]
	s_waitcnt lgkmcnt(0)
	; wave barrier
	s_waitcnt lgkmcnt(0)
	scratch_load_dwordx2 v[0:1], off, off offset:248 ; 8-byte Folded Reload
	v_mov_b32_e32 v2, 0
	v_mov_b32_e32 v3, 0
	s_waitcnt vmcnt(0)
	v_lshl_add_u64 v[0:1], s[56:57], 1, v[0:1]
	s_and_saveexec_b64 s[2:3], s[18:19]
	s_cbranch_execz .LBB117_219
; %bb.218:                              ;   in Loop: Header=BB117_13 Depth=1
	global_load_ushort v3, v[0:1], off
.LBB117_219:                            ;   in Loop: Header=BB117_13 Depth=1
	s_or_b64 exec, exec, s[2:3]
	s_and_saveexec_b64 s[2:3], s[20:21]
	s_cbranch_execz .LBB117_221
; %bb.220:                              ;   in Loop: Header=BB117_13 Depth=1
	global_load_ushort v2, v[0:1], off offset:128
.LBB117_221:                            ;   in Loop: Header=BB117_13 Depth=1
	s_or_b64 exec, exec, s[2:3]
	v_mov_b32_e32 v4, 0
	v_mov_b32_e32 v5, 0
	s_and_saveexec_b64 s[2:3], s[22:23]
	s_cbranch_execz .LBB117_223
; %bb.222:                              ;   in Loop: Header=BB117_13 Depth=1
	global_load_ushort v5, v[0:1], off offset:256
.LBB117_223:                            ;   in Loop: Header=BB117_13 Depth=1
	s_or_b64 exec, exec, s[2:3]
	s_and_saveexec_b64 s[2:3], s[24:25]
	s_cbranch_execz .LBB117_225
; %bb.224:                              ;   in Loop: Header=BB117_13 Depth=1
	global_load_ushort v4, v[0:1], off offset:384
.LBB117_225:                            ;   in Loop: Header=BB117_13 Depth=1
	s_or_b64 exec, exec, s[2:3]
	v_mov_b32_e32 v6, 0
	v_mov_b32_e32 v7, 0
	s_and_saveexec_b64 s[2:3], s[26:27]
	s_cbranch_execz .LBB117_227
; %bb.226:                              ;   in Loop: Header=BB117_13 Depth=1
	global_load_ushort v7, v[0:1], off offset:512
.LBB117_227:                            ;   in Loop: Header=BB117_13 Depth=1
	;; [unrolled: 14-line block ×7, first 2 shown]
	s_or_b64 exec, exec, s[2:3]
	s_and_saveexec_b64 s[2:3], s[50:51]
	s_cbranch_execz .LBB117_249
; %bb.248:                              ;   in Loop: Header=BB117_13 Depth=1
	global_load_ushort v16, v[0:1], off offset:1920
.LBB117_249:                            ;   in Loop: Header=BB117_13 Depth=1
	s_or_b64 exec, exec, s[2:3]
	scratch_load_dword v0, off, off         ; 4-byte Folded Reload
	scratch_load_dword v44, off, off offset:8 ; 4-byte Folded Reload
	scratch_load_dword v45, off, off offset:12 ; 4-byte Folded Reload
	;; [unrolled: 1-line block ×15, first 2 shown]
	s_mov_b32 s0, 0xbfb8aa3b
	s_mov_b32 s1, 0xb2a5705f
	;; [unrolled: 1-line block ×4, first 2 shown]
	v_mov_b32_e32 v26, 0x7f800000
	s_waitcnt vmcnt(15)
	ds_write_b16 v0, v3
	s_waitcnt vmcnt(14)
	ds_write_b16 v44, v2 offset:128
	s_waitcnt vmcnt(13)
	ds_write_b16 v45, v5 offset:256
	;; [unrolled: 2-line block ×15, first 2 shown]
	; wave barrier
	scratch_load_dword v59, off, off offset:4 ; 4-byte Folded Reload
	s_waitcnt vmcnt(0)
	ds_read_b128 v[4:7], v59
	ds_read_b128 v[0:3], v59 offset:16
	s_waitcnt lgkmcnt(0)
	; wave barrier
	s_waitcnt lgkmcnt(0)
	v_cvt_f32_f16_e32 v12, v4
	v_cvt_f32_f16_sdwa v13, v4 dst_sel:DWORD dst_unused:UNUSED_PAD src0_sel:WORD_1
	v_cvt_f32_f16_e32 v10, v5
	v_cvt_f32_f16_sdwa v11, v5 dst_sel:DWORD dst_unused:UNUSED_PAD src0_sel:WORD_1
	v_mul_f32_e32 v8, 0xbfb8aa3b, v12
	v_rndne_f32_e32 v9, v8
	v_sub_f32_e32 v14, v8, v9
	v_fma_mix_f32 v8, v4, s0, -v8 op_sel_hi:[1,0,0]
	v_cvt_i32_f32_e32 v9, v9
	v_fma_mix_f32 v8, v4, s1, v8 op_sel_hi:[1,0,0]
	v_cmp_nlt_f32_e32 vcc, s52, v12
	v_add_f32_e32 v8, v14, v8
	v_exp_f32_e32 v8, v8
	s_nop 0
	v_ldexp_f32 v8, v8, v9
	v_mul_f32_e32 v9, 0xbfb8aa3b, v13
	v_rndne_f32_e32 v14, v9
	v_sub_f32_e32 v15, v9, v14
	v_fma_mix_f32 v9, v4, s0, -v9 op_sel:[1,0,0] op_sel_hi:[1,0,0]
	v_cndmask_b32_e32 v8, 0, v8, vcc
	v_fma_mix_f32 v4, v4, s1, v9 op_sel:[1,0,0] op_sel_hi:[1,0,0]
	v_cvt_i32_f32_e32 v9, v14
	v_add_f32_e32 v4, v15, v4
	v_exp_f32_e32 v4, v4
	v_cmp_ngt_f32_e32 vcc, s53, v12
	v_ldexp_f32 v4, v4, v9
	s_nop 0
	v_cndmask_b32_e32 v8, v26, v8, vcc
	v_cmp_nlt_f32_e32 vcc, s52, v13
	s_nop 1
	v_cndmask_b32_e32 v4, 0, v4, vcc
	v_cmp_ngt_f32_e32 vcc, s53, v13
	s_nop 1
	v_cndmask_b32_e32 v9, v26, v4, vcc
	v_mul_f32_e32 v4, 0xbfb8aa3b, v10
	v_rndne_f32_e32 v14, v4
	v_sub_f32_e32 v15, v4, v14
	v_fma_mix_f32 v4, v5, s0, -v4 op_sel_hi:[1,0,0]
	v_cvt_i32_f32_e32 v14, v14
	v_fma_mix_f32 v4, v5, s1, v4 op_sel_hi:[1,0,0]
	v_pk_add_f32 v[8:9], v[8:9], 1.0 op_sel_hi:[1,0]
	v_add_f32_e32 v4, v15, v4
	v_exp_f32_e32 v4, v4
	v_cmp_nlt_f32_e32 vcc, s52, v10
	v_ldexp_f32 v4, v4, v14
	v_mul_f32_e32 v14, 0xbfb8aa3b, v11
	v_rndne_f32_e32 v15, v14
	v_sub_f32_e32 v16, v14, v15
	v_fma_mix_f32 v14, v5, s0, -v14 op_sel:[1,0,0] op_sel_hi:[1,0,0]
	v_cndmask_b32_e32 v4, 0, v4, vcc
	v_fma_mix_f32 v5, v5, s1, v14 op_sel:[1,0,0] op_sel_hi:[1,0,0]
	v_cvt_i32_f32_e32 v14, v15
	v_add_f32_e32 v5, v16, v5
	v_exp_f32_e32 v5, v5
	v_cmp_ngt_f32_e32 vcc, s53, v10
	v_ldexp_f32 v5, v5, v14
	v_div_scale_f32 v14, s[2:3], v9, v9, v13
	v_rcp_f32_e32 v15, v14
	v_cndmask_b32_e32 v4, v26, v4, vcc
	v_cmp_nlt_f32_e32 vcc, s52, v11
	v_fma_f32 v16, -v14, v15, 1.0
	s_nop 0
	v_cndmask_b32_e32 v5, 0, v5, vcc
	v_cmp_ngt_f32_e32 vcc, s53, v11
	v_fmac_f32_e32 v15, v16, v15
	s_nop 0
	v_cndmask_b32_e32 v5, v26, v5, vcc
	v_div_scale_f32 v16, vcc, v13, v9, v13
	v_mul_f32_e32 v18, v16, v15
	v_fma_f32 v19, -v14, v18, v16
	v_fmac_f32_e32 v18, v19, v15
	v_fma_f32 v14, -v14, v18, v16
	v_div_fmas_f32 v14, v14, v15, v18
	v_div_fixup_f32 v9, v14, v9, v13
	v_div_scale_f32 v13, s[2:3], v8, v8, v12
	v_rcp_f32_e32 v14, v13
	v_pk_add_f32 v[4:5], v[4:5], 1.0 op_sel_hi:[1,0]
	v_fma_f32 v15, -v13, v14, 1.0
	v_fmac_f32_e32 v14, v15, v14
	v_div_scale_f32 v15, vcc, v12, v8, v12
	v_mul_f32_e32 v16, v15, v14
	v_fma_f32 v18, -v13, v16, v15
	v_fmac_f32_e32 v16, v18, v14
	v_fma_f32 v13, -v13, v16, v15
	v_div_fmas_f32 v13, v13, v14, v16
	v_div_fixup_f32 v8, v13, v8, v12
	v_div_scale_f32 v12, s[2:3], v5, v5, v11
	v_rcp_f32_e32 v13, v12
	v_pk_mul_f32 v[8:9], v[40:41], v[8:9]
	v_cvt_f32_f16_sdwa v18, v6 dst_sel:DWORD dst_unused:UNUSED_PAD src0_sel:WORD_1
	v_fma_f32 v14, -v12, v13, 1.0
	v_fmac_f32_e32 v13, v14, v13
	v_div_scale_f32 v14, vcc, v11, v5, v11
	v_mul_f32_e32 v15, v14, v13
	v_fma_f32 v16, -v12, v15, v14
	v_fmac_f32_e32 v15, v16, v13
	v_fma_f32 v12, -v12, v15, v14
	v_div_fmas_f32 v12, v12, v13, v15
	v_div_fixup_f32 v5, v12, v5, v11
	v_div_scale_f32 v11, s[2:3], v4, v4, v10
	v_rcp_f32_e32 v12, v11
	v_cvt_f32_f16_e32 v16, v6
	v_fma_f32 v13, -v11, v12, 1.0
	v_fmac_f32_e32 v12, v13, v12
	v_div_scale_f32 v13, vcc, v10, v4, v10
	v_mul_f32_e32 v14, v13, v12
	v_fma_f32 v15, -v11, v14, v13
	v_fmac_f32_e32 v14, v15, v12
	v_fma_f32 v11, -v11, v14, v13
	v_div_fmas_f32 v11, v11, v12, v14
	v_div_fixup_f32 v4, v11, v4, v10
	v_pk_mul_f32 v[4:5], v[42:43], v[4:5]
	v_cvt_f16_f32_e32 v11, v8
	v_cvt_f16_f32_e32 v13, v4
	v_mul_f32_e32 v4, 0xbfb8aa3b, v16
	v_cvt_f16_f32_e32 v12, v5
	v_rndne_f32_e32 v5, v4
	v_sub_f32_e32 v8, v4, v5
	v_fma_mix_f32 v4, v6, s0, -v4 op_sel_hi:[1,0,0]
	v_cvt_i32_f32_e32 v5, v5
	v_fma_mix_f32 v4, v6, s1, v4 op_sel_hi:[1,0,0]
	v_cmp_nlt_f32_e32 vcc, s52, v16
	v_add_f32_e32 v4, v8, v4
	v_exp_f32_e32 v4, v4
	v_cvt_f16_f32_e32 v10, v9
	v_cvt_f32_f16_e32 v14, v7
	v_cvt_f32_f16_sdwa v15, v7 dst_sel:DWORD dst_unused:UNUSED_PAD src0_sel:WORD_1
	v_ldexp_f32 v4, v4, v5
	v_cndmask_b32_e32 v4, 0, v4, vcc
	v_cmp_ngt_f32_e32 vcc, s53, v16
	s_nop 1
	v_cndmask_b32_e32 v8, v26, v4, vcc
	v_mul_f32_e32 v4, 0xbfb8aa3b, v18
	v_rndne_f32_e32 v5, v4
	v_sub_f32_e32 v9, v4, v5
	v_fma_mix_f32 v4, v6, s0, -v4 op_sel:[1,0,0] op_sel_hi:[1,0,0]
	v_cvt_i32_f32_e32 v5, v5
	v_fma_mix_f32 v4, v6, s1, v4 op_sel:[1,0,0] op_sel_hi:[1,0,0]
	v_cmp_nlt_f32_e32 vcc, s52, v18
	v_add_f32_e32 v4, v9, v4
	v_exp_f32_e32 v4, v4
	s_nop 0
	v_ldexp_f32 v4, v4, v5
	v_cndmask_b32_e32 v4, 0, v4, vcc
	v_cmp_ngt_f32_e32 vcc, s53, v18
	s_nop 1
	v_cndmask_b32_e32 v9, v26, v4, vcc
	v_mul_f32_e32 v4, 0xbfb8aa3b, v14
	v_rndne_f32_e32 v5, v4
	v_sub_f32_e32 v6, v4, v5
	v_fma_mix_f32 v4, v7, s0, -v4 op_sel_hi:[1,0,0]
	v_cvt_i32_f32_e32 v5, v5
	v_fma_mix_f32 v4, v7, s1, v4 op_sel_hi:[1,0,0]
	v_cmp_nlt_f32_e32 vcc, s52, v14
	v_add_f32_e32 v4, v6, v4
	v_exp_f32_e32 v4, v4
	s_nop 0
	v_ldexp_f32 v4, v4, v5
	v_mul_f32_e32 v5, 0xbfb8aa3b, v15
	v_rndne_f32_e32 v6, v5
	v_sub_f32_e32 v19, v5, v6
	v_fma_mix_f32 v5, v7, s0, -v5 op_sel:[1,0,0] op_sel_hi:[1,0,0]
	v_cvt_i32_f32_e32 v6, v6
	v_fma_mix_f32 v5, v7, s1, v5 op_sel:[1,0,0] op_sel_hi:[1,0,0]
	v_cndmask_b32_e32 v4, 0, v4, vcc
	v_add_f32_e32 v5, v19, v5
	v_exp_f32_e32 v5, v5
	v_cmp_ngt_f32_e32 vcc, s53, v14
	v_ldexp_f32 v5, v5, v6
	v_pk_add_f32 v[6:7], v[8:9], 1.0 op_sel_hi:[1,0]
	v_cndmask_b32_e32 v4, v26, v4, vcc
	v_div_scale_f32 v8, s[2:3], v7, v7, v18
	v_rcp_f32_e32 v9, v8
	v_cmp_nlt_f32_e32 vcc, s52, v15
	v_fma_f32 v19, -v8, v9, 1.0
	s_nop 0
	v_cndmask_b32_e32 v5, 0, v5, vcc
	v_cmp_ngt_f32_e32 vcc, s53, v15
	v_fmac_f32_e32 v9, v19, v9
	s_nop 0
	v_cndmask_b32_e32 v5, v26, v5, vcc
	v_div_scale_f32 v19, vcc, v18, v7, v18
	v_mul_f32_e32 v22, v19, v9
	v_fma_f32 v23, -v8, v22, v19
	v_fmac_f32_e32 v22, v23, v9
	v_fma_f32 v8, -v8, v22, v19
	v_div_fmas_f32 v8, v8, v9, v22
	v_div_fixup_f32 v7, v8, v7, v18
	v_div_scale_f32 v8, s[2:3], v6, v6, v16
	v_rcp_f32_e32 v9, v8
	v_pk_add_f32 v[4:5], v[4:5], 1.0 op_sel_hi:[1,0]
	v_fma_f32 v18, -v8, v9, 1.0
	v_fmac_f32_e32 v9, v18, v9
	v_div_scale_f32 v18, vcc, v16, v6, v16
	v_mul_f32_e32 v19, v18, v9
	v_fma_f32 v22, -v8, v19, v18
	v_fmac_f32_e32 v19, v22, v9
	v_fma_f32 v8, -v8, v19, v18
	v_div_fmas_f32 v8, v8, v9, v19
	v_div_fixup_f32 v6, v8, v6, v16
	v_div_scale_f32 v8, s[2:3], v5, v5, v15
	v_rcp_f32_e32 v9, v8
	s_nop 0
	v_fma_f32 v16, -v8, v9, 1.0
	v_fmac_f32_e32 v9, v16, v9
	v_div_scale_f32 v16, vcc, v15, v5, v15
	v_mul_f32_e32 v18, v16, v9
	v_fma_f32 v19, -v8, v18, v16
	v_fmac_f32_e32 v18, v19, v9
	v_fma_f32 v8, -v8, v18, v16
	v_div_fmas_f32 v8, v8, v9, v18
	v_div_fixup_f32 v5, v8, v5, v15
	v_div_scale_f32 v8, s[2:3], v4, v4, v14
	v_rcp_f32_e32 v9, v8
	s_nop 0
	v_fma_f32 v15, -v8, v9, 1.0
	v_fmac_f32_e32 v9, v15, v9
	v_div_scale_f32 v15, vcc, v14, v4, v14
	v_mul_f32_e32 v16, v15, v9
	v_fma_f32 v18, -v8, v16, v15
	v_fmac_f32_e32 v16, v18, v9
	v_fma_f32 v8, -v8, v16, v15
	v_div_fmas_f32 v8, v8, v9, v16
	v_cvt_f32_f16_e32 v16, v0
	v_div_fixup_f32 v4, v8, v4, v14
	v_pk_mul_f32 v[4:5], v[38:39], v[4:5]
	v_pk_mul_f32 v[8:9], v[36:37], v[6:7]
	v_cvt_f32_f16_sdwa v18, v0 dst_sel:DWORD dst_unused:UNUSED_PAD src0_sel:WORD_1
	v_cvt_f16_f32_e32 v6, v9
	v_cvt_f16_f32_e32 v9, v4
	v_mul_f32_e32 v4, 0xbfb8aa3b, v16
	v_cvt_f16_f32_e32 v7, v8
	v_cvt_f16_f32_e32 v8, v5
	v_rndne_f32_e32 v5, v4
	v_sub_f32_e32 v19, v4, v5
	v_fma_mix_f32 v4, v0, s0, -v4 op_sel_hi:[1,0,0]
	v_cvt_i32_f32_e32 v5, v5
	v_fma_mix_f32 v4, v0, s1, v4 op_sel_hi:[1,0,0]
	v_cvt_f32_f16_e32 v14, v1
	v_add_f32_e32 v4, v19, v4
	v_exp_f32_e32 v4, v4
	v_cmp_nlt_f32_e32 vcc, s52, v16
	v_cvt_f32_f16_sdwa v15, v1 dst_sel:DWORD dst_unused:UNUSED_PAD src0_sel:WORD_1
	v_ldexp_f32 v4, v4, v5
	v_mul_f32_e32 v5, 0xbfb8aa3b, v18
	v_rndne_f32_e32 v19, v5
	v_sub_f32_e32 v22, v5, v19
	v_fma_mix_f32 v5, v0, s0, -v5 op_sel:[1,0,0] op_sel_hi:[1,0,0]
	v_cndmask_b32_e32 v4, 0, v4, vcc
	v_fma_mix_f32 v0, v0, s1, v5 op_sel:[1,0,0] op_sel_hi:[1,0,0]
	v_cvt_i32_f32_e32 v5, v19
	v_add_f32_e32 v0, v22, v0
	v_exp_f32_e32 v0, v0
	v_cmp_ngt_f32_e32 vcc, s53, v16
	v_ldexp_f32 v0, v0, v5
	s_nop 0
	v_cndmask_b32_e32 v4, v26, v4, vcc
	v_cmp_nlt_f32_e32 vcc, s52, v18
	s_nop 1
	v_cndmask_b32_e32 v0, 0, v0, vcc
	v_cmp_ngt_f32_e32 vcc, s53, v18
	s_nop 1
	v_cndmask_b32_e32 v5, v26, v0, vcc
	v_mul_f32_e32 v0, 0xbfb8aa3b, v14
	v_rndne_f32_e32 v19, v0
	v_sub_f32_e32 v22, v0, v19
	v_fma_mix_f32 v0, v1, s0, -v0 op_sel_hi:[1,0,0]
	v_cvt_i32_f32_e32 v19, v19
	v_fma_mix_f32 v0, v1, s1, v0 op_sel_hi:[1,0,0]
	v_pk_add_f32 v[4:5], v[4:5], 1.0 op_sel_hi:[1,0]
	v_add_f32_e32 v0, v22, v0
	v_exp_f32_e32 v0, v0
	v_cmp_nlt_f32_e32 vcc, s52, v14
	v_ldexp_f32 v0, v0, v19
	v_mul_f32_e32 v19, 0xbfb8aa3b, v15
	v_rndne_f32_e32 v22, v19
	v_sub_f32_e32 v23, v19, v22
	v_fma_mix_f32 v19, v1, s0, -v19 op_sel:[1,0,0] op_sel_hi:[1,0,0]
	v_cndmask_b32_e32 v0, 0, v0, vcc
	v_fma_mix_f32 v1, v1, s1, v19 op_sel:[1,0,0] op_sel_hi:[1,0,0]
	v_cvt_i32_f32_e32 v19, v22
	v_add_f32_e32 v1, v23, v1
	v_exp_f32_e32 v1, v1
	v_cmp_ngt_f32_e32 vcc, s53, v14
	v_ldexp_f32 v1, v1, v19
	v_div_scale_f32 v19, s[2:3], v5, v5, v18
	v_rcp_f32_e32 v22, v19
	v_cndmask_b32_e32 v0, v26, v0, vcc
	v_cmp_nlt_f32_e32 vcc, s52, v15
	v_fma_f32 v23, -v19, v22, 1.0
	s_nop 0
	v_cndmask_b32_e32 v1, 0, v1, vcc
	v_cmp_ngt_f32_e32 vcc, s53, v15
	v_fmac_f32_e32 v22, v23, v22
	s_nop 0
	v_cndmask_b32_e32 v1, v26, v1, vcc
	v_div_scale_f32 v23, vcc, v18, v5, v18
	v_mul_f32_e32 v24, v23, v22
	v_fma_f32 v25, -v19, v24, v23
	v_fmac_f32_e32 v24, v25, v22
	v_fma_f32 v19, -v19, v24, v23
	v_div_fmas_f32 v19, v19, v22, v24
	v_div_fixup_f32 v5, v19, v5, v18
	v_div_scale_f32 v18, s[2:3], v4, v4, v16
	v_rcp_f32_e32 v19, v18
	v_pk_add_f32 v[0:1], v[0:1], 1.0 op_sel_hi:[1,0]
	v_fma_f32 v22, -v18, v19, 1.0
	v_fmac_f32_e32 v19, v22, v19
	v_div_scale_f32 v22, vcc, v16, v4, v16
	v_mul_f32_e32 v23, v22, v19
	v_fma_f32 v24, -v18, v23, v22
	v_fmac_f32_e32 v23, v24, v19
	v_fma_f32 v18, -v18, v23, v22
	v_div_fmas_f32 v18, v18, v19, v23
	v_div_fixup_f32 v4, v18, v4, v16
	v_div_scale_f32 v16, s[2:3], v1, v1, v15
	v_rcp_f32_e32 v18, v16
	v_pk_mul_f32 v[4:5], v[32:33], v[4:5]
	v_cvt_f32_f16_sdwa v24, v2 dst_sel:DWORD dst_unused:UNUSED_PAD src0_sel:WORD_1
	v_fma_f32 v19, -v16, v18, 1.0
	v_fmac_f32_e32 v18, v19, v18
	v_div_scale_f32 v19, vcc, v15, v1, v15
	v_mul_f32_e32 v22, v19, v18
	v_fma_f32 v23, -v16, v22, v19
	v_fmac_f32_e32 v22, v23, v18
	v_fma_f32 v16, -v16, v22, v19
	v_div_fmas_f32 v16, v16, v18, v22
	v_div_fixup_f32 v1, v16, v1, v15
	v_div_scale_f32 v15, s[2:3], v0, v0, v14
	v_rcp_f32_e32 v16, v15
	v_cvt_f32_f16_e32 v23, v2
	v_fma_f32 v18, -v15, v16, 1.0
	v_fmac_f32_e32 v16, v18, v16
	v_div_scale_f32 v18, vcc, v14, v0, v14
	v_mul_f32_e32 v19, v18, v16
	v_fma_f32 v22, -v15, v19, v18
	v_fmac_f32_e32 v19, v22, v16
	v_fma_f32 v15, -v15, v19, v18
	v_div_fmas_f32 v15, v15, v16, v19
	v_div_fixup_f32 v0, v15, v0, v14
	v_pk_mul_f32 v[0:1], v[34:35], v[0:1]
	v_cvt_f16_f32_e32 v15, v4
	v_cvt_f16_f32_e32 v18, v0
	v_mul_f32_e32 v0, 0xbfb8aa3b, v23
	v_cvt_f16_f32_e32 v16, v1
	v_rndne_f32_e32 v1, v0
	v_sub_f32_e32 v4, v0, v1
	v_fma_mix_f32 v0, v2, s0, -v0 op_sel_hi:[1,0,0]
	v_cvt_i32_f32_e32 v1, v1
	v_fma_mix_f32 v0, v2, s1, v0 op_sel_hi:[1,0,0]
	v_cmp_nlt_f32_e32 vcc, s52, v23
	v_add_f32_e32 v0, v4, v0
	v_exp_f32_e32 v0, v0
	v_cvt_f16_f32_e32 v14, v5
	v_cvt_f32_f16_e32 v19, v3
	v_cvt_f32_f16_sdwa v22, v3 dst_sel:DWORD dst_unused:UNUSED_PAD src0_sel:WORD_1
	v_ldexp_f32 v0, v0, v1
	v_cndmask_b32_e32 v0, 0, v0, vcc
	v_cmp_ngt_f32_e32 vcc, s53, v23
	s_nop 1
	v_cndmask_b32_e32 v4, v26, v0, vcc
	v_mul_f32_e32 v0, 0xbfb8aa3b, v24
	v_rndne_f32_e32 v1, v0
	v_sub_f32_e32 v5, v0, v1
	v_fma_mix_f32 v0, v2, s0, -v0 op_sel:[1,0,0] op_sel_hi:[1,0,0]
	v_cvt_i32_f32_e32 v1, v1
	v_fma_mix_f32 v0, v2, s1, v0 op_sel:[1,0,0] op_sel_hi:[1,0,0]
	v_cmp_nlt_f32_e32 vcc, s52, v24
	v_add_f32_e32 v0, v5, v0
	v_exp_f32_e32 v0, v0
	s_nop 0
	v_ldexp_f32 v0, v0, v1
	v_cndmask_b32_e32 v0, 0, v0, vcc
	v_cmp_ngt_f32_e32 vcc, s53, v24
	s_nop 1
	v_cndmask_b32_e32 v5, v26, v0, vcc
	v_mul_f32_e32 v0, 0xbfb8aa3b, v19
	v_rndne_f32_e32 v1, v0
	v_sub_f32_e32 v2, v0, v1
	v_fma_mix_f32 v0, v3, s0, -v0 op_sel_hi:[1,0,0]
	v_cvt_i32_f32_e32 v1, v1
	v_fma_mix_f32 v0, v3, s1, v0 op_sel_hi:[1,0,0]
	v_cmp_nlt_f32_e32 vcc, s52, v19
	v_add_f32_e32 v0, v2, v0
	v_exp_f32_e32 v0, v0
	s_nop 0
	v_ldexp_f32 v0, v0, v1
	v_mul_f32_e32 v1, 0xbfb8aa3b, v22
	v_rndne_f32_e32 v2, v1
	v_sub_f32_e32 v25, v1, v2
	v_fma_mix_f32 v1, v3, s0, -v1 op_sel:[1,0,0] op_sel_hi:[1,0,0]
	v_cvt_i32_f32_e32 v2, v2
	v_fma_mix_f32 v1, v3, s1, v1 op_sel:[1,0,0] op_sel_hi:[1,0,0]
	v_cndmask_b32_e32 v0, 0, v0, vcc
	v_add_f32_e32 v1, v25, v1
	v_exp_f32_e32 v1, v1
	v_cmp_ngt_f32_e32 vcc, s53, v19
	v_ldexp_f32 v1, v1, v2
	v_pk_add_f32 v[2:3], v[4:5], 1.0 op_sel_hi:[1,0]
	v_cndmask_b32_e32 v0, v26, v0, vcc
	v_div_scale_f32 v4, s[2:3], v3, v3, v24
	v_rcp_f32_e32 v5, v4
	v_cmp_nlt_f32_e32 vcc, s52, v22
	v_fma_f32 v25, -v4, v5, 1.0
	s_nop 0
	v_cndmask_b32_e32 v1, 0, v1, vcc
	v_cmp_ngt_f32_e32 vcc, s53, v22
	v_fmac_f32_e32 v5, v25, v5
	s_nop 0
	v_cndmask_b32_e32 v1, v26, v1, vcc
	v_div_scale_f32 v25, vcc, v24, v3, v24
	v_mul_f32_e32 v26, v25, v5
	v_fma_f32 v27, -v4, v26, v25
	v_fmac_f32_e32 v26, v27, v5
	v_fma_f32 v4, -v4, v26, v25
	v_div_fmas_f32 v4, v4, v5, v26
	v_div_fixup_f32 v3, v4, v3, v24
	v_div_scale_f32 v4, s[2:3], v2, v2, v23
	v_rcp_f32_e32 v5, v4
	v_pk_add_f32 v[0:1], v[0:1], 1.0 op_sel_hi:[1,0]
	v_fma_f32 v24, -v4, v5, 1.0
	v_fmac_f32_e32 v5, v24, v5
	v_div_scale_f32 v24, vcc, v23, v2, v23
	v_mul_f32_e32 v25, v24, v5
	v_fma_f32 v26, -v4, v25, v24
	v_fmac_f32_e32 v25, v26, v5
	v_fma_f32 v4, -v4, v25, v24
	v_div_fmas_f32 v4, v4, v5, v25
	v_div_fixup_f32 v2, v4, v2, v23
	v_div_scale_f32 v4, s[2:3], v1, v1, v22
	v_rcp_f32_e32 v5, v4
	v_pk_mul_f32 v[2:3], v[28:29], v[2:3]
	v_fma_f32 v23, -v4, v5, 1.0
	v_fmac_f32_e32 v5, v23, v5
	v_div_scale_f32 v23, vcc, v22, v1, v22
	v_mul_f32_e32 v24, v23, v5
	v_fma_f32 v25, -v4, v24, v23
	v_fmac_f32_e32 v24, v25, v5
	v_fma_f32 v4, -v4, v24, v23
	v_div_fmas_f32 v4, v4, v5, v24
	v_div_fixup_f32 v1, v4, v1, v22
	v_div_scale_f32 v4, s[2:3], v0, v0, v19
	v_rcp_f32_e32 v5, v4
	s_nop 0
	v_fma_f32 v22, -v4, v5, 1.0
	v_fmac_f32_e32 v5, v22, v5
	v_div_scale_f32 v22, vcc, v19, v0, v19
	v_mul_f32_e32 v23, v22, v5
	v_fma_f32 v24, -v4, v23, v22
	v_fmac_f32_e32 v23, v24, v5
	v_fma_f32 v4, -v4, v23, v22
	v_div_fmas_f32 v4, v4, v5, v23
	v_div_fixup_f32 v0, v4, v0, v19
	v_pk_mul_f32 v[0:1], v[30:31], v[0:1]
	v_cvt_f16_f32_e32 v4, v3
	v_cvt_f16_f32_e32 v5, v2
	;; [unrolled: 1-line block ×4, first 2 shown]
	v_pack_b32_f16 v3, v9, v8
	v_pack_b32_f16 v2, v7, v6
	;; [unrolled: 1-line block ×4, first 2 shown]
	ds_write_b128 v59, v[0:3]
	v_pack_b32_f16 v3, v22, v19
	v_pack_b32_f16 v2, v5, v4
	;; [unrolled: 1-line block ×4, first 2 shown]
	ds_write_b128 v59, v[0:3] offset:16
	; wave barrier
	ds_read_u16 v16, v44 offset:128
	ds_read_u16 v15, v45 offset:256
	;; [unrolled: 1-line block ×15, first 2 shown]
	scratch_load_dwordx2 v[0:1], off, off offset:256 ; 8-byte Folded Reload
	s_waitcnt vmcnt(0)
	v_lshl_add_u64 v[0:1], s[56:57], 1, v[0:1]
	s_and_saveexec_b64 s[2:3], s[18:19]
	s_cbranch_execz .LBB117_251
; %bb.250:                              ;   in Loop: Header=BB117_13 Depth=1
	scratch_load_dword v18, off, off        ; 4-byte Folded Reload
	s_waitcnt vmcnt(0)
	ds_read_u16 v18, v18
	s_waitcnt lgkmcnt(0)
	global_store_short v[0:1], v18, off
.LBB117_251:                            ;   in Loop: Header=BB117_13 Depth=1
	s_or_b64 exec, exec, s[2:3]
	s_and_saveexec_b64 s[2:3], s[20:21]
	s_cbranch_execz .LBB117_253
; %bb.252:                              ;   in Loop: Header=BB117_13 Depth=1
	s_waitcnt lgkmcnt(14)
	global_store_short v[0:1], v16, off offset:128
.LBB117_253:                            ;   in Loop: Header=BB117_13 Depth=1
	s_or_b64 exec, exec, s[2:3]
	s_mov_b64 s[2:3], exec
	s_and_b64 s[0:1], s[2:3], s[22:23]
	v_mov_b32_e32 v39, 0x7f800000
	s_mov_b64 exec, s[0:1]
	s_cbranch_execnz .LBB117_284
; %bb.254:                              ;   in Loop: Header=BB117_13 Depth=1
	s_or_b64 exec, exec, s[2:3]
	s_and_saveexec_b64 s[2:3], s[24:25]
	s_cbranch_execnz .LBB117_285
.LBB117_255:                            ;   in Loop: Header=BB117_13 Depth=1
	s_or_b64 exec, exec, s[2:3]
	s_and_saveexec_b64 s[2:3], s[26:27]
	s_cbranch_execnz .LBB117_286
.LBB117_256:                            ;   in Loop: Header=BB117_13 Depth=1
	s_or_b64 exec, exec, s[2:3]
	s_and_saveexec_b64 s[2:3], s[28:29]
	s_cbranch_execnz .LBB117_287
.LBB117_257:                            ;   in Loop: Header=BB117_13 Depth=1
	s_or_b64 exec, exec, s[2:3]
	s_and_saveexec_b64 s[2:3], s[30:31]
	s_cbranch_execnz .LBB117_288
.LBB117_258:                            ;   in Loop: Header=BB117_13 Depth=1
	s_or_b64 exec, exec, s[2:3]
	s_and_saveexec_b64 s[2:3], s[34:35]
	s_cbranch_execnz .LBB117_289
.LBB117_259:                            ;   in Loop: Header=BB117_13 Depth=1
	s_or_b64 exec, exec, s[2:3]
	s_and_saveexec_b64 s[2:3], s[36:37]
	s_cbranch_execnz .LBB117_290
.LBB117_260:                            ;   in Loop: Header=BB117_13 Depth=1
	s_or_b64 exec, exec, s[2:3]
	s_and_saveexec_b64 s[2:3], s[38:39]
	s_cbranch_execnz .LBB117_291
.LBB117_261:                            ;   in Loop: Header=BB117_13 Depth=1
	s_or_b64 exec, exec, s[2:3]
	s_and_saveexec_b64 s[2:3], s[40:41]
	s_cbranch_execnz .LBB117_292
.LBB117_262:                            ;   in Loop: Header=BB117_13 Depth=1
	s_or_b64 exec, exec, s[2:3]
	s_and_saveexec_b64 s[2:3], s[42:43]
	s_cbranch_execnz .LBB117_293
.LBB117_263:                            ;   in Loop: Header=BB117_13 Depth=1
	s_or_b64 exec, exec, s[2:3]
	s_and_saveexec_b64 s[2:3], s[44:45]
	s_cbranch_execnz .LBB117_294
.LBB117_264:                            ;   in Loop: Header=BB117_13 Depth=1
	s_or_b64 exec, exec, s[2:3]
	s_and_saveexec_b64 s[2:3], s[46:47]
	s_cbranch_execnz .LBB117_295
.LBB117_265:                            ;   in Loop: Header=BB117_13 Depth=1
	s_or_b64 exec, exec, s[2:3]
	s_and_saveexec_b64 s[2:3], s[48:49]
	s_cbranch_execnz .LBB117_296
.LBB117_266:                            ;   in Loop: Header=BB117_13 Depth=1
	s_or_b64 exec, exec, s[2:3]
	s_and_saveexec_b64 s[2:3], s[50:51]
	s_cbranch_execz .LBB117_12
	s_branch .LBB117_297
.LBB117_267:                            ;   in Loop: Header=BB117_13 Depth=1
	global_load_ushort v28, v[8:9], off offset:1664
	s_or_b64 exec, exec, s[2:3]
	s_and_saveexec_b64 s[2:3], s[48:49]
	s_cbranch_execz .LBB117_73
.LBB117_268:                            ;   in Loop: Header=BB117_13 Depth=1
	global_load_ushort v27, v[8:9], off offset:1792
	s_or_b64 exec, exec, s[2:3]
	v_mov_b32_e32 v29, 0
	s_and_saveexec_b64 s[2:3], s[50:51]
	s_cbranch_execnz .LBB117_74
	s_branch .LBB117_75
.LBB117_269:                            ;   in Loop: Header=BB117_13 Depth=1
	scratch_load_dword v18, off, off        ; 4-byte Folded Reload
	s_waitcnt vmcnt(0)
	ds_read_u16 v18, v18
	s_waitcnt lgkmcnt(0)
	global_store_short v[0:1], v18, off
	s_or_b64 exec, exec, s[2:3]
	s_and_saveexec_b64 s[2:3], s[20:21]
	s_cbranch_execz .LBB117_202
.LBB117_270:                            ;   in Loop: Header=BB117_13 Depth=1
	s_waitcnt lgkmcnt(14)
	global_store_short v[0:1], v16, off offset:128
	s_or_b64 exec, exec, s[2:3]
	s_and_saveexec_b64 s[2:3], s[22:23]
	s_cbranch_execz .LBB117_203
.LBB117_271:                            ;   in Loop: Header=BB117_13 Depth=1
	s_waitcnt lgkmcnt(13)
	global_store_short v[0:1], v15, off offset:256
	s_or_b64 exec, exec, s[2:3]
	s_and_saveexec_b64 s[2:3], s[24:25]
	s_cbranch_execz .LBB117_204
.LBB117_272:                            ;   in Loop: Header=BB117_13 Depth=1
	s_waitcnt lgkmcnt(12)
	global_store_short v[0:1], v14, off offset:384
	s_or_b64 exec, exec, s[2:3]
	s_and_saveexec_b64 s[2:3], s[26:27]
	s_cbranch_execz .LBB117_205
.LBB117_273:                            ;   in Loop: Header=BB117_13 Depth=1
	s_waitcnt lgkmcnt(11)
	global_store_short v[0:1], v13, off offset:512
	s_or_b64 exec, exec, s[2:3]
	s_and_saveexec_b64 s[2:3], s[28:29]
	s_cbranch_execz .LBB117_206
.LBB117_274:                            ;   in Loop: Header=BB117_13 Depth=1
	s_waitcnt lgkmcnt(10)
	global_store_short v[0:1], v12, off offset:640
	s_or_b64 exec, exec, s[2:3]
	s_and_saveexec_b64 s[2:3], s[30:31]
	s_cbranch_execz .LBB117_207
.LBB117_275:                            ;   in Loop: Header=BB117_13 Depth=1
	s_waitcnt lgkmcnt(9)
	global_store_short v[0:1], v11, off offset:768
	s_or_b64 exec, exec, s[2:3]
	s_and_saveexec_b64 s[2:3], s[34:35]
	s_cbranch_execz .LBB117_208
.LBB117_276:                            ;   in Loop: Header=BB117_13 Depth=1
	s_waitcnt lgkmcnt(8)
	global_store_short v[0:1], v10, off offset:896
	s_or_b64 exec, exec, s[2:3]
	s_and_saveexec_b64 s[2:3], s[36:37]
	s_cbranch_execz .LBB117_209
.LBB117_277:                            ;   in Loop: Header=BB117_13 Depth=1
	s_waitcnt lgkmcnt(7)
	global_store_short v[0:1], v9, off offset:1024
	s_or_b64 exec, exec, s[2:3]
	s_and_saveexec_b64 s[2:3], s[38:39]
	s_cbranch_execz .LBB117_210
.LBB117_278:                            ;   in Loop: Header=BB117_13 Depth=1
	s_waitcnt lgkmcnt(6)
	global_store_short v[0:1], v8, off offset:1152
	s_or_b64 exec, exec, s[2:3]
	s_and_saveexec_b64 s[2:3], s[40:41]
	s_cbranch_execz .LBB117_211
.LBB117_279:                            ;   in Loop: Header=BB117_13 Depth=1
	s_waitcnt lgkmcnt(5)
	global_store_short v[0:1], v7, off offset:1280
	s_or_b64 exec, exec, s[2:3]
	s_and_saveexec_b64 s[2:3], s[42:43]
	s_cbranch_execz .LBB117_212
.LBB117_280:                            ;   in Loop: Header=BB117_13 Depth=1
	s_waitcnt lgkmcnt(4)
	global_store_short v[0:1], v6, off offset:1408
	s_or_b64 exec, exec, s[2:3]
	s_and_saveexec_b64 s[2:3], s[44:45]
	s_cbranch_execz .LBB117_213
.LBB117_281:                            ;   in Loop: Header=BB117_13 Depth=1
	s_waitcnt lgkmcnt(3)
	global_store_short v[0:1], v5, off offset:1536
	s_or_b64 exec, exec, s[2:3]
	s_and_saveexec_b64 s[2:3], s[46:47]
	s_cbranch_execz .LBB117_214
.LBB117_282:                            ;   in Loop: Header=BB117_13 Depth=1
	s_waitcnt lgkmcnt(2)
	global_store_short v[0:1], v4, off offset:1664
	s_or_b64 exec, exec, s[2:3]
	s_and_saveexec_b64 s[2:3], s[48:49]
	s_cbranch_execz .LBB117_215
.LBB117_283:                            ;   in Loop: Header=BB117_13 Depth=1
	s_waitcnt lgkmcnt(1)
	global_store_short v[0:1], v3, off offset:1792
	s_or_b64 exec, exec, s[2:3]
	s_and_saveexec_b64 s[2:3], s[50:51]
	s_cbranch_execnz .LBB117_216
	s_branch .LBB117_217
.LBB117_284:                            ;   in Loop: Header=BB117_13 Depth=1
	s_waitcnt lgkmcnt(13)
	global_store_short v[0:1], v15, off offset:256
	s_or_b64 exec, exec, s[2:3]
	s_and_saveexec_b64 s[2:3], s[24:25]
	s_cbranch_execz .LBB117_255
.LBB117_285:                            ;   in Loop: Header=BB117_13 Depth=1
	s_waitcnt lgkmcnt(12)
	global_store_short v[0:1], v14, off offset:384
	s_or_b64 exec, exec, s[2:3]
	s_and_saveexec_b64 s[2:3], s[26:27]
	s_cbranch_execz .LBB117_256
.LBB117_286:                            ;   in Loop: Header=BB117_13 Depth=1
	s_waitcnt lgkmcnt(11)
	global_store_short v[0:1], v13, off offset:512
	s_or_b64 exec, exec, s[2:3]
	s_and_saveexec_b64 s[2:3], s[28:29]
	s_cbranch_execz .LBB117_257
.LBB117_287:                            ;   in Loop: Header=BB117_13 Depth=1
	s_waitcnt lgkmcnt(10)
	global_store_short v[0:1], v12, off offset:640
	s_or_b64 exec, exec, s[2:3]
	s_and_saveexec_b64 s[2:3], s[30:31]
	s_cbranch_execz .LBB117_258
.LBB117_288:                            ;   in Loop: Header=BB117_13 Depth=1
	s_waitcnt lgkmcnt(9)
	global_store_short v[0:1], v11, off offset:768
	s_or_b64 exec, exec, s[2:3]
	s_and_saveexec_b64 s[2:3], s[34:35]
	s_cbranch_execz .LBB117_259
.LBB117_289:                            ;   in Loop: Header=BB117_13 Depth=1
	s_waitcnt lgkmcnt(8)
	global_store_short v[0:1], v10, off offset:896
	s_or_b64 exec, exec, s[2:3]
	s_and_saveexec_b64 s[2:3], s[36:37]
	s_cbranch_execz .LBB117_260
.LBB117_290:                            ;   in Loop: Header=BB117_13 Depth=1
	s_waitcnt lgkmcnt(7)
	global_store_short v[0:1], v9, off offset:1024
	s_or_b64 exec, exec, s[2:3]
	s_and_saveexec_b64 s[2:3], s[38:39]
	s_cbranch_execz .LBB117_261
.LBB117_291:                            ;   in Loop: Header=BB117_13 Depth=1
	s_waitcnt lgkmcnt(6)
	global_store_short v[0:1], v8, off offset:1152
	s_or_b64 exec, exec, s[2:3]
	s_and_saveexec_b64 s[2:3], s[40:41]
	s_cbranch_execz .LBB117_262
.LBB117_292:                            ;   in Loop: Header=BB117_13 Depth=1
	s_waitcnt lgkmcnt(5)
	global_store_short v[0:1], v7, off offset:1280
	s_or_b64 exec, exec, s[2:3]
	s_and_saveexec_b64 s[2:3], s[42:43]
	s_cbranch_execz .LBB117_263
.LBB117_293:                            ;   in Loop: Header=BB117_13 Depth=1
	s_waitcnt lgkmcnt(4)
	global_store_short v[0:1], v6, off offset:1408
	s_or_b64 exec, exec, s[2:3]
	s_and_saveexec_b64 s[2:3], s[44:45]
	s_cbranch_execz .LBB117_264
.LBB117_294:                            ;   in Loop: Header=BB117_13 Depth=1
	s_waitcnt lgkmcnt(3)
	global_store_short v[0:1], v5, off offset:1536
	s_or_b64 exec, exec, s[2:3]
	s_and_saveexec_b64 s[2:3], s[46:47]
	s_cbranch_execz .LBB117_265
.LBB117_295:                            ;   in Loop: Header=BB117_13 Depth=1
	s_waitcnt lgkmcnt(2)
	global_store_short v[0:1], v4, off offset:1664
	s_or_b64 exec, exec, s[2:3]
	s_and_saveexec_b64 s[2:3], s[48:49]
	s_cbranch_execz .LBB117_266
.LBB117_296:                            ;   in Loop: Header=BB117_13 Depth=1
	s_waitcnt lgkmcnt(1)
	global_store_short v[0:1], v3, off offset:1792
	s_or_b64 exec, exec, s[2:3]
	s_and_saveexec_b64 s[2:3], s[50:51]
	s_cbranch_execz .LBB117_12
.LBB117_297:                            ;   in Loop: Header=BB117_13 Depth=1
	s_waitcnt lgkmcnt(0)
	global_store_short v[0:1], v2, off offset:1920
	s_branch .LBB117_12
.LBB117_298:
	s_endpgm
	.section	.rodata,"a",@progbits
	.p2align	6, 0x0
	.amdhsa_kernel _Z25selective_scan_fwd_kernelI32Selective_Scan_fwd_kernel_traitsILi64ELi16ELi1ELb0ELb1ELb1ELb1ELb0EN3c104HalfEffEEv13SSMParamsBase
		.amdhsa_group_segment_fixed_size 0
		.amdhsa_private_segment_fixed_size 332
		.amdhsa_kernarg_size 248
		.amdhsa_user_sgpr_count 2
		.amdhsa_user_sgpr_dispatch_ptr 0
		.amdhsa_user_sgpr_queue_ptr 0
		.amdhsa_user_sgpr_kernarg_segment_ptr 1
		.amdhsa_user_sgpr_dispatch_id 0
		.amdhsa_user_sgpr_kernarg_preload_length 0
		.amdhsa_user_sgpr_kernarg_preload_offset 0
		.amdhsa_user_sgpr_private_segment_size 0
		.amdhsa_uses_dynamic_stack 0
		.amdhsa_enable_private_segment 1
		.amdhsa_system_sgpr_workgroup_id_x 1
		.amdhsa_system_sgpr_workgroup_id_y 1
		.amdhsa_system_sgpr_workgroup_id_z 0
		.amdhsa_system_sgpr_workgroup_info 0
		.amdhsa_system_vgpr_workitem_id 0
		.amdhsa_next_free_vgpr 96
		.amdhsa_next_free_sgpr 100
		.amdhsa_accum_offset 96
		.amdhsa_reserve_vcc 1
		.amdhsa_float_round_mode_32 0
		.amdhsa_float_round_mode_16_64 0
		.amdhsa_float_denorm_mode_32 3
		.amdhsa_float_denorm_mode_16_64 3
		.amdhsa_dx10_clamp 1
		.amdhsa_ieee_mode 1
		.amdhsa_fp16_overflow 0
		.amdhsa_tg_split 0
		.amdhsa_exception_fp_ieee_invalid_op 0
		.amdhsa_exception_fp_denorm_src 0
		.amdhsa_exception_fp_ieee_div_zero 0
		.amdhsa_exception_fp_ieee_overflow 0
		.amdhsa_exception_fp_ieee_underflow 0
		.amdhsa_exception_fp_ieee_inexact 0
		.amdhsa_exception_int_div_zero 0
	.end_amdhsa_kernel
	.section	.text._Z25selective_scan_fwd_kernelI32Selective_Scan_fwd_kernel_traitsILi64ELi16ELi1ELb0ELb1ELb1ELb1ELb0EN3c104HalfEffEEv13SSMParamsBase,"axG",@progbits,_Z25selective_scan_fwd_kernelI32Selective_Scan_fwd_kernel_traitsILi64ELi16ELi1ELb0ELb1ELb1ELb1ELb0EN3c104HalfEffEEv13SSMParamsBase,comdat
.Lfunc_end117:
	.size	_Z25selective_scan_fwd_kernelI32Selective_Scan_fwd_kernel_traitsILi64ELi16ELi1ELb0ELb1ELb1ELb1ELb0EN3c104HalfEffEEv13SSMParamsBase, .Lfunc_end117-_Z25selective_scan_fwd_kernelI32Selective_Scan_fwd_kernel_traitsILi64ELi16ELi1ELb0ELb1ELb1ELb1ELb0EN3c104HalfEffEEv13SSMParamsBase
                                        ; -- End function
	.section	.AMDGPU.csdata,"",@progbits
; Kernel info:
; codeLenInByte = 27204
; NumSgprs: 106
; NumVgprs: 96
; NumAgprs: 0
; TotalNumVgprs: 96
; ScratchSize: 332
; MemoryBound: 0
; FloatMode: 240
; IeeeMode: 1
; LDSByteSize: 0 bytes/workgroup (compile time only)
; SGPRBlocks: 13
; VGPRBlocks: 11
; NumSGPRsForWavesPerEU: 106
; NumVGPRsForWavesPerEU: 96
; AccumOffset: 96
; Occupancy: 5
; WaveLimiterHint : 0
; COMPUTE_PGM_RSRC2:SCRATCH_EN: 1
; COMPUTE_PGM_RSRC2:USER_SGPR: 2
; COMPUTE_PGM_RSRC2:TRAP_HANDLER: 0
; COMPUTE_PGM_RSRC2:TGID_X_EN: 1
; COMPUTE_PGM_RSRC2:TGID_Y_EN: 1
; COMPUTE_PGM_RSRC2:TGID_Z_EN: 0
; COMPUTE_PGM_RSRC2:TIDIG_COMP_CNT: 0
; COMPUTE_PGM_RSRC3_GFX90A:ACCUM_OFFSET: 23
; COMPUTE_PGM_RSRC3_GFX90A:TG_SPLIT: 0
	.section	.text._Z25selective_scan_fwd_kernelI32Selective_Scan_fwd_kernel_traitsILi64ELi16ELi1ELb0ELb1ELb1ELb0ELb1EN3c104HalfEffEEv13SSMParamsBase,"axG",@progbits,_Z25selective_scan_fwd_kernelI32Selective_Scan_fwd_kernel_traitsILi64ELi16ELi1ELb0ELb1ELb1ELb0ELb1EN3c104HalfEffEEv13SSMParamsBase,comdat
	.protected	_Z25selective_scan_fwd_kernelI32Selective_Scan_fwd_kernel_traitsILi64ELi16ELi1ELb0ELb1ELb1ELb0ELb1EN3c104HalfEffEEv13SSMParamsBase ; -- Begin function _Z25selective_scan_fwd_kernelI32Selective_Scan_fwd_kernel_traitsILi64ELi16ELi1ELb0ELb1ELb1ELb0ELb1EN3c104HalfEffEEv13SSMParamsBase
	.globl	_Z25selective_scan_fwd_kernelI32Selective_Scan_fwd_kernel_traitsILi64ELi16ELi1ELb0ELb1ELb1ELb0ELb1EN3c104HalfEffEEv13SSMParamsBase
	.p2align	8
	.type	_Z25selective_scan_fwd_kernelI32Selective_Scan_fwd_kernel_traitsILi64ELi16ELi1ELb0ELb1ELb1ELb0ELb1EN3c104HalfEffEEv13SSMParamsBase,@function
_Z25selective_scan_fwd_kernelI32Selective_Scan_fwd_kernel_traitsILi64ELi16ELi1ELb0ELb1ELb1ELb0ELb1EN3c104HalfEffEEv13SSMParamsBase: ; @_Z25selective_scan_fwd_kernelI32Selective_Scan_fwd_kernel_traitsILi64ELi16ELi1ELb0ELb1ELb1ELb0ELb1EN3c104HalfEffEEv13SSMParamsBase
; %bb.0:
	s_load_dword s27, s[0:1], 0x18
	s_load_dwordx4 s[4:7], s[0:1], 0xe0
	s_load_dwordx2 s[10:11], s[0:1], 0xf0
	s_mov_b32 s20, s3
	s_ashr_i32 s3, s2, 31
	s_waitcnt lgkmcnt(0)
	s_abs_i32 s26, s27
	v_cvt_f32_u32_e32 v1, s26
	s_lshl_b64 s[8:9], s[2:3], 2
	s_add_u32 s24, s4, s8
	s_addc_u32 s25, s5, s9
	v_rcp_iflag_f32_e32 v1, v1
	s_cmp_eq_u64 s[10:11], 0
                                        ; implicit-def: $vgpr95 : SGPR spill to VGPR lane
	v_mul_f32_e32 v1, 0x4f7ffffe, v1
	v_cvt_u32_f32_e32 v1, v1
	s_nop 0
	v_readfirstlane_b32 s28, v1
	s_cbranch_scc1 .LBB118_2
; %bb.1:
	s_add_u32 s4, s10, s2
	s_addc_u32 s5, s11, s3
	v_mov_b32_e32 v1, 0
	global_load_ubyte v1, v1, s[4:5]
	s_waitcnt vmcnt(0)
	v_and_b32_e32 v1, 1, v1
	v_cmp_eq_u32_e64 s[4:5], 1, v1
	s_branch .LBB118_3
.LBB118_2:
	s_mov_b64 s[4:5], 0
.LBB118_3:
	s_nop 0
	v_writelane_b32 v95, s4, 0
	s_cmp_eq_u64 s[6:7], 0
	s_nop 0
	v_writelane_b32 v95, s5, 1
	s_load_dwordx2 s[4:5], s[0:1], 0x20
	s_cbranch_scc1 .LBB118_5
; %bb.4:
	s_add_u32 s2, s6, s8
	s_addc_u32 s3, s7, s9
	s_load_dword s2, s[2:3], 0x0
	s_waitcnt lgkmcnt(0)
	s_ashr_i32 s3, s2, 31
.LBB118_5:
	s_waitcnt lgkmcnt(0)
	s_cmp_eq_u64 s[4:5], s[2:3]
	s_cbranch_scc1 .LBB118_234
; %bb.6:
	s_load_dwordx16 s[4:19], s[0:1], 0x88
	s_load_dwordx2 s[22:23], s[24:25], 0x0
	s_mov_b32 s3, 0
	v_writelane_b32 v95, s3, 2
	v_writelane_b32 v95, s3, 3
	s_waitcnt lgkmcnt(0)
	s_cmp_eq_u64 s[10:11], 0
	s_cbranch_scc1 .LBB118_8
; %bb.7:
	s_ashr_i32 s21, s20, 31
	s_lshl_b64 s[24:25], s[20:21], 2
	s_add_u32 s10, s10, s24
	s_addc_u32 s11, s11, s25
	s_load_dword s3, s[10:11], 0x0
	s_waitcnt lgkmcnt(0)
	v_writelane_b32 v95, s3, 3
.LBB118_8:
	s_cmp_eq_u64 s[16:17], 0
	s_cbranch_scc1 .LBB118_10
; %bb.9:
	s_ashr_i32 s21, s20, 31
	s_lshl_b64 s[10:11], s[20:21], 2
	s_add_u32 s10, s16, s10
	s_addc_u32 s11, s17, s11
	s_load_dword s3, s[10:11], 0x0
	s_waitcnt lgkmcnt(0)
	v_writelane_b32 v95, s3, 2
.LBB118_10:
	s_sub_i32 s29, s23, s22
	s_cmp_lt_i32 s29, 1
	s_cbranch_scc1 .LBB118_234
; %bb.11:
	v_mbcnt_lo_u32_b32 v1, -1, 0
	v_mbcnt_hi_u32_b32 v20, -1, v1
	s_sub_i32 s3, 0, s26
	v_lshrrev_b32_e32 v1, 5, v20
	s_mul_i32 s3, s3, s28
	v_and_b32_e32 v1, 2, v1
	s_mul_hi_u32 s3, s28, s3
	v_add_u32_e32 v1, v1, v20
	s_abs_i32 s21, s20
	s_add_i32 s28, s28, s3
	v_add_u32_e32 v2, 64, v20
	v_lshl_add_u32 v1, v1, 1, 0
	s_load_dwordx8 s[36:43], s[0:1], 0x2c
	s_load_dwordx2 s[10:11], s[0:1], 0x5c
	s_load_dwordx4 s[44:47], s[0:1], 0x4c
	s_load_dwordx4 s[48:51], s[0:1], 0x7c
	s_load_dwordx2 s[24:25], s[0:1], 0x6c
	s_load_dwordx2 s[16:17], s[0:1], 0xc8
	s_mul_hi_u32 s3, s21, s28
	s_load_dword s28, s[0:1], 0xc
	s_load_dword s23, s[0:1], 0x28
	scratch_store_dword off, v1, off offset:4 ; 4-byte Folded Spill
	scratch_store_dword off, v2, off offset:180 ; 4-byte Folded Spill
	v_lshrrev_b32_e32 v1, 5, v2
	s_ashr_i32 s0, s20, 31
	s_ashr_i32 s1, s27, 31
	v_and_b32_e32 v1, 6, v1
	s_xor_b32 s0, s0, s1
	s_mul_i32 s1, s3, s26
	v_add_lshl_u32 v1, v1, v20, 1
	s_sub_i32 s1, s21, s1
	v_or_b32_e32 v3, 0x80, v20
	v_add_u32_e32 v2, 0, v1
	s_add_i32 s21, s3, 1
	s_sub_i32 s27, s1, s26
	scratch_store_dword off, v2, off offset:8 ; 4-byte Folded Spill
	scratch_store_dword off, v3, off offset:184 ; 4-byte Folded Spill
	v_lshrrev_b32_e32 v2, 5, v3
	s_cmp_ge_u32 s1, s26
	v_and_b32_e32 v2, 6, v2
	s_cselect_b32 s3, s21, s3
	v_add_lshl_u32 v2, v2, v20, 1
	s_cselect_b32 s1, s27, s1
	s_add_i32 s21, s3, 1
	v_add_u32_e32 v4, 0xc0, v20
	v_add_u32_e32 v3, 0, v2
	s_cmp_ge_u32 s1, s26
	scratch_store_dword off, v3, off offset:12 ; 4-byte Folded Spill
	scratch_store_dword off, v4, off offset:188 ; 4-byte Folded Spill
	v_lshrrev_b32_e32 v3, 5, v4
	s_cselect_b32 s1, s21, s3
	v_and_b32_e32 v3, 14, v3
	s_xor_b32 s1, s1, s0
	s_waitcnt lgkmcnt(0)
	s_mul_i32 s92, s22, s46
	s_mov_b32 s93, 0
	v_add_lshl_u32 v3, v3, v20, 1
	s_sub_i32 s3, s1, s0
	s_lshl_b64 s[0:1], s[92:93], 1
	v_or_b32_e32 v5, 0x100, v20
	v_add_u32_e32 v4, 0, v3
	s_add_u32 s12, s12, s0
	s_mul_i32 s92, s47, s20
	scratch_store_dword off, v4, off offset:16 ; 4-byte Folded Spill
	scratch_store_dword off, v5, off offset:192 ; 4-byte Folded Spill
	v_lshrrev_b32_e32 v4, 5, v5
	s_addc_u32 s13, s13, s1
	s_lshl_b64 s[0:1], s[92:93], 1
	v_and_b32_e32 v4, 10, v4
	s_add_u32 s26, s12, s0
	s_mul_i32 s92, s22, s10
	v_add_lshl_u32 v4, v4, v20, 1
	s_addc_u32 s27, s13, s1
	s_lshl_b64 s[0:1], s[92:93], 1
	v_add_u32_e32 v6, 0x140, v20
	v_add_u32_e32 v5, 0, v4
	s_add_u32 s10, s14, s0
	s_mul_i32 s92, s11, s20
	scratch_store_dword off, v5, off offset:20 ; 4-byte Folded Spill
	scratch_store_dword off, v6, off offset:196 ; 4-byte Folded Spill
	v_lshrrev_b32_e32 v5, 5, v6
	s_addc_u32 s12, s15, s1
	s_lshl_b64 s[0:1], s[92:93], 1
	v_and_b32_e32 v5, 14, v5
	s_add_u32 s0, s10, s0
	v_add_lshl_u32 v5, v5, v20, 1
	s_addc_u32 s1, s12, s1
	v_or_b32_e32 v7, 0x180, v20
	v_add_u32_e32 v6, 0, v5
	v_writelane_b32 v95, s0, 4
	s_mul_i32 s92, s36, s20
	scratch_store_dword off, v6, off offset:24 ; 4-byte Folded Spill
	scratch_store_dword off, v7, off offset:200 ; 4-byte Folded Spill
	v_lshrrev_b32_e32 v6, 5, v7
	v_writelane_b32 v95, s1, 5
	s_lshl_b64 s[0:1], s[92:93], 2
	v_and_b32_e32 v6, 14, v6
	s_add_u32 s99, s4, s0
	v_add_lshl_u32 v6, v6, v20, 1
	s_addc_u32 s0, s5, s1
	s_mul_i32 s92, s22, s38
	v_add_u32_e32 v8, 0x1c0, v20
	v_add_u32_e32 v7, 0, v6
	v_writelane_b32 v95, s0, 6
	s_lshl_b64 s[0:1], s[92:93], 1
	scratch_store_dword off, v7, off offset:28 ; 4-byte Folded Spill
	scratch_store_dword off, v8, off offset:204 ; 4-byte Folded Spill
	v_lshrrev_b32_e32 v7, 5, v8
	s_add_u32 s4, s6, s0
	s_mul_i32 s92, s3, s41
	v_and_b32_e32 v7, 30, v7
	s_addc_u32 s5, s7, s1
	s_lshl_b64 s[0:1], s[92:93], 1
	v_add_lshl_u32 v7, v7, v20, 1
	s_add_u32 s0, s4, s0
	v_or_b32_e32 v9, 0x200, v20
	v_add_u32_e32 v8, 0, v7
	s_addc_u32 s1, s5, s1
	scratch_store_dword off, v8, off offset:32 ; 4-byte Folded Spill
	scratch_store_dword off, v9, off offset:208 ; 4-byte Folded Spill
	v_lshrrev_b32_e32 v8, 5, v9
	v_writelane_b32 v95, s0, 7
	v_and_b32_e32 v8, 18, v8
	v_add_lshl_u32 v8, v8, v20, 1
	v_writelane_b32 v95, s1, 8
	v_writelane_b32 v95, s36, 9
	v_add_u32_e32 v10, 0x240, v20
	v_add_u32_e32 v9, 0, v8
	v_writelane_b32 v95, s37, 10
	scratch_store_dword off, v9, off offset:36 ; 4-byte Folded Spill
	scratch_store_dword off, v10, off offset:212 ; 4-byte Folded Spill
	v_lshrrev_b32_e32 v9, 5, v10
	v_writelane_b32 v95, s38, 11
	v_and_b32_e32 v9, 22, v9
	v_writelane_b32 v95, s39, 12
	v_add_lshl_u32 v9, v9, v20, 1
	v_writelane_b32 v95, s40, 13
	v_or_b32_e32 v11, 0x280, v20
	v_add_u32_e32 v10, 0, v9
	v_writelane_b32 v95, s41, 14
	scratch_store_dword off, v10, off offset:40 ; 4-byte Folded Spill
	scratch_store_dword off, v11, off offset:216 ; 4-byte Folded Spill
	v_lshrrev_b32_e32 v10, 5, v11
	v_writelane_b32 v95, s42, 15
	s_mul_i32 s92, s22, s42
	v_and_b32_e32 v10, 22, v10
	v_writelane_b32 v95, s43, 16
	s_lshl_b64 s[0:1], s[92:93], 1
	v_add_lshl_u32 v10, v10, v20, 1
	s_add_u32 s4, s8, s0
	v_writelane_b32 v95, s44, 17
	s_mul_i32 s92, s3, s45
	v_add_u32_e32 v12, 0x2c0, v20
	v_add_u32_e32 v11, 0, v10
	s_addc_u32 s5, s9, s1
	v_writelane_b32 v95, s45, 18
	s_lshl_b64 s[0:1], s[92:93], 1
	scratch_store_dword off, v11, off offset:44 ; 4-byte Folded Spill
	scratch_store_dword off, v12, off offset:220 ; 4-byte Folded Spill
	v_lshrrev_b32_e32 v11, 5, v12
	v_writelane_b32 v95, s46, 19
	s_add_u32 s0, s4, s0
	v_and_b32_e32 v11, 30, v11
	v_writelane_b32 v95, s47, 20
	s_addc_u32 s1, s5, s1
	v_add_lshl_u32 v11, v11, v20, 1
	v_writelane_b32 v95, s0, 21
	v_or_b32_e32 v13, 0x300, v20
	v_add_u32_e32 v12, 0, v11
	v_writelane_b32 v95, s1, 22
	s_mul_i32 s92, s2, s48
	scratch_store_dword off, v12, off offset:48 ; 4-byte Folded Spill
	scratch_store_dword off, v13, off offset:224 ; 4-byte Folded Spill
	v_lshrrev_b32_e32 v12, 5, v13
	s_lshl_b64 s[0:1], s[92:93], 2
	v_writelane_b32 v95, s48, 23
	v_and_b32_e32 v12, 26, v12
	s_add_u32 s2, s16, s0
	v_writelane_b32 v95, s49, 24
	s_mul_i32 s92, s49, s20
	v_add_lshl_u32 v12, v12, v20, 1
	s_addc_u32 s3, s17, s1
	v_writelane_b32 v95, s50, 25
	s_lshl_b64 s[0:1], s[92:93], 2
	v_add_u32_e32 v14, 0x340, v20
	v_add_u32_e32 v13, 0, v12
	v_writelane_b32 v95, s51, 26
	s_add_u32 s0, s2, s0
	scratch_store_dword off, v13, off offset:52 ; 4-byte Folded Spill
	scratch_store_dword off, v14, off offset:228 ; 4-byte Folded Spill
	v_lshrrev_b32_e32 v13, 5, v14
	v_writelane_b32 v95, s0, 27
	s_addc_u32 s0, s3, s1
	v_and_b32_e32 v13, 30, v13
	v_writelane_b32 v95, s0, 28
	s_add_i32 s0, s29, 0x7ff
	v_add_lshl_u32 v13, v13, v20, 1
	s_lshr_b32 s1, s0, 11
	v_or_b32_e32 v15, 0x380, v20
	v_add_u32_e32 v14, 0, v13
	scratch_store_dword off, v14, off offset:56 ; 4-byte Folded Spill
	scratch_store_dword off, v15, off offset:232 ; 4-byte Folded Spill
	v_lshrrev_b32_e32 v14, 5, v15
	s_bitcmp1_b32 s23, 0
	v_and_b32_e32 v14, 30, v14
	s_cselect_b64 s[4:5], -1, 0
	s_cmp_gt_i32 s28, 0
	v_add_lshl_u32 v14, v14, v20, 1
	s_cselect_b64 s[2:3], -1, 0
	s_add_i32 s0, 0, 0x840
	v_add_u32_e32 v15, 0, v14
	v_add_u32_e32 v1, s0, v1
	;; [unrolled: 1-line block ×3, first 2 shown]
	scratch_store_dword off, v15, off offset:60 ; 4-byte Folded Spill
	scratch_store_dword off, v16, off offset:236 ; 4-byte Folded Spill
	;; [unrolled: 1-line block ×3, first 2 shown]
	v_add_u32_e32 v1, s0, v2
	scratch_store_dword off, v1, off offset:100 ; 4-byte Folded Spill
	v_add_u32_e32 v1, s0, v3
	scratch_store_dword off, v1, off offset:104 ; 4-byte Folded Spill
	;; [unrolled: 2-line block ×7, first 2 shown]
	v_add_u32_e32 v1, s0, v9
	v_lshrrev_b32_e32 v15, 5, v16
	scratch_store_dword off, v1, off offset:128 ; 4-byte Folded Spill
	v_add_u32_e32 v1, s0, v10
	v_and_b32_e32 v15, 62, v15
	scratch_store_dword off, v1, off offset:132 ; 4-byte Folded Spill
	v_add_u32_e32 v1, s0, v11
	v_add_lshl_u32 v15, v15, v20, 1
	scratch_store_dword off, v1, off offset:136 ; 4-byte Folded Spill
	v_add_u32_e32 v1, s0, v12
	v_add_u32_e32 v16, 0, v15
	v_lshrrev_b32_e32 v18, 1, v20
	scratch_store_dword off, v1, off offset:140 ; 4-byte Folded Spill
	v_add_u32_e32 v1, s0, v13
	scratch_store_dword off, v16, off offset:64 ; 4-byte Folded Spill
	v_lshlrev_b32_e32 v16, 4, v20
	v_and_b32_e32 v18, 62, v18
	scratch_store_dword off, v1, off offset:144 ; 4-byte Folded Spill
	v_add_u32_e32 v1, s0, v14
	v_add_lshl_u32 v16, v18, v16, 1
	v_writelane_b32 v95, s28, 29
	scratch_store_dword off, v1, off offset:148 ; 4-byte Folded Spill
	v_add_u32_e32 v1, s0, v15
	v_writelane_b32 v95, s2, 30
	scratch_store_dword off, v1, off offset:152 ; 4-byte Folded Spill
	v_add_u32_e32 v1, s0, v16
	s_and_b32 s0, s29, 0x3ff
	v_writelane_b32 v95, s3, 31
	s_cmp_eq_u32 s0, 0
	v_writelane_b32 v95, s29, 32
	s_cselect_b64 s[2:3], -1, 0
	scratch_store_dword off, v1, off offset:156 ; 4-byte Folded Spill
	v_writelane_b32 v95, s2, 33
	v_and_b32_e32 v1, 15, v20
	v_cmp_lt_u32_e64 s[6:7], 7, v1
	v_writelane_b32 v95, s3, 34
	v_cmp_ne_u32_e64 s[2:3], 0, v1
	s_add_i32 s0, s1, -1
	s_mul_i32 s92, s22, s24
	v_writelane_b32 v95, s2, 35
	v_and_b32_e32 v2, 64, v20
	v_lshlrev_b32_e32 v19, 4, v0
	v_writelane_b32 v95, s3, 36
	v_cmp_lt_u32_e64 s[2:3], 1, v1
	v_cmp_gt_u32_e64 s[14:15], 64, v0
	v_cmp_eq_u32_e64 s[16:17], 0, v0
	v_writelane_b32 v95, s2, 37
	v_add_u32_e32 v18, 0, v16
	v_mov_b32_e32 v17, 0
	v_writelane_b32 v95, s3, 38
	v_cmp_lt_u32_e64 s[2:3], 3, v1
	v_writelane_b32 v95, s6, 39
	v_and_b32_e32 v1, 16, v20
	scratch_store_dword off, v18, off       ; 4-byte Folded Spill
	v_writelane_b32 v95, s7, 40
	v_cmp_ne_u32_e64 s[6:7], 0, v1
	v_add_u32_e32 v1, -1, v20
	v_cmp_lt_i32_e32 vcc, v1, v2
	v_writelane_b32 v95, s6, 41
	v_lshlrev_b32_e32 v16, 1, v20
	v_cndmask_b32_e32 v1, v1, v20, vcc
	v_writelane_b32 v95, s7, 42
	v_writelane_b32 v95, s1, 43
	;; [unrolled: 1-line block ×3, first 2 shown]
	s_lshl_b64 s[0:1], s[92:93], 1
	s_add_u32 s18, s18, s0
	s_addc_u32 s19, s19, s1
	v_cmp_eq_u32_e64 s[0:1], 63, v0
	v_lshlrev_b32_e32 v1, 2, v1
	v_mov_b32_e32 v0, v20
	scratch_store_dwordx2 off, v[0:1], off offset:172 ; 8-byte Folded Spill
	v_or_b32_e32 v0, 1, v19
	scratch_store_dword off, v0, off offset:252 ; 4-byte Folded Spill
	v_or_b32_e32 v0, 2, v19
	scratch_store_dword off, v0, off offset:256 ; 4-byte Folded Spill
	;; [unrolled: 2-line block ×6, first 2 shown]
                                        ; implicit-def: $vgpr0
	v_writelane_b32 v95, s0, 45
	v_or_b32_e32 v0, 7, v19
	scratch_store_dword off, v0, off offset:276 ; 4-byte Folded Spill
	v_or_b32_e32 v0, 8, v19
	s_mul_i32 s92, s25, s20
	scratch_store_dword off, v0, off offset:280 ; 4-byte Folded Spill
	v_or_b32_e32 v0, 9, v19
	v_writelane_b32 v95, s1, 46
	s_lshl_b64 s[0:1], s[92:93], 1
	scratch_store_dword off, v0, off offset:284 ; 4-byte Folded Spill
	v_or_b32_e32 v0, 10, v19
	s_add_u32 s0, s18, s0
	scratch_store_dword off, v0, off offset:288 ; 4-byte Folded Spill
	v_or_b32_e32 v0, 11, v19
	s_addc_u32 s1, s19, s1
	s_add_i32 s18, 0, 0x1088
	scratch_store_dword off, v0, off offset:292 ; 4-byte Folded Spill
	v_or_b32_e32 v0, 12, v19
	v_writelane_b32 v95, s18, 47
	scratch_store_dword off, v0, off offset:296 ; 4-byte Folded Spill
	v_or_b32_e32 v0, 13, v19
	scratch_store_dword off, v0, off offset:300 ; 4-byte Folded Spill
	v_or_b32_e32 v0, 14, v19
	v_writelane_b32 v95, s99, 48
	scratch_store_dword off, v1, off offset:160 ; 4-byte Folded Spill
	scratch_store_dword off, v0, off offset:304 ; 4-byte Folded Spill
	;; [unrolled: 1-line block ×3, first 2 shown]
	v_or_b32_e32 v0, 15, v19
	v_writelane_b32 v95, s4, 49
	v_cmp_lt_u32_e64 s[12:13], 31, v20
	s_mov_b32 s6, 0x41a00000
	s_mov_b32 s7, 0x3fb8aa3b
	;; [unrolled: 1-line block ×10, first 2 shown]
	scratch_store_dword off, v0, off offset:308 ; 4-byte Folded Spill
	v_mov_b32_e32 v40, 0x3ecc95a3
	v_mov_b32_e32 v41, 0x7f800000
	;; [unrolled: 1-line block ×4, first 2 shown]
	v_lshl_add_u64 v[0:1], s[0:1], 0, v[16:17]
	v_mov_b32_e32 v42, 0x3f317218
	v_writelane_b32 v95, s5, 50
	scratch_store_dwordx2 off, v[0:1], off offset:240 ; 8-byte Folded Spill
	s_branch .LBB118_13
.LBB118_12:                             ;   in Loop: Header=BB118_13 Depth=1
	s_or_b64 exec, exec, s[18:19]
	v_readlane_b32 s0, v95, 4
	v_readlane_b32 s1, v95, 5
	s_add_u32 s0, s0, 0x800
	s_addc_u32 s1, s1, 0
	v_writelane_b32 v95, s0, 4
	s_nop 1
	v_writelane_b32 v95, s1, 5
	s_nop 0
	v_readlane_b32 s26, v95, 54
	v_readlane_b32 s27, v95, 55
	s_add_u32 s26, s26, 0x800
	s_addc_u32 s27, s27, 0
	v_readlane_b32 s0, v95, 7
	v_readlane_b32 s1, v95, 8
	s_add_u32 s0, s0, 0x800
	s_addc_u32 s1, s1, 0
	v_writelane_b32 v95, s0, 7
	s_nop 1
	v_writelane_b32 v95, s1, 8
	s_nop 0
	v_readlane_b32 s0, v95, 21
	v_readlane_b32 s1, v95, 22
	s_add_u32 s0, s0, 0x800
	s_addc_u32 s1, s1, 0
	v_writelane_b32 v95, s0, 21
	s_nop 1
	v_writelane_b32 v95, s1, 22
	s_nop 0
	v_readlane_b32 s18, v95, 51
	s_add_i32 s18, s18, 1
	v_readlane_b32 s0, v95, 43
	s_cmp_eq_u32 s18, s0
	s_cbranch_scc1 .LBB118_234
.LBB118_13:                             ; =>This Loop Header: Depth=1
                                        ;     Child Loop BB118_110 Depth 2
	s_waitcnt lgkmcnt(0)
	; wave barrier
	s_waitcnt vmcnt(63) expcnt(7) lgkmcnt(15)
	scratch_load_dwordx2 v[0:1], off, off offset:172 ; 8-byte Folded Reload
	s_lshl_b32 s20, s18, 10
	v_writelane_b32 v95, s18, 51
	s_mov_b32 s18, s20
	v_readlane_b32 s0, v95, 32
	v_writelane_b32 v95, s18, 52
	s_sub_i32 s82, s0, s20
	s_waitcnt vmcnt(0) lgkmcnt(0)
	v_mov_b32_e32 v2, v0
	v_writelane_b32 v95, s19, 53
	v_lshlrev_b32_e32 v16, 1, v2
	v_writelane_b32 v95, s26, 54
	v_cmp_gt_u32_e64 s[18:19], s82, v2
	v_mov_b32_e32 v2, 0
	v_writelane_b32 v95, s27, 55
	v_lshl_add_u64 v[0:1], s[26:27], 0, v[16:17]
	s_and_saveexec_b64 s[20:21], s[18:19]
	s_cbranch_execz .LBB118_15
; %bb.14:                               ;   in Loop: Header=BB118_13 Depth=1
	global_load_ushort v2, v[0:1], off
.LBB118_15:                             ;   in Loop: Header=BB118_13 Depth=1
	s_or_b64 exec, exec, s[20:21]
	scratch_load_dword v3, off, off offset:180 ; 4-byte Folded Reload
	v_mov_b32_e32 v4, 0
	s_waitcnt vmcnt(0)
	v_cmp_gt_u32_e64 s[20:21], s82, v3
	v_mov_b32_e32 v3, 0
	s_and_saveexec_b64 s[22:23], s[20:21]
	s_cbranch_execz .LBB118_17
; %bb.16:                               ;   in Loop: Header=BB118_13 Depth=1
	global_load_ushort v4, v[0:1], off offset:128
.LBB118_17:                             ;   in Loop: Header=BB118_13 Depth=1
	s_or_b64 exec, exec, s[22:23]
	scratch_load_dword v5, off, off offset:184 ; 4-byte Folded Reload
	s_waitcnt vmcnt(0)
	v_cmp_gt_u32_e64 s[22:23], s82, v5
	s_and_saveexec_b64 s[24:25], s[22:23]
	s_cbranch_execz .LBB118_19
; %bb.18:                               ;   in Loop: Header=BB118_13 Depth=1
	global_load_ushort v3, v[0:1], off offset:256
.LBB118_19:                             ;   in Loop: Header=BB118_13 Depth=1
	s_or_b64 exec, exec, s[24:25]
	scratch_load_dword v5, off, off offset:188 ; 4-byte Folded Reload
	v_mov_b32_e32 v6, 0
	s_waitcnt vmcnt(0)
	v_cmp_gt_u32_e64 s[24:25], s82, v5
	v_mov_b32_e32 v5, 0
	s_and_saveexec_b64 s[26:27], s[24:25]
	s_cbranch_execz .LBB118_21
; %bb.20:                               ;   in Loop: Header=BB118_13 Depth=1
	global_load_ushort v6, v[0:1], off offset:384
.LBB118_21:                             ;   in Loop: Header=BB118_13 Depth=1
	s_or_b64 exec, exec, s[26:27]
	scratch_load_dword v7, off, off offset:192 ; 4-byte Folded Reload
	s_waitcnt vmcnt(0)
	v_cmp_gt_u32_e64 s[26:27], s82, v7
	s_and_saveexec_b64 s[28:29], s[26:27]
	s_cbranch_execz .LBB118_23
; %bb.22:                               ;   in Loop: Header=BB118_13 Depth=1
	global_load_ushort v5, v[0:1], off offset:512
.LBB118_23:                             ;   in Loop: Header=BB118_13 Depth=1
	s_or_b64 exec, exec, s[28:29]
	scratch_load_dword v7, off, off offset:196 ; 4-byte Folded Reload
	v_mov_b32_e32 v8, 0
	s_waitcnt vmcnt(0)
	v_cmp_gt_u32_e64 s[28:29], s82, v7
	v_mov_b32_e32 v7, 0
	s_and_saveexec_b64 s[30:31], s[28:29]
	s_cbranch_execz .LBB118_25
; %bb.24:                               ;   in Loop: Header=BB118_13 Depth=1
	global_load_ushort v8, v[0:1], off offset:640
.LBB118_25:                             ;   in Loop: Header=BB118_13 Depth=1
	s_or_b64 exec, exec, s[30:31]
	scratch_load_dword v9, off, off offset:200 ; 4-byte Folded Reload
	s_waitcnt vmcnt(0)
	v_cmp_gt_u32_e64 s[30:31], s82, v9
	s_and_saveexec_b64 s[34:35], s[30:31]
	s_cbranch_execz .LBB118_27
; %bb.26:                               ;   in Loop: Header=BB118_13 Depth=1
	global_load_ushort v7, v[0:1], off offset:768
.LBB118_27:                             ;   in Loop: Header=BB118_13 Depth=1
	s_or_b64 exec, exec, s[34:35]
	scratch_load_dword v9, off, off offset:204 ; 4-byte Folded Reload
	v_mov_b32_e32 v11, 0
	s_waitcnt vmcnt(0)
	v_cmp_gt_u32_e64 s[34:35], s82, v9
	v_mov_b32_e32 v9, 0
	s_and_saveexec_b64 s[36:37], s[34:35]
	s_cbranch_execz .LBB118_29
; %bb.28:                               ;   in Loop: Header=BB118_13 Depth=1
	global_load_ushort v11, v[0:1], off offset:896
.LBB118_29:                             ;   in Loop: Header=BB118_13 Depth=1
	s_or_b64 exec, exec, s[36:37]
	scratch_load_dword v10, off, off offset:208 ; 4-byte Folded Reload
	s_waitcnt vmcnt(0)
	v_cmp_gt_u32_e64 s[36:37], s82, v10
	s_and_saveexec_b64 s[38:39], s[36:37]
	s_cbranch_execz .LBB118_31
; %bb.30:                               ;   in Loop: Header=BB118_13 Depth=1
	global_load_ushort v9, v[0:1], off offset:1024
.LBB118_31:                             ;   in Loop: Header=BB118_13 Depth=1
	s_or_b64 exec, exec, s[38:39]
	scratch_load_dword v10, off, off offset:212 ; 4-byte Folded Reload
	v_mov_b32_e32 v12, 0
	v_mov_b32_e32 v13, 0
	s_waitcnt vmcnt(0)
	v_cmp_gt_u32_e64 s[38:39], s82, v10
	s_and_saveexec_b64 s[40:41], s[38:39]
	s_cbranch_execz .LBB118_33
; %bb.32:                               ;   in Loop: Header=BB118_13 Depth=1
	global_load_ushort v13, v[0:1], off offset:1152
.LBB118_33:                             ;   in Loop: Header=BB118_13 Depth=1
	s_or_b64 exec, exec, s[40:41]
	scratch_load_dword v10, off, off offset:216 ; 4-byte Folded Reload
	s_waitcnt vmcnt(0)
	v_cmp_gt_u32_e64 s[40:41], s82, v10
	s_and_saveexec_b64 s[42:43], s[40:41]
	s_cbranch_execz .LBB118_35
; %bb.34:                               ;   in Loop: Header=BB118_13 Depth=1
	global_load_ushort v12, v[0:1], off offset:1280
.LBB118_35:                             ;   in Loop: Header=BB118_13 Depth=1
	s_or_b64 exec, exec, s[42:43]
	scratch_load_dword v10, off, off offset:220 ; 4-byte Folded Reload
	v_mov_b32_e32 v14, 0
	v_mov_b32_e32 v15, 0
	s_waitcnt vmcnt(0)
	v_cmp_gt_u32_e64 s[42:43], s82, v10
	s_and_saveexec_b64 s[44:45], s[42:43]
	s_cbranch_execz .LBB118_37
; %bb.36:                               ;   in Loop: Header=BB118_13 Depth=1
	global_load_ushort v15, v[0:1], off offset:1408
.LBB118_37:                             ;   in Loop: Header=BB118_13 Depth=1
	s_or_b64 exec, exec, s[44:45]
	scratch_load_dword v10, off, off offset:224 ; 4-byte Folded Reload
	s_waitcnt vmcnt(0)
	v_cmp_gt_u32_e64 s[44:45], s82, v10
	s_and_saveexec_b64 s[46:47], s[44:45]
	s_cbranch_execz .LBB118_39
; %bb.38:                               ;   in Loop: Header=BB118_13 Depth=1
	global_load_ushort v14, v[0:1], off offset:1536
.LBB118_39:                             ;   in Loop: Header=BB118_13 Depth=1
	s_or_b64 exec, exec, s[46:47]
	scratch_load_dword v10, off, off offset:228 ; 4-byte Folded Reload
	v_mov_b32_e32 v18, 0
	v_mov_b32_e32 v19, 0
	s_waitcnt vmcnt(0)
	v_cmp_gt_u32_e64 s[46:47], s82, v10
	s_and_saveexec_b64 s[48:49], s[46:47]
	s_cbranch_execz .LBB118_41
; %bb.40:                               ;   in Loop: Header=BB118_13 Depth=1
	global_load_ushort v19, v[0:1], off offset:1664
.LBB118_41:                             ;   in Loop: Header=BB118_13 Depth=1
	s_or_b64 exec, exec, s[48:49]
	scratch_load_dword v10, off, off offset:232 ; 4-byte Folded Reload
	s_waitcnt vmcnt(0)
	v_cmp_gt_u32_e64 s[48:49], s82, v10
	s_and_saveexec_b64 s[50:51], s[48:49]
	s_cbranch_execz .LBB118_43
; %bb.42:                               ;   in Loop: Header=BB118_13 Depth=1
	global_load_ushort v18, v[0:1], off offset:1792
.LBB118_43:                             ;   in Loop: Header=BB118_13 Depth=1
	s_or_b64 exec, exec, s[50:51]
	scratch_load_dword v10, off, off offset:236 ; 4-byte Folded Reload
	v_mov_b32_e32 v20, 0
	s_waitcnt vmcnt(0)
	v_cmp_gt_u32_e64 s[50:51], s82, v10
	v_mov_b32_e32 v10, 0
	s_and_saveexec_b64 s[52:53], s[50:51]
	s_cbranch_execz .LBB118_45
; %bb.44:                               ;   in Loop: Header=BB118_13 Depth=1
	global_load_ushort v20, v[0:1], off offset:1920
.LBB118_45:                             ;   in Loop: Header=BB118_13 Depth=1
	s_or_b64 exec, exec, s[52:53]
	scratch_load_dword v0, off, off offset:4 ; 4-byte Folded Reload
	v_readlane_b32 s0, v95, 4
	v_readlane_b32 s1, v95, 5
	s_waitcnt vmcnt(0)
	ds_write_b16 v0, v2
	scratch_load_dword v0, off, off offset:8 ; 4-byte Folded Reload
	s_waitcnt vmcnt(0)
	ds_write_b16 v0, v4 offset:128
	scratch_load_dword v0, off, off offset:12 ; 4-byte Folded Reload
	s_waitcnt vmcnt(0)
	ds_write_b16 v0, v3 offset:256
	scratch_load_dword v0, off, off offset:16 ; 4-byte Folded Reload
	s_waitcnt vmcnt(0)
	ds_write_b16 v0, v6 offset:384
	scratch_load_dword v0, off, off offset:20 ; 4-byte Folded Reload
	s_waitcnt vmcnt(0)
	ds_write_b16 v0, v5 offset:512
	scratch_load_dword v0, off, off offset:24 ; 4-byte Folded Reload
	s_waitcnt vmcnt(0)
	ds_write_b16 v0, v8 offset:640
	scratch_load_dword v0, off, off offset:28 ; 4-byte Folded Reload
	s_waitcnt vmcnt(0)
	ds_write_b16 v0, v7 offset:768
	scratch_load_dword v0, off, off offset:32 ; 4-byte Folded Reload
	s_waitcnt vmcnt(0)
	ds_write_b16 v0, v11 offset:896
	scratch_load_dword v0, off, off offset:36 ; 4-byte Folded Reload
	s_waitcnt vmcnt(0)
	ds_write_b16 v0, v9 offset:1024
	scratch_load_dword v0, off, off offset:40 ; 4-byte Folded Reload
	v_lshl_add_u64 v[8:9], s[0:1], 0, v[16:17]
	s_waitcnt vmcnt(0)
	ds_write_b16 v0, v13 offset:1152
	scratch_load_dword v0, off, off offset:44 ; 4-byte Folded Reload
	s_waitcnt vmcnt(0)
	ds_write_b16 v0, v12 offset:1280
	scratch_load_dword v0, off, off offset:48 ; 4-byte Folded Reload
	;; [unrolled: 3-line block ×6, first 2 shown]
	s_waitcnt vmcnt(0)
	ds_write_b16 v0, v20 offset:1920
	; wave barrier
	scratch_load_dword v4, off, off         ; 4-byte Folded Reload
	s_waitcnt vmcnt(0)
	ds_read_b128 v[0:3], v4
	ds_read_b128 v[4:7], v4 offset:16
	s_waitcnt lgkmcnt(0)
	; wave barrier
	s_waitcnt lgkmcnt(0)
	s_and_saveexec_b64 s[52:53], s[18:19]
	s_cbranch_execz .LBB118_47
; %bb.46:                               ;   in Loop: Header=BB118_13 Depth=1
	global_load_ushort v10, v[8:9], off
.LBB118_47:                             ;   in Loop: Header=BB118_13 Depth=1
	s_or_b64 exec, exec, s[52:53]
	v_mov_b32_e32 v11, 0
	v_mov_b32_e32 v12, 0
	s_and_saveexec_b64 s[52:53], s[20:21]
	s_cbranch_execz .LBB118_49
; %bb.48:                               ;   in Loop: Header=BB118_13 Depth=1
	global_load_ushort v12, v[8:9], off offset:128
.LBB118_49:                             ;   in Loop: Header=BB118_13 Depth=1
	s_or_b64 exec, exec, s[52:53]
	s_and_saveexec_b64 s[52:53], s[22:23]
	s_cbranch_execz .LBB118_51
; %bb.50:                               ;   in Loop: Header=BB118_13 Depth=1
	global_load_ushort v11, v[8:9], off offset:256
.LBB118_51:                             ;   in Loop: Header=BB118_13 Depth=1
	s_or_b64 exec, exec, s[52:53]
	v_mov_b32_e32 v13, 0
	v_mov_b32_e32 v14, 0
	s_and_saveexec_b64 s[52:53], s[24:25]
	s_cbranch_execz .LBB118_53
; %bb.52:                               ;   in Loop: Header=BB118_13 Depth=1
	global_load_ushort v14, v[8:9], off offset:384
.LBB118_53:                             ;   in Loop: Header=BB118_13 Depth=1
	s_or_b64 exec, exec, s[52:53]
	s_and_saveexec_b64 s[52:53], s[26:27]
	s_cbranch_execz .LBB118_55
; %bb.54:                               ;   in Loop: Header=BB118_13 Depth=1
	global_load_ushort v13, v[8:9], off offset:512
.LBB118_55:                             ;   in Loop: Header=BB118_13 Depth=1
	s_or_b64 exec, exec, s[52:53]
	v_mov_b32_e32 v15, 0
	v_mov_b32_e32 v18, 0
	s_and_saveexec_b64 s[52:53], s[28:29]
	s_cbranch_execz .LBB118_57
; %bb.56:                               ;   in Loop: Header=BB118_13 Depth=1
	global_load_ushort v18, v[8:9], off offset:640
.LBB118_57:                             ;   in Loop: Header=BB118_13 Depth=1
	s_or_b64 exec, exec, s[52:53]
	s_and_saveexec_b64 s[52:53], s[30:31]
	s_cbranch_execz .LBB118_59
; %bb.58:                               ;   in Loop: Header=BB118_13 Depth=1
	global_load_ushort v15, v[8:9], off offset:768
.LBB118_59:                             ;   in Loop: Header=BB118_13 Depth=1
	s_or_b64 exec, exec, s[52:53]
	v_mov_b32_e32 v19, 0
	v_mov_b32_e32 v20, 0
	s_and_saveexec_b64 s[52:53], s[34:35]
	s_cbranch_execz .LBB118_61
; %bb.60:                               ;   in Loop: Header=BB118_13 Depth=1
	global_load_ushort v20, v[8:9], off offset:896
.LBB118_61:                             ;   in Loop: Header=BB118_13 Depth=1
	s_or_b64 exec, exec, s[52:53]
	s_and_saveexec_b64 s[52:53], s[36:37]
	s_cbranch_execz .LBB118_63
; %bb.62:                               ;   in Loop: Header=BB118_13 Depth=1
	global_load_ushort v19, v[8:9], off offset:1024
.LBB118_63:                             ;   in Loop: Header=BB118_13 Depth=1
	s_or_b64 exec, exec, s[52:53]
	v_mov_b32_e32 v21, 0
	v_mov_b32_e32 v22, 0
	s_and_saveexec_b64 s[52:53], s[38:39]
	s_cbranch_execz .LBB118_65
; %bb.64:                               ;   in Loop: Header=BB118_13 Depth=1
	global_load_ushort v22, v[8:9], off offset:1152
.LBB118_65:                             ;   in Loop: Header=BB118_13 Depth=1
	s_or_b64 exec, exec, s[52:53]
	s_and_saveexec_b64 s[52:53], s[40:41]
	s_cbranch_execz .LBB118_67
; %bb.66:                               ;   in Loop: Header=BB118_13 Depth=1
	global_load_ushort v21, v[8:9], off offset:1280
.LBB118_67:                             ;   in Loop: Header=BB118_13 Depth=1
	s_or_b64 exec, exec, s[52:53]
	v_mov_b32_e32 v23, 0
	v_mov_b32_e32 v24, 0
	s_and_saveexec_b64 s[52:53], s[42:43]
	s_cbranch_execz .LBB118_69
; %bb.68:                               ;   in Loop: Header=BB118_13 Depth=1
	global_load_ushort v24, v[8:9], off offset:1408
.LBB118_69:                             ;   in Loop: Header=BB118_13 Depth=1
	s_or_b64 exec, exec, s[52:53]
	s_and_saveexec_b64 s[52:53], s[44:45]
	s_cbranch_execz .LBB118_71
; %bb.70:                               ;   in Loop: Header=BB118_13 Depth=1
	global_load_ushort v23, v[8:9], off offset:1536
.LBB118_71:                             ;   in Loop: Header=BB118_13 Depth=1
	s_or_b64 exec, exec, s[52:53]
	v_mov_b32_e32 v25, 0
	v_mov_b32_e32 v26, 0
	s_and_saveexec_b64 s[52:53], s[46:47]
	s_cbranch_execnz .LBB118_216
; %bb.72:                               ;   in Loop: Header=BB118_13 Depth=1
	s_or_b64 exec, exec, s[52:53]
	s_and_saveexec_b64 s[52:53], s[48:49]
	s_cbranch_execnz .LBB118_217
.LBB118_73:                             ;   in Loop: Header=BB118_13 Depth=1
	s_or_b64 exec, exec, s[52:53]
	v_mov_b32_e32 v27, 0
	s_and_saveexec_b64 s[52:53], s[50:51]
	s_cbranch_execz .LBB118_75
.LBB118_74:                             ;   in Loop: Header=BB118_13 Depth=1
	global_load_ushort v27, v[8:9], off offset:1920
.LBB118_75:                             ;   in Loop: Header=BB118_13 Depth=1
	s_or_b64 exec, exec, s[52:53]
	scratch_load_dword v8, off, off offset:4 ; 4-byte Folded Reload
	v_readlane_b32 s0, v95, 2
	s_waitcnt vmcnt(0)
	ds_write_b16 v8, v10
	scratch_load_dword v8, off, off offset:8 ; 4-byte Folded Reload
	s_waitcnt vmcnt(0)
	ds_write_b16 v8, v12 offset:128
	scratch_load_dword v8, off, off offset:12 ; 4-byte Folded Reload
	s_waitcnt vmcnt(0)
	ds_write_b16 v8, v11 offset:256
	;; [unrolled: 3-line block ×15, first 2 shown]
	; wave barrier
	scratch_load_dword v8, off, off         ; 4-byte Folded Reload
	s_waitcnt vmcnt(0)
	ds_read_b128 v[12:15], v8
	ds_read_b128 v[8:11], v8 offset:16
	s_waitcnt lgkmcnt(1)
	v_cvt_f32_f16_e32 v18, v12
	v_add_f32_e32 v70, s0, v18
	v_cmp_ge_f32_e32 vcc, s6, v70
	s_and_b64 s[0:1], s[4:5], vcc
	s_and_saveexec_b64 s[54:55], s[0:1]
	s_cbranch_execz .LBB118_77
; %bb.76:                               ;   in Loop: Header=BB118_13 Depth=1
	v_mul_f32_e32 v18, 0x3fb8aa3b, v70
	v_rndne_f32_e32 v19, v18
	v_sub_f32_e32 v20, v18, v19
	v_fma_f32 v18, v70, s7, -v18
	v_fmac_f32_e32 v18, 0x32a5705f, v70
	v_add_f32_e32 v18, v20, v18
	v_cvt_i32_f32_e32 v19, v19
	v_exp_f32_e32 v18, v18
	v_cmp_ngt_f32_e32 vcc, s8, v70
	v_ldexp_f32 v18, v18, v19
	s_nop 0
	v_cndmask_b32_e32 v18, 0, v18, vcc
	v_cmp_nlt_f32_e32 vcc, s9, v70
	s_nop 1
	v_cndmask_b32_e32 v34, v41, v18, vcc
	v_add_f32_e32 v20, 1.0, v34
	v_add_f32_e32 v18, -1.0, v20
	v_sub_f32_e32 v19, v18, v20
	v_add_f32_e32 v19, 1.0, v19
	v_sub_f32_e32 v18, v34, v18
	v_add_f32_e32 v21, v18, v19
	v_frexp_mant_f32_e32 v22, v20
	v_cvt_f64_f32_e32 v[18:19], v20
	v_frexp_exp_i32_f64_e32 v18, v[18:19]
	v_cmp_gt_f32_e32 vcc, s11, v22
	v_cmp_gt_f32_e64 s[52:53], s57, v34
	s_nop 0
	v_subbrev_co_u32_e32 v26, vcc, 0, v18, vcc
	v_sub_u32_e32 v18, 0, v26
	v_ldexp_f32 v19, v20, v18
	v_add_f32_e32 v20, -1.0, v19
	v_add_f32_e32 v22, 1.0, v19
	v_ldexp_f32 v18, v21, v18
	v_add_f32_e32 v21, 1.0, v20
	v_add_f32_e32 v23, -1.0, v22
	v_sub_f32_e32 v21, v19, v21
	v_sub_f32_e32 v19, v19, v23
	v_add_f32_e32 v21, v18, v21
	v_add_f32_e32 v18, v18, v19
	;; [unrolled: 1-line block ×3, first 2 shown]
	v_rcp_f32_e32 v29, v27
	v_sub_f32_e32 v19, v22, v27
	v_add_f32_e32 v28, v18, v19
	v_add_f32_e32 v19, v20, v21
	v_mul_f32_e32 v31, v19, v29
	v_sub_f32_e32 v18, v20, v19
	v_mul_f32_e32 v20, v27, v31
	v_fma_f32 v22, v31, v27, -v20
	v_fmac_f32_e32 v22, v31, v28
	v_add_f32_e32 v30, v21, v18
	v_add_f32_e32 v18, v20, v22
	v_sub_f32_e32 v21, v19, v18
	v_pk_add_f32 v[24:25], v[18:19], v[20:21] neg_lo:[0,1] neg_hi:[0,1]
	v_mov_b32_e32 v23, v18
	v_pk_add_f32 v[18:19], v[24:25], v[22:23] neg_lo:[0,1] neg_hi:[0,1]
	v_cmp_eq_f32_e32 vcc, s10, v34
	v_add_f32_e32 v19, v30, v19
	v_add_f32_e32 v18, v18, v19
	;; [unrolled: 1-line block ×3, first 2 shown]
	v_mul_f32_e32 v30, v29, v19
	v_mul_f32_e32 v20, v27, v30
	v_fma_f32 v22, v30, v27, -v20
	v_fmac_f32_e32 v22, v30, v28
	v_sub_f32_e32 v21, v21, v19
	v_add_f32_e32 v27, v18, v21
	v_add_f32_e32 v18, v20, v22
	v_sub_f32_e32 v21, v19, v18
	v_pk_add_f32 v[24:25], v[18:19], v[20:21] neg_lo:[0,1] neg_hi:[0,1]
	v_mov_b32_e32 v23, v18
	v_pk_add_f32 v[18:19], v[24:25], v[22:23] neg_lo:[0,1] neg_hi:[0,1]
	s_or_b64 vcc, s[52:53], vcc
	v_add_f32_e32 v19, v27, v19
	v_add_f32_e32 v18, v18, v19
	;; [unrolled: 1-line block ×4, first 2 shown]
	v_sub_f32_e32 v20, v19, v31
	v_mul_f32_e32 v18, v29, v18
	v_sub_f32_e32 v20, v30, v20
	v_add_f32_e32 v20, v20, v18
	v_add_f32_e32 v22, v19, v20
	v_mul_f32_e32 v23, v22, v22
	v_fmamk_f32 v18, v23, 0x3e9b6dac, v40
	v_fmaak_f32 v43, v23, v18, 0x3f2aaada
	v_cvt_f32_i32_e32 v18, v26
	v_sub_f32_e32 v19, v22, v19
	v_sub_f32_e32 v19, v20, v19
	v_ldexp_f32 v24, v19, 1
	v_mul_f32_e32 v19, v22, v23
	v_ldexp_f32 v21, v22, 1
	v_pk_mul_f32 v[22:23], v[18:19], v[42:43]
	s_nop 0
	v_fma_f32 v20, v18, s56, -v22
	v_fmac_f32_e32 v20, 0xb102e308, v18
	v_pk_add_f32 v[18:19], v[22:23], v[20:21]
	s_nop 0
	v_sub_f32_e32 v21, v19, v21
	v_sub_f32_e32 v21, v23, v21
	v_add_f32_e32 v25, v24, v21
	v_mov_b32_e32 v24, v22
	v_pk_add_f32 v[22:23], v[18:19], v[22:23] neg_lo:[0,1] neg_hi:[0,1]
	v_pk_add_f32 v[26:27], v[18:19], v[24:25]
	v_mov_b32_e32 v21, v18
	v_mov_b32_e32 v23, v27
	v_pk_add_f32 v[28:29], v[20:21], v[22:23] neg_lo:[0,1] neg_hi:[0,1]
	v_pk_add_f32 v[20:21], v[20:21], v[22:23]
	v_mov_b32_e32 v24, v25
	v_mov_b32_e32 v22, v21
	v_pk_add_f32 v[30:31], v[22:23], v[18:19] neg_lo:[0,1] neg_hi:[0,1]
	v_mov_b32_e32 v20, v27
	v_mov_b32_e32 v23, v30
	v_pk_add_f32 v[32:33], v[26:27], v[22:23] neg_lo:[0,1] neg_hi:[0,1]
	v_mov_b32_e32 v26, v19
	v_mov_b32_e32 v27, v30
	;; [unrolled: 1-line block ×3, first 2 shown]
	v_pk_add_f32 v[20:21], v[20:21], v[26:27] neg_lo:[0,1] neg_hi:[0,1]
	v_mov_b32_e32 v25, v18
	v_pk_add_f32 v[18:19], v[24:25], v[20:21] neg_lo:[0,1] neg_hi:[0,1]
	v_mov_b32_e32 v32, v28
	v_pk_add_f32 v[20:21], v[32:33], v[18:19]
	s_nop 0
	v_mov_b32_e32 v24, v21
	v_pk_add_f32 v[24:25], v[20:21], v[24:25]
	s_nop 0
	v_pk_add_f32 v[22:23], v[22:23], v[24:25]
	v_mov_b32_e32 v19, v24
	v_mov_b32_e32 v21, v22
	v_pk_add_f32 v[26:27], v[20:21], v[28:29] neg_lo:[0,1] neg_hi:[0,1]
	s_nop 0
	v_sub_f32_e32 v20, v20, v26
	v_pk_add_f32 v[18:19], v[18:19], v[26:27] neg_lo:[0,1] neg_hi:[0,1]
	v_sub_f32_e32 v20, v28, v20
	v_add_f32_e32 v18, v18, v20
	v_add_f32_e32 v18, v18, v19
	;; [unrolled: 1-line block ×3, first 2 shown]
	v_cndmask_b32_e32 v70, v18, v34, vcc
.LBB118_77:                             ;   in Loop: Header=BB118_13 Depth=1
	s_or_b64 exec, exec, s[54:55]
	v_cvt_f32_f16_sdwa v12, v12 dst_sel:DWORD dst_unused:UNUSED_PAD src0_sel:WORD_1
	v_readlane_b32 s0, v95, 2
	s_nop 1
	v_add_f32_e32 v19, s0, v12
	v_cmp_ge_f32_e32 vcc, s6, v19
	s_and_b64 s[0:1], s[4:5], vcc
	s_and_saveexec_b64 s[54:55], s[0:1]
	s_cbranch_execz .LBB118_79
; %bb.78:                               ;   in Loop: Header=BB118_13 Depth=1
	v_mul_f32_e32 v12, 0x3fb8aa3b, v19
	v_rndne_f32_e32 v18, v12
	v_sub_f32_e32 v20, v12, v18
	v_fma_f32 v12, v19, s7, -v12
	v_fmac_f32_e32 v12, 0x32a5705f, v19
	v_add_f32_e32 v12, v20, v12
	v_cvt_i32_f32_e32 v18, v18
	v_exp_f32_e32 v12, v12
	v_cmp_ngt_f32_e32 vcc, s8, v19
	v_ldexp_f32 v12, v12, v18
	s_nop 0
	v_cndmask_b32_e32 v12, 0, v12, vcc
	v_cmp_nlt_f32_e32 vcc, s9, v19
	s_nop 1
	v_cndmask_b32_e32 v32, v41, v12, vcc
	v_add_f32_e32 v12, 1.0, v32
	v_add_f32_e32 v18, -1.0, v12
	v_sub_f32_e32 v19, v18, v12
	v_add_f32_e32 v19, 1.0, v19
	v_sub_f32_e32 v18, v32, v18
	v_add_f32_e32 v20, v18, v19
	v_frexp_mant_f32_e32 v21, v12
	v_cvt_f64_f32_e32 v[18:19], v12
	v_frexp_exp_i32_f64_e32 v18, v[18:19]
	v_cmp_gt_f32_e32 vcc, s11, v21
	v_cmp_gt_f32_e64 s[52:53], s57, v32
	s_nop 0
	v_subbrev_co_u32_e32 v26, vcc, 0, v18, vcc
	v_sub_u32_e32 v18, 0, v26
	v_ldexp_f32 v12, v12, v18
	v_ldexp_f32 v18, v20, v18
	v_add_f32_e32 v20, -1.0, v12
	v_add_f32_e32 v19, 1.0, v20
	v_sub_f32_e32 v19, v12, v19
	v_add_f32_e32 v21, v18, v19
	v_add_f32_e32 v19, 1.0, v12
	v_add_f32_e32 v22, -1.0, v19
	v_sub_f32_e32 v12, v12, v22
	v_add_f32_e32 v12, v18, v12
	v_add_f32_e32 v27, v19, v12
	v_rcp_f32_e32 v28, v27
	v_sub_f32_e32 v18, v19, v27
	v_add_f32_e32 v19, v20, v21
	v_add_f32_e32 v12, v12, v18
	v_mul_f32_e32 v30, v19, v28
	v_sub_f32_e32 v18, v20, v19
	v_mul_f32_e32 v20, v27, v30
	v_fma_f32 v22, v30, v27, -v20
	v_fmac_f32_e32 v22, v30, v12
	v_add_f32_e32 v29, v21, v18
	v_add_f32_e32 v18, v20, v22
	v_sub_f32_e32 v21, v19, v18
	v_pk_add_f32 v[24:25], v[18:19], v[20:21] neg_lo:[0,1] neg_hi:[0,1]
	v_mov_b32_e32 v23, v18
	v_pk_add_f32 v[18:19], v[24:25], v[22:23] neg_lo:[0,1] neg_hi:[0,1]
	v_cmp_eq_f32_e32 vcc, s10, v32
	v_add_f32_e32 v19, v29, v19
	v_add_f32_e32 v18, v18, v19
	;; [unrolled: 1-line block ×3, first 2 shown]
	v_mul_f32_e32 v29, v28, v19
	v_mul_f32_e32 v20, v27, v29
	v_fma_f32 v22, v29, v27, -v20
	v_fmac_f32_e32 v22, v29, v12
	v_sub_f32_e32 v12, v21, v19
	v_add_f32_e32 v12, v18, v12
	v_add_f32_e32 v18, v20, v22
	v_sub_f32_e32 v21, v19, v18
	v_pk_add_f32 v[24:25], v[18:19], v[20:21] neg_lo:[0,1] neg_hi:[0,1]
	v_mov_b32_e32 v23, v18
	v_pk_add_f32 v[18:19], v[24:25], v[22:23] neg_lo:[0,1] neg_hi:[0,1]
	s_or_b64 vcc, s[52:53], vcc
	v_add_f32_e32 v12, v12, v19
	v_add_f32_e32 v12, v18, v12
	;; [unrolled: 1-line block ×4, first 2 shown]
	v_sub_f32_e32 v18, v19, v30
	v_mul_f32_e32 v12, v28, v12
	v_sub_f32_e32 v18, v29, v18
	v_add_f32_e32 v12, v18, v12
	v_add_f32_e32 v20, v19, v12
	v_mul_f32_e32 v22, v20, v20
	v_fmamk_f32 v18, v22, 0x3e9b6dac, v40
	v_fmaak_f32 v43, v22, v18, 0x3f2aaada
	v_cvt_f32_i32_e32 v18, v26
	v_sub_f32_e32 v19, v20, v19
	v_sub_f32_e32 v12, v12, v19
	v_mul_f32_e32 v19, v20, v22
	v_pk_mul_f32 v[22:23], v[18:19], v[42:43]
	v_ldexp_f32 v21, v20, 1
	v_fma_f32 v20, v18, s56, -v22
	v_fmac_f32_e32 v20, 0xb102e308, v18
	v_pk_add_f32 v[18:19], v[22:23], v[20:21]
	v_ldexp_f32 v12, v12, 1
	v_sub_f32_e32 v21, v19, v21
	v_sub_f32_e32 v21, v23, v21
	v_add_f32_e32 v25, v12, v21
	v_mov_b32_e32 v24, v22
	v_pk_add_f32 v[22:23], v[18:19], v[22:23] neg_lo:[0,1] neg_hi:[0,1]
	v_pk_add_f32 v[26:27], v[18:19], v[24:25]
	v_mov_b32_e32 v21, v18
	v_mov_b32_e32 v23, v27
	v_pk_add_f32 v[28:29], v[20:21], v[22:23] neg_lo:[0,1] neg_hi:[0,1]
	v_pk_add_f32 v[20:21], v[20:21], v[22:23]
	s_nop 0
	v_mov_b32_e32 v12, v21
	v_pk_add_f32 v[22:23], v[12:13], v[18:19] neg_lo:[0,1] neg_hi:[0,1]
	v_mov_b32_e32 v20, v27
	v_mov_b32_e32 v23, v22
	v_pk_add_f32 v[30:31], v[26:27], v[22:23] neg_lo:[0,1] neg_hi:[0,1]
	v_mov_b32_e32 v26, v19
	v_mov_b32_e32 v27, v22
	;; [unrolled: 1-line block ×3, first 2 shown]
	v_pk_add_f32 v[20:21], v[20:21], v[26:27] neg_lo:[0,1] neg_hi:[0,1]
	v_mov_b32_e32 v22, v25
	v_mov_b32_e32 v23, v18
	v_pk_add_f32 v[18:19], v[22:23], v[20:21] neg_lo:[0,1] neg_hi:[0,1]
	v_mov_b32_e32 v30, v28
	v_pk_add_f32 v[20:21], v[30:31], v[18:19]
	s_nop 0
	v_mov_b32_e32 v22, v21
	v_pk_add_f32 v[22:23], v[20:21], v[22:23]
	s_nop 0
	v_pk_add_f32 v[24:25], v[12:13], v[22:23]
	v_mov_b32_e32 v19, v22
	v_mov_b32_e32 v21, v24
	v_pk_add_f32 v[26:27], v[20:21], v[28:29] neg_lo:[0,1] neg_hi:[0,1]
	s_nop 0
	v_sub_f32_e32 v12, v20, v26
	v_pk_add_f32 v[18:19], v[18:19], v[26:27] neg_lo:[0,1] neg_hi:[0,1]
	v_sub_f32_e32 v12, v28, v12
	v_add_f32_e32 v12, v18, v12
	v_add_f32_e32 v12, v12, v19
	;; [unrolled: 1-line block ×3, first 2 shown]
	v_cndmask_b32_e32 v19, v12, v32, vcc
.LBB118_79:                             ;   in Loop: Header=BB118_13 Depth=1
	s_or_b64 exec, exec, s[54:55]
	v_cvt_f32_f16_e32 v12, v13
	v_readlane_b32 s0, v95, 2
	s_nop 1
	v_add_f32_e32 v20, s0, v12
	v_cmp_ge_f32_e32 vcc, s6, v20
	s_and_b64 s[0:1], s[4:5], vcc
	s_and_saveexec_b64 s[54:55], s[0:1]
	s_cbranch_execz .LBB118_81
; %bb.80:                               ;   in Loop: Header=BB118_13 Depth=1
	v_mul_f32_e32 v12, 0x3fb8aa3b, v20
	v_rndne_f32_e32 v18, v12
	v_sub_f32_e32 v21, v12, v18
	v_fma_f32 v12, v20, s7, -v12
	v_fmac_f32_e32 v12, 0x32a5705f, v20
	v_add_f32_e32 v12, v21, v12
	v_cvt_i32_f32_e32 v18, v18
	v_exp_f32_e32 v12, v12
	v_cmp_ngt_f32_e32 vcc, s8, v20
	v_ldexp_f32 v12, v12, v18
	s_nop 0
	v_cndmask_b32_e32 v12, 0, v12, vcc
	v_cmp_nlt_f32_e32 vcc, s9, v20
	s_nop 1
	v_cndmask_b32_e32 v34, v41, v12, vcc
	v_add_f32_e32 v12, 1.0, v34
	v_add_f32_e32 v18, -1.0, v12
	v_sub_f32_e32 v20, v18, v12
	v_add_f32_e32 v20, 1.0, v20
	v_sub_f32_e32 v18, v34, v18
	v_add_f32_e32 v18, v18, v20
	v_frexp_mant_f32_e32 v22, v12
	v_cvt_f64_f32_e32 v[20:21], v12
	v_frexp_exp_i32_f64_e32 v20, v[20:21]
	v_cmp_gt_f32_e32 vcc, s11, v22
	v_cmp_gt_f32_e64 s[52:53], s57, v34
	s_nop 0
	v_subbrev_co_u32_e32 v28, vcc, 0, v20, vcc
	v_sub_u32_e32 v20, 0, v28
	v_ldexp_f32 v12, v12, v20
	v_ldexp_f32 v18, v18, v20
	v_add_f32_e32 v20, -1.0, v12
	v_add_f32_e32 v21, 1.0, v20
	v_sub_f32_e32 v21, v12, v21
	v_add_f32_e32 v22, v18, v21
	v_add_f32_e32 v21, 1.0, v12
	v_add_f32_e32 v23, -1.0, v21
	v_sub_f32_e32 v12, v12, v23
	v_add_f32_e32 v12, v18, v12
	v_add_f32_e32 v18, v21, v12
	v_rcp_f32_e32 v29, v18
	v_sub_f32_e32 v21, v21, v18
	v_add_f32_e32 v12, v12, v21
	v_add_f32_e32 v21, v20, v22
	v_sub_f32_e32 v20, v20, v21
	v_mul_f32_e32 v31, v21, v29
	v_add_f32_e32 v30, v22, v20
	v_mul_f32_e32 v22, v18, v31
	v_fma_f32 v24, v31, v18, -v22
	v_fmac_f32_e32 v24, v31, v12
	v_add_f32_e32 v20, v22, v24
	v_sub_f32_e32 v23, v21, v20
	v_pk_add_f32 v[26:27], v[20:21], v[22:23] neg_lo:[0,1] neg_hi:[0,1]
	v_mov_b32_e32 v25, v20
	v_pk_add_f32 v[20:21], v[26:27], v[24:25] neg_lo:[0,1] neg_hi:[0,1]
	v_cmp_eq_f32_e32 vcc, s10, v34
	v_add_f32_e32 v21, v30, v21
	v_add_f32_e32 v20, v20, v21
	;; [unrolled: 1-line block ×3, first 2 shown]
	v_mul_f32_e32 v30, v29, v21
	v_mul_f32_e32 v22, v18, v30
	v_fma_f32 v24, v30, v18, -v22
	v_fmac_f32_e32 v24, v30, v12
	v_sub_f32_e32 v12, v23, v21
	v_add_f32_e32 v12, v20, v12
	v_add_f32_e32 v20, v22, v24
	v_sub_f32_e32 v23, v21, v20
	v_pk_add_f32 v[26:27], v[20:21], v[22:23] neg_lo:[0,1] neg_hi:[0,1]
	v_mov_b32_e32 v25, v20
	v_pk_add_f32 v[20:21], v[26:27], v[24:25] neg_lo:[0,1] neg_hi:[0,1]
	v_add_f32_e32 v18, v31, v30
	v_add_f32_e32 v12, v12, v21
	;; [unrolled: 1-line block ×4, first 2 shown]
	v_sub_f32_e32 v20, v18, v31
	v_mul_f32_e32 v12, v29, v12
	v_sub_f32_e32 v20, v30, v20
	v_add_f32_e32 v12, v20, v12
	v_add_f32_e32 v21, v18, v12
	v_mul_f32_e32 v22, v21, v21
	v_fmamk_f32 v20, v22, 0x3e9b6dac, v40
	v_fmaak_f32 v43, v22, v20, 0x3f2aaada
	v_cvt_f32_i32_e32 v20, v28
	v_sub_f32_e32 v18, v21, v18
	v_ldexp_f32 v23, v21, 1
	v_mul_f32_e32 v21, v21, v22
	v_pk_mul_f32 v[24:25], v[20:21], v[42:43]
	v_sub_f32_e32 v12, v12, v18
	v_fma_f32 v22, v20, s56, -v24
	v_fmac_f32_e32 v22, 0xb102e308, v20
	v_pk_add_f32 v[20:21], v[24:25], v[22:23]
	v_ldexp_f32 v12, v12, 1
	v_sub_f32_e32 v18, v21, v23
	v_sub_f32_e32 v18, v25, v18
	v_add_f32_e32 v27, v12, v18
	v_mov_b32_e32 v26, v24
	v_pk_add_f32 v[24:25], v[20:21], v[24:25] neg_lo:[0,1] neg_hi:[0,1]
	v_pk_add_f32 v[28:29], v[20:21], v[26:27]
	v_mov_b32_e32 v23, v20
	v_mov_b32_e32 v25, v29
	v_pk_add_f32 v[30:31], v[22:23], v[24:25] neg_lo:[0,1] neg_hi:[0,1]
	v_pk_add_f32 v[22:23], v[22:23], v[24:25]
	s_or_b64 vcc, s[52:53], vcc
	v_mov_b32_e32 v12, v23
	v_pk_add_f32 v[24:25], v[12:13], v[20:21] neg_lo:[0,1] neg_hi:[0,1]
	v_mov_b32_e32 v22, v29
	v_mov_b32_e32 v25, v24
	v_pk_add_f32 v[32:33], v[28:29], v[24:25] neg_lo:[0,1] neg_hi:[0,1]
	v_mov_b32_e32 v28, v21
	v_mov_b32_e32 v29, v24
	v_mov_b32_e32 v31, v23
	v_pk_add_f32 v[22:23], v[22:23], v[28:29] neg_lo:[0,1] neg_hi:[0,1]
	v_mov_b32_e32 v24, v27
	v_mov_b32_e32 v25, v20
	v_pk_add_f32 v[20:21], v[24:25], v[22:23] neg_lo:[0,1] neg_hi:[0,1]
	v_mov_b32_e32 v32, v30
	v_pk_add_f32 v[22:23], v[32:33], v[20:21]
	s_nop 0
	v_mov_b32_e32 v18, v23
	v_pk_add_f32 v[24:25], v[22:23], v[18:19]
	s_nop 0
	v_pk_add_f32 v[26:27], v[12:13], v[24:25]
	v_mov_b32_e32 v21, v24
	v_mov_b32_e32 v23, v26
	v_pk_add_f32 v[28:29], v[22:23], v[30:31] neg_lo:[0,1] neg_hi:[0,1]
	s_nop 0
	v_sub_f32_e32 v12, v22, v28
	v_pk_add_f32 v[20:21], v[20:21], v[28:29] neg_lo:[0,1] neg_hi:[0,1]
	v_sub_f32_e32 v12, v30, v12
	v_add_f32_e32 v12, v20, v12
	v_add_f32_e32 v12, v12, v21
	;; [unrolled: 1-line block ×3, first 2 shown]
	v_cndmask_b32_e32 v20, v12, v34, vcc
.LBB118_81:                             ;   in Loop: Header=BB118_13 Depth=1
	s_or_b64 exec, exec, s[54:55]
	v_cvt_f32_f16_sdwa v12, v13 dst_sel:DWORD dst_unused:UNUSED_PAD src0_sel:WORD_1
	v_readlane_b32 s0, v95, 2
	s_nop 1
	v_add_f32_e32 v21, s0, v12
	v_cmp_ge_f32_e32 vcc, s6, v21
	s_and_b64 s[0:1], s[4:5], vcc
	s_and_saveexec_b64 s[54:55], s[0:1]
	s_cbranch_execz .LBB118_83
; %bb.82:                               ;   in Loop: Header=BB118_13 Depth=1
	v_mul_f32_e32 v12, 0x3fb8aa3b, v21
	v_rndne_f32_e32 v13, v12
	v_sub_f32_e32 v18, v12, v13
	v_fma_f32 v12, v21, s7, -v12
	v_fmac_f32_e32 v12, 0x32a5705f, v21
	v_add_f32_e32 v12, v18, v12
	v_cvt_i32_f32_e32 v13, v13
	v_exp_f32_e32 v12, v12
	v_cmp_ngt_f32_e32 vcc, s8, v21
	v_ldexp_f32 v12, v12, v13
	s_nop 0
	v_cndmask_b32_e32 v12, 0, v12, vcc
	v_cmp_nlt_f32_e32 vcc, s9, v21
	s_nop 1
	v_cndmask_b32_e32 v34, v41, v12, vcc
	v_add_f32_e32 v18, 1.0, v34
	v_add_f32_e32 v12, -1.0, v18
	v_sub_f32_e32 v13, v12, v18
	v_add_f32_e32 v13, 1.0, v13
	v_sub_f32_e32 v12, v34, v12
	v_add_f32_e32 v21, v12, v13
	v_frexp_mant_f32_e32 v22, v18
	v_cvt_f64_f32_e32 v[12:13], v18
	v_frexp_exp_i32_f64_e32 v12, v[12:13]
	v_cmp_gt_f32_e32 vcc, s11, v22
	v_cmp_gt_f32_e64 s[52:53], s57, v34
	s_nop 0
	v_subbrev_co_u32_e32 v28, vcc, 0, v12, vcc
	v_sub_u32_e32 v12, 0, v28
	v_ldexp_f32 v13, v18, v12
	v_add_f32_e32 v18, -1.0, v13
	v_add_f32_e32 v22, 1.0, v13
	v_ldexp_f32 v12, v21, v12
	v_add_f32_e32 v21, 1.0, v18
	v_add_f32_e32 v23, -1.0, v22
	v_sub_f32_e32 v21, v13, v21
	v_sub_f32_e32 v13, v13, v23
	v_add_f32_e32 v21, v12, v21
	v_add_f32_e32 v12, v12, v13
	;; [unrolled: 1-line block ×3, first 2 shown]
	v_rcp_f32_e32 v31, v29
	v_sub_f32_e32 v13, v22, v29
	v_add_f32_e32 v30, v12, v13
	v_add_f32_e32 v13, v18, v21
	v_sub_f32_e32 v12, v18, v13
	v_add_f32_e32 v18, v21, v12
	v_mul_f32_e32 v21, v13, v31
	v_mul_f32_e32 v22, v29, v21
	v_fma_f32 v24, v21, v29, -v22
	v_fmac_f32_e32 v24, v21, v30
	v_add_f32_e32 v12, v22, v24
	v_sub_f32_e32 v23, v13, v12
	v_pk_add_f32 v[26:27], v[12:13], v[22:23] neg_lo:[0,1] neg_hi:[0,1]
	v_mov_b32_e32 v25, v12
	v_pk_add_f32 v[12:13], v[26:27], v[24:25] neg_lo:[0,1] neg_hi:[0,1]
	v_cmp_eq_f32_e32 vcc, s10, v34
	v_add_f32_e32 v13, v18, v13
	v_add_f32_e32 v12, v12, v13
	;; [unrolled: 1-line block ×3, first 2 shown]
	v_mul_f32_e32 v18, v31, v13
	v_mul_f32_e32 v22, v29, v18
	v_fma_f32 v24, v18, v29, -v22
	v_fmac_f32_e32 v24, v18, v30
	v_sub_f32_e32 v23, v23, v13
	v_add_f32_e32 v29, v12, v23
	v_add_f32_e32 v12, v22, v24
	v_sub_f32_e32 v23, v13, v12
	v_pk_add_f32 v[26:27], v[12:13], v[22:23] neg_lo:[0,1] neg_hi:[0,1]
	v_mov_b32_e32 v25, v12
	v_pk_add_f32 v[12:13], v[26:27], v[24:25] neg_lo:[0,1] neg_hi:[0,1]
	s_or_b64 vcc, s[52:53], vcc
	v_add_f32_e32 v13, v29, v13
	v_add_f32_e32 v12, v12, v13
	;; [unrolled: 1-line block ×4, first 2 shown]
	v_sub_f32_e32 v21, v13, v21
	v_mul_f32_e32 v12, v31, v12
	v_sub_f32_e32 v18, v18, v21
	v_add_f32_e32 v18, v18, v12
	v_add_f32_e32 v21, v13, v18
	v_mul_f32_e32 v22, v21, v21
	v_fmamk_f32 v12, v22, 0x3e9b6dac, v40
	v_fmaak_f32 v43, v22, v12, 0x3f2aaada
	v_cvt_f32_i32_e32 v12, v28
	v_sub_f32_e32 v13, v21, v13
	v_sub_f32_e32 v13, v18, v13
	v_ldexp_f32 v18, v13, 1
	v_mul_f32_e32 v13, v21, v22
	v_pk_mul_f32 v[24:25], v[12:13], v[42:43]
	v_ldexp_f32 v23, v21, 1
	v_fma_f32 v22, v12, s56, -v24
	v_fmac_f32_e32 v22, 0xb102e308, v12
	v_pk_add_f32 v[12:13], v[24:25], v[22:23]
	v_mov_b32_e32 v26, v24
	v_sub_f32_e32 v21, v13, v23
	v_sub_f32_e32 v21, v25, v21
	v_add_f32_e32 v27, v18, v21
	v_pk_add_f32 v[24:25], v[12:13], v[24:25] neg_lo:[0,1] neg_hi:[0,1]
	v_pk_add_f32 v[28:29], v[12:13], v[26:27]
	v_mov_b32_e32 v23, v12
	v_mov_b32_e32 v25, v29
	v_pk_add_f32 v[30:31], v[22:23], v[24:25] neg_lo:[0,1] neg_hi:[0,1]
	v_pk_add_f32 v[22:23], v[22:23], v[24:25]
	s_nop 0
	v_mov_b32_e32 v18, v23
	v_pk_add_f32 v[24:25], v[18:19], v[12:13] neg_lo:[0,1] neg_hi:[0,1]
	v_mov_b32_e32 v22, v29
	v_mov_b32_e32 v21, v24
	v_pk_add_f32 v[32:33], v[28:29], v[20:21] neg_lo:[0,1] neg_hi:[0,1]
	v_mov_b32_e32 v28, v13
	v_mov_b32_e32 v29, v24
	;; [unrolled: 1-line block ×3, first 2 shown]
	v_pk_add_f32 v[22:23], v[22:23], v[28:29] neg_lo:[0,1] neg_hi:[0,1]
	v_mov_b32_e32 v24, v27
	v_mov_b32_e32 v25, v12
	v_pk_add_f32 v[12:13], v[24:25], v[22:23] neg_lo:[0,1] neg_hi:[0,1]
	v_mov_b32_e32 v32, v30
	v_pk_add_f32 v[22:23], v[32:33], v[12:13]
	s_nop 0
	v_mov_b32_e32 v24, v23
	v_pk_add_f32 v[24:25], v[22:23], v[24:25]
	s_nop 0
	v_pk_add_f32 v[26:27], v[18:19], v[24:25]
	v_mov_b32_e32 v13, v24
	v_mov_b32_e32 v23, v26
	v_pk_add_f32 v[28:29], v[22:23], v[30:31] neg_lo:[0,1] neg_hi:[0,1]
	s_nop 0
	v_sub_f32_e32 v18, v22, v28
	v_pk_add_f32 v[12:13], v[12:13], v[28:29] neg_lo:[0,1] neg_hi:[0,1]
	v_sub_f32_e32 v18, v30, v18
	v_add_f32_e32 v12, v12, v18
	v_add_f32_e32 v12, v12, v13
	;; [unrolled: 1-line block ×3, first 2 shown]
	v_cndmask_b32_e32 v21, v12, v34, vcc
.LBB118_83:                             ;   in Loop: Header=BB118_13 Depth=1
	s_or_b64 exec, exec, s[54:55]
	v_cvt_f32_f16_e32 v12, v14
	v_readlane_b32 s0, v95, 2
	s_nop 1
	v_add_f32_e32 v18, s0, v12
	v_cmp_ge_f32_e32 vcc, s6, v18
	s_and_b64 s[0:1], s[4:5], vcc
	s_and_saveexec_b64 s[54:55], s[0:1]
	s_cbranch_execz .LBB118_85
; %bb.84:                               ;   in Loop: Header=BB118_13 Depth=1
	v_mul_f32_e32 v12, 0x3fb8aa3b, v18
	v_rndne_f32_e32 v13, v12
	v_sub_f32_e32 v22, v12, v13
	v_fma_f32 v12, v18, s7, -v12
	v_fmac_f32_e32 v12, 0x32a5705f, v18
	v_add_f32_e32 v12, v22, v12
	v_cvt_i32_f32_e32 v13, v13
	v_exp_f32_e32 v12, v12
	v_cmp_ngt_f32_e32 vcc, s8, v18
	v_ldexp_f32 v12, v12, v13
	s_nop 0
	v_cndmask_b32_e32 v12, 0, v12, vcc
	v_cmp_nlt_f32_e32 vcc, s9, v18
	s_nop 1
	v_cndmask_b32_e32 v34, v41, v12, vcc
	v_add_f32_e32 v18, 1.0, v34
	v_add_f32_e32 v12, -1.0, v18
	v_sub_f32_e32 v13, v12, v18
	v_add_f32_e32 v13, 1.0, v13
	v_sub_f32_e32 v12, v34, v12
	v_add_f32_e32 v22, v12, v13
	v_frexp_mant_f32_e32 v23, v18
	v_cvt_f64_f32_e32 v[12:13], v18
	v_frexp_exp_i32_f64_e32 v12, v[12:13]
	v_cmp_gt_f32_e32 vcc, s11, v23
	v_cmp_gt_f32_e64 s[52:53], s57, v34
	s_nop 0
	v_subbrev_co_u32_e32 v28, vcc, 0, v12, vcc
	v_sub_u32_e32 v12, 0, v28
	v_ldexp_f32 v13, v18, v12
	v_add_f32_e32 v18, -1.0, v13
	v_add_f32_e32 v23, 1.0, v13
	v_ldexp_f32 v12, v22, v12
	v_add_f32_e32 v22, 1.0, v18
	v_add_f32_e32 v24, -1.0, v23
	v_sub_f32_e32 v22, v13, v22
	v_sub_f32_e32 v13, v13, v24
	v_add_f32_e32 v22, v12, v22
	v_add_f32_e32 v12, v12, v13
	;; [unrolled: 1-line block ×3, first 2 shown]
	v_rcp_f32_e32 v31, v29
	v_sub_f32_e32 v13, v23, v29
	v_add_f32_e32 v30, v12, v13
	v_add_f32_e32 v13, v18, v22
	v_sub_f32_e32 v12, v18, v13
	v_mul_f32_e32 v32, v13, v31
	v_add_f32_e32 v18, v22, v12
	v_mul_f32_e32 v22, v29, v32
	v_fma_f32 v24, v32, v29, -v22
	v_fmac_f32_e32 v24, v32, v30
	v_add_f32_e32 v12, v22, v24
	v_sub_f32_e32 v23, v13, v12
	v_pk_add_f32 v[26:27], v[12:13], v[22:23] neg_lo:[0,1] neg_hi:[0,1]
	v_mov_b32_e32 v25, v12
	v_pk_add_f32 v[12:13], v[26:27], v[24:25] neg_lo:[0,1] neg_hi:[0,1]
	v_cmp_eq_f32_e32 vcc, s10, v34
	v_add_f32_e32 v13, v18, v13
	v_add_f32_e32 v12, v12, v13
	;; [unrolled: 1-line block ×3, first 2 shown]
	v_mul_f32_e32 v18, v31, v13
	v_mul_f32_e32 v22, v29, v18
	v_fma_f32 v24, v18, v29, -v22
	v_fmac_f32_e32 v24, v18, v30
	v_sub_f32_e32 v23, v23, v13
	v_add_f32_e32 v29, v12, v23
	v_add_f32_e32 v12, v22, v24
	v_sub_f32_e32 v23, v13, v12
	v_pk_add_f32 v[26:27], v[12:13], v[22:23] neg_lo:[0,1] neg_hi:[0,1]
	v_mov_b32_e32 v25, v12
	v_pk_add_f32 v[12:13], v[26:27], v[24:25] neg_lo:[0,1] neg_hi:[0,1]
	s_or_b64 vcc, s[52:53], vcc
	v_add_f32_e32 v13, v29, v13
	v_add_f32_e32 v12, v12, v13
	;; [unrolled: 1-line block ×4, first 2 shown]
	v_sub_f32_e32 v22, v13, v32
	v_mul_f32_e32 v12, v31, v12
	v_sub_f32_e32 v18, v18, v22
	v_add_f32_e32 v18, v18, v12
	v_add_f32_e32 v22, v13, v18
	v_mul_f32_e32 v24, v22, v22
	v_fmamk_f32 v12, v24, 0x3e9b6dac, v40
	v_fmaak_f32 v43, v24, v12, 0x3f2aaada
	v_cvt_f32_i32_e32 v12, v28
	v_sub_f32_e32 v13, v22, v13
	v_sub_f32_e32 v13, v18, v13
	v_ldexp_f32 v18, v13, 1
	v_mul_f32_e32 v13, v22, v24
	v_pk_mul_f32 v[24:25], v[12:13], v[42:43]
	v_ldexp_f32 v23, v22, 1
	v_fma_f32 v22, v12, s56, -v24
	v_fmac_f32_e32 v22, 0xb102e308, v12
	v_pk_add_f32 v[12:13], v[24:25], v[22:23]
	v_mov_b32_e32 v26, v24
	v_sub_f32_e32 v23, v13, v23
	v_sub_f32_e32 v23, v25, v23
	v_add_f32_e32 v27, v18, v23
	v_pk_add_f32 v[24:25], v[12:13], v[24:25] neg_lo:[0,1] neg_hi:[0,1]
	v_pk_add_f32 v[28:29], v[12:13], v[26:27]
	v_mov_b32_e32 v23, v12
	v_mov_b32_e32 v25, v29
	v_pk_add_f32 v[30:31], v[22:23], v[24:25] neg_lo:[0,1] neg_hi:[0,1]
	v_pk_add_f32 v[22:23], v[22:23], v[24:25]
	s_nop 0
	v_mov_b32_e32 v18, v23
	v_pk_add_f32 v[24:25], v[18:19], v[12:13] neg_lo:[0,1] neg_hi:[0,1]
	v_mov_b32_e32 v22, v29
	v_mov_b32_e32 v25, v24
	v_pk_add_f32 v[32:33], v[28:29], v[24:25] neg_lo:[0,1] neg_hi:[0,1]
	v_mov_b32_e32 v28, v13
	v_mov_b32_e32 v29, v24
	;; [unrolled: 1-line block ×3, first 2 shown]
	v_pk_add_f32 v[22:23], v[22:23], v[28:29] neg_lo:[0,1] neg_hi:[0,1]
	v_mov_b32_e32 v24, v27
	v_mov_b32_e32 v25, v12
	v_pk_add_f32 v[12:13], v[24:25], v[22:23] neg_lo:[0,1] neg_hi:[0,1]
	v_mov_b32_e32 v32, v30
	v_pk_add_f32 v[22:23], v[32:33], v[12:13]
	s_nop 0
	v_mov_b32_e32 v24, v23
	v_pk_add_f32 v[24:25], v[22:23], v[24:25]
	s_nop 0
	v_pk_add_f32 v[26:27], v[18:19], v[24:25]
	v_mov_b32_e32 v13, v24
	v_mov_b32_e32 v23, v26
	v_pk_add_f32 v[28:29], v[22:23], v[30:31] neg_lo:[0,1] neg_hi:[0,1]
	s_nop 0
	v_sub_f32_e32 v18, v22, v28
	v_pk_add_f32 v[12:13], v[12:13], v[28:29] neg_lo:[0,1] neg_hi:[0,1]
	v_sub_f32_e32 v18, v30, v18
	v_add_f32_e32 v12, v12, v18
	v_add_f32_e32 v12, v12, v13
	;; [unrolled: 1-line block ×3, first 2 shown]
	v_cndmask_b32_e32 v18, v12, v34, vcc
.LBB118_85:                             ;   in Loop: Header=BB118_13 Depth=1
	s_or_b64 exec, exec, s[54:55]
	v_cvt_f32_f16_sdwa v12, v14 dst_sel:DWORD dst_unused:UNUSED_PAD src0_sel:WORD_1
	v_readlane_b32 s0, v95, 2
	s_nop 1
	v_add_f32_e32 v66, s0, v12
	v_cmp_ge_f32_e32 vcc, s6, v66
	s_and_b64 s[0:1], s[4:5], vcc
	s_and_saveexec_b64 s[54:55], s[0:1]
	s_cbranch_execz .LBB118_87
; %bb.86:                               ;   in Loop: Header=BB118_13 Depth=1
	v_mul_f32_e32 v12, 0x3fb8aa3b, v66
	v_rndne_f32_e32 v13, v12
	v_sub_f32_e32 v14, v12, v13
	v_fma_f32 v12, v66, s7, -v12
	v_fmac_f32_e32 v12, 0x32a5705f, v66
	v_add_f32_e32 v12, v14, v12
	v_cvt_i32_f32_e32 v13, v13
	v_exp_f32_e32 v12, v12
	v_cmp_ngt_f32_e32 vcc, s8, v66
	v_ldexp_f32 v12, v12, v13
	s_nop 0
	v_cndmask_b32_e32 v12, 0, v12, vcc
	v_cmp_nlt_f32_e32 vcc, s9, v66
	s_nop 1
	v_cndmask_b32_e32 v34, v41, v12, vcc
	v_add_f32_e32 v14, 1.0, v34
	v_add_f32_e32 v12, -1.0, v14
	v_sub_f32_e32 v13, v12, v14
	v_add_f32_e32 v13, 1.0, v13
	v_sub_f32_e32 v12, v34, v12
	v_add_f32_e32 v22, v12, v13
	v_frexp_mant_f32_e32 v23, v14
	v_cvt_f64_f32_e32 v[12:13], v14
	v_frexp_exp_i32_f64_e32 v12, v[12:13]
	v_cmp_gt_f32_e32 vcc, s11, v23
	v_cmp_gt_f32_e64 s[52:53], s57, v34
	s_nop 0
	v_subbrev_co_u32_e32 v28, vcc, 0, v12, vcc
	v_sub_u32_e32 v12, 0, v28
	v_ldexp_f32 v13, v14, v12
	v_add_f32_e32 v14, -1.0, v13
	v_add_f32_e32 v23, 1.0, v13
	v_ldexp_f32 v12, v22, v12
	v_add_f32_e32 v22, 1.0, v14
	v_add_f32_e32 v24, -1.0, v23
	v_sub_f32_e32 v22, v13, v22
	v_sub_f32_e32 v13, v13, v24
	v_add_f32_e32 v22, v12, v22
	v_add_f32_e32 v12, v12, v13
	;; [unrolled: 1-line block ×3, first 2 shown]
	v_rcp_f32_e32 v31, v29
	v_sub_f32_e32 v13, v23, v29
	v_add_f32_e32 v30, v12, v13
	v_add_f32_e32 v13, v14, v22
	v_sub_f32_e32 v12, v14, v13
	v_mul_f32_e32 v32, v13, v31
	v_add_f32_e32 v14, v22, v12
	v_mul_f32_e32 v22, v29, v32
	v_fma_f32 v24, v32, v29, -v22
	v_fmac_f32_e32 v24, v32, v30
	v_add_f32_e32 v12, v22, v24
	v_sub_f32_e32 v23, v13, v12
	v_pk_add_f32 v[26:27], v[12:13], v[22:23] neg_lo:[0,1] neg_hi:[0,1]
	v_mov_b32_e32 v25, v12
	v_pk_add_f32 v[12:13], v[26:27], v[24:25] neg_lo:[0,1] neg_hi:[0,1]
	v_cmp_eq_f32_e32 vcc, s10, v34
	v_add_f32_e32 v13, v14, v13
	v_add_f32_e32 v12, v12, v13
	v_add_f32_e32 v13, v23, v12
	v_mul_f32_e32 v14, v31, v13
	v_mul_f32_e32 v22, v29, v14
	v_fma_f32 v24, v14, v29, -v22
	v_fmac_f32_e32 v24, v14, v30
	v_sub_f32_e32 v23, v23, v13
	v_add_f32_e32 v29, v12, v23
	v_add_f32_e32 v12, v22, v24
	v_sub_f32_e32 v23, v13, v12
	v_pk_add_f32 v[26:27], v[12:13], v[22:23] neg_lo:[0,1] neg_hi:[0,1]
	v_mov_b32_e32 v25, v12
	v_pk_add_f32 v[12:13], v[26:27], v[24:25] neg_lo:[0,1] neg_hi:[0,1]
	s_or_b64 vcc, s[52:53], vcc
	v_add_f32_e32 v13, v29, v13
	v_add_f32_e32 v12, v12, v13
	;; [unrolled: 1-line block ×4, first 2 shown]
	v_sub_f32_e32 v22, v13, v32
	v_mul_f32_e32 v12, v31, v12
	v_sub_f32_e32 v14, v14, v22
	v_add_f32_e32 v14, v14, v12
	v_add_f32_e32 v22, v13, v14
	v_mul_f32_e32 v24, v22, v22
	v_fmamk_f32 v12, v24, 0x3e9b6dac, v40
	v_fmaak_f32 v43, v24, v12, 0x3f2aaada
	v_cvt_f32_i32_e32 v12, v28
	v_sub_f32_e32 v13, v22, v13
	v_sub_f32_e32 v13, v14, v13
	v_ldexp_f32 v14, v13, 1
	v_mul_f32_e32 v13, v22, v24
	v_pk_mul_f32 v[24:25], v[12:13], v[42:43]
	v_ldexp_f32 v23, v22, 1
	v_fma_f32 v22, v12, s56, -v24
	v_fmac_f32_e32 v22, 0xb102e308, v12
	v_pk_add_f32 v[12:13], v[24:25], v[22:23]
	v_mov_b32_e32 v26, v24
	v_sub_f32_e32 v23, v13, v23
	v_sub_f32_e32 v23, v25, v23
	v_add_f32_e32 v27, v14, v23
	v_pk_add_f32 v[24:25], v[12:13], v[24:25] neg_lo:[0,1] neg_hi:[0,1]
	v_pk_add_f32 v[28:29], v[12:13], v[26:27]
	v_mov_b32_e32 v23, v12
	v_mov_b32_e32 v25, v29
	v_pk_add_f32 v[30:31], v[22:23], v[24:25] neg_lo:[0,1] neg_hi:[0,1]
	v_pk_add_f32 v[22:23], v[22:23], v[24:25]
	s_nop 0
	v_mov_b32_e32 v14, v23
	v_pk_add_f32 v[24:25], v[14:15], v[12:13] neg_lo:[0,1] neg_hi:[0,1]
	v_mov_b32_e32 v22, v29
	v_mov_b32_e32 v25, v24
	v_pk_add_f32 v[32:33], v[28:29], v[24:25] neg_lo:[0,1] neg_hi:[0,1]
	v_mov_b32_e32 v28, v13
	v_mov_b32_e32 v29, v24
	;; [unrolled: 1-line block ×3, first 2 shown]
	v_pk_add_f32 v[22:23], v[22:23], v[28:29] neg_lo:[0,1] neg_hi:[0,1]
	v_mov_b32_e32 v24, v27
	v_mov_b32_e32 v25, v12
	v_pk_add_f32 v[12:13], v[24:25], v[22:23] neg_lo:[0,1] neg_hi:[0,1]
	v_mov_b32_e32 v32, v30
	v_pk_add_f32 v[22:23], v[32:33], v[12:13]
	s_nop 0
	v_mov_b32_e32 v24, v23
	v_pk_add_f32 v[24:25], v[22:23], v[24:25]
	s_nop 0
	v_pk_add_f32 v[26:27], v[14:15], v[24:25]
	v_mov_b32_e32 v13, v24
	v_mov_b32_e32 v23, v26
	v_pk_add_f32 v[28:29], v[22:23], v[30:31] neg_lo:[0,1] neg_hi:[0,1]
	s_nop 0
	v_sub_f32_e32 v14, v22, v28
	v_pk_add_f32 v[12:13], v[12:13], v[28:29] neg_lo:[0,1] neg_hi:[0,1]
	v_sub_f32_e32 v14, v30, v14
	v_add_f32_e32 v12, v12, v14
	v_add_f32_e32 v12, v12, v13
	;; [unrolled: 1-line block ×3, first 2 shown]
	v_cndmask_b32_e32 v66, v12, v34, vcc
.LBB118_87:                             ;   in Loop: Header=BB118_13 Depth=1
	s_or_b64 exec, exec, s[54:55]
	v_cvt_f32_f16_e32 v12, v15
	v_readlane_b32 s0, v95, 2
	s_nop 1
	v_add_f32_e32 v67, s0, v12
	v_cmp_ge_f32_e32 vcc, s6, v67
	s_and_b64 s[0:1], s[4:5], vcc
	s_and_saveexec_b64 s[54:55], s[0:1]
	s_cbranch_execz .LBB118_89
; %bb.88:                               ;   in Loop: Header=BB118_13 Depth=1
	v_mul_f32_e32 v12, 0x3fb8aa3b, v67
	v_rndne_f32_e32 v13, v12
	v_sub_f32_e32 v14, v12, v13
	v_fma_f32 v12, v67, s7, -v12
	v_fmac_f32_e32 v12, 0x32a5705f, v67
	v_add_f32_e32 v12, v14, v12
	v_cvt_i32_f32_e32 v13, v13
	v_exp_f32_e32 v12, v12
	v_cmp_ngt_f32_e32 vcc, s8, v67
	v_ldexp_f32 v12, v12, v13
	s_nop 0
	v_cndmask_b32_e32 v12, 0, v12, vcc
	v_cmp_nlt_f32_e32 vcc, s9, v67
	s_nop 1
	v_cndmask_b32_e32 v34, v41, v12, vcc
	v_add_f32_e32 v14, 1.0, v34
	v_add_f32_e32 v12, -1.0, v14
	v_sub_f32_e32 v13, v12, v14
	v_add_f32_e32 v13, 1.0, v13
	v_sub_f32_e32 v12, v34, v12
	v_add_f32_e32 v22, v12, v13
	v_frexp_mant_f32_e32 v23, v14
	v_cvt_f64_f32_e32 v[12:13], v14
	v_frexp_exp_i32_f64_e32 v12, v[12:13]
	v_cmp_gt_f32_e32 vcc, s11, v23
	v_cmp_gt_f32_e64 s[52:53], s57, v34
	s_nop 0
	v_subbrev_co_u32_e32 v28, vcc, 0, v12, vcc
	v_sub_u32_e32 v12, 0, v28
	v_ldexp_f32 v13, v14, v12
	v_add_f32_e32 v14, -1.0, v13
	v_add_f32_e32 v23, 1.0, v13
	v_ldexp_f32 v12, v22, v12
	v_add_f32_e32 v22, 1.0, v14
	v_add_f32_e32 v24, -1.0, v23
	v_sub_f32_e32 v22, v13, v22
	v_sub_f32_e32 v13, v13, v24
	v_add_f32_e32 v22, v12, v22
	v_add_f32_e32 v12, v12, v13
	;; [unrolled: 1-line block ×3, first 2 shown]
	v_rcp_f32_e32 v31, v29
	v_sub_f32_e32 v13, v23, v29
	v_add_f32_e32 v30, v12, v13
	v_add_f32_e32 v13, v14, v22
	v_sub_f32_e32 v12, v14, v13
	v_mul_f32_e32 v32, v13, v31
	v_add_f32_e32 v14, v22, v12
	v_mul_f32_e32 v22, v29, v32
	v_fma_f32 v24, v32, v29, -v22
	v_fmac_f32_e32 v24, v32, v30
	v_add_f32_e32 v12, v22, v24
	v_sub_f32_e32 v23, v13, v12
	v_pk_add_f32 v[26:27], v[12:13], v[22:23] neg_lo:[0,1] neg_hi:[0,1]
	v_mov_b32_e32 v25, v12
	v_pk_add_f32 v[12:13], v[26:27], v[24:25] neg_lo:[0,1] neg_hi:[0,1]
	v_cmp_eq_f32_e32 vcc, s10, v34
	v_add_f32_e32 v13, v14, v13
	v_add_f32_e32 v12, v12, v13
	;; [unrolled: 1-line block ×3, first 2 shown]
	v_mul_f32_e32 v14, v31, v13
	v_mul_f32_e32 v22, v29, v14
	v_fma_f32 v24, v14, v29, -v22
	v_fmac_f32_e32 v24, v14, v30
	v_sub_f32_e32 v23, v23, v13
	v_add_f32_e32 v29, v12, v23
	v_add_f32_e32 v12, v22, v24
	v_sub_f32_e32 v23, v13, v12
	v_pk_add_f32 v[26:27], v[12:13], v[22:23] neg_lo:[0,1] neg_hi:[0,1]
	v_mov_b32_e32 v25, v12
	v_pk_add_f32 v[12:13], v[26:27], v[24:25] neg_lo:[0,1] neg_hi:[0,1]
	s_or_b64 vcc, s[52:53], vcc
	v_add_f32_e32 v13, v29, v13
	v_add_f32_e32 v12, v12, v13
	;; [unrolled: 1-line block ×4, first 2 shown]
	v_sub_f32_e32 v22, v13, v32
	v_mul_f32_e32 v12, v31, v12
	v_sub_f32_e32 v14, v14, v22
	v_add_f32_e32 v14, v14, v12
	v_add_f32_e32 v22, v13, v14
	v_mul_f32_e32 v24, v22, v22
	v_fmamk_f32 v12, v24, 0x3e9b6dac, v40
	v_fmaak_f32 v43, v24, v12, 0x3f2aaada
	v_cvt_f32_i32_e32 v12, v28
	v_sub_f32_e32 v13, v22, v13
	v_sub_f32_e32 v13, v14, v13
	v_ldexp_f32 v14, v13, 1
	v_mul_f32_e32 v13, v22, v24
	v_pk_mul_f32 v[24:25], v[12:13], v[42:43]
	v_ldexp_f32 v23, v22, 1
	v_fma_f32 v22, v12, s56, -v24
	v_fmac_f32_e32 v22, 0xb102e308, v12
	v_pk_add_f32 v[12:13], v[24:25], v[22:23]
	v_mov_b32_e32 v26, v24
	v_sub_f32_e32 v23, v13, v23
	v_sub_f32_e32 v23, v25, v23
	v_add_f32_e32 v27, v14, v23
	v_pk_add_f32 v[24:25], v[12:13], v[24:25] neg_lo:[0,1] neg_hi:[0,1]
	v_pk_add_f32 v[28:29], v[12:13], v[26:27]
	v_mov_b32_e32 v23, v12
	v_mov_b32_e32 v25, v29
	v_pk_add_f32 v[30:31], v[22:23], v[24:25] neg_lo:[0,1] neg_hi:[0,1]
	v_pk_add_f32 v[22:23], v[22:23], v[24:25]
	s_nop 0
	v_mov_b32_e32 v14, v23
	v_pk_add_f32 v[24:25], v[14:15], v[12:13] neg_lo:[0,1] neg_hi:[0,1]
	v_mov_b32_e32 v22, v29
	v_mov_b32_e32 v25, v24
	v_pk_add_f32 v[32:33], v[28:29], v[24:25] neg_lo:[0,1] neg_hi:[0,1]
	v_mov_b32_e32 v28, v13
	v_mov_b32_e32 v29, v24
	;; [unrolled: 1-line block ×3, first 2 shown]
	v_pk_add_f32 v[22:23], v[22:23], v[28:29] neg_lo:[0,1] neg_hi:[0,1]
	v_mov_b32_e32 v24, v27
	v_mov_b32_e32 v25, v12
	v_pk_add_f32 v[12:13], v[24:25], v[22:23] neg_lo:[0,1] neg_hi:[0,1]
	v_mov_b32_e32 v32, v30
	v_pk_add_f32 v[22:23], v[32:33], v[12:13]
	s_nop 0
	v_mov_b32_e32 v24, v23
	v_pk_add_f32 v[24:25], v[22:23], v[24:25]
	s_nop 0
	v_pk_add_f32 v[26:27], v[14:15], v[24:25]
	v_mov_b32_e32 v13, v24
	v_mov_b32_e32 v23, v26
	v_pk_add_f32 v[28:29], v[22:23], v[30:31] neg_lo:[0,1] neg_hi:[0,1]
	s_nop 0
	v_sub_f32_e32 v14, v22, v28
	v_pk_add_f32 v[12:13], v[12:13], v[28:29] neg_lo:[0,1] neg_hi:[0,1]
	v_sub_f32_e32 v14, v30, v14
	v_add_f32_e32 v12, v12, v14
	v_add_f32_e32 v12, v12, v13
	;; [unrolled: 1-line block ×3, first 2 shown]
	v_cndmask_b32_e32 v67, v12, v34, vcc
.LBB118_89:                             ;   in Loop: Header=BB118_13 Depth=1
	s_or_b64 exec, exec, s[54:55]
	v_cvt_f32_f16_sdwa v12, v15 dst_sel:DWORD dst_unused:UNUSED_PAD src0_sel:WORD_1
	v_readlane_b32 s0, v95, 2
	s_nop 1
	v_add_f32_e32 v88, s0, v12
	v_cmp_ge_f32_e32 vcc, s6, v88
	s_and_b64 s[0:1], s[4:5], vcc
	s_and_saveexec_b64 s[54:55], s[0:1]
	s_cbranch_execz .LBB118_91
; %bb.90:                               ;   in Loop: Header=BB118_13 Depth=1
	v_mul_f32_e32 v12, 0x3fb8aa3b, v88
	v_rndne_f32_e32 v13, v12
	v_sub_f32_e32 v14, v12, v13
	v_fma_f32 v12, v88, s7, -v12
	v_fmac_f32_e32 v12, 0x32a5705f, v88
	v_add_f32_e32 v12, v14, v12
	v_cvt_i32_f32_e32 v13, v13
	v_exp_f32_e32 v12, v12
	v_cmp_ngt_f32_e32 vcc, s8, v88
	v_ldexp_f32 v12, v12, v13
	s_nop 0
	v_cndmask_b32_e32 v12, 0, v12, vcc
	v_cmp_nlt_f32_e32 vcc, s9, v88
	s_nop 1
	v_cndmask_b32_e32 v34, v41, v12, vcc
	v_add_f32_e32 v14, 1.0, v34
	v_add_f32_e32 v12, -1.0, v14
	v_sub_f32_e32 v13, v12, v14
	v_add_f32_e32 v13, 1.0, v13
	v_sub_f32_e32 v12, v34, v12
	v_add_f32_e32 v15, v12, v13
	v_frexp_mant_f32_e32 v22, v14
	v_cvt_f64_f32_e32 v[12:13], v14
	v_frexp_exp_i32_f64_e32 v12, v[12:13]
	v_cmp_gt_f32_e32 vcc, s11, v22
	v_cmp_gt_f32_e64 s[52:53], s57, v34
	s_nop 0
	v_subbrev_co_u32_e32 v26, vcc, 0, v12, vcc
	v_sub_u32_e32 v12, 0, v26
	v_ldexp_f32 v13, v14, v12
	v_add_f32_e32 v14, -1.0, v13
	v_add_f32_e32 v22, 1.0, v13
	v_ldexp_f32 v12, v15, v12
	v_add_f32_e32 v15, 1.0, v14
	v_add_f32_e32 v23, -1.0, v22
	v_sub_f32_e32 v15, v13, v15
	v_sub_f32_e32 v13, v13, v23
	v_add_f32_e32 v15, v12, v15
	v_add_f32_e32 v12, v12, v13
	;; [unrolled: 1-line block ×3, first 2 shown]
	v_rcp_f32_e32 v29, v27
	v_sub_f32_e32 v13, v22, v27
	v_add_f32_e32 v28, v12, v13
	v_add_f32_e32 v13, v14, v15
	v_mul_f32_e32 v31, v13, v29
	v_sub_f32_e32 v12, v14, v13
	v_mul_f32_e32 v14, v27, v31
	v_fma_f32 v22, v31, v27, -v14
	v_fmac_f32_e32 v22, v31, v28
	v_add_f32_e32 v30, v15, v12
	v_add_f32_e32 v12, v14, v22
	v_sub_f32_e32 v15, v13, v12
	v_pk_add_f32 v[24:25], v[12:13], v[14:15] neg_lo:[0,1] neg_hi:[0,1]
	v_mov_b32_e32 v23, v12
	v_pk_add_f32 v[12:13], v[24:25], v[22:23] neg_lo:[0,1] neg_hi:[0,1]
	v_cmp_eq_f32_e32 vcc, s10, v34
	v_add_f32_e32 v13, v30, v13
	v_add_f32_e32 v12, v12, v13
	;; [unrolled: 1-line block ×3, first 2 shown]
	v_mul_f32_e32 v30, v29, v13
	v_mul_f32_e32 v14, v27, v30
	v_fma_f32 v22, v30, v27, -v14
	v_fmac_f32_e32 v22, v30, v28
	v_sub_f32_e32 v15, v15, v13
	v_add_f32_e32 v27, v12, v15
	v_add_f32_e32 v12, v14, v22
	v_sub_f32_e32 v15, v13, v12
	v_pk_add_f32 v[24:25], v[12:13], v[14:15] neg_lo:[0,1] neg_hi:[0,1]
	v_mov_b32_e32 v23, v12
	v_pk_add_f32 v[12:13], v[24:25], v[22:23] neg_lo:[0,1] neg_hi:[0,1]
	s_or_b64 vcc, s[52:53], vcc
	v_add_f32_e32 v13, v27, v13
	v_add_f32_e32 v12, v12, v13
	;; [unrolled: 1-line block ×4, first 2 shown]
	v_sub_f32_e32 v14, v13, v31
	v_mul_f32_e32 v12, v29, v12
	v_sub_f32_e32 v14, v30, v14
	v_add_f32_e32 v14, v14, v12
	v_add_f32_e32 v22, v13, v14
	v_mul_f32_e32 v23, v22, v22
	v_fmamk_f32 v12, v23, 0x3e9b6dac, v40
	v_fmaak_f32 v43, v23, v12, 0x3f2aaada
	v_cvt_f32_i32_e32 v12, v26
	v_sub_f32_e32 v13, v22, v13
	v_sub_f32_e32 v13, v14, v13
	v_ldexp_f32 v24, v13, 1
	v_mul_f32_e32 v13, v22, v23
	v_ldexp_f32 v15, v22, 1
	v_pk_mul_f32 v[22:23], v[12:13], v[42:43]
	s_nop 0
	v_fma_f32 v14, v12, s56, -v22
	v_fmac_f32_e32 v14, 0xb102e308, v12
	v_pk_add_f32 v[12:13], v[22:23], v[14:15]
	s_nop 0
	v_sub_f32_e32 v15, v13, v15
	v_sub_f32_e32 v15, v23, v15
	v_add_f32_e32 v25, v24, v15
	v_mov_b32_e32 v24, v22
	v_pk_add_f32 v[22:23], v[12:13], v[22:23] neg_lo:[0,1] neg_hi:[0,1]
	v_pk_add_f32 v[26:27], v[12:13], v[24:25]
	v_mov_b32_e32 v15, v12
	v_mov_b32_e32 v23, v27
	v_pk_add_f32 v[28:29], v[14:15], v[22:23] neg_lo:[0,1] neg_hi:[0,1]
	v_pk_add_f32 v[14:15], v[14:15], v[22:23]
	v_mov_b32_e32 v24, v25
	v_mov_b32_e32 v22, v15
	v_pk_add_f32 v[30:31], v[22:23], v[12:13] neg_lo:[0,1] neg_hi:[0,1]
	v_mov_b32_e32 v14, v27
	v_mov_b32_e32 v23, v30
	v_pk_add_f32 v[32:33], v[26:27], v[22:23] neg_lo:[0,1] neg_hi:[0,1]
	v_mov_b32_e32 v26, v13
	v_mov_b32_e32 v27, v30
	;; [unrolled: 1-line block ×3, first 2 shown]
	v_pk_add_f32 v[14:15], v[14:15], v[26:27] neg_lo:[0,1] neg_hi:[0,1]
	v_mov_b32_e32 v25, v12
	v_pk_add_f32 v[12:13], v[24:25], v[14:15] neg_lo:[0,1] neg_hi:[0,1]
	v_mov_b32_e32 v32, v28
	v_pk_add_f32 v[14:15], v[32:33], v[12:13]
	s_nop 0
	v_mov_b32_e32 v24, v15
	v_pk_add_f32 v[24:25], v[14:15], v[24:25]
	s_nop 0
	v_pk_add_f32 v[22:23], v[22:23], v[24:25]
	v_mov_b32_e32 v13, v24
	v_mov_b32_e32 v15, v22
	v_pk_add_f32 v[26:27], v[14:15], v[28:29] neg_lo:[0,1] neg_hi:[0,1]
	s_nop 0
	v_sub_f32_e32 v14, v14, v26
	v_pk_add_f32 v[12:13], v[12:13], v[26:27] neg_lo:[0,1] neg_hi:[0,1]
	v_sub_f32_e32 v14, v28, v14
	v_add_f32_e32 v12, v12, v14
	v_add_f32_e32 v12, v12, v13
	;; [unrolled: 1-line block ×3, first 2 shown]
	v_cndmask_b32_e32 v88, v12, v34, vcc
.LBB118_91:                             ;   in Loop: Header=BB118_13 Depth=1
	s_or_b64 exec, exec, s[54:55]
	s_waitcnt lgkmcnt(0)
	v_cvt_f32_f16_e32 v12, v8
	v_readlane_b32 s0, v95, 2
	s_nop 1
	v_add_f32_e32 v89, s0, v12
	v_cmp_ge_f32_e32 vcc, s6, v89
	s_and_b64 s[0:1], s[4:5], vcc
	s_and_saveexec_b64 s[54:55], s[0:1]
	s_cbranch_execz .LBB118_93
; %bb.92:                               ;   in Loop: Header=BB118_13 Depth=1
	v_mul_f32_e32 v12, 0x3fb8aa3b, v89
	v_rndne_f32_e32 v13, v12
	v_sub_f32_e32 v14, v12, v13
	v_fma_f32 v12, v89, s7, -v12
	v_fmac_f32_e32 v12, 0x32a5705f, v89
	v_add_f32_e32 v12, v14, v12
	v_cvt_i32_f32_e32 v13, v13
	v_exp_f32_e32 v12, v12
	v_cmp_ngt_f32_e32 vcc, s8, v89
	v_ldexp_f32 v12, v12, v13
	s_nop 0
	v_cndmask_b32_e32 v12, 0, v12, vcc
	v_cmp_nlt_f32_e32 vcc, s9, v89
	s_nop 1
	v_cndmask_b32_e32 v34, v41, v12, vcc
	v_add_f32_e32 v14, 1.0, v34
	v_add_f32_e32 v12, -1.0, v14
	v_sub_f32_e32 v13, v12, v14
	v_add_f32_e32 v13, 1.0, v13
	v_sub_f32_e32 v12, v34, v12
	v_add_f32_e32 v15, v12, v13
	v_frexp_mant_f32_e32 v22, v14
	v_cvt_f64_f32_e32 v[12:13], v14
	v_frexp_exp_i32_f64_e32 v12, v[12:13]
	v_cmp_gt_f32_e32 vcc, s11, v22
	v_cmp_gt_f32_e64 s[52:53], s57, v34
	s_nop 0
	v_subbrev_co_u32_e32 v26, vcc, 0, v12, vcc
	v_sub_u32_e32 v12, 0, v26
	v_ldexp_f32 v13, v14, v12
	v_add_f32_e32 v14, -1.0, v13
	v_add_f32_e32 v22, 1.0, v13
	v_ldexp_f32 v12, v15, v12
	v_add_f32_e32 v15, 1.0, v14
	v_add_f32_e32 v23, -1.0, v22
	v_sub_f32_e32 v15, v13, v15
	v_sub_f32_e32 v13, v13, v23
	v_add_f32_e32 v15, v12, v15
	v_add_f32_e32 v12, v12, v13
	v_add_f32_e32 v27, v22, v12
	v_rcp_f32_e32 v29, v27
	v_sub_f32_e32 v13, v22, v27
	v_add_f32_e32 v28, v12, v13
	v_add_f32_e32 v13, v14, v15
	v_mul_f32_e32 v31, v13, v29
	v_sub_f32_e32 v12, v14, v13
	v_mul_f32_e32 v14, v27, v31
	v_fma_f32 v22, v31, v27, -v14
	v_fmac_f32_e32 v22, v31, v28
	v_add_f32_e32 v30, v15, v12
	v_add_f32_e32 v12, v14, v22
	v_sub_f32_e32 v15, v13, v12
	v_pk_add_f32 v[24:25], v[12:13], v[14:15] neg_lo:[0,1] neg_hi:[0,1]
	v_mov_b32_e32 v23, v12
	v_pk_add_f32 v[12:13], v[24:25], v[22:23] neg_lo:[0,1] neg_hi:[0,1]
	v_cmp_eq_f32_e32 vcc, s10, v34
	v_add_f32_e32 v13, v30, v13
	v_add_f32_e32 v12, v12, v13
	;; [unrolled: 1-line block ×3, first 2 shown]
	v_mul_f32_e32 v30, v29, v13
	v_mul_f32_e32 v14, v27, v30
	v_fma_f32 v22, v30, v27, -v14
	v_fmac_f32_e32 v22, v30, v28
	v_sub_f32_e32 v15, v15, v13
	v_add_f32_e32 v27, v12, v15
	v_add_f32_e32 v12, v14, v22
	v_sub_f32_e32 v15, v13, v12
	v_pk_add_f32 v[24:25], v[12:13], v[14:15] neg_lo:[0,1] neg_hi:[0,1]
	v_mov_b32_e32 v23, v12
	v_pk_add_f32 v[12:13], v[24:25], v[22:23] neg_lo:[0,1] neg_hi:[0,1]
	s_or_b64 vcc, s[52:53], vcc
	v_add_f32_e32 v13, v27, v13
	v_add_f32_e32 v12, v12, v13
	;; [unrolled: 1-line block ×4, first 2 shown]
	v_sub_f32_e32 v14, v13, v31
	v_mul_f32_e32 v12, v29, v12
	v_sub_f32_e32 v14, v30, v14
	v_add_f32_e32 v14, v14, v12
	v_add_f32_e32 v22, v13, v14
	v_mul_f32_e32 v23, v22, v22
	v_fmamk_f32 v12, v23, 0x3e9b6dac, v40
	v_fmaak_f32 v43, v23, v12, 0x3f2aaada
	v_cvt_f32_i32_e32 v12, v26
	v_sub_f32_e32 v13, v22, v13
	v_sub_f32_e32 v13, v14, v13
	v_ldexp_f32 v24, v13, 1
	v_mul_f32_e32 v13, v22, v23
	v_ldexp_f32 v15, v22, 1
	v_pk_mul_f32 v[22:23], v[12:13], v[42:43]
	s_nop 0
	v_fma_f32 v14, v12, s56, -v22
	v_fmac_f32_e32 v14, 0xb102e308, v12
	v_pk_add_f32 v[12:13], v[22:23], v[14:15]
	s_nop 0
	v_sub_f32_e32 v15, v13, v15
	v_sub_f32_e32 v15, v23, v15
	v_add_f32_e32 v25, v24, v15
	v_mov_b32_e32 v24, v22
	v_pk_add_f32 v[22:23], v[12:13], v[22:23] neg_lo:[0,1] neg_hi:[0,1]
	v_pk_add_f32 v[26:27], v[12:13], v[24:25]
	v_mov_b32_e32 v15, v12
	v_mov_b32_e32 v23, v27
	v_pk_add_f32 v[28:29], v[14:15], v[22:23] neg_lo:[0,1] neg_hi:[0,1]
	v_pk_add_f32 v[14:15], v[14:15], v[22:23]
	v_mov_b32_e32 v24, v25
	v_mov_b32_e32 v22, v15
	v_pk_add_f32 v[30:31], v[22:23], v[12:13] neg_lo:[0,1] neg_hi:[0,1]
	v_mov_b32_e32 v14, v27
	v_mov_b32_e32 v23, v30
	v_pk_add_f32 v[32:33], v[26:27], v[22:23] neg_lo:[0,1] neg_hi:[0,1]
	v_mov_b32_e32 v26, v13
	v_mov_b32_e32 v27, v30
	;; [unrolled: 1-line block ×3, first 2 shown]
	v_pk_add_f32 v[14:15], v[14:15], v[26:27] neg_lo:[0,1] neg_hi:[0,1]
	v_mov_b32_e32 v25, v12
	v_pk_add_f32 v[12:13], v[24:25], v[14:15] neg_lo:[0,1] neg_hi:[0,1]
	v_mov_b32_e32 v32, v28
	v_pk_add_f32 v[14:15], v[32:33], v[12:13]
	s_nop 0
	v_mov_b32_e32 v24, v15
	v_pk_add_f32 v[24:25], v[14:15], v[24:25]
	s_nop 0
	v_pk_add_f32 v[22:23], v[22:23], v[24:25]
	v_mov_b32_e32 v13, v24
	v_mov_b32_e32 v15, v22
	v_pk_add_f32 v[26:27], v[14:15], v[28:29] neg_lo:[0,1] neg_hi:[0,1]
	s_nop 0
	v_sub_f32_e32 v14, v14, v26
	v_pk_add_f32 v[12:13], v[12:13], v[26:27] neg_lo:[0,1] neg_hi:[0,1]
	v_sub_f32_e32 v14, v28, v14
	v_add_f32_e32 v12, v12, v14
	v_add_f32_e32 v12, v12, v13
	;; [unrolled: 1-line block ×3, first 2 shown]
	v_cndmask_b32_e32 v89, v12, v34, vcc
.LBB118_93:                             ;   in Loop: Header=BB118_13 Depth=1
	s_or_b64 exec, exec, s[54:55]
	v_cvt_f32_f16_sdwa v8, v8 dst_sel:DWORD dst_unused:UNUSED_PAD src0_sel:WORD_1
	v_readlane_b32 s0, v95, 2
	s_nop 1
	v_add_f32_e32 v90, s0, v8
	v_cmp_ge_f32_e32 vcc, s6, v90
	s_and_b64 s[0:1], s[4:5], vcc
	s_and_saveexec_b64 s[54:55], s[0:1]
	s_cbranch_execz .LBB118_95
; %bb.94:                               ;   in Loop: Header=BB118_13 Depth=1
	v_mul_f32_e32 v8, 0x3fb8aa3b, v90
	v_rndne_f32_e32 v12, v8
	v_sub_f32_e32 v13, v8, v12
	v_fma_f32 v8, v90, s7, -v8
	v_fmac_f32_e32 v8, 0x32a5705f, v90
	v_add_f32_e32 v8, v13, v8
	v_cvt_i32_f32_e32 v12, v12
	v_exp_f32_e32 v8, v8
	v_cmp_ngt_f32_e32 vcc, s8, v90
	v_ldexp_f32 v8, v8, v12
	s_nop 0
	v_cndmask_b32_e32 v8, 0, v8, vcc
	v_cmp_nlt_f32_e32 vcc, s9, v90
	s_nop 1
	v_cndmask_b32_e32 v32, v41, v8, vcc
	v_add_f32_e32 v8, 1.0, v32
	v_add_f32_e32 v12, -1.0, v8
	v_sub_f32_e32 v13, v12, v8
	v_add_f32_e32 v13, 1.0, v13
	v_sub_f32_e32 v12, v32, v12
	v_add_f32_e32 v14, v12, v13
	v_frexp_mant_f32_e32 v15, v8
	v_cvt_f64_f32_e32 v[12:13], v8
	v_frexp_exp_i32_f64_e32 v12, v[12:13]
	v_cmp_gt_f32_e32 vcc, s11, v15
	v_cmp_gt_f32_e64 s[52:53], s57, v32
	s_nop 0
	v_subbrev_co_u32_e32 v26, vcc, 0, v12, vcc
	v_sub_u32_e32 v12, 0, v26
	v_ldexp_f32 v8, v8, v12
	v_ldexp_f32 v12, v14, v12
	v_add_f32_e32 v14, -1.0, v8
	v_add_f32_e32 v13, 1.0, v14
	v_sub_f32_e32 v13, v8, v13
	v_add_f32_e32 v15, v12, v13
	v_add_f32_e32 v13, 1.0, v8
	v_add_f32_e32 v22, -1.0, v13
	v_sub_f32_e32 v8, v8, v22
	v_add_f32_e32 v8, v12, v8
	v_add_f32_e32 v27, v13, v8
	v_rcp_f32_e32 v28, v27
	v_sub_f32_e32 v12, v13, v27
	v_add_f32_e32 v13, v14, v15
	v_add_f32_e32 v8, v8, v12
	v_mul_f32_e32 v30, v13, v28
	v_sub_f32_e32 v12, v14, v13
	v_mul_f32_e32 v14, v27, v30
	v_fma_f32 v22, v30, v27, -v14
	v_fmac_f32_e32 v22, v30, v8
	v_add_f32_e32 v29, v15, v12
	v_add_f32_e32 v12, v14, v22
	v_sub_f32_e32 v15, v13, v12
	v_pk_add_f32 v[24:25], v[12:13], v[14:15] neg_lo:[0,1] neg_hi:[0,1]
	v_mov_b32_e32 v23, v12
	v_pk_add_f32 v[12:13], v[24:25], v[22:23] neg_lo:[0,1] neg_hi:[0,1]
	v_cmp_eq_f32_e32 vcc, s10, v32
	v_add_f32_e32 v13, v29, v13
	v_add_f32_e32 v12, v12, v13
	;; [unrolled: 1-line block ×3, first 2 shown]
	v_mul_f32_e32 v29, v28, v13
	v_mul_f32_e32 v14, v27, v29
	v_fma_f32 v22, v29, v27, -v14
	v_fmac_f32_e32 v22, v29, v8
	v_sub_f32_e32 v8, v15, v13
	v_add_f32_e32 v8, v12, v8
	v_add_f32_e32 v12, v14, v22
	v_sub_f32_e32 v15, v13, v12
	v_pk_add_f32 v[24:25], v[12:13], v[14:15] neg_lo:[0,1] neg_hi:[0,1]
	v_mov_b32_e32 v23, v12
	v_pk_add_f32 v[12:13], v[24:25], v[22:23] neg_lo:[0,1] neg_hi:[0,1]
	s_or_b64 vcc, s[52:53], vcc
	v_add_f32_e32 v8, v8, v13
	v_add_f32_e32 v8, v12, v8
	v_add_f32_e32 v13, v30, v29
	v_add_f32_e32 v8, v15, v8
	v_sub_f32_e32 v12, v13, v30
	v_mul_f32_e32 v8, v28, v8
	v_sub_f32_e32 v12, v29, v12
	v_add_f32_e32 v8, v12, v8
	v_add_f32_e32 v14, v13, v8
	v_mul_f32_e32 v22, v14, v14
	v_fmamk_f32 v12, v22, 0x3e9b6dac, v40
	v_fmaak_f32 v43, v22, v12, 0x3f2aaada
	v_cvt_f32_i32_e32 v12, v26
	v_sub_f32_e32 v13, v14, v13
	v_sub_f32_e32 v8, v8, v13
	v_mul_f32_e32 v13, v14, v22
	v_pk_mul_f32 v[22:23], v[12:13], v[42:43]
	v_ldexp_f32 v15, v14, 1
	v_fma_f32 v14, v12, s56, -v22
	v_fmac_f32_e32 v14, 0xb102e308, v12
	v_pk_add_f32 v[12:13], v[22:23], v[14:15]
	v_ldexp_f32 v8, v8, 1
	v_sub_f32_e32 v15, v13, v15
	v_sub_f32_e32 v15, v23, v15
	v_add_f32_e32 v25, v8, v15
	v_mov_b32_e32 v24, v22
	v_pk_add_f32 v[22:23], v[12:13], v[22:23] neg_lo:[0,1] neg_hi:[0,1]
	v_pk_add_f32 v[26:27], v[12:13], v[24:25]
	v_mov_b32_e32 v15, v12
	v_mov_b32_e32 v23, v27
	v_pk_add_f32 v[28:29], v[14:15], v[22:23] neg_lo:[0,1] neg_hi:[0,1]
	v_pk_add_f32 v[14:15], v[14:15], v[22:23]
	s_nop 0
	v_mov_b32_e32 v8, v15
	v_pk_add_f32 v[22:23], v[8:9], v[12:13] neg_lo:[0,1] neg_hi:[0,1]
	v_mov_b32_e32 v14, v27
	v_mov_b32_e32 v23, v22
	v_pk_add_f32 v[30:31], v[26:27], v[22:23] neg_lo:[0,1] neg_hi:[0,1]
	v_mov_b32_e32 v26, v13
	v_mov_b32_e32 v27, v22
	;; [unrolled: 1-line block ×3, first 2 shown]
	v_pk_add_f32 v[14:15], v[14:15], v[26:27] neg_lo:[0,1] neg_hi:[0,1]
	v_mov_b32_e32 v22, v25
	v_mov_b32_e32 v23, v12
	v_pk_add_f32 v[12:13], v[22:23], v[14:15] neg_lo:[0,1] neg_hi:[0,1]
	v_mov_b32_e32 v30, v28
	v_pk_add_f32 v[14:15], v[30:31], v[12:13]
	s_nop 0
	v_mov_b32_e32 v22, v15
	v_pk_add_f32 v[22:23], v[14:15], v[22:23]
	s_nop 0
	v_pk_add_f32 v[24:25], v[8:9], v[22:23]
	v_mov_b32_e32 v13, v22
	v_mov_b32_e32 v15, v24
	v_pk_add_f32 v[26:27], v[14:15], v[28:29] neg_lo:[0,1] neg_hi:[0,1]
	s_nop 0
	v_sub_f32_e32 v8, v14, v26
	v_pk_add_f32 v[12:13], v[12:13], v[26:27] neg_lo:[0,1] neg_hi:[0,1]
	v_sub_f32_e32 v8, v28, v8
	v_add_f32_e32 v8, v12, v8
	v_add_f32_e32 v8, v8, v13
	;; [unrolled: 1-line block ×3, first 2 shown]
	v_cndmask_b32_e32 v90, v8, v32, vcc
.LBB118_95:                             ;   in Loop: Header=BB118_13 Depth=1
	s_or_b64 exec, exec, s[54:55]
	v_cvt_f32_f16_e32 v8, v9
	v_readlane_b32 s0, v95, 2
	s_nop 1
	v_add_f32_e32 v91, s0, v8
	v_cmp_ge_f32_e32 vcc, s6, v91
	s_and_b64 s[0:1], s[4:5], vcc
	s_and_saveexec_b64 s[54:55], s[0:1]
	s_cbranch_execz .LBB118_97
; %bb.96:                               ;   in Loop: Header=BB118_13 Depth=1
	v_mul_f32_e32 v8, 0x3fb8aa3b, v91
	v_rndne_f32_e32 v12, v8
	v_sub_f32_e32 v13, v8, v12
	v_fma_f32 v8, v91, s7, -v8
	v_fmac_f32_e32 v8, 0x32a5705f, v91
	v_add_f32_e32 v8, v13, v8
	v_cvt_i32_f32_e32 v12, v12
	v_exp_f32_e32 v8, v8
	v_cmp_ngt_f32_e32 vcc, s8, v91
	v_ldexp_f32 v8, v8, v12
	s_nop 0
	v_cndmask_b32_e32 v8, 0, v8, vcc
	v_cmp_nlt_f32_e32 vcc, s9, v91
	s_nop 1
	v_cndmask_b32_e32 v32, v41, v8, vcc
	v_add_f32_e32 v8, 1.0, v32
	v_add_f32_e32 v12, -1.0, v8
	v_sub_f32_e32 v13, v12, v8
	v_add_f32_e32 v13, 1.0, v13
	v_sub_f32_e32 v12, v32, v12
	v_add_f32_e32 v14, v12, v13
	v_frexp_mant_f32_e32 v15, v8
	v_cvt_f64_f32_e32 v[12:13], v8
	v_frexp_exp_i32_f64_e32 v12, v[12:13]
	v_cmp_gt_f32_e32 vcc, s11, v15
	v_cmp_gt_f32_e64 s[52:53], s57, v32
	s_nop 0
	v_subbrev_co_u32_e32 v26, vcc, 0, v12, vcc
	v_sub_u32_e32 v12, 0, v26
	v_ldexp_f32 v8, v8, v12
	v_ldexp_f32 v12, v14, v12
	v_add_f32_e32 v14, -1.0, v8
	v_add_f32_e32 v13, 1.0, v14
	v_sub_f32_e32 v13, v8, v13
	v_add_f32_e32 v15, v12, v13
	v_add_f32_e32 v13, 1.0, v8
	v_add_f32_e32 v22, -1.0, v13
	v_sub_f32_e32 v8, v8, v22
	v_add_f32_e32 v8, v12, v8
	v_add_f32_e32 v27, v13, v8
	v_rcp_f32_e32 v28, v27
	v_sub_f32_e32 v12, v13, v27
	v_add_f32_e32 v13, v14, v15
	v_add_f32_e32 v8, v8, v12
	v_mul_f32_e32 v30, v13, v28
	v_sub_f32_e32 v12, v14, v13
	v_mul_f32_e32 v14, v27, v30
	v_fma_f32 v22, v30, v27, -v14
	v_fmac_f32_e32 v22, v30, v8
	v_add_f32_e32 v29, v15, v12
	v_add_f32_e32 v12, v14, v22
	v_sub_f32_e32 v15, v13, v12
	v_pk_add_f32 v[24:25], v[12:13], v[14:15] neg_lo:[0,1] neg_hi:[0,1]
	v_mov_b32_e32 v23, v12
	v_pk_add_f32 v[12:13], v[24:25], v[22:23] neg_lo:[0,1] neg_hi:[0,1]
	v_cmp_eq_f32_e32 vcc, s10, v32
	v_add_f32_e32 v13, v29, v13
	v_add_f32_e32 v12, v12, v13
	v_add_f32_e32 v13, v15, v12
	v_mul_f32_e32 v29, v28, v13
	v_mul_f32_e32 v14, v27, v29
	v_fma_f32 v22, v29, v27, -v14
	v_fmac_f32_e32 v22, v29, v8
	v_sub_f32_e32 v8, v15, v13
	v_add_f32_e32 v8, v12, v8
	v_add_f32_e32 v12, v14, v22
	v_sub_f32_e32 v15, v13, v12
	v_pk_add_f32 v[24:25], v[12:13], v[14:15] neg_lo:[0,1] neg_hi:[0,1]
	v_mov_b32_e32 v23, v12
	v_pk_add_f32 v[12:13], v[24:25], v[22:23] neg_lo:[0,1] neg_hi:[0,1]
	s_or_b64 vcc, s[52:53], vcc
	v_add_f32_e32 v8, v8, v13
	v_add_f32_e32 v8, v12, v8
	;; [unrolled: 1-line block ×4, first 2 shown]
	v_sub_f32_e32 v12, v13, v30
	v_mul_f32_e32 v8, v28, v8
	v_sub_f32_e32 v12, v29, v12
	v_add_f32_e32 v8, v12, v8
	v_add_f32_e32 v14, v13, v8
	v_mul_f32_e32 v22, v14, v14
	v_fmamk_f32 v12, v22, 0x3e9b6dac, v40
	v_fmaak_f32 v43, v22, v12, 0x3f2aaada
	v_cvt_f32_i32_e32 v12, v26
	v_sub_f32_e32 v13, v14, v13
	v_sub_f32_e32 v8, v8, v13
	v_mul_f32_e32 v13, v14, v22
	v_pk_mul_f32 v[22:23], v[12:13], v[42:43]
	v_ldexp_f32 v15, v14, 1
	v_fma_f32 v14, v12, s56, -v22
	v_fmac_f32_e32 v14, 0xb102e308, v12
	v_pk_add_f32 v[12:13], v[22:23], v[14:15]
	v_ldexp_f32 v8, v8, 1
	v_sub_f32_e32 v15, v13, v15
	v_sub_f32_e32 v15, v23, v15
	v_add_f32_e32 v25, v8, v15
	v_mov_b32_e32 v24, v22
	v_pk_add_f32 v[22:23], v[12:13], v[22:23] neg_lo:[0,1] neg_hi:[0,1]
	v_pk_add_f32 v[26:27], v[12:13], v[24:25]
	v_mov_b32_e32 v15, v12
	v_mov_b32_e32 v23, v27
	v_pk_add_f32 v[28:29], v[14:15], v[22:23] neg_lo:[0,1] neg_hi:[0,1]
	v_pk_add_f32 v[14:15], v[14:15], v[22:23]
	s_nop 0
	v_mov_b32_e32 v8, v15
	v_pk_add_f32 v[22:23], v[8:9], v[12:13] neg_lo:[0,1] neg_hi:[0,1]
	v_mov_b32_e32 v14, v27
	v_mov_b32_e32 v23, v22
	v_pk_add_f32 v[30:31], v[26:27], v[22:23] neg_lo:[0,1] neg_hi:[0,1]
	v_mov_b32_e32 v26, v13
	v_mov_b32_e32 v27, v22
	;; [unrolled: 1-line block ×3, first 2 shown]
	v_pk_add_f32 v[14:15], v[14:15], v[26:27] neg_lo:[0,1] neg_hi:[0,1]
	v_mov_b32_e32 v22, v25
	v_mov_b32_e32 v23, v12
	v_pk_add_f32 v[12:13], v[22:23], v[14:15] neg_lo:[0,1] neg_hi:[0,1]
	v_mov_b32_e32 v30, v28
	v_pk_add_f32 v[14:15], v[30:31], v[12:13]
	s_nop 0
	v_mov_b32_e32 v22, v15
	v_pk_add_f32 v[22:23], v[14:15], v[22:23]
	s_nop 0
	v_pk_add_f32 v[24:25], v[8:9], v[22:23]
	v_mov_b32_e32 v13, v22
	v_mov_b32_e32 v15, v24
	v_pk_add_f32 v[26:27], v[14:15], v[28:29] neg_lo:[0,1] neg_hi:[0,1]
	s_nop 0
	v_sub_f32_e32 v8, v14, v26
	v_pk_add_f32 v[12:13], v[12:13], v[26:27] neg_lo:[0,1] neg_hi:[0,1]
	v_sub_f32_e32 v8, v28, v8
	v_add_f32_e32 v8, v12, v8
	v_add_f32_e32 v8, v8, v13
	;; [unrolled: 1-line block ×3, first 2 shown]
	v_cndmask_b32_e32 v91, v8, v32, vcc
.LBB118_97:                             ;   in Loop: Header=BB118_13 Depth=1
	s_or_b64 exec, exec, s[54:55]
	v_cvt_f32_f16_sdwa v8, v9 dst_sel:DWORD dst_unused:UNUSED_PAD src0_sel:WORD_1
	v_readlane_b32 s0, v95, 2
	s_nop 1
	v_add_f32_e32 v92, s0, v8
	v_cmp_ge_f32_e32 vcc, s6, v92
	s_and_b64 s[0:1], s[4:5], vcc
	s_and_saveexec_b64 s[54:55], s[0:1]
	s_cbranch_execz .LBB118_99
; %bb.98:                               ;   in Loop: Header=BB118_13 Depth=1
	v_mul_f32_e32 v8, 0x3fb8aa3b, v92
	v_rndne_f32_e32 v9, v8
	v_sub_f32_e32 v12, v8, v9
	v_fma_f32 v8, v92, s7, -v8
	v_fmac_f32_e32 v8, 0x32a5705f, v92
	v_add_f32_e32 v8, v12, v8
	v_cvt_i32_f32_e32 v9, v9
	v_exp_f32_e32 v8, v8
	v_cmp_ngt_f32_e32 vcc, s8, v92
	v_ldexp_f32 v8, v8, v9
	s_nop 0
	v_cndmask_b32_e32 v8, 0, v8, vcc
	v_cmp_nlt_f32_e32 vcc, s9, v92
	s_nop 1
	v_cndmask_b32_e32 v32, v41, v8, vcc
	v_add_f32_e32 v12, 1.0, v32
	v_add_f32_e32 v8, -1.0, v12
	v_sub_f32_e32 v9, v8, v12
	v_add_f32_e32 v9, 1.0, v9
	v_sub_f32_e32 v8, v32, v8
	v_add_f32_e32 v13, v8, v9
	v_frexp_mant_f32_e32 v14, v12
	v_cvt_f64_f32_e32 v[8:9], v12
	v_frexp_exp_i32_f64_e32 v8, v[8:9]
	v_cmp_gt_f32_e32 vcc, s11, v14
	v_cmp_gt_f32_e64 s[52:53], s57, v32
	s_nop 0
	v_subbrev_co_u32_e32 v24, vcc, 0, v8, vcc
	v_sub_u32_e32 v8, 0, v24
	v_ldexp_f32 v9, v12, v8
	v_add_f32_e32 v12, -1.0, v9
	v_add_f32_e32 v14, 1.0, v9
	v_ldexp_f32 v8, v13, v8
	v_add_f32_e32 v13, 1.0, v12
	v_add_f32_e32 v15, -1.0, v14
	v_sub_f32_e32 v13, v9, v13
	v_sub_f32_e32 v9, v9, v15
	v_add_f32_e32 v13, v8, v13
	v_add_f32_e32 v8, v8, v9
	;; [unrolled: 1-line block ×3, first 2 shown]
	v_rcp_f32_e32 v27, v25
	v_sub_f32_e32 v9, v14, v25
	v_add_f32_e32 v26, v8, v9
	v_add_f32_e32 v9, v12, v13
	v_mul_f32_e32 v29, v9, v27
	v_sub_f32_e32 v8, v12, v9
	v_mul_f32_e32 v12, v25, v29
	v_fma_f32 v14, v29, v25, -v12
	v_fmac_f32_e32 v14, v29, v26
	v_add_f32_e32 v28, v13, v8
	v_add_f32_e32 v8, v12, v14
	v_sub_f32_e32 v13, v9, v8
	v_pk_add_f32 v[22:23], v[8:9], v[12:13] neg_lo:[0,1] neg_hi:[0,1]
	v_mov_b32_e32 v15, v8
	v_pk_add_f32 v[8:9], v[22:23], v[14:15] neg_lo:[0,1] neg_hi:[0,1]
	v_cmp_eq_f32_e32 vcc, s10, v32
	v_add_f32_e32 v9, v28, v9
	v_add_f32_e32 v8, v8, v9
	;; [unrolled: 1-line block ×3, first 2 shown]
	v_mul_f32_e32 v28, v27, v9
	v_mul_f32_e32 v12, v25, v28
	v_fma_f32 v14, v28, v25, -v12
	v_fmac_f32_e32 v14, v28, v26
	v_sub_f32_e32 v13, v13, v9
	v_add_f32_e32 v25, v8, v13
	v_add_f32_e32 v8, v12, v14
	v_sub_f32_e32 v13, v9, v8
	v_pk_add_f32 v[22:23], v[8:9], v[12:13] neg_lo:[0,1] neg_hi:[0,1]
	v_mov_b32_e32 v15, v8
	v_pk_add_f32 v[8:9], v[22:23], v[14:15] neg_lo:[0,1] neg_hi:[0,1]
	s_or_b64 vcc, s[52:53], vcc
	v_add_f32_e32 v9, v25, v9
	v_add_f32_e32 v8, v8, v9
	;; [unrolled: 1-line block ×4, first 2 shown]
	v_sub_f32_e32 v12, v9, v29
	v_mul_f32_e32 v8, v27, v8
	v_sub_f32_e32 v12, v28, v12
	v_add_f32_e32 v12, v12, v8
	v_add_f32_e32 v14, v9, v12
	v_mul_f32_e32 v15, v14, v14
	v_fmamk_f32 v8, v15, 0x3e9b6dac, v40
	v_fmaak_f32 v43, v15, v8, 0x3f2aaada
	v_cvt_f32_i32_e32 v8, v24
	v_sub_f32_e32 v9, v14, v9
	v_sub_f32_e32 v9, v12, v9
	v_ldexp_f32 v22, v9, 1
	v_mul_f32_e32 v9, v14, v15
	v_ldexp_f32 v13, v14, 1
	v_pk_mul_f32 v[14:15], v[8:9], v[42:43]
	s_nop 0
	v_fma_f32 v12, v8, s56, -v14
	v_fmac_f32_e32 v12, 0xb102e308, v8
	v_pk_add_f32 v[8:9], v[14:15], v[12:13]
	s_nop 0
	v_sub_f32_e32 v13, v9, v13
	v_sub_f32_e32 v13, v15, v13
	v_add_f32_e32 v23, v22, v13
	v_mov_b32_e32 v22, v14
	v_pk_add_f32 v[14:15], v[8:9], v[14:15] neg_lo:[0,1] neg_hi:[0,1]
	v_pk_add_f32 v[24:25], v[8:9], v[22:23]
	v_mov_b32_e32 v13, v8
	v_mov_b32_e32 v15, v25
	v_pk_add_f32 v[26:27], v[12:13], v[14:15] neg_lo:[0,1] neg_hi:[0,1]
	v_pk_add_f32 v[12:13], v[12:13], v[14:15]
	v_mov_b32_e32 v22, v23
	v_mov_b32_e32 v14, v13
	v_pk_add_f32 v[28:29], v[14:15], v[8:9] neg_lo:[0,1] neg_hi:[0,1]
	v_mov_b32_e32 v12, v25
	v_mov_b32_e32 v15, v28
	v_pk_add_f32 v[30:31], v[24:25], v[14:15] neg_lo:[0,1] neg_hi:[0,1]
	v_mov_b32_e32 v24, v9
	v_mov_b32_e32 v25, v28
	;; [unrolled: 1-line block ×3, first 2 shown]
	v_pk_add_f32 v[12:13], v[12:13], v[24:25] neg_lo:[0,1] neg_hi:[0,1]
	v_mov_b32_e32 v23, v8
	v_pk_add_f32 v[8:9], v[22:23], v[12:13] neg_lo:[0,1] neg_hi:[0,1]
	v_mov_b32_e32 v30, v26
	v_pk_add_f32 v[12:13], v[30:31], v[8:9]
	s_nop 0
	v_mov_b32_e32 v22, v13
	v_pk_add_f32 v[22:23], v[12:13], v[22:23]
	s_nop 0
	v_pk_add_f32 v[14:15], v[14:15], v[22:23]
	v_mov_b32_e32 v9, v22
	v_mov_b32_e32 v13, v14
	v_pk_add_f32 v[24:25], v[12:13], v[26:27] neg_lo:[0,1] neg_hi:[0,1]
	s_nop 0
	v_sub_f32_e32 v12, v12, v24
	v_pk_add_f32 v[8:9], v[8:9], v[24:25] neg_lo:[0,1] neg_hi:[0,1]
	v_sub_f32_e32 v12, v26, v12
	v_add_f32_e32 v8, v8, v12
	v_add_f32_e32 v8, v8, v9
	;; [unrolled: 1-line block ×3, first 2 shown]
	v_cndmask_b32_e32 v92, v8, v32, vcc
.LBB118_99:                             ;   in Loop: Header=BB118_13 Depth=1
	s_or_b64 exec, exec, s[54:55]
	v_cvt_f32_f16_e32 v8, v10
	v_readlane_b32 s0, v95, 2
	s_nop 1
	v_add_f32_e32 v93, s0, v8
	v_cmp_ge_f32_e32 vcc, s6, v93
	s_and_b64 s[0:1], s[4:5], vcc
	s_and_saveexec_b64 s[54:55], s[0:1]
	s_cbranch_execz .LBB118_101
; %bb.100:                              ;   in Loop: Header=BB118_13 Depth=1
	v_mul_f32_e32 v8, 0x3fb8aa3b, v93
	v_rndne_f32_e32 v9, v8
	v_sub_f32_e32 v12, v8, v9
	v_fma_f32 v8, v93, s7, -v8
	v_fmac_f32_e32 v8, 0x32a5705f, v93
	v_add_f32_e32 v8, v12, v8
	v_cvt_i32_f32_e32 v9, v9
	v_exp_f32_e32 v8, v8
	v_cmp_ngt_f32_e32 vcc, s8, v93
	v_ldexp_f32 v8, v8, v9
	s_nop 0
	v_cndmask_b32_e32 v8, 0, v8, vcc
	v_cmp_nlt_f32_e32 vcc, s9, v93
	s_nop 1
	v_cndmask_b32_e32 v32, v41, v8, vcc
	v_add_f32_e32 v12, 1.0, v32
	v_add_f32_e32 v8, -1.0, v12
	v_sub_f32_e32 v9, v8, v12
	v_add_f32_e32 v9, 1.0, v9
	v_sub_f32_e32 v8, v32, v8
	v_add_f32_e32 v13, v8, v9
	v_frexp_mant_f32_e32 v14, v12
	v_cvt_f64_f32_e32 v[8:9], v12
	v_frexp_exp_i32_f64_e32 v8, v[8:9]
	v_cmp_gt_f32_e32 vcc, s11, v14
	v_cmp_gt_f32_e64 s[52:53], s57, v32
	s_nop 0
	v_subbrev_co_u32_e32 v24, vcc, 0, v8, vcc
	v_sub_u32_e32 v8, 0, v24
	v_ldexp_f32 v9, v12, v8
	v_add_f32_e32 v12, -1.0, v9
	v_add_f32_e32 v14, 1.0, v9
	v_ldexp_f32 v8, v13, v8
	v_add_f32_e32 v13, 1.0, v12
	v_add_f32_e32 v15, -1.0, v14
	v_sub_f32_e32 v13, v9, v13
	v_sub_f32_e32 v9, v9, v15
	v_add_f32_e32 v13, v8, v13
	v_add_f32_e32 v8, v8, v9
	;; [unrolled: 1-line block ×3, first 2 shown]
	v_rcp_f32_e32 v27, v25
	v_sub_f32_e32 v9, v14, v25
	v_add_f32_e32 v26, v8, v9
	v_add_f32_e32 v9, v12, v13
	v_mul_f32_e32 v29, v9, v27
	v_sub_f32_e32 v8, v12, v9
	v_mul_f32_e32 v12, v25, v29
	v_fma_f32 v14, v29, v25, -v12
	v_fmac_f32_e32 v14, v29, v26
	v_add_f32_e32 v28, v13, v8
	v_add_f32_e32 v8, v12, v14
	v_sub_f32_e32 v13, v9, v8
	v_pk_add_f32 v[22:23], v[8:9], v[12:13] neg_lo:[0,1] neg_hi:[0,1]
	v_mov_b32_e32 v15, v8
	v_pk_add_f32 v[8:9], v[22:23], v[14:15] neg_lo:[0,1] neg_hi:[0,1]
	v_cmp_eq_f32_e32 vcc, s10, v32
	v_add_f32_e32 v9, v28, v9
	v_add_f32_e32 v8, v8, v9
	;; [unrolled: 1-line block ×3, first 2 shown]
	v_mul_f32_e32 v28, v27, v9
	v_mul_f32_e32 v12, v25, v28
	v_fma_f32 v14, v28, v25, -v12
	v_fmac_f32_e32 v14, v28, v26
	v_sub_f32_e32 v13, v13, v9
	v_add_f32_e32 v25, v8, v13
	v_add_f32_e32 v8, v12, v14
	v_sub_f32_e32 v13, v9, v8
	v_pk_add_f32 v[22:23], v[8:9], v[12:13] neg_lo:[0,1] neg_hi:[0,1]
	v_mov_b32_e32 v15, v8
	v_pk_add_f32 v[8:9], v[22:23], v[14:15] neg_lo:[0,1] neg_hi:[0,1]
	s_or_b64 vcc, s[52:53], vcc
	v_add_f32_e32 v9, v25, v9
	v_add_f32_e32 v8, v8, v9
	;; [unrolled: 1-line block ×4, first 2 shown]
	v_sub_f32_e32 v12, v9, v29
	v_mul_f32_e32 v8, v27, v8
	v_sub_f32_e32 v12, v28, v12
	v_add_f32_e32 v12, v12, v8
	v_add_f32_e32 v14, v9, v12
	v_mul_f32_e32 v15, v14, v14
	v_fmamk_f32 v8, v15, 0x3e9b6dac, v40
	v_fmaak_f32 v43, v15, v8, 0x3f2aaada
	v_cvt_f32_i32_e32 v8, v24
	v_sub_f32_e32 v9, v14, v9
	v_sub_f32_e32 v9, v12, v9
	v_ldexp_f32 v22, v9, 1
	v_mul_f32_e32 v9, v14, v15
	v_ldexp_f32 v13, v14, 1
	v_pk_mul_f32 v[14:15], v[8:9], v[42:43]
	s_nop 0
	v_fma_f32 v12, v8, s56, -v14
	v_fmac_f32_e32 v12, 0xb102e308, v8
	v_pk_add_f32 v[8:9], v[14:15], v[12:13]
	s_nop 0
	v_sub_f32_e32 v13, v9, v13
	v_sub_f32_e32 v13, v15, v13
	v_add_f32_e32 v23, v22, v13
	v_mov_b32_e32 v22, v14
	v_pk_add_f32 v[14:15], v[8:9], v[14:15] neg_lo:[0,1] neg_hi:[0,1]
	v_pk_add_f32 v[24:25], v[8:9], v[22:23]
	v_mov_b32_e32 v13, v8
	v_mov_b32_e32 v15, v25
	v_pk_add_f32 v[26:27], v[12:13], v[14:15] neg_lo:[0,1] neg_hi:[0,1]
	v_pk_add_f32 v[12:13], v[12:13], v[14:15]
	v_mov_b32_e32 v22, v23
	v_mov_b32_e32 v14, v13
	v_pk_add_f32 v[28:29], v[14:15], v[8:9] neg_lo:[0,1] neg_hi:[0,1]
	v_mov_b32_e32 v12, v25
	v_mov_b32_e32 v15, v28
	v_pk_add_f32 v[30:31], v[24:25], v[14:15] neg_lo:[0,1] neg_hi:[0,1]
	v_mov_b32_e32 v24, v9
	v_mov_b32_e32 v25, v28
	;; [unrolled: 1-line block ×3, first 2 shown]
	v_pk_add_f32 v[12:13], v[12:13], v[24:25] neg_lo:[0,1] neg_hi:[0,1]
	v_mov_b32_e32 v23, v8
	v_pk_add_f32 v[8:9], v[22:23], v[12:13] neg_lo:[0,1] neg_hi:[0,1]
	v_mov_b32_e32 v30, v26
	v_pk_add_f32 v[12:13], v[30:31], v[8:9]
	s_nop 0
	v_mov_b32_e32 v22, v13
	v_pk_add_f32 v[22:23], v[12:13], v[22:23]
	s_nop 0
	v_pk_add_f32 v[14:15], v[14:15], v[22:23]
	v_mov_b32_e32 v9, v22
	v_mov_b32_e32 v13, v14
	v_pk_add_f32 v[24:25], v[12:13], v[26:27] neg_lo:[0,1] neg_hi:[0,1]
	s_nop 0
	v_sub_f32_e32 v12, v12, v24
	v_pk_add_f32 v[8:9], v[8:9], v[24:25] neg_lo:[0,1] neg_hi:[0,1]
	v_sub_f32_e32 v12, v26, v12
	v_add_f32_e32 v8, v8, v12
	v_add_f32_e32 v8, v8, v9
	;; [unrolled: 1-line block ×3, first 2 shown]
	v_cndmask_b32_e32 v93, v8, v32, vcc
.LBB118_101:                            ;   in Loop: Header=BB118_13 Depth=1
	s_or_b64 exec, exec, s[54:55]
	v_cvt_f32_f16_sdwa v8, v10 dst_sel:DWORD dst_unused:UNUSED_PAD src0_sel:WORD_1
	v_readlane_b32 s0, v95, 2
	s_nop 1
	v_add_f32_e32 v94, s0, v8
	v_cmp_ge_f32_e32 vcc, s6, v94
	s_and_b64 s[0:1], s[4:5], vcc
	s_and_saveexec_b64 s[54:55], s[0:1]
	s_cbranch_execz .LBB118_103
; %bb.102:                              ;   in Loop: Header=BB118_13 Depth=1
	v_mul_f32_e32 v8, 0x3fb8aa3b, v94
	v_rndne_f32_e32 v9, v8
	v_sub_f32_e32 v10, v8, v9
	v_fma_f32 v8, v94, s7, -v8
	v_fmac_f32_e32 v8, 0x32a5705f, v94
	v_add_f32_e32 v8, v10, v8
	v_cvt_i32_f32_e32 v9, v9
	v_exp_f32_e32 v8, v8
	v_cmp_ngt_f32_e32 vcc, s8, v94
	v_ldexp_f32 v8, v8, v9
	s_nop 0
	v_cndmask_b32_e32 v8, 0, v8, vcc
	v_cmp_nlt_f32_e32 vcc, s9, v94
	s_nop 1
	v_cndmask_b32_e32 v30, v41, v8, vcc
	v_add_f32_e32 v10, 1.0, v30
	v_add_f32_e32 v8, -1.0, v10
	v_sub_f32_e32 v9, v8, v10
	v_add_f32_e32 v9, 1.0, v9
	v_sub_f32_e32 v8, v30, v8
	v_add_f32_e32 v12, v8, v9
	v_frexp_mant_f32_e32 v13, v10
	v_cvt_f64_f32_e32 v[8:9], v10
	v_frexp_exp_i32_f64_e32 v8, v[8:9]
	v_cmp_gt_f32_e32 vcc, s11, v13
	v_cmp_gt_f32_e64 s[52:53], s57, v30
	s_nop 0
	v_subbrev_co_u32_e32 v24, vcc, 0, v8, vcc
	v_sub_u32_e32 v8, 0, v24
	v_ldexp_f32 v9, v10, v8
	v_add_f32_e32 v10, -1.0, v9
	v_add_f32_e32 v13, 1.0, v9
	v_ldexp_f32 v8, v12, v8
	v_add_f32_e32 v12, 1.0, v10
	v_add_f32_e32 v14, -1.0, v13
	v_sub_f32_e32 v12, v9, v12
	v_sub_f32_e32 v9, v9, v14
	v_add_f32_e32 v12, v8, v12
	v_add_f32_e32 v8, v8, v9
	;; [unrolled: 1-line block ×3, first 2 shown]
	v_rcp_f32_e32 v27, v25
	v_sub_f32_e32 v9, v13, v25
	v_add_f32_e32 v26, v8, v9
	v_add_f32_e32 v9, v10, v12
	v_sub_f32_e32 v8, v10, v9
	v_mul_f32_e32 v28, v9, v27
	v_add_f32_e32 v10, v12, v8
	v_mul_f32_e32 v12, v25, v28
	v_fma_f32 v14, v28, v25, -v12
	v_fmac_f32_e32 v14, v28, v26
	v_add_f32_e32 v8, v12, v14
	v_sub_f32_e32 v13, v9, v8
	v_pk_add_f32 v[22:23], v[8:9], v[12:13] neg_lo:[0,1] neg_hi:[0,1]
	v_mov_b32_e32 v15, v8
	v_pk_add_f32 v[8:9], v[22:23], v[14:15] neg_lo:[0,1] neg_hi:[0,1]
	v_cmp_eq_f32_e32 vcc, s10, v30
	v_add_f32_e32 v9, v10, v9
	v_add_f32_e32 v8, v8, v9
	;; [unrolled: 1-line block ×3, first 2 shown]
	v_mul_f32_e32 v10, v27, v9
	v_mul_f32_e32 v12, v25, v10
	v_fma_f32 v14, v10, v25, -v12
	v_fmac_f32_e32 v14, v10, v26
	v_sub_f32_e32 v13, v13, v9
	v_add_f32_e32 v25, v8, v13
	v_add_f32_e32 v8, v12, v14
	v_sub_f32_e32 v13, v9, v8
	v_pk_add_f32 v[22:23], v[8:9], v[12:13] neg_lo:[0,1] neg_hi:[0,1]
	v_mov_b32_e32 v15, v8
	v_pk_add_f32 v[8:9], v[22:23], v[14:15] neg_lo:[0,1] neg_hi:[0,1]
	s_or_b64 vcc, s[52:53], vcc
	v_add_f32_e32 v9, v25, v9
	v_add_f32_e32 v8, v8, v9
	;; [unrolled: 1-line block ×4, first 2 shown]
	v_sub_f32_e32 v12, v9, v28
	v_mul_f32_e32 v8, v27, v8
	v_sub_f32_e32 v10, v10, v12
	v_add_f32_e32 v10, v10, v8
	v_add_f32_e32 v12, v9, v10
	v_mul_f32_e32 v14, v12, v12
	v_fmamk_f32 v8, v14, 0x3e9b6dac, v40
	v_fmaak_f32 v43, v14, v8, 0x3f2aaada
	v_cvt_f32_i32_e32 v8, v24
	v_sub_f32_e32 v9, v12, v9
	v_sub_f32_e32 v9, v10, v9
	v_ldexp_f32 v10, v9, 1
	v_mul_f32_e32 v9, v12, v14
	v_pk_mul_f32 v[14:15], v[8:9], v[42:43]
	v_ldexp_f32 v13, v12, 1
	v_fma_f32 v12, v8, s56, -v14
	v_fmac_f32_e32 v12, 0xb102e308, v8
	v_pk_add_f32 v[8:9], v[14:15], v[12:13]
	v_mov_b32_e32 v22, v14
	v_sub_f32_e32 v13, v9, v13
	v_sub_f32_e32 v13, v15, v13
	v_add_f32_e32 v23, v10, v13
	v_pk_add_f32 v[14:15], v[8:9], v[14:15] neg_lo:[0,1] neg_hi:[0,1]
	v_pk_add_f32 v[24:25], v[8:9], v[22:23]
	v_mov_b32_e32 v13, v8
	v_mov_b32_e32 v15, v25
	v_pk_add_f32 v[26:27], v[12:13], v[14:15] neg_lo:[0,1] neg_hi:[0,1]
	v_pk_add_f32 v[12:13], v[12:13], v[14:15]
	s_nop 0
	v_mov_b32_e32 v10, v13
	v_pk_add_f32 v[14:15], v[10:11], v[8:9] neg_lo:[0,1] neg_hi:[0,1]
	v_mov_b32_e32 v12, v25
	v_mov_b32_e32 v15, v14
	v_pk_add_f32 v[28:29], v[24:25], v[14:15] neg_lo:[0,1] neg_hi:[0,1]
	v_mov_b32_e32 v24, v9
	v_mov_b32_e32 v25, v14
	;; [unrolled: 1-line block ×3, first 2 shown]
	v_pk_add_f32 v[12:13], v[12:13], v[24:25] neg_lo:[0,1] neg_hi:[0,1]
	v_mov_b32_e32 v14, v23
	v_mov_b32_e32 v15, v8
	v_pk_add_f32 v[8:9], v[14:15], v[12:13] neg_lo:[0,1] neg_hi:[0,1]
	v_mov_b32_e32 v28, v26
	v_pk_add_f32 v[12:13], v[28:29], v[8:9]
	s_nop 0
	v_mov_b32_e32 v14, v13
	v_pk_add_f32 v[14:15], v[12:13], v[14:15]
	s_nop 0
	v_pk_add_f32 v[22:23], v[10:11], v[14:15]
	v_mov_b32_e32 v9, v14
	v_mov_b32_e32 v13, v22
	v_pk_add_f32 v[24:25], v[12:13], v[26:27] neg_lo:[0,1] neg_hi:[0,1]
	s_nop 0
	v_sub_f32_e32 v10, v12, v24
	v_pk_add_f32 v[8:9], v[8:9], v[24:25] neg_lo:[0,1] neg_hi:[0,1]
	v_sub_f32_e32 v10, v26, v10
	v_add_f32_e32 v8, v8, v10
	v_add_f32_e32 v8, v8, v9
	;; [unrolled: 1-line block ×3, first 2 shown]
	v_cndmask_b32_e32 v94, v8, v30, vcc
.LBB118_103:                            ;   in Loop: Header=BB118_13 Depth=1
	s_or_b64 exec, exec, s[54:55]
	v_cvt_f32_f16_e32 v8, v11
	v_readlane_b32 s0, v95, 2
	s_nop 1
	v_add_f32_e32 v56, s0, v8
	v_cmp_ge_f32_e32 vcc, s6, v56
	s_and_b64 s[0:1], s[4:5], vcc
	s_and_saveexec_b64 s[54:55], s[0:1]
	s_cbranch_execz .LBB118_105
; %bb.104:                              ;   in Loop: Header=BB118_13 Depth=1
	v_mul_f32_e32 v8, 0x3fb8aa3b, v56
	v_rndne_f32_e32 v9, v8
	v_sub_f32_e32 v10, v8, v9
	v_fma_f32 v8, v56, s7, -v8
	v_fmac_f32_e32 v8, 0x32a5705f, v56
	v_add_f32_e32 v8, v10, v8
	v_cvt_i32_f32_e32 v9, v9
	v_exp_f32_e32 v8, v8
	v_cmp_ngt_f32_e32 vcc, s8, v56
	v_ldexp_f32 v8, v8, v9
	s_nop 0
	v_cndmask_b32_e32 v8, 0, v8, vcc
	v_cmp_nlt_f32_e32 vcc, s9, v56
	s_nop 1
	v_cndmask_b32_e32 v30, v41, v8, vcc
	v_add_f32_e32 v10, 1.0, v30
	v_add_f32_e32 v8, -1.0, v10
	v_sub_f32_e32 v9, v8, v10
	v_add_f32_e32 v9, 1.0, v9
	v_sub_f32_e32 v8, v30, v8
	v_add_f32_e32 v12, v8, v9
	v_frexp_mant_f32_e32 v13, v10
	v_cvt_f64_f32_e32 v[8:9], v10
	v_frexp_exp_i32_f64_e32 v8, v[8:9]
	v_cmp_gt_f32_e32 vcc, s11, v13
	v_cmp_gt_f32_e64 s[52:53], s57, v30
	s_nop 0
	v_subbrev_co_u32_e32 v24, vcc, 0, v8, vcc
	v_sub_u32_e32 v8, 0, v24
	v_ldexp_f32 v9, v10, v8
	v_add_f32_e32 v10, -1.0, v9
	v_add_f32_e32 v13, 1.0, v9
	v_ldexp_f32 v8, v12, v8
	v_add_f32_e32 v12, 1.0, v10
	v_add_f32_e32 v14, -1.0, v13
	v_sub_f32_e32 v12, v9, v12
	v_sub_f32_e32 v9, v9, v14
	v_add_f32_e32 v12, v8, v12
	v_add_f32_e32 v8, v8, v9
	;; [unrolled: 1-line block ×3, first 2 shown]
	v_rcp_f32_e32 v27, v25
	v_sub_f32_e32 v9, v13, v25
	v_add_f32_e32 v26, v8, v9
	v_add_f32_e32 v9, v10, v12
	v_sub_f32_e32 v8, v10, v9
	v_mul_f32_e32 v28, v9, v27
	v_add_f32_e32 v10, v12, v8
	v_mul_f32_e32 v12, v25, v28
	v_fma_f32 v14, v28, v25, -v12
	v_fmac_f32_e32 v14, v28, v26
	v_add_f32_e32 v8, v12, v14
	v_sub_f32_e32 v13, v9, v8
	v_pk_add_f32 v[22:23], v[8:9], v[12:13] neg_lo:[0,1] neg_hi:[0,1]
	v_mov_b32_e32 v15, v8
	v_pk_add_f32 v[8:9], v[22:23], v[14:15] neg_lo:[0,1] neg_hi:[0,1]
	v_cmp_eq_f32_e32 vcc, s10, v30
	v_add_f32_e32 v9, v10, v9
	v_add_f32_e32 v8, v8, v9
	;; [unrolled: 1-line block ×3, first 2 shown]
	v_mul_f32_e32 v10, v27, v9
	v_mul_f32_e32 v12, v25, v10
	v_fma_f32 v14, v10, v25, -v12
	v_fmac_f32_e32 v14, v10, v26
	v_sub_f32_e32 v13, v13, v9
	v_add_f32_e32 v25, v8, v13
	v_add_f32_e32 v8, v12, v14
	v_sub_f32_e32 v13, v9, v8
	v_pk_add_f32 v[22:23], v[8:9], v[12:13] neg_lo:[0,1] neg_hi:[0,1]
	v_mov_b32_e32 v15, v8
	v_pk_add_f32 v[8:9], v[22:23], v[14:15] neg_lo:[0,1] neg_hi:[0,1]
	s_or_b64 vcc, s[52:53], vcc
	v_add_f32_e32 v9, v25, v9
	v_add_f32_e32 v8, v8, v9
	;; [unrolled: 1-line block ×4, first 2 shown]
	v_sub_f32_e32 v12, v9, v28
	v_mul_f32_e32 v8, v27, v8
	v_sub_f32_e32 v10, v10, v12
	v_add_f32_e32 v10, v10, v8
	v_add_f32_e32 v12, v9, v10
	v_mul_f32_e32 v14, v12, v12
	v_fmamk_f32 v8, v14, 0x3e9b6dac, v40
	v_fmaak_f32 v43, v14, v8, 0x3f2aaada
	v_cvt_f32_i32_e32 v8, v24
	v_sub_f32_e32 v9, v12, v9
	v_sub_f32_e32 v9, v10, v9
	v_ldexp_f32 v10, v9, 1
	v_mul_f32_e32 v9, v12, v14
	v_pk_mul_f32 v[14:15], v[8:9], v[42:43]
	v_ldexp_f32 v13, v12, 1
	v_fma_f32 v12, v8, s56, -v14
	v_fmac_f32_e32 v12, 0xb102e308, v8
	v_pk_add_f32 v[8:9], v[14:15], v[12:13]
	v_mov_b32_e32 v22, v14
	v_sub_f32_e32 v13, v9, v13
	v_sub_f32_e32 v13, v15, v13
	v_add_f32_e32 v23, v10, v13
	v_pk_add_f32 v[14:15], v[8:9], v[14:15] neg_lo:[0,1] neg_hi:[0,1]
	v_pk_add_f32 v[24:25], v[8:9], v[22:23]
	v_mov_b32_e32 v13, v8
	v_mov_b32_e32 v15, v25
	v_pk_add_f32 v[26:27], v[12:13], v[14:15] neg_lo:[0,1] neg_hi:[0,1]
	v_pk_add_f32 v[12:13], v[12:13], v[14:15]
	s_nop 0
	v_mov_b32_e32 v10, v13
	v_pk_add_f32 v[14:15], v[10:11], v[8:9] neg_lo:[0,1] neg_hi:[0,1]
	v_mov_b32_e32 v12, v25
	v_mov_b32_e32 v15, v14
	v_pk_add_f32 v[28:29], v[24:25], v[14:15] neg_lo:[0,1] neg_hi:[0,1]
	v_mov_b32_e32 v24, v9
	v_mov_b32_e32 v25, v14
	;; [unrolled: 1-line block ×3, first 2 shown]
	v_pk_add_f32 v[12:13], v[12:13], v[24:25] neg_lo:[0,1] neg_hi:[0,1]
	v_mov_b32_e32 v14, v23
	v_mov_b32_e32 v15, v8
	v_pk_add_f32 v[8:9], v[14:15], v[12:13] neg_lo:[0,1] neg_hi:[0,1]
	v_mov_b32_e32 v28, v26
	v_pk_add_f32 v[12:13], v[28:29], v[8:9]
	s_nop 0
	v_mov_b32_e32 v14, v13
	v_pk_add_f32 v[14:15], v[12:13], v[14:15]
	s_nop 0
	v_pk_add_f32 v[22:23], v[10:11], v[14:15]
	v_mov_b32_e32 v9, v14
	v_mov_b32_e32 v13, v22
	v_pk_add_f32 v[24:25], v[12:13], v[26:27] neg_lo:[0,1] neg_hi:[0,1]
	s_nop 0
	v_sub_f32_e32 v10, v12, v24
	v_pk_add_f32 v[8:9], v[8:9], v[24:25] neg_lo:[0,1] neg_hi:[0,1]
	v_sub_f32_e32 v10, v26, v10
	v_add_f32_e32 v8, v8, v10
	v_add_f32_e32 v8, v8, v9
	;; [unrolled: 1-line block ×3, first 2 shown]
	v_cndmask_b32_e32 v56, v8, v30, vcc
.LBB118_105:                            ;   in Loop: Header=BB118_13 Depth=1
	s_or_b64 exec, exec, s[54:55]
	v_cvt_f32_f16_sdwa v8, v11 dst_sel:DWORD dst_unused:UNUSED_PAD src0_sel:WORD_1
	v_readlane_b32 s0, v95, 2
	s_nop 1
	v_add_f32_e32 v23, s0, v8
	v_cmp_ge_f32_e32 vcc, s6, v23
	s_and_b64 s[0:1], s[4:5], vcc
	s_and_saveexec_b64 s[54:55], s[0:1]
	s_cbranch_execz .LBB118_107
; %bb.106:                              ;   in Loop: Header=BB118_13 Depth=1
	v_mul_f32_e32 v8, 0x3fb8aa3b, v23
	v_rndne_f32_e32 v9, v8
	v_sub_f32_e32 v10, v8, v9
	v_fma_f32 v8, v23, s7, -v8
	v_fmac_f32_e32 v8, 0x32a5705f, v23
	v_add_f32_e32 v8, v10, v8
	v_cvt_i32_f32_e32 v9, v9
	v_exp_f32_e32 v8, v8
	v_cmp_ngt_f32_e32 vcc, s8, v23
	v_ldexp_f32 v8, v8, v9
	s_nop 0
	v_cndmask_b32_e32 v8, 0, v8, vcc
	v_cmp_nlt_f32_e32 vcc, s9, v23
	s_nop 1
	v_cndmask_b32_e32 v30, v41, v8, vcc
	v_add_f32_e32 v10, 1.0, v30
	v_add_f32_e32 v8, -1.0, v10
	v_sub_f32_e32 v9, v8, v10
	v_add_f32_e32 v9, 1.0, v9
	v_sub_f32_e32 v8, v30, v8
	v_add_f32_e32 v11, v8, v9
	v_frexp_mant_f32_e32 v12, v10
	v_cvt_f64_f32_e32 v[8:9], v10
	v_frexp_exp_i32_f64_e32 v8, v[8:9]
	v_cmp_gt_f32_e32 vcc, s11, v12
	v_cmp_gt_f32_e64 s[52:53], s57, v30
	s_nop 0
	v_subbrev_co_u32_e32 v22, vcc, 0, v8, vcc
	v_sub_u32_e32 v8, 0, v22
	v_ldexp_f32 v9, v10, v8
	v_add_f32_e32 v10, -1.0, v9
	v_add_f32_e32 v12, 1.0, v9
	v_ldexp_f32 v8, v11, v8
	v_add_f32_e32 v11, 1.0, v10
	v_add_f32_e32 v13, -1.0, v12
	v_sub_f32_e32 v11, v9, v11
	v_sub_f32_e32 v9, v9, v13
	v_add_f32_e32 v11, v8, v11
	v_add_f32_e32 v8, v8, v9
	;; [unrolled: 1-line block ×3, first 2 shown]
	v_rcp_f32_e32 v25, v23
	v_sub_f32_e32 v9, v12, v23
	v_add_f32_e32 v24, v8, v9
	v_add_f32_e32 v9, v10, v11
	v_mul_f32_e32 v27, v9, v25
	v_sub_f32_e32 v8, v10, v9
	v_mul_f32_e32 v10, v23, v27
	v_fma_f32 v12, v27, v23, -v10
	v_fmac_f32_e32 v12, v27, v24
	v_add_f32_e32 v26, v11, v8
	v_add_f32_e32 v8, v10, v12
	v_sub_f32_e32 v11, v9, v8
	v_pk_add_f32 v[14:15], v[8:9], v[10:11] neg_lo:[0,1] neg_hi:[0,1]
	v_mov_b32_e32 v13, v8
	v_pk_add_f32 v[8:9], v[14:15], v[12:13] neg_lo:[0,1] neg_hi:[0,1]
	v_cmp_eq_f32_e32 vcc, s10, v30
	v_add_f32_e32 v9, v26, v9
	v_add_f32_e32 v8, v8, v9
	;; [unrolled: 1-line block ×3, first 2 shown]
	v_mul_f32_e32 v26, v25, v9
	v_mul_f32_e32 v10, v23, v26
	v_fma_f32 v12, v26, v23, -v10
	v_fmac_f32_e32 v12, v26, v24
	v_sub_f32_e32 v11, v11, v9
	v_add_f32_e32 v23, v8, v11
	v_add_f32_e32 v8, v10, v12
	v_sub_f32_e32 v11, v9, v8
	v_pk_add_f32 v[14:15], v[8:9], v[10:11] neg_lo:[0,1] neg_hi:[0,1]
	v_mov_b32_e32 v13, v8
	v_pk_add_f32 v[8:9], v[14:15], v[12:13] neg_lo:[0,1] neg_hi:[0,1]
	s_or_b64 vcc, s[52:53], vcc
	v_add_f32_e32 v9, v23, v9
	v_add_f32_e32 v8, v8, v9
	;; [unrolled: 1-line block ×4, first 2 shown]
	v_sub_f32_e32 v10, v9, v27
	v_mul_f32_e32 v8, v25, v8
	v_sub_f32_e32 v10, v26, v10
	v_add_f32_e32 v10, v10, v8
	v_add_f32_e32 v12, v9, v10
	v_mul_f32_e32 v13, v12, v12
	v_fmamk_f32 v8, v13, 0x3e9b6dac, v40
	v_fmaak_f32 v43, v13, v8, 0x3f2aaada
	v_cvt_f32_i32_e32 v8, v22
	v_sub_f32_e32 v9, v12, v9
	v_sub_f32_e32 v9, v10, v9
	v_ldexp_f32 v14, v9, 1
	v_mul_f32_e32 v9, v12, v13
	v_ldexp_f32 v11, v12, 1
	v_pk_mul_f32 v[12:13], v[8:9], v[42:43]
	s_nop 0
	v_fma_f32 v10, v8, s56, -v12
	v_fmac_f32_e32 v10, 0xb102e308, v8
	v_pk_add_f32 v[8:9], v[12:13], v[10:11]
	s_nop 0
	v_sub_f32_e32 v11, v9, v11
	v_sub_f32_e32 v11, v13, v11
	v_add_f32_e32 v15, v14, v11
	v_mov_b32_e32 v14, v12
	v_pk_add_f32 v[12:13], v[8:9], v[12:13] neg_lo:[0,1] neg_hi:[0,1]
	v_pk_add_f32 v[22:23], v[8:9], v[14:15]
	v_mov_b32_e32 v11, v8
	v_mov_b32_e32 v13, v23
	v_pk_add_f32 v[24:25], v[10:11], v[12:13] neg_lo:[0,1] neg_hi:[0,1]
	v_pk_add_f32 v[10:11], v[10:11], v[12:13]
	v_mov_b32_e32 v14, v15
	v_mov_b32_e32 v12, v11
	v_pk_add_f32 v[26:27], v[12:13], v[8:9] neg_lo:[0,1] neg_hi:[0,1]
	v_mov_b32_e32 v10, v23
	v_mov_b32_e32 v13, v26
	v_pk_add_f32 v[28:29], v[22:23], v[12:13] neg_lo:[0,1] neg_hi:[0,1]
	v_mov_b32_e32 v22, v9
	v_mov_b32_e32 v23, v26
	;; [unrolled: 1-line block ×3, first 2 shown]
	v_pk_add_f32 v[10:11], v[10:11], v[22:23] neg_lo:[0,1] neg_hi:[0,1]
	v_mov_b32_e32 v15, v8
	v_pk_add_f32 v[8:9], v[14:15], v[10:11] neg_lo:[0,1] neg_hi:[0,1]
	v_mov_b32_e32 v28, v24
	v_pk_add_f32 v[10:11], v[28:29], v[8:9]
	s_nop 0
	v_mov_b32_e32 v14, v11
	v_pk_add_f32 v[14:15], v[10:11], v[14:15]
	s_nop 0
	v_pk_add_f32 v[12:13], v[12:13], v[14:15]
	v_mov_b32_e32 v9, v14
	v_mov_b32_e32 v11, v12
	v_pk_add_f32 v[22:23], v[10:11], v[24:25] neg_lo:[0,1] neg_hi:[0,1]
	s_nop 0
	v_sub_f32_e32 v10, v10, v22
	v_pk_add_f32 v[8:9], v[8:9], v[22:23] neg_lo:[0,1] neg_hi:[0,1]
	v_sub_f32_e32 v10, v24, v10
	v_add_f32_e32 v8, v8, v10
	v_add_f32_e32 v8, v8, v9
	;; [unrolled: 1-line block ×3, first 2 shown]
	v_cndmask_b32_e32 v23, v8, v30, vcc
.LBB118_107:                            ;   in Loop: Header=BB118_13 Depth=1
	s_or_b64 exec, exec, s[54:55]
	v_cvt_f32_f16_e32 v8, v7
	v_cvt_f32_f16_sdwa v9, v6 dst_sel:DWORD dst_unused:UNUSED_PAD src0_sel:WORD_1
	v_cvt_f32_f16_e32 v6, v6
	v_cvt_f32_f16_sdwa v11, v7 dst_sel:DWORD dst_unused:UNUSED_PAD src0_sel:WORD_1
	v_cvt_f32_f16_sdwa v7, v5 dst_sel:DWORD dst_unused:UNUSED_PAD src0_sel:WORD_1
	v_cvt_f32_f16_e32 v5, v5
	v_cvt_f32_f16_sdwa v10, v4 dst_sel:DWORD dst_unused:UNUSED_PAD src0_sel:WORD_1
	v_cvt_f32_f16_e32 v4, v4
	;; [unrolled: 2-line block ×6, first 2 shown]
	v_readlane_b32 s0, v95, 3
	s_waitcnt lgkmcnt(0)
	; wave barrier
	s_nop 0
	v_mul_f32_e32 v24, s0, v8
	v_mul_f32_e32 v27, s0, v9
	;; [unrolled: 1-line block ×16, first 2 shown]
	v_readlane_b32 s0, v95, 30
	v_readlane_b32 s1, v95, 31
	s_and_b64 vcc, exec, s[0:1]
	s_cbranch_vccz .LBB118_200
; %bb.108:                              ;   in Loop: Header=BB118_13 Depth=1
	v_mul_f32_e32 v78, v70, v0
	scratch_load_dword v0, off, off offset:248 ; 4-byte Folded Reload
	v_readlane_b32 s0, v95, 7
	v_readlane_b32 s1, v95, 8
	scratch_store_dwordx2 off, v[42:43], off offset:164 ; 8-byte Folded Spill
	v_mul_f32_e32 v8, v56, v8
	v_lshl_add_u64 v[40:41], s[0:1], 0, v[16:17]
	v_readlane_b32 s0, v95, 21
	v_readlane_b32 s1, v95, 22
	v_mul_f32_e32 v6, v93, v6
	v_mul_f32_e32 v5, v91, v5
	v_lshl_add_u64 v[42:43], s[0:1], 0, v[16:17]
	v_readlane_b32 s1, v95, 51
	s_cmp_lg_u32 s1, 0
	v_readlane_b32 s0, v95, 44
	s_cselect_b64 s[86:87], -1, 0
	s_cmp_eq_u32 s1, s0
	v_readlane_b32 s0, v95, 33
	v_readlane_b32 s1, v95, 34
	s_cselect_b64 s[90:91], -1, 0
	s_mov_b32 s92, 0
	v_mul_f32_e32 v11, v23, v11
	scratch_store_dword off, v8, off offset:72 ; 4-byte Folded Spill
	v_mul_f32_e32 v8, v94, v9
	scratch_store_dword off, v6, off offset:80 ; 4-byte Folded Spill
	;; [unrolled: 2-line block ×3, first 2 shown]
	v_mul_f32_e32 v5, v90, v10
	v_mul_f32_e32 v63, v89, v4
	;; [unrolled: 1-line block ×9, first 2 shown]
	s_mov_b32 s96, s92
	s_mov_b32 s94, s92
	;; [unrolled: 1-line block ×3, first 2 shown]
	scratch_store_dword off, v11, off offset:68 ; 4-byte Folded Spill
	scratch_store_dword off, v8, off offset:76 ; 4-byte Folded Spill
	;; [unrolled: 1-line block ×4, first 2 shown]
	s_waitcnt vmcnt(8)
	v_cmp_gt_u32_e32 vcc, s82, v0
	scratch_load_dword v0, off, off offset:252 ; 4-byte Folded Reload
	s_or_b64 s[52:53], s[0:1], vcc
	s_waitcnt vmcnt(0)
	v_cmp_gt_u32_e32 vcc, s82, v0
	scratch_load_dword v0, off, off offset:256 ; 4-byte Folded Reload
	s_or_b64 s[54:55], s[0:1], vcc
	;; [unrolled: 4-line block ×15, first 2 shown]
	s_waitcnt vmcnt(0)
	v_cmp_gt_u32_e32 vcc, s82, v0
	s_or_b64 s[82:83], s[0:1], vcc
	v_readlane_b32 s0, v95, 29
	v_readlane_b32 s1, v95, 47
	s_branch .LBB118_110
.LBB118_109:                            ;   in Loop: Header=BB118_110 Depth=2
	s_or_b64 exec, exec, s[84:85]
	v_mul_f32_e32 v44, v79, v60
	v_fma_f32 v45, v79, v61, v8
	v_cndmask_b32_e64 v8, v45, v8, s[16:17]
	v_cndmask_b32_e64 v44, v44, v79, s[16:17]
	s_waitcnt lgkmcnt(0)
	v_fmac_f32_e32 v8, v54, v44
	v_fmac_f32_e32 v9, v8, v80
	v_fmac_f32_e32 v10, v9, v81
	v_fmac_f32_e32 v11, v10, v82
	v_fmac_f32_e32 v12, v11, v83
	v_fmac_f32_e32 v13, v12, v84
	v_fmac_f32_e32 v14, v13, v85
	v_fmac_f32_e32 v15, v14, v86
	v_fmac_f32_e32 v48, v15, v65
	v_fmac_f32_e32 v49, v48, v71
	v_fmac_f32_e32 v50, v49, v22
	v_fmac_f32_e32 v51, v50, v87
	v_fmac_f32_e32 v46, v51, v57
	v_readlane_b32 s4, v95, 23
	v_fmac_f32_e32 v47, v46, v16
	v_readlane_b32 s5, v95, 24
	v_readlane_b32 s6, v95, 25
	;; [unrolled: 1-line block ×3, first 2 shown]
	v_fmac_f32_e32 v52, v47, v58
	s_add_i32 s98, s98, s6
	v_readlane_b32 s4, v95, 17
	v_fmac_f32_e32 v53, v52, v59
	v_cvt_f32_f16_sdwa v45, v4 dst_sel:DWORD dst_unused:UNUSED_PAD src0_sel:WORD_1
	v_cvt_f32_f16_sdwa v55, v5 dst_sel:DWORD dst_unused:UNUSED_PAD src0_sel:WORD_1
	v_cvt_f32_f16_e32 v44, v4
	v_cvt_f32_f16_e32 v54, v5
	v_cvt_f32_f16_sdwa v5, v6 dst_sel:DWORD dst_unused:UNUSED_PAD src0_sel:WORD_1
	v_cvt_f32_f16_sdwa v59, v7 dst_sel:DWORD dst_unused:UNUSED_PAD src0_sel:WORD_1
	v_cvt_f32_f16_e32 v4, v6
	v_cvt_f32_f16_e32 v58, v7
	;; [unrolled: 4-line block ×4, first 2 shown]
	v_readlane_b32 s5, v95, 18
	v_readlane_b32 s6, v95, 19
	v_readlane_b32 s7, v95, 20
	s_add_i32 s94, s94, s4
	v_readlane_b32 s4, v95, 9
	v_readlane_b32 s5, v95, 10
	;; [unrolled: 1-line block ×3, first 2 shown]
	s_add_i32 s1, s1, 8
	s_add_i32 s0, s0, -1
	s_add_i32 s96, s96, s8
	s_add_i32 s92, s92, s5
	v_pk_fma_f32 v[36:37], v[10:11], v[54:55], v[36:37]
	v_pk_fma_f32 v[38:39], v[8:9], v[44:45], v[38:39]
	v_pk_fma_f32 v[32:33], v[14:15], v[58:59], v[32:33]
	v_pk_fma_f32 v[34:35], v[12:13], v[4:5], v[34:35]
	v_pk_fma_f32 v[28:29], v[50:51], v[60:61], v[28:29]
	v_pk_fma_f32 v[30:31], v[48:49], v[6:7], v[30:31]
	v_pk_fma_f32 v[24:25], v[52:53], v[80:81], v[24:25]
	s_cmp_eq_u32 s0, 0
	v_pk_fma_f32 v[26:27], v[46:47], v[0:1], v[26:27]
	v_readlane_b32 s6, v95, 11
	v_readlane_b32 s7, v95, 12
	;; [unrolled: 1-line block ×5, first 2 shown]
	s_cbranch_scc1 .LBB118_199
.LBB118_110:                            ;   Parent Loop BB118_13 Depth=1
                                        ; =>  This Inner Loop Header: Depth=2
	s_lshl_b64 s[84:85], s[92:93], 2
	s_add_u32 s84, s99, s84
	v_readlane_b32 s4, v95, 6
	s_addc_u32 s85, s4, s85
	global_load_dword v46, v17, s[84:85]
	s_mov_b32 s97, s93
	v_lshl_add_u64 v[0:1], s[96:97], 1, v[40:41]
	v_mov_b32_e32 v2, 0
	v_mov_b32_e32 v3, 0
	s_and_saveexec_b64 s[84:85], s[18:19]
	s_cbranch_execnz .LBB118_146
; %bb.111:                              ;   in Loop: Header=BB118_110 Depth=2
	s_or_b64 exec, exec, s[84:85]
	s_and_saveexec_b64 s[84:85], s[20:21]
	s_cbranch_execnz .LBB118_147
.LBB118_112:                            ;   in Loop: Header=BB118_110 Depth=2
	s_or_b64 exec, exec, s[84:85]
	v_mov_b32_e32 v4, 0
	s_and_saveexec_b64 s[84:85], s[22:23]
	s_cbranch_execnz .LBB118_148
.LBB118_113:                            ;   in Loop: Header=BB118_110 Depth=2
	s_or_b64 exec, exec, s[84:85]
	s_and_saveexec_b64 s[84:85], s[24:25]
	s_cbranch_execnz .LBB118_149
.LBB118_114:                            ;   in Loop: Header=BB118_110 Depth=2
	s_or_b64 exec, exec, s[84:85]
	v_mov_b32_e32 v5, 0
	s_and_saveexec_b64 s[84:85], s[26:27]
	s_cbranch_execnz .LBB118_150
.LBB118_115:                            ;   in Loop: Header=BB118_110 Depth=2
	s_or_b64 exec, exec, s[84:85]
	s_and_saveexec_b64 s[84:85], s[28:29]
	s_cbranch_execnz .LBB118_151
.LBB118_116:                            ;   in Loop: Header=BB118_110 Depth=2
	s_or_b64 exec, exec, s[84:85]
	v_mov_b32_e32 v6, 0
	s_and_saveexec_b64 s[84:85], s[30:31]
	s_cbranch_execnz .LBB118_152
.LBB118_117:                            ;   in Loop: Header=BB118_110 Depth=2
	s_or_b64 exec, exec, s[84:85]
	s_and_saveexec_b64 s[84:85], s[34:35]
	s_cbranch_execnz .LBB118_153
.LBB118_118:                            ;   in Loop: Header=BB118_110 Depth=2
	s_or_b64 exec, exec, s[84:85]
	v_mov_b32_e32 v7, 0
	s_and_saveexec_b64 s[84:85], s[36:37]
	s_cbranch_execnz .LBB118_154
.LBB118_119:                            ;   in Loop: Header=BB118_110 Depth=2
	s_or_b64 exec, exec, s[84:85]
	s_and_saveexec_b64 s[84:85], s[38:39]
	s_cbranch_execnz .LBB118_155
.LBB118_120:                            ;   in Loop: Header=BB118_110 Depth=2
	s_or_b64 exec, exec, s[84:85]
	v_mov_b32_e32 v8, 0
	s_and_saveexec_b64 s[84:85], s[40:41]
	s_cbranch_execnz .LBB118_156
.LBB118_121:                            ;   in Loop: Header=BB118_110 Depth=2
	s_or_b64 exec, exec, s[84:85]
	s_and_saveexec_b64 s[84:85], s[42:43]
	s_cbranch_execnz .LBB118_157
.LBB118_122:                            ;   in Loop: Header=BB118_110 Depth=2
	s_or_b64 exec, exec, s[84:85]
	v_mov_b32_e32 v9, 0
	s_and_saveexec_b64 s[84:85], s[44:45]
	s_cbranch_execnz .LBB118_158
.LBB118_123:                            ;   in Loop: Header=BB118_110 Depth=2
	s_or_b64 exec, exec, s[84:85]
	s_and_saveexec_b64 s[84:85], s[46:47]
	s_cbranch_execnz .LBB118_159
.LBB118_124:                            ;   in Loop: Header=BB118_110 Depth=2
	s_or_b64 exec, exec, s[84:85]
	v_mov_b32_e32 v10, 0
	s_and_saveexec_b64 s[84:85], s[48:49]
	s_cbranch_execnz .LBB118_160
.LBB118_125:                            ;   in Loop: Header=BB118_110 Depth=2
	s_or_b64 exec, exec, s[84:85]
	s_and_saveexec_b64 s[84:85], s[50:51]
	s_cbranch_execz .LBB118_127
.LBB118_126:                            ;   in Loop: Header=BB118_110 Depth=2
	global_load_ushort v0, v[0:1], off offset:1920
	s_waitcnt vmcnt(0)
	v_lshl_or_b32 v10, v0, 16, v10
.LBB118_127:                            ;   in Loop: Header=BB118_110 Depth=2
	s_or_b64 exec, exec, s[84:85]
	scratch_load_dword v0, off, off offset:4 ; 4-byte Folded Reload
	s_mov_b32 s95, s93
	s_waitcnt vmcnt(0)
	ds_write_b16 v0, v3
	scratch_load_dword v0, off, off offset:8 ; 4-byte Folded Reload
	v_mov_b32_e32 v3, 0
	s_waitcnt vmcnt(0)
	ds_write_b16 v0, v2 offset:128
	scratch_load_dword v0, off, off offset:12 ; 4-byte Folded Reload
	v_mov_b32_e32 v2, 0
	s_waitcnt vmcnt(0)
	ds_write_b16 v0, v4 offset:256
	scratch_load_dword v0, off, off offset:16 ; 4-byte Folded Reload
	s_waitcnt vmcnt(0)
	ds_write_b16_d16_hi v0, v4 offset:384
	scratch_load_dword v0, off, off offset:20 ; 4-byte Folded Reload
	s_waitcnt vmcnt(0)
	ds_write_b16 v0, v5 offset:512
	scratch_load_dword v0, off, off offset:24 ; 4-byte Folded Reload
	s_waitcnt vmcnt(0)
	ds_write_b16_d16_hi v0, v5 offset:640
	scratch_load_dword v0, off, off offset:28 ; 4-byte Folded Reload
	;; [unrolled: 6-line block ×6, first 2 shown]
	s_waitcnt vmcnt(0)
	ds_write_b16 v0, v10 offset:1792
	scratch_load_dword v0, off, off offset:64 ; 4-byte Folded Reload
	s_waitcnt vmcnt(0)
	ds_write_b16_d16_hi v0, v10 offset:1920
	; wave barrier
	scratch_load_dword v0, off, off         ; 4-byte Folded Reload
	s_waitcnt vmcnt(0)
	ds_read_b128 v[12:15], v0
	ds_read_b128 v[8:11], v0 offset:16
	v_lshl_add_u64 v[0:1], s[94:95], 1, v[42:43]
	s_and_saveexec_b64 s[84:85], s[18:19]
	s_cbranch_execnz .LBB118_161
; %bb.128:                              ;   in Loop: Header=BB118_110 Depth=2
	s_or_b64 exec, exec, s[84:85]
	s_and_saveexec_b64 s[84:85], s[20:21]
	s_cbranch_execnz .LBB118_162
.LBB118_129:                            ;   in Loop: Header=BB118_110 Depth=2
	s_or_b64 exec, exec, s[84:85]
	v_mov_b32_e32 v4, 0
	s_and_saveexec_b64 s[84:85], s[22:23]
	s_cbranch_execnz .LBB118_163
.LBB118_130:                            ;   in Loop: Header=BB118_110 Depth=2
	s_or_b64 exec, exec, s[84:85]
	s_and_saveexec_b64 s[84:85], s[24:25]
	s_cbranch_execnz .LBB118_164
.LBB118_131:                            ;   in Loop: Header=BB118_110 Depth=2
	s_or_b64 exec, exec, s[84:85]
	v_mov_b32_e32 v5, 0
	s_and_saveexec_b64 s[84:85], s[26:27]
	s_cbranch_execnz .LBB118_165
.LBB118_132:                            ;   in Loop: Header=BB118_110 Depth=2
	s_or_b64 exec, exec, s[84:85]
	s_and_saveexec_b64 s[84:85], s[28:29]
	s_cbranch_execnz .LBB118_166
.LBB118_133:                            ;   in Loop: Header=BB118_110 Depth=2
	s_or_b64 exec, exec, s[84:85]
	v_mov_b32_e32 v6, 0
	s_and_saveexec_b64 s[84:85], s[30:31]
	s_cbranch_execnz .LBB118_167
.LBB118_134:                            ;   in Loop: Header=BB118_110 Depth=2
	s_or_b64 exec, exec, s[84:85]
	s_and_saveexec_b64 s[84:85], s[34:35]
	s_cbranch_execnz .LBB118_168
.LBB118_135:                            ;   in Loop: Header=BB118_110 Depth=2
	s_or_b64 exec, exec, s[84:85]
	v_mov_b32_e32 v7, 0
	s_and_saveexec_b64 s[84:85], s[36:37]
	s_cbranch_execnz .LBB118_169
.LBB118_136:                            ;   in Loop: Header=BB118_110 Depth=2
	s_or_b64 exec, exec, s[84:85]
	s_and_saveexec_b64 s[84:85], s[38:39]
	s_cbranch_execnz .LBB118_170
.LBB118_137:                            ;   in Loop: Header=BB118_110 Depth=2
	s_or_b64 exec, exec, s[84:85]
	v_mov_b32_e32 v16, 0
	s_and_saveexec_b64 s[84:85], s[40:41]
	s_cbranch_execnz .LBB118_171
.LBB118_138:                            ;   in Loop: Header=BB118_110 Depth=2
	s_or_b64 exec, exec, s[84:85]
	s_and_saveexec_b64 s[84:85], s[42:43]
	s_cbranch_execnz .LBB118_172
.LBB118_139:                            ;   in Loop: Header=BB118_110 Depth=2
	s_or_b64 exec, exec, s[84:85]
	v_mov_b32_e32 v22, 0
	s_and_saveexec_b64 s[84:85], s[44:45]
	s_cbranch_execnz .LBB118_173
.LBB118_140:                            ;   in Loop: Header=BB118_110 Depth=2
	s_or_b64 exec, exec, s[84:85]
	s_and_saveexec_b64 s[84:85], s[46:47]
	s_cbranch_execnz .LBB118_174
.LBB118_141:                            ;   in Loop: Header=BB118_110 Depth=2
	s_or_b64 exec, exec, s[84:85]
	v_mov_b32_e32 v44, 0
	s_and_saveexec_b64 s[84:85], s[48:49]
	s_cbranch_execnz .LBB118_175
.LBB118_142:                            ;   in Loop: Header=BB118_110 Depth=2
	s_or_b64 exec, exec, s[84:85]
	s_and_saveexec_b64 s[84:85], s[50:51]
	s_cbranch_execz .LBB118_144
.LBB118_143:                            ;   in Loop: Header=BB118_110 Depth=2
	global_load_ushort v0, v[0:1], off offset:1920
	s_waitcnt vmcnt(0)
	v_lshl_or_b32 v44, v0, 16, v44
.LBB118_144:                            ;   in Loop: Header=BB118_110 Depth=2
	s_or_b64 exec, exec, s[84:85]
	scratch_load_dword v0, off, off offset:4 ; 4-byte Folded Reload
	s_andn2_b64 vcc, exec, s[86:87]
	s_waitcnt vmcnt(0)
	ds_write_b16 v0, v3 offset:2112
	scratch_load_dword v0, off, off offset:96 ; 4-byte Folded Reload
	s_waitcnt vmcnt(0)
	ds_write_b16 v0, v2 offset:128
	scratch_load_dword v0, off, off offset:100 ; 4-byte Folded Reload
	;; [unrolled: 3-line block ×3, first 2 shown]
	s_waitcnt vmcnt(0)
	ds_write_b16_d16_hi v0, v4 offset:384
	scratch_load_dword v0, off, off offset:108 ; 4-byte Folded Reload
	s_waitcnt vmcnt(0)
	ds_write_b16 v0, v5 offset:512
	scratch_load_dword v0, off, off offset:112 ; 4-byte Folded Reload
	s_waitcnt vmcnt(0)
	ds_write_b16_d16_hi v0, v5 offset:640
	scratch_load_dword v0, off, off offset:116 ; 4-byte Folded Reload
	s_waitcnt vmcnt(0)
	ds_write_b16 v0, v6 offset:768
	scratch_load_dword v0, off, off offset:120 ; 4-byte Folded Reload
	s_waitcnt vmcnt(0)
	ds_write_b16_d16_hi v0, v6 offset:896
	scratch_load_dword v0, off, off offset:124 ; 4-byte Folded Reload
	s_waitcnt vmcnt(0)
	ds_write_b16 v0, v7 offset:1024
	scratch_load_dword v0, off, off offset:128 ; 4-byte Folded Reload
	s_waitcnt vmcnt(0)
	ds_write_b16_d16_hi v0, v7 offset:1152
	scratch_load_dword v0, off, off offset:132 ; 4-byte Folded Reload
	s_waitcnt vmcnt(0)
	ds_write_b16 v0, v16 offset:1280
	scratch_load_dword v0, off, off offset:136 ; 4-byte Folded Reload
	s_waitcnt vmcnt(0)
	ds_write_b16_d16_hi v0, v16 offset:1408
	scratch_load_dword v0, off, off offset:140 ; 4-byte Folded Reload
	s_waitcnt vmcnt(0)
	ds_write_b16 v0, v22 offset:1536
	scratch_load_dword v0, off, off offset:144 ; 4-byte Folded Reload
	s_waitcnt vmcnt(0)
	ds_write_b16_d16_hi v0, v22 offset:1664
	scratch_load_dword v0, off, off offset:148 ; 4-byte Folded Reload
	s_waitcnt vmcnt(0)
	ds_write_b16 v0, v44 offset:1792
	scratch_load_dword v0, off, off offset:152 ; 4-byte Folded Reload
	s_waitcnt vmcnt(0)
	ds_write_b16_d16_hi v0, v44 offset:1920
	; wave barrier
	scratch_load_dword v0, off, off         ; 4-byte Folded Reload
	s_waitcnt vmcnt(0)
	ds_read_b128 v[4:7], v0 offset:2112
	scratch_load_dword v0, off, off offset:156 ; 4-byte Folded Reload
	s_waitcnt vmcnt(0)
	ds_read_b128 v[0:3], v0 offset:16
	s_cbranch_vccnz .LBB118_176
; %bb.145:                              ;   in Loop: Header=BB118_110 Depth=2
	v_mov_b32_e32 v16, s1
	ds_read_b64 v[44:45], v16
	s_cbranch_execz .LBB118_177
	s_branch .LBB118_180
.LBB118_146:                            ;   in Loop: Header=BB118_110 Depth=2
	global_load_ushort v3, v[0:1], off
	s_or_b64 exec, exec, s[84:85]
	s_and_saveexec_b64 s[84:85], s[20:21]
	s_cbranch_execz .LBB118_112
.LBB118_147:                            ;   in Loop: Header=BB118_110 Depth=2
	global_load_ushort v2, v[0:1], off offset:128
	s_or_b64 exec, exec, s[84:85]
	v_mov_b32_e32 v4, 0
	s_and_saveexec_b64 s[84:85], s[22:23]
	s_cbranch_execz .LBB118_113
.LBB118_148:                            ;   in Loop: Header=BB118_110 Depth=2
	global_load_ushort v4, v[0:1], off offset:256
	s_or_b64 exec, exec, s[84:85]
	s_and_saveexec_b64 s[84:85], s[24:25]
	s_cbranch_execz .LBB118_114
.LBB118_149:                            ;   in Loop: Header=BB118_110 Depth=2
	global_load_ushort v5, v[0:1], off offset:384
	s_waitcnt vmcnt(0)
	v_lshl_or_b32 v4, v5, 16, v4
	s_or_b64 exec, exec, s[84:85]
	v_mov_b32_e32 v5, 0
	s_and_saveexec_b64 s[84:85], s[26:27]
	s_cbranch_execz .LBB118_115
.LBB118_150:                            ;   in Loop: Header=BB118_110 Depth=2
	global_load_ushort v5, v[0:1], off offset:512
	s_or_b64 exec, exec, s[84:85]
	s_and_saveexec_b64 s[84:85], s[28:29]
	s_cbranch_execz .LBB118_116
.LBB118_151:                            ;   in Loop: Header=BB118_110 Depth=2
	global_load_ushort v6, v[0:1], off offset:640
	s_waitcnt vmcnt(0)
	v_lshl_or_b32 v5, v6, 16, v5
	s_or_b64 exec, exec, s[84:85]
	v_mov_b32_e32 v6, 0
	s_and_saveexec_b64 s[84:85], s[30:31]
	s_cbranch_execz .LBB118_117
.LBB118_152:                            ;   in Loop: Header=BB118_110 Depth=2
	global_load_ushort v6, v[0:1], off offset:768
	s_or_b64 exec, exec, s[84:85]
	s_and_saveexec_b64 s[84:85], s[34:35]
	s_cbranch_execz .LBB118_118
.LBB118_153:                            ;   in Loop: Header=BB118_110 Depth=2
	global_load_ushort v7, v[0:1], off offset:896
	s_waitcnt vmcnt(0)
	v_lshl_or_b32 v6, v7, 16, v6
	s_or_b64 exec, exec, s[84:85]
	v_mov_b32_e32 v7, 0
	s_and_saveexec_b64 s[84:85], s[36:37]
	s_cbranch_execz .LBB118_119
.LBB118_154:                            ;   in Loop: Header=BB118_110 Depth=2
	global_load_ushort v7, v[0:1], off offset:1024
	s_or_b64 exec, exec, s[84:85]
	s_and_saveexec_b64 s[84:85], s[38:39]
	s_cbranch_execz .LBB118_120
.LBB118_155:                            ;   in Loop: Header=BB118_110 Depth=2
	global_load_ushort v8, v[0:1], off offset:1152
	s_waitcnt vmcnt(0)
	v_lshl_or_b32 v7, v8, 16, v7
	s_or_b64 exec, exec, s[84:85]
	v_mov_b32_e32 v8, 0
	s_and_saveexec_b64 s[84:85], s[40:41]
	s_cbranch_execz .LBB118_121
.LBB118_156:                            ;   in Loop: Header=BB118_110 Depth=2
	global_load_ushort v8, v[0:1], off offset:1280
	s_or_b64 exec, exec, s[84:85]
	s_and_saveexec_b64 s[84:85], s[42:43]
	s_cbranch_execz .LBB118_122
.LBB118_157:                            ;   in Loop: Header=BB118_110 Depth=2
	global_load_ushort v9, v[0:1], off offset:1408
	s_waitcnt vmcnt(0)
	v_lshl_or_b32 v8, v9, 16, v8
	s_or_b64 exec, exec, s[84:85]
	v_mov_b32_e32 v9, 0
	s_and_saveexec_b64 s[84:85], s[44:45]
	s_cbranch_execz .LBB118_123
.LBB118_158:                            ;   in Loop: Header=BB118_110 Depth=2
	global_load_ushort v9, v[0:1], off offset:1536
	s_or_b64 exec, exec, s[84:85]
	s_and_saveexec_b64 s[84:85], s[46:47]
	s_cbranch_execz .LBB118_124
.LBB118_159:                            ;   in Loop: Header=BB118_110 Depth=2
	global_load_ushort v10, v[0:1], off offset:1664
	s_waitcnt vmcnt(0)
	v_lshl_or_b32 v9, v10, 16, v9
	s_or_b64 exec, exec, s[84:85]
	v_mov_b32_e32 v10, 0
	s_and_saveexec_b64 s[84:85], s[48:49]
	s_cbranch_execz .LBB118_125
.LBB118_160:                            ;   in Loop: Header=BB118_110 Depth=2
	global_load_ushort v10, v[0:1], off offset:1792
	s_or_b64 exec, exec, s[84:85]
	s_and_saveexec_b64 s[84:85], s[50:51]
	s_cbranch_execnz .LBB118_126
	s_branch .LBB118_127
.LBB118_161:                            ;   in Loop: Header=BB118_110 Depth=2
	global_load_ushort v3, v[0:1], off
	s_or_b64 exec, exec, s[84:85]
	s_and_saveexec_b64 s[84:85], s[20:21]
	s_cbranch_execz .LBB118_129
.LBB118_162:                            ;   in Loop: Header=BB118_110 Depth=2
	global_load_ushort v2, v[0:1], off offset:128
	s_or_b64 exec, exec, s[84:85]
	v_mov_b32_e32 v4, 0
	s_and_saveexec_b64 s[84:85], s[22:23]
	s_cbranch_execz .LBB118_130
.LBB118_163:                            ;   in Loop: Header=BB118_110 Depth=2
	global_load_ushort v4, v[0:1], off offset:256
	s_or_b64 exec, exec, s[84:85]
	s_and_saveexec_b64 s[84:85], s[24:25]
	s_cbranch_execz .LBB118_131
.LBB118_164:                            ;   in Loop: Header=BB118_110 Depth=2
	global_load_ushort v5, v[0:1], off offset:384
	s_waitcnt vmcnt(0)
	v_lshl_or_b32 v4, v5, 16, v4
	s_or_b64 exec, exec, s[84:85]
	v_mov_b32_e32 v5, 0
	s_and_saveexec_b64 s[84:85], s[26:27]
	s_cbranch_execz .LBB118_132
.LBB118_165:                            ;   in Loop: Header=BB118_110 Depth=2
	global_load_ushort v5, v[0:1], off offset:512
	s_or_b64 exec, exec, s[84:85]
	s_and_saveexec_b64 s[84:85], s[28:29]
	s_cbranch_execz .LBB118_133
.LBB118_166:                            ;   in Loop: Header=BB118_110 Depth=2
	global_load_ushort v6, v[0:1], off offset:640
	s_waitcnt vmcnt(0)
	v_lshl_or_b32 v5, v6, 16, v5
	s_or_b64 exec, exec, s[84:85]
	v_mov_b32_e32 v6, 0
	s_and_saveexec_b64 s[84:85], s[30:31]
	s_cbranch_execz .LBB118_134
.LBB118_167:                            ;   in Loop: Header=BB118_110 Depth=2
	global_load_ushort v6, v[0:1], off offset:768
	s_or_b64 exec, exec, s[84:85]
	s_and_saveexec_b64 s[84:85], s[34:35]
	s_cbranch_execz .LBB118_135
.LBB118_168:                            ;   in Loop: Header=BB118_110 Depth=2
	global_load_ushort v7, v[0:1], off offset:896
	s_waitcnt vmcnt(0)
	v_lshl_or_b32 v6, v7, 16, v6
	s_or_b64 exec, exec, s[84:85]
	v_mov_b32_e32 v7, 0
	s_and_saveexec_b64 s[84:85], s[36:37]
	s_cbranch_execz .LBB118_136
.LBB118_169:                            ;   in Loop: Header=BB118_110 Depth=2
	global_load_ushort v7, v[0:1], off offset:1024
	s_or_b64 exec, exec, s[84:85]
	s_and_saveexec_b64 s[84:85], s[38:39]
	s_cbranch_execz .LBB118_137
.LBB118_170:                            ;   in Loop: Header=BB118_110 Depth=2
	global_load_ushort v16, v[0:1], off offset:1152
	s_waitcnt vmcnt(0)
	v_lshl_or_b32 v7, v16, 16, v7
	s_or_b64 exec, exec, s[84:85]
	v_mov_b32_e32 v16, 0
	s_and_saveexec_b64 s[84:85], s[40:41]
	s_cbranch_execz .LBB118_138
.LBB118_171:                            ;   in Loop: Header=BB118_110 Depth=2
	global_load_ushort v16, v[0:1], off offset:1280
	s_or_b64 exec, exec, s[84:85]
	s_and_saveexec_b64 s[84:85], s[42:43]
	s_cbranch_execz .LBB118_139
.LBB118_172:                            ;   in Loop: Header=BB118_110 Depth=2
	global_load_ushort v22, v[0:1], off offset:1408
	s_waitcnt vmcnt(0)
	v_lshl_or_b32 v16, v22, 16, v16
	s_or_b64 exec, exec, s[84:85]
	v_mov_b32_e32 v22, 0
	s_and_saveexec_b64 s[84:85], s[44:45]
	s_cbranch_execz .LBB118_140
.LBB118_173:                            ;   in Loop: Header=BB118_110 Depth=2
	global_load_ushort v22, v[0:1], off offset:1536
	s_or_b64 exec, exec, s[84:85]
	s_and_saveexec_b64 s[84:85], s[46:47]
	s_cbranch_execz .LBB118_141
.LBB118_174:                            ;   in Loop: Header=BB118_110 Depth=2
	global_load_ushort v44, v[0:1], off offset:1664
	s_waitcnt vmcnt(0)
	v_lshl_or_b32 v22, v44, 16, v22
	s_or_b64 exec, exec, s[84:85]
	v_mov_b32_e32 v44, 0
	s_and_saveexec_b64 s[84:85], s[48:49]
	s_cbranch_execz .LBB118_142
.LBB118_175:                            ;   in Loop: Header=BB118_110 Depth=2
	global_load_ushort v44, v[0:1], off offset:1792
	s_or_b64 exec, exec, s[84:85]
	s_and_saveexec_b64 s[84:85], s[50:51]
	s_cbranch_execnz .LBB118_143
	s_branch .LBB118_144
.LBB118_176:                            ;   in Loop: Header=BB118_110 Depth=2
                                        ; implicit-def: $vgpr45
.LBB118_177:                            ;   in Loop: Header=BB118_110 Depth=2
	v_readlane_b32 s84, v95, 0
	v_readlane_b32 s85, v95, 1
	s_andn2_b64 vcc, exec, s[84:85]
	s_waitcnt lgkmcnt(0)
	v_mov_b32_e32 v45, 0
	s_cbranch_vccnz .LBB118_179
; %bb.178:                              ;   in Loop: Header=BB118_110 Depth=2
	s_mov_b32 s99, s93
	s_lshl_b64 s[84:85], s[98:99], 2
	v_readlane_b32 s4, v95, 27
	s_add_u32 s84, s4, s84
	v_readlane_b32 s4, v95, 28
	s_addc_u32 s85, s4, s85
	global_load_dword v45, v17, s[84:85]
	v_readlane_b32 s99, v95, 48
.LBB118_179:                            ;   in Loop: Header=BB118_110 Depth=2
	v_mov_b32_e32 v44, 1.0
.LBB118_180:                            ;   in Loop: Header=BB118_110 Depth=2
	v_mul_f32_e32 v52, 0x3fb8aa3b, v46
	s_waitcnt lgkmcnt(14)
	v_cvt_f32_f16_e32 v49, v8
	v_cvt_f32_f16_sdwa v50, v8 dst_sel:DWORD dst_unused:UNUSED_PAD src0_sel:WORD_1
	v_mul_f32_e32 v8, v52, v70
	v_cmp_gt_f32_e32 vcc, s33, v8
	v_cvt_f32_f16_e32 v55, v10
	v_cvt_f32_f16_sdwa v58, v10 dst_sel:DWORD dst_unused:UNUSED_PAD src0_sel:WORD_1
	v_cndmask_b32_e32 v8, 0, v68, vcc
	v_mul_f32_e32 v10, v52, v19
	v_cvt_f32_f16_e32 v51, v9
	v_cvt_f32_f16_sdwa v54, v9 dst_sel:DWORD dst_unused:UNUSED_PAD src0_sel:WORD_1
	v_fmac_f32_e32 v8, v52, v70
	v_cndmask_b32_e32 v9, 1.0, v69, vcc
	v_cmp_gt_f32_e32 vcc, s33, v10
	v_exp_f32_e32 v8, v8
	v_cvt_f32_f16_e32 v16, v12
	v_cndmask_b32_e32 v10, 0, v68, vcc
	v_fmac_f32_e32 v10, v52, v19
	v_cvt_f32_f16_sdwa v12, v12 dst_sel:DWORD dst_unused:UNUSED_PAD src0_sel:WORD_1
	v_exp_f32_e32 v10, v10
	v_cvt_f32_f16_e32 v59, v11
	v_cvt_f32_f16_sdwa v53, v11 dst_sel:DWORD dst_unused:UNUSED_PAD src0_sel:WORD_1
	v_mul_f32_e32 v9, v8, v9
	v_mul_f32_e32 v11, v52, v20
	v_cndmask_b32_e64 v79, 1.0, v9, s[52:53]
	v_cndmask_b32_e32 v9, 1.0, v69, vcc
	v_cmp_gt_f32_e32 vcc, s33, v11
	v_mul_f32_e32 v10, v10, v9
	v_mul_f32_e32 v9, v77, v12
	v_cndmask_b32_e32 v11, 0, v68, vcc
	v_mul_f32_e32 v12, v52, v21
	v_fmac_f32_e32 v11, v52, v20
	v_cndmask_b32_e64 v80, 1.0, v10, s[54:55]
	v_cndmask_b32_e32 v10, 1.0, v69, vcc
	v_cmp_gt_f32_e32 vcc, s33, v12
	v_exp_f32_e32 v11, v11
	v_cvt_f32_f16_e32 v22, v13
	v_cndmask_b32_e32 v12, 0, v68, vcc
	v_fmac_f32_e32 v12, v52, v21
	v_cvt_f32_f16_sdwa v13, v13 dst_sel:DWORD dst_unused:UNUSED_PAD src0_sel:WORD_1
	v_exp_f32_e32 v12, v12
	v_mul_f32_e32 v11, v11, v10
	v_cndmask_b32_e64 v81, 1.0, v11, s[56:57]
	v_cndmask_b32_e32 v11, 1.0, v69, vcc
	v_mul_f32_e32 v12, v12, v11
	v_mul_f32_e32 v11, v75, v13
	;; [unrolled: 1-line block ×3, first 2 shown]
	v_cmp_gt_f32_e32 vcc, s33, v13
	v_mul_f32_e32 v8, v78, v16
	v_mul_f32_e32 v16, v52, v66
	v_cndmask_b32_e32 v13, 0, v68, vcc
	v_fmac_f32_e32 v13, v52, v18
	v_cndmask_b32_e64 v82, 1.0, v12, s[58:59]
	v_cndmask_b32_e32 v12, 1.0, v69, vcc
	v_cmp_gt_f32_e32 vcc, s33, v16
	v_exp_f32_e32 v13, v13
	v_cvt_f32_f16_e32 v47, v14
	v_cndmask_b32_e32 v16, 0, v68, vcc
	v_fmac_f32_e32 v16, v52, v66
	v_cvt_f32_f16_sdwa v14, v14 dst_sel:DWORD dst_unused:UNUSED_PAD src0_sel:WORD_1
	v_exp_f32_e32 v16, v16
	v_mul_f32_e32 v13, v13, v12
	v_cndmask_b32_e64 v83, 1.0, v13, s[60:61]
	v_cndmask_b32_e32 v13, 1.0, v69, vcc
	v_mul_f32_e32 v16, v16, v13
	v_mul_f32_e32 v13, v73, v14
	;; [unrolled: 1-line block ×3, first 2 shown]
	v_cmp_gt_f32_e32 vcc, s33, v14
	v_mul_f32_e32 v10, v76, v22
	v_mul_f32_e32 v22, v52, v88
	v_cndmask_b32_e32 v14, 0, v68, vcc
	v_fmac_f32_e32 v14, v52, v67
	v_cndmask_b32_e64 v84, 1.0, v16, s[62:63]
	v_cndmask_b32_e32 v16, 1.0, v69, vcc
	v_cmp_gt_f32_e32 vcc, s33, v22
	v_exp_f32_e32 v14, v14
	v_cvt_f32_f16_e32 v48, v15
	v_cndmask_b32_e32 v22, 0, v68, vcc
	v_fmac_f32_e32 v22, v52, v88
	v_exp_f32_e32 v22, v22
	v_mul_f32_e32 v16, v14, v16
	v_cndmask_b32_e64 v85, 1.0, v16, s[64:65]
	v_cndmask_b32_e32 v16, 1.0, v69, vcc
	v_mul_f32_e32 v16, v22, v16
	v_mul_f32_e32 v22, v52, v89
	v_cmp_gt_f32_e32 vcc, s33, v22
	v_cndmask_b32_e64 v86, 1.0, v16, s[66:67]
	v_mul_f32_e32 v14, v72, v48
	v_cndmask_b32_e32 v22, 0, v68, vcc
	v_fmac_f32_e32 v22, v52, v89
	v_exp_f32_e32 v22, v22
	v_cndmask_b32_e32 v16, 1.0, v69, vcc
	v_mul_f32_e32 v46, v52, v90
	v_cmp_gt_f32_e32 vcc, s33, v46
	v_mul_f32_e32 v16, v22, v16
	v_mul_f32_e32 v22, v63, v49
	v_cndmask_b32_e64 v48, 0, v22, s[68:69]
	scratch_load_dword v22, off, off offset:92 ; 4-byte Folded Reload
	v_cndmask_b32_e32 v46, 0, v68, vcc
	v_fmac_f32_e32 v46, v52, v90
	v_exp_f32_e32 v46, v46
	v_cndmask_b32_e64 v65, 1.0, v16, s[68:69]
	v_cndmask_b32_e32 v16, 1.0, v69, vcc
	v_mul_f32_e32 v12, v74, v47
	v_mul_f32_e32 v16, v46, v16
	;; [unrolled: 1-line block ×3, first 2 shown]
	v_cmp_gt_f32_e32 vcc, s33, v46
	v_cndmask_b32_e64 v71, 1.0, v16, s[70:71]
	v_mul_f32_e32 v47, v52, v93
	v_cndmask_b32_e32 v46, 0, v68, vcc
	v_fmac_f32_e32 v46, v52, v91
	v_exp_f32_e32 v46, v46
	v_cndmask_b32_e32 v16, 1.0, v69, vcc
	v_cndmask_b32_e64 v8, 0, v8, s[52:53]
	v_cndmask_b32_e64 v9, 0, v9, s[54:55]
	v_mul_f32_e32 v16, v46, v16
	v_mul_f32_e32 v46, v52, v92
	v_cmp_gt_f32_e32 vcc, s33, v46
	v_cvt_f32_f16_sdwa v15, v15 dst_sel:DWORD dst_unused:UNUSED_PAD src0_sel:WORD_1
	v_cndmask_b32_e64 v10, 0, v10, s[56:57]
	v_cndmask_b32_e32 v46, 0, v68, vcc
	v_fmac_f32_e32 v46, v52, v92
	v_exp_f32_e32 v46, v46
	v_cndmask_b32_e64 v11, 0, v11, s[58:59]
	v_cndmask_b32_e64 v12, 0, v12, s[60:61]
	;; [unrolled: 1-line block ×4, first 2 shown]
	v_mul_f32_e32 v15, v64, v15
	v_cndmask_b32_e64 v15, 0, v15, s[66:67]
	v_readlane_b32 s4, v95, 35
	v_readlane_b32 s5, v95, 36
	s_waitcnt vmcnt(0)
	v_mul_f32_e32 v22, v22, v50
	v_cndmask_b32_e64 v49, 0, v22, s[70:71]
	scratch_load_dword v22, off, off offset:88 ; 4-byte Folded Reload
	s_waitcnt vmcnt(0)
	v_mul_f32_e32 v22, v22, v51
	v_cndmask_b32_e64 v50, 0, v22, s[72:73]
	v_cndmask_b32_e64 v22, 1.0, v16, s[72:73]
	v_cndmask_b32_e32 v16, 1.0, v69, vcc
	v_mul_f32_e32 v16, v46, v16
	scratch_load_dword v46, off, off offset:84 ; 4-byte Folded Reload
	v_cmp_gt_f32_e32 vcc, s33, v47
	v_cndmask_b32_e64 v87, 1.0, v16, s[74:75]
	s_waitcnt vmcnt(0)
	v_mul_f32_e32 v46, v46, v54
	v_cndmask_b32_e64 v51, 0, v46, s[74:75]
	scratch_load_dword v46, off, off offset:80 ; 4-byte Folded Reload
	v_cndmask_b32_e32 v47, 0, v68, vcc
	v_fmac_f32_e32 v47, v52, v93
	v_exp_f32_e32 v47, v47
	v_cndmask_b32_e32 v16, 1.0, v69, vcc
	v_mul_f32_e32 v54, v52, v56
	v_mul_f32_e32 v16, v47, v16
	;; [unrolled: 1-line block ×3, first 2 shown]
	v_cmp_gt_f32_e32 vcc, s33, v47
	v_cndmask_b32_e64 v57, 1.0, v16, s[76:77]
	s_nop 0
	v_cndmask_b32_e32 v47, 0, v68, vcc
	v_fmac_f32_e32 v47, v52, v94
	v_cndmask_b32_e32 v16, 1.0, v69, vcc
	v_cmp_gt_f32_e32 vcc, s33, v54
	v_exp_f32_e32 v47, v47
	s_nop 0
	v_cndmask_b32_e32 v54, 0, v68, vcc
	v_fmac_f32_e32 v54, v52, v56
	v_exp_f32_e32 v54, v54
	v_mul_f32_e32 v16, v47, v16
	scratch_load_dword v47, off, off offset:76 ; 4-byte Folded Reload
	v_cndmask_b32_e64 v16, 1.0, v16, s[78:79]
	s_waitcnt vmcnt(1)
	v_mul_f32_e32 v46, v46, v55
	v_cndmask_b32_e32 v55, 1.0, v69, vcc
	v_mul_f32_e32 v54, v54, v55
	scratch_load_dword v55, off, off offset:72 ; 4-byte Folded Reload
	v_cndmask_b32_e64 v46, 0, v46, s[76:77]
	s_waitcnt vmcnt(1)
	v_mul_f32_e32 v47, v47, v58
	v_mul_f32_e32 v58, v52, v23
	v_cmp_gt_f32_e32 vcc, s33, v58
	v_cndmask_b32_e64 v47, 0, v47, s[78:79]
	s_waitcnt vmcnt(0)
	v_mul_f32_e32 v55, v55, v59
	v_cndmask_b32_e32 v58, 0, v68, vcc
	v_fmac_f32_e32 v58, v52, v23
	v_cndmask_b32_e64 v52, 0, v55, s[80:81]
	scratch_load_dword v55, off, off offset:68 ; 4-byte Folded Reload
	v_exp_f32_e32 v59, v58
	v_cndmask_b32_e64 v58, 1.0, v54, s[80:81]
	v_cndmask_b32_e32 v54, 1.0, v69, vcc
	v_mul_f32_e32 v54, v59, v54
	v_cndmask_b32_e64 v59, 1.0, v54, s[82:83]
	v_mul_f32_e32 v54, v80, v79
	v_mul_f32_e32 v54, v54, v81
	;; [unrolled: 1-line block ×15, first 2 shown]
	s_waitcnt vmcnt(0)
	v_mul_f32_e32 v53, v55, v53
	v_fma_f32 v55, v80, v8, v9
	v_fma_f32 v55, v55, v81, v10
	;; [unrolled: 1-line block ×13, first 2 shown]
	v_cndmask_b32_e64 v53, 0, v53, s[82:83]
	v_fma_f32 v55, v55, v58, v52
	v_fma_f32 v62, v55, v59, v53
	v_mov_b32_dpp v61, v54 row_shr:1 row_mask:0xf bank_mask:0xf
	s_nop 0
	v_mov_b32_dpp v60, v62 row_shr:1 row_mask:0xf bank_mask:0xf
	s_and_saveexec_b64 s[84:85], s[4:5]
; %bb.181:                              ;   in Loop: Header=BB118_110 Depth=2
	v_mul_f32_e32 v61, v54, v61
	v_fmac_f32_e32 v62, v54, v60
	v_mov_b32_e32 v54, v61
; %bb.182:                              ;   in Loop: Header=BB118_110 Depth=2
	s_or_b64 exec, exec, s[84:85]
	v_readlane_b32 s4, v95, 37
	v_mov_b32_dpp v60, v54 row_shr:2 row_mask:0xf bank_mask:0xf
	v_mov_b32_dpp v61, v62 row_shr:2 row_mask:0xf bank_mask:0xf
	v_readlane_b32 s5, v95, 38
	s_and_saveexec_b64 s[84:85], s[4:5]
; %bb.183:                              ;   in Loop: Header=BB118_110 Depth=2
	v_fmac_f32_e32 v62, v54, v61
	v_mul_f32_e32 v54, v54, v60
; %bb.184:                              ;   in Loop: Header=BB118_110 Depth=2
	s_or_b64 exec, exec, s[84:85]
	s_nop 0
	v_mov_b32_dpp v60, v54 row_shr:4 row_mask:0xf bank_mask:0xf
	v_mov_b32_dpp v61, v62 row_shr:4 row_mask:0xf bank_mask:0xf
	s_and_saveexec_b64 s[84:85], s[2:3]
; %bb.185:                              ;   in Loop: Header=BB118_110 Depth=2
	v_fmac_f32_e32 v62, v54, v61
	v_mul_f32_e32 v54, v54, v60
; %bb.186:                              ;   in Loop: Header=BB118_110 Depth=2
	s_or_b64 exec, exec, s[84:85]
	v_readlane_b32 s4, v95, 39
	v_mov_b32_dpp v60, v54 row_shr:8 row_mask:0xf bank_mask:0xf
	v_mov_b32_dpp v61, v62 row_shr:8 row_mask:0xf bank_mask:0xf
	v_readlane_b32 s5, v95, 40
	s_and_saveexec_b64 s[84:85], s[4:5]
; %bb.187:                              ;   in Loop: Header=BB118_110 Depth=2
	v_fmac_f32_e32 v62, v54, v61
	v_mul_f32_e32 v54, v54, v60
; %bb.188:                              ;   in Loop: Header=BB118_110 Depth=2
	s_or_b64 exec, exec, s[84:85]
	v_readlane_b32 s4, v95, 41
	v_mov_b32_dpp v60, v54 row_bcast:15 row_mask:0xf bank_mask:0xf
	v_mov_b32_dpp v61, v62 row_bcast:15 row_mask:0xf bank_mask:0xf
	v_readlane_b32 s5, v95, 42
	s_and_saveexec_b64 s[84:85], s[4:5]
; %bb.189:                              ;   in Loop: Header=BB118_110 Depth=2
	v_fmac_f32_e32 v62, v54, v61
	v_mul_f32_e32 v54, v54, v60
; %bb.190:                              ;   in Loop: Header=BB118_110 Depth=2
	s_or_b64 exec, exec, s[84:85]
	s_nop 0
	v_mov_b32_dpp v60, v54 row_bcast:31 row_mask:0xf bank_mask:0xf
	v_mov_b32_dpp v61, v62 row_bcast:31 row_mask:0xf bank_mask:0xf
	v_mov_b32_e32 v55, v62
	v_mul_f32_e32 v60, v54, v60
	v_fmac_f32_e32 v55, v54, v61
	v_readlane_b32 s4, v95, 45
	v_cndmask_b32_e64 v54, v54, v60, s[12:13]
	v_cndmask_b32_e64 v55, v62, v55, s[12:13]
	v_readlane_b32 s5, v95, 46
	s_and_saveexec_b64 s[84:85], s[4:5]
	s_cbranch_execz .LBB118_192
; %bb.191:                              ;   in Loop: Header=BB118_110 Depth=2
	ds_write_b64 v17, v[54:55] offset:4224
.LBB118_192:                            ;   in Loop: Header=BB118_110 Depth=2
	s_or_b64 exec, exec, s[84:85]
	scratch_load_dword v61, off, off offset:160 ; 4-byte Folded Reload
	s_waitcnt lgkmcnt(0)
	; wave barrier
	s_waitcnt vmcnt(0) lgkmcnt(0)
	ds_bpermute_b32 v60, v61, v54
	ds_bpermute_b32 v61, v61, v55
	v_mov_b32_e32 v55, v45
	s_and_saveexec_b64 s[84:85], s[14:15]
	s_cbranch_execz .LBB118_196
; %bb.193:                              ;   in Loop: Header=BB118_110 Depth=2
	ds_read_b64 v[54:55], v17 offset:4224
	s_and_saveexec_b64 s[88:89], s[16:17]
	s_cbranch_execz .LBB118_195
; %bb.194:                              ;   in Loop: Header=BB118_110 Depth=2
	ds_write_b64 v17, v[44:45] offset:4224
.LBB118_195:                            ;   in Loop: Header=BB118_110 Depth=2
	s_or_b64 exec, exec, s[88:89]
	s_waitcnt lgkmcnt(0)
	v_fmac_f32_e32 v55, v45, v54
	v_mul_f32_e32 v44, v44, v54
	v_mov_b32_e32 v45, v55
.LBB118_196:                            ;   in Loop: Header=BB118_110 Depth=2
	s_or_b64 exec, exec, s[84:85]
	s_waitcnt lgkmcnt(0)
	; wave barrier
	s_waitcnt lgkmcnt(0)
	ds_read_b32 v54, v17 offset:4228
	s_and_saveexec_b64 s[84:85], s[16:17]
	s_cbranch_execz .LBB118_109
; %bb.197:                              ;   in Loop: Header=BB118_110 Depth=2
	v_mov_b32_e32 v62, s1
	s_andn2_b64 vcc, exec, s[90:91]
	ds_write_b64 v62, v[44:45]
	s_cbranch_vccnz .LBB118_109
; %bb.198:                              ;   in Loop: Header=BB118_110 Depth=2
	s_mov_b32 s99, s93
	s_lshl_b64 s[88:89], s[98:99], 2
	v_readlane_b32 s4, v95, 27
	s_add_u32 s88, s4, s88
	v_readlane_b32 s4, v95, 28
	v_readlane_b32 s99, v95, 48
	s_addc_u32 s89, s4, s89
	global_store_dword v17, v55, s[88:89]
	s_branch .LBB118_109
.LBB118_199:                            ;   in Loop: Header=BB118_13 Depth=1
	scratch_load_dwordx2 v[42:43], off, off offset:164 ; 8-byte Folded Reload
	v_readlane_b32 s4, v95, 49
	v_readlane_b32 s5, v95, 50
	s_mov_b32 s6, 0x41a00000
	s_mov_b32 s7, 0x3fb8aa3b
	;; [unrolled: 1-line block ×8, first 2 shown]
	v_mov_b32_e32 v40, 0x3ecc95a3
	v_mov_b32_e32 v41, 0x7f800000
.LBB118_200:                            ;   in Loop: Header=BB118_13 Depth=1
	v_cvt_f16_f32_e32 v0, v39
	v_cvt_f16_f32_e32 v4, v38
	s_waitcnt lgkmcnt(0)
	; wave barrier
	v_cvt_f16_f32_e32 v1, v37
	v_pack_b32_f16 v0, v4, v0
	scratch_load_dword v4, off, off         ; 4-byte Folded Reload
	v_cvt_f16_f32_e32 v5, v36
	v_cvt_f16_f32_e32 v2, v35
	;; [unrolled: 1-line block ×13, first 2 shown]
	v_pack_b32_f16 v3, v7, v3
	v_pack_b32_f16 v2, v6, v2
	v_pack_b32_f16 v1, v5, v1
	v_readlane_b32 s0, v95, 52
	v_readlane_b32 s1, v95, 53
	s_mov_b32 s1, s93
	s_waitcnt vmcnt(0)
	ds_write_b128 v4, v[0:3]
	v_pack_b32_f16 v3, v15, v14
	v_pack_b32_f16 v2, v13, v12
	;; [unrolled: 1-line block ×4, first 2 shown]
	ds_write_b128 v4, v[0:3] offset:16
	; wave barrier
	scratch_load_dword v0, off, off offset:8 ; 4-byte Folded Reload
	s_waitcnt vmcnt(0)
	ds_read_u16 v16, v0 offset:128
	scratch_load_dword v0, off, off offset:12 ; 4-byte Folded Reload
	s_waitcnt vmcnt(0)
	ds_read_u16 v15, v0 offset:256
	;; [unrolled: 3-line block ×15, first 2 shown]
	scratch_load_dwordx2 v[0:1], off, off offset:240 ; 8-byte Folded Reload
	s_waitcnt vmcnt(0)
	v_lshl_add_u64 v[0:1], s[0:1], 1, v[0:1]
	s_and_saveexec_b64 s[52:53], s[18:19]
	s_cbranch_execnz .LBB118_218
; %bb.201:                              ;   in Loop: Header=BB118_13 Depth=1
	s_or_b64 exec, exec, s[52:53]
	s_and_saveexec_b64 s[18:19], s[20:21]
	s_cbranch_execnz .LBB118_219
.LBB118_202:                            ;   in Loop: Header=BB118_13 Depth=1
	s_or_b64 exec, exec, s[18:19]
	s_and_saveexec_b64 s[18:19], s[22:23]
	s_cbranch_execnz .LBB118_220
.LBB118_203:                            ;   in Loop: Header=BB118_13 Depth=1
	s_or_b64 exec, exec, s[18:19]
	s_and_saveexec_b64 s[18:19], s[24:25]
	s_cbranch_execnz .LBB118_221
.LBB118_204:                            ;   in Loop: Header=BB118_13 Depth=1
	s_or_b64 exec, exec, s[18:19]
	s_and_saveexec_b64 s[18:19], s[26:27]
	s_cbranch_execnz .LBB118_222
.LBB118_205:                            ;   in Loop: Header=BB118_13 Depth=1
	s_or_b64 exec, exec, s[18:19]
	s_and_saveexec_b64 s[18:19], s[28:29]
	s_cbranch_execnz .LBB118_223
.LBB118_206:                            ;   in Loop: Header=BB118_13 Depth=1
	s_or_b64 exec, exec, s[18:19]
	s_and_saveexec_b64 s[18:19], s[30:31]
	s_cbranch_execnz .LBB118_224
.LBB118_207:                            ;   in Loop: Header=BB118_13 Depth=1
	s_or_b64 exec, exec, s[18:19]
	s_and_saveexec_b64 s[18:19], s[34:35]
	s_cbranch_execnz .LBB118_225
.LBB118_208:                            ;   in Loop: Header=BB118_13 Depth=1
	s_or_b64 exec, exec, s[18:19]
	s_and_saveexec_b64 s[18:19], s[36:37]
	s_cbranch_execnz .LBB118_226
.LBB118_209:                            ;   in Loop: Header=BB118_13 Depth=1
	s_or_b64 exec, exec, s[18:19]
	s_and_saveexec_b64 s[18:19], s[38:39]
	s_cbranch_execnz .LBB118_227
.LBB118_210:                            ;   in Loop: Header=BB118_13 Depth=1
	s_or_b64 exec, exec, s[18:19]
	s_and_saveexec_b64 s[18:19], s[40:41]
	s_cbranch_execnz .LBB118_228
.LBB118_211:                            ;   in Loop: Header=BB118_13 Depth=1
	s_or_b64 exec, exec, s[18:19]
	s_and_saveexec_b64 s[18:19], s[42:43]
	s_cbranch_execnz .LBB118_229
.LBB118_212:                            ;   in Loop: Header=BB118_13 Depth=1
	s_or_b64 exec, exec, s[18:19]
	s_and_saveexec_b64 s[18:19], s[44:45]
	s_cbranch_execnz .LBB118_230
.LBB118_213:                            ;   in Loop: Header=BB118_13 Depth=1
	s_or_b64 exec, exec, s[18:19]
	s_and_saveexec_b64 s[18:19], s[46:47]
	s_cbranch_execnz .LBB118_231
.LBB118_214:                            ;   in Loop: Header=BB118_13 Depth=1
	s_or_b64 exec, exec, s[18:19]
	s_and_saveexec_b64 s[18:19], s[48:49]
	s_cbranch_execnz .LBB118_232
.LBB118_215:                            ;   in Loop: Header=BB118_13 Depth=1
	s_or_b64 exec, exec, s[18:19]
	s_and_saveexec_b64 s[18:19], s[50:51]
	s_cbranch_execz .LBB118_12
	s_branch .LBB118_233
.LBB118_216:                            ;   in Loop: Header=BB118_13 Depth=1
	global_load_ushort v26, v[8:9], off offset:1664
	s_or_b64 exec, exec, s[52:53]
	s_and_saveexec_b64 s[52:53], s[48:49]
	s_cbranch_execz .LBB118_73
.LBB118_217:                            ;   in Loop: Header=BB118_13 Depth=1
	global_load_ushort v25, v[8:9], off offset:1792
	s_or_b64 exec, exec, s[52:53]
	v_mov_b32_e32 v27, 0
	s_and_saveexec_b64 s[52:53], s[50:51]
	s_cbranch_execnz .LBB118_74
	s_branch .LBB118_75
.LBB118_218:                            ;   in Loop: Header=BB118_13 Depth=1
	scratch_load_dword v18, off, off offset:4 ; 4-byte Folded Reload
	s_waitcnt vmcnt(0)
	ds_read_u16 v18, v18
	s_waitcnt lgkmcnt(0)
	global_store_short v[0:1], v18, off
	s_or_b64 exec, exec, s[52:53]
	s_and_saveexec_b64 s[18:19], s[20:21]
	s_cbranch_execz .LBB118_202
.LBB118_219:                            ;   in Loop: Header=BB118_13 Depth=1
	s_waitcnt lgkmcnt(14)
	global_store_short v[0:1], v16, off offset:128
	s_or_b64 exec, exec, s[18:19]
	s_and_saveexec_b64 s[18:19], s[22:23]
	s_cbranch_execz .LBB118_203
.LBB118_220:                            ;   in Loop: Header=BB118_13 Depth=1
	s_waitcnt lgkmcnt(13)
	global_store_short v[0:1], v15, off offset:256
	s_or_b64 exec, exec, s[18:19]
	s_and_saveexec_b64 s[18:19], s[24:25]
	s_cbranch_execz .LBB118_204
.LBB118_221:                            ;   in Loop: Header=BB118_13 Depth=1
	s_waitcnt lgkmcnt(12)
	global_store_short v[0:1], v14, off offset:384
	s_or_b64 exec, exec, s[18:19]
	s_and_saveexec_b64 s[18:19], s[26:27]
	s_cbranch_execz .LBB118_205
.LBB118_222:                            ;   in Loop: Header=BB118_13 Depth=1
	s_waitcnt lgkmcnt(11)
	global_store_short v[0:1], v13, off offset:512
	s_or_b64 exec, exec, s[18:19]
	s_and_saveexec_b64 s[18:19], s[28:29]
	s_cbranch_execz .LBB118_206
.LBB118_223:                            ;   in Loop: Header=BB118_13 Depth=1
	s_waitcnt lgkmcnt(10)
	global_store_short v[0:1], v12, off offset:640
	s_or_b64 exec, exec, s[18:19]
	s_and_saveexec_b64 s[18:19], s[30:31]
	s_cbranch_execz .LBB118_207
.LBB118_224:                            ;   in Loop: Header=BB118_13 Depth=1
	s_waitcnt lgkmcnt(9)
	global_store_short v[0:1], v11, off offset:768
	s_or_b64 exec, exec, s[18:19]
	s_and_saveexec_b64 s[18:19], s[34:35]
	s_cbranch_execz .LBB118_208
.LBB118_225:                            ;   in Loop: Header=BB118_13 Depth=1
	s_waitcnt lgkmcnt(8)
	global_store_short v[0:1], v10, off offset:896
	s_or_b64 exec, exec, s[18:19]
	s_and_saveexec_b64 s[18:19], s[36:37]
	s_cbranch_execz .LBB118_209
.LBB118_226:                            ;   in Loop: Header=BB118_13 Depth=1
	s_waitcnt lgkmcnt(7)
	global_store_short v[0:1], v9, off offset:1024
	s_or_b64 exec, exec, s[18:19]
	s_and_saveexec_b64 s[18:19], s[38:39]
	s_cbranch_execz .LBB118_210
.LBB118_227:                            ;   in Loop: Header=BB118_13 Depth=1
	s_waitcnt lgkmcnt(6)
	global_store_short v[0:1], v8, off offset:1152
	s_or_b64 exec, exec, s[18:19]
	s_and_saveexec_b64 s[18:19], s[40:41]
	s_cbranch_execz .LBB118_211
.LBB118_228:                            ;   in Loop: Header=BB118_13 Depth=1
	s_waitcnt lgkmcnt(5)
	global_store_short v[0:1], v7, off offset:1280
	s_or_b64 exec, exec, s[18:19]
	s_and_saveexec_b64 s[18:19], s[42:43]
	s_cbranch_execz .LBB118_212
.LBB118_229:                            ;   in Loop: Header=BB118_13 Depth=1
	s_waitcnt lgkmcnt(4)
	global_store_short v[0:1], v6, off offset:1408
	s_or_b64 exec, exec, s[18:19]
	s_and_saveexec_b64 s[18:19], s[44:45]
	s_cbranch_execz .LBB118_213
.LBB118_230:                            ;   in Loop: Header=BB118_13 Depth=1
	s_waitcnt lgkmcnt(3)
	global_store_short v[0:1], v5, off offset:1536
	s_or_b64 exec, exec, s[18:19]
	s_and_saveexec_b64 s[18:19], s[46:47]
	s_cbranch_execz .LBB118_214
.LBB118_231:                            ;   in Loop: Header=BB118_13 Depth=1
	s_waitcnt lgkmcnt(2)
	global_store_short v[0:1], v4, off offset:1664
	s_or_b64 exec, exec, s[18:19]
	s_and_saveexec_b64 s[18:19], s[48:49]
	s_cbranch_execz .LBB118_215
.LBB118_232:                            ;   in Loop: Header=BB118_13 Depth=1
	s_waitcnt lgkmcnt(1)
	global_store_short v[0:1], v3, off offset:1792
	s_or_b64 exec, exec, s[18:19]
	s_and_saveexec_b64 s[18:19], s[50:51]
	s_cbranch_execz .LBB118_12
.LBB118_233:                            ;   in Loop: Header=BB118_13 Depth=1
	s_waitcnt lgkmcnt(0)
	global_store_short v[0:1], v2, off offset:1920
	s_branch .LBB118_12
.LBB118_234:
	s_endpgm
	.section	.rodata,"a",@progbits
	.p2align	6, 0x0
	.amdhsa_kernel _Z25selective_scan_fwd_kernelI32Selective_Scan_fwd_kernel_traitsILi64ELi16ELi1ELb0ELb1ELb1ELb0ELb1EN3c104HalfEffEEv13SSMParamsBase
		.amdhsa_group_segment_fixed_size 0
		.amdhsa_private_segment_fixed_size 316
		.amdhsa_kernarg_size 248
		.amdhsa_user_sgpr_count 2
		.amdhsa_user_sgpr_dispatch_ptr 0
		.amdhsa_user_sgpr_queue_ptr 0
		.amdhsa_user_sgpr_kernarg_segment_ptr 1
		.amdhsa_user_sgpr_dispatch_id 0
		.amdhsa_user_sgpr_kernarg_preload_length 0
		.amdhsa_user_sgpr_kernarg_preload_offset 0
		.amdhsa_user_sgpr_private_segment_size 0
		.amdhsa_uses_dynamic_stack 0
		.amdhsa_enable_private_segment 1
		.amdhsa_system_sgpr_workgroup_id_x 1
		.amdhsa_system_sgpr_workgroup_id_y 1
		.amdhsa_system_sgpr_workgroup_id_z 0
		.amdhsa_system_sgpr_workgroup_info 0
		.amdhsa_system_vgpr_workitem_id 0
		.amdhsa_next_free_vgpr 96
		.amdhsa_next_free_sgpr 100
		.amdhsa_accum_offset 96
		.amdhsa_reserve_vcc 1
		.amdhsa_float_round_mode_32 0
		.amdhsa_float_round_mode_16_64 0
		.amdhsa_float_denorm_mode_32 3
		.amdhsa_float_denorm_mode_16_64 3
		.amdhsa_dx10_clamp 1
		.amdhsa_ieee_mode 1
		.amdhsa_fp16_overflow 0
		.amdhsa_tg_split 0
		.amdhsa_exception_fp_ieee_invalid_op 0
		.amdhsa_exception_fp_denorm_src 0
		.amdhsa_exception_fp_ieee_div_zero 0
		.amdhsa_exception_fp_ieee_overflow 0
		.amdhsa_exception_fp_ieee_underflow 0
		.amdhsa_exception_fp_ieee_inexact 0
		.amdhsa_exception_int_div_zero 0
	.end_amdhsa_kernel
	.section	.text._Z25selective_scan_fwd_kernelI32Selective_Scan_fwd_kernel_traitsILi64ELi16ELi1ELb0ELb1ELb1ELb0ELb1EN3c104HalfEffEEv13SSMParamsBase,"axG",@progbits,_Z25selective_scan_fwd_kernelI32Selective_Scan_fwd_kernel_traitsILi64ELi16ELi1ELb0ELb1ELb1ELb0ELb1EN3c104HalfEffEEv13SSMParamsBase,comdat
.Lfunc_end118:
	.size	_Z25selective_scan_fwd_kernelI32Selective_Scan_fwd_kernel_traitsILi64ELi16ELi1ELb0ELb1ELb1ELb0ELb1EN3c104HalfEffEEv13SSMParamsBase, .Lfunc_end118-_Z25selective_scan_fwd_kernelI32Selective_Scan_fwd_kernel_traitsILi64ELi16ELi1ELb0ELb1ELb1ELb0ELb1EN3c104HalfEffEEv13SSMParamsBase
                                        ; -- End function
	.section	.AMDGPU.csdata,"",@progbits
; Kernel info:
; codeLenInByte = 22356
; NumSgprs: 106
; NumVgprs: 96
; NumAgprs: 0
; TotalNumVgprs: 96
; ScratchSize: 316
; MemoryBound: 0
; FloatMode: 240
; IeeeMode: 1
; LDSByteSize: 0 bytes/workgroup (compile time only)
; SGPRBlocks: 13
; VGPRBlocks: 11
; NumSGPRsForWavesPerEU: 106
; NumVGPRsForWavesPerEU: 96
; AccumOffset: 96
; Occupancy: 5
; WaveLimiterHint : 1
; COMPUTE_PGM_RSRC2:SCRATCH_EN: 1
; COMPUTE_PGM_RSRC2:USER_SGPR: 2
; COMPUTE_PGM_RSRC2:TRAP_HANDLER: 0
; COMPUTE_PGM_RSRC2:TGID_X_EN: 1
; COMPUTE_PGM_RSRC2:TGID_Y_EN: 1
; COMPUTE_PGM_RSRC2:TGID_Z_EN: 0
; COMPUTE_PGM_RSRC2:TIDIG_COMP_CNT: 0
; COMPUTE_PGM_RSRC3_GFX90A:ACCUM_OFFSET: 23
; COMPUTE_PGM_RSRC3_GFX90A:TG_SPLIT: 0
	.section	.text._Z25selective_scan_fwd_kernelI32Selective_Scan_fwd_kernel_traitsILi64ELi16ELi1ELb0ELb1ELb1ELb0ELb0EN3c104HalfEffEEv13SSMParamsBase,"axG",@progbits,_Z25selective_scan_fwd_kernelI32Selective_Scan_fwd_kernel_traitsILi64ELi16ELi1ELb0ELb1ELb1ELb0ELb0EN3c104HalfEffEEv13SSMParamsBase,comdat
	.protected	_Z25selective_scan_fwd_kernelI32Selective_Scan_fwd_kernel_traitsILi64ELi16ELi1ELb0ELb1ELb1ELb0ELb0EN3c104HalfEffEEv13SSMParamsBase ; -- Begin function _Z25selective_scan_fwd_kernelI32Selective_Scan_fwd_kernel_traitsILi64ELi16ELi1ELb0ELb1ELb1ELb0ELb0EN3c104HalfEffEEv13SSMParamsBase
	.globl	_Z25selective_scan_fwd_kernelI32Selective_Scan_fwd_kernel_traitsILi64ELi16ELi1ELb0ELb1ELb1ELb0ELb0EN3c104HalfEffEEv13SSMParamsBase
	.p2align	8
	.type	_Z25selective_scan_fwd_kernelI32Selective_Scan_fwd_kernel_traitsILi64ELi16ELi1ELb0ELb1ELb1ELb0ELb0EN3c104HalfEffEEv13SSMParamsBase,@function
_Z25selective_scan_fwd_kernelI32Selective_Scan_fwd_kernel_traitsILi64ELi16ELi1ELb0ELb1ELb1ELb0ELb0EN3c104HalfEffEEv13SSMParamsBase: ; @_Z25selective_scan_fwd_kernelI32Selective_Scan_fwd_kernel_traitsILi64ELi16ELi1ELb0ELb1ELb1ELb0ELb0EN3c104HalfEffEEv13SSMParamsBase
; %bb.0:
	s_load_dword s27, s[0:1], 0x18
	s_load_dwordx4 s[4:7], s[0:1], 0xe8
	s_mov_b32 s20, s3
                                        ; implicit-def: $vgpr95 : SGPR spill to VGPR lane
	s_waitcnt lgkmcnt(0)
	s_abs_i32 s26, s27
	v_cvt_f32_u32_e32 v1, s26
	s_cmp_eq_u64 s[6:7], 0
	v_rcp_iflag_f32_e32 v1, v1
	s_nop 0
	v_mul_f32_e32 v1, 0x4f7ffffe, v1
	v_cvt_u32_f32_e32 v1, v1
	s_nop 0
	v_readfirstlane_b32 s22, v1
	s_cbranch_scc1 .LBB119_2
; %bb.1:
	s_ashr_i32 s3, s2, 31
	s_add_u32 s6, s6, s2
	s_addc_u32 s7, s7, s3
	v_mov_b32_e32 v1, 0
	global_load_ubyte v1, v1, s[6:7]
	s_waitcnt vmcnt(0)
	v_and_b32_e32 v1, 1, v1
	v_cmp_eq_u32_e64 s[6:7], 1, v1
	s_branch .LBB119_3
.LBB119_2:
	s_mov_b64 s[6:7], 0
.LBB119_3:
	s_nop 0
	v_writelane_b32 v95, s6, 0
	s_cmp_eq_u64 s[4:5], 0
	s_nop 0
	v_writelane_b32 v95, s7, 1
	s_load_dwordx2 s[6:7], s[0:1], 0x20
	s_cbranch_scc1 .LBB119_5
; %bb.4:
	s_ashr_i32 s3, s2, 31
	s_lshl_b64 s[8:9], s[2:3], 2
	s_add_u32 s4, s4, s8
	s_addc_u32 s5, s5, s9
	s_load_dword s24, s[4:5], 0x0
	s_waitcnt lgkmcnt(0)
	s_ashr_i32 s25, s24, 31
	s_cmp_eq_u64 s[6:7], s[24:25]
	s_cbranch_scc0 .LBB119_6
	s_branch .LBB119_234
.LBB119_5:
	s_mov_b32 s24, s2
	s_ashr_i32 s25, s24, 31
	s_waitcnt lgkmcnt(0)
	s_cmp_eq_u64 s[6:7], s[24:25]
	s_cbranch_scc1 .LBB119_234
.LBB119_6:
	s_load_dwordx16 s[4:19], s[0:1], 0x88
	s_load_dwordx2 s[30:31], s[0:1], 0x8
	s_mov_b32 s3, 0
	v_writelane_b32 v95, s3, 2
	v_writelane_b32 v95, s3, 3
	s_waitcnt lgkmcnt(0)
	s_cmp_eq_u64 s[10:11], 0
	s_cbranch_scc1 .LBB119_8
; %bb.7:
	s_ashr_i32 s21, s20, 31
	s_lshl_b64 s[28:29], s[20:21], 2
	s_add_u32 s10, s10, s28
	s_addc_u32 s11, s11, s29
	s_load_dword s3, s[10:11], 0x0
	s_waitcnt lgkmcnt(0)
	v_writelane_b32 v95, s3, 3
.LBB119_8:
	s_cmp_eq_u64 s[16:17], 0
	s_cbranch_scc1 .LBB119_10
; %bb.9:
	s_ashr_i32 s21, s20, 31
	s_lshl_b64 s[10:11], s[20:21], 2
	s_add_u32 s10, s16, s10
	s_addc_u32 s11, s17, s11
	s_load_dword s3, s[10:11], 0x0
	s_waitcnt lgkmcnt(0)
	v_writelane_b32 v95, s3, 2
.LBB119_10:
	s_cmp_lt_i32 s30, 1
	s_cbranch_scc1 .LBB119_234
; %bb.11:
	v_mbcnt_lo_u32_b32 v1, -1, 0
	v_mbcnt_hi_u32_b32 v20, -1, v1
	v_lshrrev_b32_e32 v1, 5, v20
	s_sub_i32 s3, 0, s26
	v_and_b32_e32 v1, 2, v1
	s_mul_i32 s3, s3, s22
	v_add_u32_e32 v1, v1, v20
	s_mul_hi_u32 s3, s22, s3
	v_add_u32_e32 v2, 64, v20
	v_lshl_add_u32 v1, v1, 1, 0
	s_load_dwordx8 s[36:43], s[0:1], 0x2c
	s_load_dwordx2 s[10:11], s[0:1], 0x5c
	s_load_dwordx4 s[44:47], s[0:1], 0x4c
	s_abs_i32 s21, s20
	s_add_i32 s3, s22, s3
	s_load_dwordx4 s[48:51], s[0:1], 0x7c
	s_load_dwordx2 s[22:23], s[0:1], 0x6c
	s_load_dwordx2 s[16:17], s[0:1], 0xc8
	scratch_store_dword off, v1, off offset:4 ; 4-byte Folded Spill
	scratch_store_dword off, v2, off offset:180 ; 4-byte Folded Spill
	v_lshrrev_b32_e32 v1, 5, v2
	s_mul_hi_u32 s3, s21, s3
	s_load_dword s25, s[0:1], 0x28
	s_ashr_i32 s0, s20, 31
	s_ashr_i32 s1, s27, 31
	v_and_b32_e32 v1, 6, v1
	s_xor_b32 s0, s0, s1
	s_mul_i32 s1, s3, s26
	v_add_lshl_u32 v1, v1, v20, 1
	s_sub_i32 s1, s21, s1
	v_or_b32_e32 v3, 0x80, v20
	v_add_u32_e32 v2, 0, v1
	s_add_i32 s21, s3, 1
	s_sub_i32 s27, s1, s26
	scratch_store_dword off, v2, off offset:8 ; 4-byte Folded Spill
	scratch_store_dword off, v3, off offset:184 ; 4-byte Folded Spill
	v_lshrrev_b32_e32 v2, 5, v3
	s_cmp_ge_u32 s1, s26
	v_and_b32_e32 v2, 6, v2
	s_cselect_b32 s3, s21, s3
	v_add_lshl_u32 v2, v2, v20, 1
	s_cselect_b32 s1, s27, s1
	s_add_i32 s21, s3, 1
	v_add_u32_e32 v4, 0xc0, v20
	v_add_u32_e32 v3, 0, v2
	s_cmp_ge_u32 s1, s26
	scratch_store_dword off, v3, off offset:12 ; 4-byte Folded Spill
	scratch_store_dword off, v4, off offset:188 ; 4-byte Folded Spill
	v_lshrrev_b32_e32 v3, 5, v4
	s_cselect_b32 s1, s21, s3
	v_and_b32_e32 v3, 14, v3
	s_xor_b32 s1, s1, s0
	s_waitcnt lgkmcnt(0)
	s_mul_i32 s88, s46, s2
	s_mov_b32 s89, 0
	v_add_lshl_u32 v3, v3, v20, 1
	s_sub_i32 s3, s1, s0
	s_lshl_b64 s[0:1], s[88:89], 1
	v_or_b32_e32 v5, 0x100, v20
	v_add_u32_e32 v4, 0, v3
	s_add_u32 s12, s12, s0
	s_mul_i32 s88, s47, s20
	scratch_store_dword off, v4, off offset:16 ; 4-byte Folded Spill
	scratch_store_dword off, v5, off offset:192 ; 4-byte Folded Spill
	v_lshrrev_b32_e32 v4, 5, v5
	s_addc_u32 s13, s13, s1
	s_lshl_b64 s[0:1], s[88:89], 1
	v_and_b32_e32 v4, 10, v4
	s_add_u32 s26, s12, s0
	s_mul_i32 s88, s10, s2
	v_add_lshl_u32 v4, v4, v20, 1
	s_addc_u32 s27, s13, s1
	s_lshl_b64 s[0:1], s[88:89], 1
	v_add_u32_e32 v6, 0x140, v20
	v_add_u32_e32 v5, 0, v4
	s_add_u32 s10, s14, s0
	s_mul_i32 s88, s11, s20
	scratch_store_dword off, v5, off offset:20 ; 4-byte Folded Spill
	scratch_store_dword off, v6, off offset:196 ; 4-byte Folded Spill
	v_lshrrev_b32_e32 v5, 5, v6
	s_addc_u32 s12, s15, s1
	s_lshl_b64 s[0:1], s[88:89], 1
	v_and_b32_e32 v5, 14, v5
	s_add_u32 s0, s10, s0
	v_add_lshl_u32 v5, v5, v20, 1
	s_addc_u32 s1, s12, s1
	v_or_b32_e32 v7, 0x180, v20
	v_add_u32_e32 v6, 0, v5
	v_writelane_b32 v95, s0, 4
	s_mul_i32 s88, s36, s20
	scratch_store_dword off, v6, off offset:24 ; 4-byte Folded Spill
	scratch_store_dword off, v7, off offset:200 ; 4-byte Folded Spill
	v_lshrrev_b32_e32 v6, 5, v7
	v_writelane_b32 v95, s1, 5
	s_lshl_b64 s[0:1], s[88:89], 2
	v_and_b32_e32 v6, 14, v6
	s_add_u32 s97, s4, s0
	v_add_lshl_u32 v6, v6, v20, 1
	s_addc_u32 s0, s5, s1
	s_mul_i32 s88, s38, s2
	v_add_u32_e32 v8, 0x1c0, v20
	v_add_u32_e32 v7, 0, v6
	v_writelane_b32 v95, s0, 6
	s_lshl_b64 s[0:1], s[88:89], 1
	scratch_store_dword off, v7, off offset:28 ; 4-byte Folded Spill
	scratch_store_dword off, v8, off offset:204 ; 4-byte Folded Spill
	v_lshrrev_b32_e32 v7, 5, v8
	s_add_u32 s4, s6, s0
	s_mul_i32 s88, s3, s41
	v_and_b32_e32 v7, 30, v7
	s_addc_u32 s5, s7, s1
	s_lshl_b64 s[0:1], s[88:89], 1
	v_add_lshl_u32 v7, v7, v20, 1
	s_add_u32 s0, s4, s0
	v_or_b32_e32 v9, 0x200, v20
	v_add_u32_e32 v8, 0, v7
	s_addc_u32 s1, s5, s1
	scratch_store_dword off, v8, off offset:32 ; 4-byte Folded Spill
	scratch_store_dword off, v9, off offset:208 ; 4-byte Folded Spill
	v_lshrrev_b32_e32 v8, 5, v9
	v_writelane_b32 v95, s0, 7
	v_and_b32_e32 v8, 18, v8
	v_add_lshl_u32 v8, v8, v20, 1
	v_writelane_b32 v95, s1, 8
	v_writelane_b32 v95, s36, 9
	v_add_u32_e32 v10, 0x240, v20
	v_add_u32_e32 v9, 0, v8
	v_writelane_b32 v95, s37, 10
	scratch_store_dword off, v9, off offset:36 ; 4-byte Folded Spill
	scratch_store_dword off, v10, off offset:212 ; 4-byte Folded Spill
	v_lshrrev_b32_e32 v9, 5, v10
	v_writelane_b32 v95, s38, 11
	v_and_b32_e32 v9, 22, v9
	v_writelane_b32 v95, s39, 12
	v_add_lshl_u32 v9, v9, v20, 1
	v_writelane_b32 v95, s40, 13
	v_or_b32_e32 v11, 0x280, v20
	v_add_u32_e32 v10, 0, v9
	v_writelane_b32 v95, s41, 14
	scratch_store_dword off, v10, off offset:40 ; 4-byte Folded Spill
	scratch_store_dword off, v11, off offset:216 ; 4-byte Folded Spill
	v_lshrrev_b32_e32 v10, 5, v11
	v_writelane_b32 v95, s42, 15
	s_mul_i32 s88, s42, s2
	v_and_b32_e32 v10, 22, v10
	v_writelane_b32 v95, s43, 16
	s_lshl_b64 s[0:1], s[88:89], 1
	v_add_lshl_u32 v10, v10, v20, 1
	s_add_u32 s4, s8, s0
	v_writelane_b32 v95, s44, 17
	s_mul_i32 s88, s3, s45
	v_add_u32_e32 v12, 0x2c0, v20
	v_add_u32_e32 v11, 0, v10
	s_addc_u32 s5, s9, s1
	v_writelane_b32 v95, s45, 18
	s_lshl_b64 s[0:1], s[88:89], 1
	scratch_store_dword off, v11, off offset:44 ; 4-byte Folded Spill
	scratch_store_dword off, v12, off offset:220 ; 4-byte Folded Spill
	v_lshrrev_b32_e32 v11, 5, v12
	v_writelane_b32 v95, s46, 19
	s_add_u32 s0, s4, s0
	v_and_b32_e32 v11, 30, v11
	v_writelane_b32 v95, s47, 20
	s_addc_u32 s1, s5, s1
	v_add_lshl_u32 v11, v11, v20, 1
	v_writelane_b32 v95, s0, 21
	v_or_b32_e32 v13, 0x300, v20
	v_add_u32_e32 v12, 0, v11
	v_writelane_b32 v95, s1, 22
	s_mul_i32 s88, s24, s48
	scratch_store_dword off, v12, off offset:48 ; 4-byte Folded Spill
	scratch_store_dword off, v13, off offset:224 ; 4-byte Folded Spill
	v_lshrrev_b32_e32 v12, 5, v13
	s_lshl_b64 s[0:1], s[88:89], 2
	v_writelane_b32 v95, s48, 23
	v_and_b32_e32 v12, 26, v12
	s_add_u32 s3, s16, s0
	v_writelane_b32 v95, s49, 24
	s_mul_i32 s88, s49, s20
	v_add_lshl_u32 v12, v12, v20, 1
	s_addc_u32 s4, s17, s1
	v_writelane_b32 v95, s50, 25
	s_lshl_b64 s[0:1], s[88:89], 2
	v_add_u32_e32 v14, 0x340, v20
	v_add_u32_e32 v13, 0, v12
	v_writelane_b32 v95, s51, 26
	s_add_u32 s0, s3, s0
	scratch_store_dword off, v13, off offset:52 ; 4-byte Folded Spill
	scratch_store_dword off, v14, off offset:228 ; 4-byte Folded Spill
	v_lshrrev_b32_e32 v13, 5, v14
	v_writelane_b32 v95, s0, 27
	s_addc_u32 s0, s4, s1
	v_and_b32_e32 v13, 30, v13
	v_writelane_b32 v95, s0, 28
	s_add_i32 s0, s30, 0x7ff
	v_add_lshl_u32 v13, v13, v20, 1
	s_lshr_b32 s1, s0, 11
	v_or_b32_e32 v15, 0x380, v20
	v_add_u32_e32 v14, 0, v13
	scratch_store_dword off, v14, off offset:56 ; 4-byte Folded Spill
	scratch_store_dword off, v15, off offset:232 ; 4-byte Folded Spill
	v_lshrrev_b32_e32 v14, 5, v15
	s_bitcmp1_b32 s25, 0
	v_and_b32_e32 v14, 30, v14
	s_cselect_b64 s[4:5], -1, 0
	s_cmp_gt_i32 s31, 0
	v_add_lshl_u32 v14, v14, v20, 1
	s_cselect_b64 s[6:7], -1, 0
	s_add_i32 s0, 0, 0x840
	v_add_u32_e32 v15, 0, v14
	v_add_u32_e32 v1, s0, v1
	;; [unrolled: 1-line block ×3, first 2 shown]
	scratch_store_dword off, v15, off offset:60 ; 4-byte Folded Spill
	scratch_store_dword off, v16, off offset:236 ; 4-byte Folded Spill
	;; [unrolled: 1-line block ×3, first 2 shown]
	v_add_u32_e32 v1, s0, v2
	scratch_store_dword off, v1, off offset:100 ; 4-byte Folded Spill
	v_add_u32_e32 v1, s0, v3
	scratch_store_dword off, v1, off offset:104 ; 4-byte Folded Spill
	;; [unrolled: 2-line block ×7, first 2 shown]
	v_add_u32_e32 v1, s0, v9
	v_lshrrev_b32_e32 v15, 5, v16
	scratch_store_dword off, v1, off offset:128 ; 4-byte Folded Spill
	v_add_u32_e32 v1, s0, v10
	v_and_b32_e32 v15, 62, v15
	scratch_store_dword off, v1, off offset:132 ; 4-byte Folded Spill
	v_add_u32_e32 v1, s0, v11
	v_add_lshl_u32 v15, v15, v20, 1
	scratch_store_dword off, v1, off offset:136 ; 4-byte Folded Spill
	v_add_u32_e32 v1, s0, v12
	v_add_u32_e32 v16, 0, v15
	v_lshrrev_b32_e32 v18, 1, v20
	scratch_store_dword off, v1, off offset:140 ; 4-byte Folded Spill
	v_add_u32_e32 v1, s0, v13
	scratch_store_dword off, v16, off offset:64 ; 4-byte Folded Spill
	v_lshlrev_b32_e32 v16, 4, v20
	v_and_b32_e32 v18, 62, v18
	v_writelane_b32 v95, s6, 29
	scratch_store_dword off, v1, off offset:144 ; 4-byte Folded Spill
	v_add_u32_e32 v1, s0, v14
	v_add_lshl_u32 v16, v18, v16, 1
	v_writelane_b32 v95, s7, 30
	scratch_store_dword off, v1, off offset:148 ; 4-byte Folded Spill
	v_add_u32_e32 v1, s0, v15
	scratch_store_dword off, v1, off offset:152 ; 4-byte Folded Spill
	v_add_u32_e32 v1, s0, v16
	v_writelane_b32 v95, s30, 31
	s_and_b32 s0, s30, 0x3ff
	s_cmp_eq_u32 s0, 0
	v_writelane_b32 v95, s31, 32
	s_cselect_b64 s[6:7], -1, 0
	scratch_store_dword off, v1, off offset:156 ; 4-byte Folded Spill
	v_writelane_b32 v95, s6, 33
	v_and_b32_e32 v1, 15, v20
	v_cmp_lt_u32_e64 s[84:85], 3, v1
	v_writelane_b32 v95, s7, 34
	v_cmp_ne_u32_e64 s[6:7], 0, v1
	s_mul_i32 s88, s22, s2
	v_and_b32_e32 v2, 64, v20
	v_writelane_b32 v95, s6, 35
	s_add_i32 s0, s1, -1
	s_lshl_b64 s[2:3], s[88:89], 1
	v_writelane_b32 v95, s7, 36
	v_cmp_lt_u32_e64 s[6:7], 1, v1
	v_lshlrev_b32_e32 v19, 4, v0
	v_cmp_gt_u32_e64 s[14:15], 64, v0
	v_writelane_b32 v95, s6, 37
	v_cmp_eq_u32_e64 s[16:17], 0, v0
	s_mul_i32 s88, s23, s20
	v_writelane_b32 v95, s7, 38
	v_cmp_lt_u32_e64 s[6:7], 7, v1
	v_and_b32_e32 v1, 16, v20
	v_add_u32_e32 v18, 0, v16
	v_writelane_b32 v95, s6, 39
	v_mov_b32_e32 v17, 0
	scratch_store_dword off, v18, off       ; 4-byte Folded Spill
	v_writelane_b32 v95, s7, 40
	v_cmp_ne_u32_e64 s[6:7], 0, v1
	v_add_u32_e32 v1, -1, v20
	v_cmp_lt_i32_e32 vcc, v1, v2
	v_writelane_b32 v95, s6, 41
	v_lshlrev_b32_e32 v16, 1, v20
	v_cndmask_b32_e32 v1, v1, v20, vcc
	v_writelane_b32 v95, s7, 42
	v_writelane_b32 v95, s1, 43
	;; [unrolled: 1-line block ×3, first 2 shown]
	s_add_u32 s0, s18, s2
	s_addc_u32 s1, s19, s3
	v_cmp_eq_u32_e64 s[2:3], 63, v0
	v_lshlrev_b32_e32 v1, 2, v1
	v_mov_b32_e32 v0, v20
	scratch_store_dwordx2 off, v[0:1], off offset:172 ; 8-byte Folded Spill
	v_or_b32_e32 v0, 1, v19
	scratch_store_dword off, v0, off offset:252 ; 4-byte Folded Spill
	v_or_b32_e32 v0, 2, v19
	scratch_store_dword off, v0, off offset:256 ; 4-byte Folded Spill
	v_or_b32_e32 v0, 3, v19
	scratch_store_dword off, v0, off offset:260 ; 4-byte Folded Spill
	v_or_b32_e32 v0, 4, v19
	scratch_store_dword off, v0, off offset:264 ; 4-byte Folded Spill
	v_or_b32_e32 v0, 5, v19
	scratch_store_dword off, v0, off offset:268 ; 4-byte Folded Spill
	v_or_b32_e32 v0, 6, v19
	scratch_store_dword off, v0, off offset:272 ; 4-byte Folded Spill
                                        ; implicit-def: $vgpr0
	v_writelane_b32 v95, s2, 45
	v_or_b32_e32 v0, 7, v19
	scratch_store_dword off, v0, off offset:276 ; 4-byte Folded Spill
	v_or_b32_e32 v0, 8, v19
	scratch_store_dword off, v0, off offset:280 ; 4-byte Folded Spill
	v_or_b32_e32 v0, 9, v19
	v_writelane_b32 v95, s3, 46
	s_lshl_b64 s[2:3], s[88:89], 1
	scratch_store_dword off, v0, off offset:284 ; 4-byte Folded Spill
	v_or_b32_e32 v0, 10, v19
	s_add_u32 s2, s0, s2
	scratch_store_dword off, v0, off offset:288 ; 4-byte Folded Spill
	v_or_b32_e32 v0, 11, v19
	s_addc_u32 s3, s1, s3
	s_add_i32 s0, 0, 0x1088
	scratch_store_dword off, v0, off offset:292 ; 4-byte Folded Spill
	v_or_b32_e32 v0, 12, v19
	v_writelane_b32 v95, s0, 47
	scratch_store_dword off, v0, off offset:296 ; 4-byte Folded Spill
	v_or_b32_e32 v0, 13, v19
	scratch_store_dword off, v0, off offset:300 ; 4-byte Folded Spill
	v_or_b32_e32 v0, 14, v19
	v_writelane_b32 v95, s97, 48
	scratch_store_dword off, v1, off offset:160 ; 4-byte Folded Spill
	scratch_store_dword off, v0, off offset:304 ; 4-byte Folded Spill
	;; [unrolled: 1-line block ×3, first 2 shown]
	v_or_b32_e32 v0, 15, v19
	v_writelane_b32 v95, s4, 49
	v_cmp_lt_u32_e64 s[12:13], 31, v20
	s_mov_b32 s6, 0x41a00000
	s_mov_b32 s7, 0x3fb8aa3b
	;; [unrolled: 1-line block ×10, first 2 shown]
	scratch_store_dword off, v0, off offset:308 ; 4-byte Folded Spill
	v_mov_b32_e32 v40, 0x3ecc95a3
	v_mov_b32_e32 v41, 0x7f800000
	;; [unrolled: 1-line block ×4, first 2 shown]
	v_lshl_add_u64 v[0:1], s[2:3], 0, v[16:17]
	v_mov_b32_e32 v42, 0x3f317218
	v_writelane_b32 v95, s5, 50
	scratch_store_dwordx2 off, v[0:1], off offset:240 ; 8-byte Folded Spill
	s_branch .LBB119_13
.LBB119_12:                             ;   in Loop: Header=BB119_13 Depth=1
	s_or_b64 exec, exec, s[2:3]
	v_readlane_b32 s0, v95, 4
	v_readlane_b32 s1, v95, 5
	s_add_u32 s0, s0, 0x800
	s_addc_u32 s1, s1, 0
	v_writelane_b32 v95, s0, 4
	s_nop 1
	v_writelane_b32 v95, s1, 5
	s_nop 0
	v_readlane_b32 s26, v95, 54
	v_readlane_b32 s27, v95, 55
	s_add_u32 s26, s26, 0x800
	s_addc_u32 s27, s27, 0
	v_readlane_b32 s0, v95, 7
	v_readlane_b32 s1, v95, 8
	s_add_u32 s0, s0, 0x800
	s_addc_u32 s1, s1, 0
	v_writelane_b32 v95, s0, 7
	s_nop 1
	v_writelane_b32 v95, s1, 8
	s_nop 0
	v_readlane_b32 s0, v95, 21
	v_readlane_b32 s1, v95, 22
	s_add_u32 s0, s0, 0x800
	s_addc_u32 s1, s1, 0
	v_writelane_b32 v95, s0, 21
	s_nop 1
	v_writelane_b32 v95, s1, 22
	s_nop 0
	v_readlane_b32 s1, v95, 51
	s_add_i32 s1, s1, 1
	v_readlane_b32 s0, v95, 43
	s_cmp_eq_u32 s1, s0
	s_cbranch_scc1 .LBB119_234
.LBB119_13:                             ; =>This Loop Header: Depth=1
                                        ;     Child Loop BB119_110 Depth 2
	s_waitcnt lgkmcnt(0)
	; wave barrier
	s_waitcnt vmcnt(63) expcnt(7) lgkmcnt(15)
	scratch_load_dwordx2 v[0:1], off, off offset:172 ; 8-byte Folded Reload
	v_writelane_b32 v95, s1, 51
	s_lshl_b32 s18, s1, 10
	v_readlane_b32 s0, v95, 31
	s_mov_b32 s2, s18
	v_readlane_b32 s1, v95, 32
	v_writelane_b32 v95, s2, 52
	s_sub_i32 s82, s0, s18
	s_waitcnt vmcnt(0) lgkmcnt(0)
	v_mov_b32_e32 v2, v0
	v_writelane_b32 v95, s3, 53
	v_lshlrev_b32_e32 v16, 1, v2
	v_writelane_b32 v95, s26, 54
	v_cmp_gt_u32_e64 s[18:19], s82, v2
	v_mov_b32_e32 v2, 0
	v_writelane_b32 v95, s27, 55
	v_lshl_add_u64 v[0:1], s[26:27], 0, v[16:17]
	s_and_saveexec_b64 s[2:3], s[18:19]
	s_cbranch_execz .LBB119_15
; %bb.14:                               ;   in Loop: Header=BB119_13 Depth=1
	global_load_ushort v2, v[0:1], off
.LBB119_15:                             ;   in Loop: Header=BB119_13 Depth=1
	s_or_b64 exec, exec, s[2:3]
	scratch_load_dword v3, off, off offset:180 ; 4-byte Folded Reload
	v_mov_b32_e32 v4, 0
	s_waitcnt vmcnt(0)
	v_cmp_gt_u32_e64 s[20:21], s82, v3
	v_mov_b32_e32 v3, 0
	s_and_saveexec_b64 s[2:3], s[20:21]
	s_cbranch_execz .LBB119_17
; %bb.16:                               ;   in Loop: Header=BB119_13 Depth=1
	global_load_ushort v4, v[0:1], off offset:128
.LBB119_17:                             ;   in Loop: Header=BB119_13 Depth=1
	s_or_b64 exec, exec, s[2:3]
	scratch_load_dword v5, off, off offset:184 ; 4-byte Folded Reload
	s_waitcnt vmcnt(0)
	v_cmp_gt_u32_e64 s[22:23], s82, v5
	s_and_saveexec_b64 s[2:3], s[22:23]
	s_cbranch_execz .LBB119_19
; %bb.18:                               ;   in Loop: Header=BB119_13 Depth=1
	global_load_ushort v3, v[0:1], off offset:256
.LBB119_19:                             ;   in Loop: Header=BB119_13 Depth=1
	s_or_b64 exec, exec, s[2:3]
	scratch_load_dword v5, off, off offset:188 ; 4-byte Folded Reload
	v_mov_b32_e32 v6, 0
	s_waitcnt vmcnt(0)
	v_cmp_gt_u32_e64 s[24:25], s82, v5
	v_mov_b32_e32 v5, 0
	s_and_saveexec_b64 s[2:3], s[24:25]
	s_cbranch_execz .LBB119_21
; %bb.20:                               ;   in Loop: Header=BB119_13 Depth=1
	global_load_ushort v6, v[0:1], off offset:384
.LBB119_21:                             ;   in Loop: Header=BB119_13 Depth=1
	s_or_b64 exec, exec, s[2:3]
	scratch_load_dword v7, off, off offset:192 ; 4-byte Folded Reload
	s_waitcnt vmcnt(0)
	v_cmp_gt_u32_e64 s[26:27], s82, v7
	s_and_saveexec_b64 s[2:3], s[26:27]
	s_cbranch_execz .LBB119_23
; %bb.22:                               ;   in Loop: Header=BB119_13 Depth=1
	global_load_ushort v5, v[0:1], off offset:512
.LBB119_23:                             ;   in Loop: Header=BB119_13 Depth=1
	;; [unrolled: 20-line block ×4, first 2 shown]
	s_or_b64 exec, exec, s[2:3]
	scratch_load_dword v10, off, off offset:212 ; 4-byte Folded Reload
	v_mov_b32_e32 v12, 0
	v_mov_b32_e32 v13, 0
	s_waitcnt vmcnt(0)
	v_cmp_gt_u32_e64 s[38:39], s82, v10
	s_and_saveexec_b64 s[2:3], s[38:39]
	s_cbranch_execz .LBB119_33
; %bb.32:                               ;   in Loop: Header=BB119_13 Depth=1
	global_load_ushort v13, v[0:1], off offset:1152
.LBB119_33:                             ;   in Loop: Header=BB119_13 Depth=1
	s_or_b64 exec, exec, s[2:3]
	scratch_load_dword v10, off, off offset:216 ; 4-byte Folded Reload
	s_waitcnt vmcnt(0)
	v_cmp_gt_u32_e64 s[40:41], s82, v10
	s_and_saveexec_b64 s[2:3], s[40:41]
	s_cbranch_execz .LBB119_35
; %bb.34:                               ;   in Loop: Header=BB119_13 Depth=1
	global_load_ushort v12, v[0:1], off offset:1280
.LBB119_35:                             ;   in Loop: Header=BB119_13 Depth=1
	s_or_b64 exec, exec, s[2:3]
	scratch_load_dword v10, off, off offset:220 ; 4-byte Folded Reload
	v_mov_b32_e32 v14, 0
	v_mov_b32_e32 v15, 0
	s_waitcnt vmcnt(0)
	v_cmp_gt_u32_e64 s[42:43], s82, v10
	s_and_saveexec_b64 s[2:3], s[42:43]
	s_cbranch_execz .LBB119_37
; %bb.36:                               ;   in Loop: Header=BB119_13 Depth=1
	global_load_ushort v15, v[0:1], off offset:1408
.LBB119_37:                             ;   in Loop: Header=BB119_13 Depth=1
	s_or_b64 exec, exec, s[2:3]
	scratch_load_dword v10, off, off offset:224 ; 4-byte Folded Reload
	s_waitcnt vmcnt(0)
	v_cmp_gt_u32_e64 s[44:45], s82, v10
	s_and_saveexec_b64 s[2:3], s[44:45]
	s_cbranch_execz .LBB119_39
; %bb.38:                               ;   in Loop: Header=BB119_13 Depth=1
	global_load_ushort v14, v[0:1], off offset:1536
.LBB119_39:                             ;   in Loop: Header=BB119_13 Depth=1
	;; [unrolled: 20-line block ×3, first 2 shown]
	s_or_b64 exec, exec, s[2:3]
	scratch_load_dword v10, off, off offset:236 ; 4-byte Folded Reload
	v_mov_b32_e32 v20, 0
	s_waitcnt vmcnt(0)
	v_cmp_gt_u32_e64 s[50:51], s82, v10
	v_mov_b32_e32 v10, 0
	s_and_saveexec_b64 s[2:3], s[50:51]
	s_cbranch_execz .LBB119_45
; %bb.44:                               ;   in Loop: Header=BB119_13 Depth=1
	global_load_ushort v20, v[0:1], off offset:1920
.LBB119_45:                             ;   in Loop: Header=BB119_13 Depth=1
	s_or_b64 exec, exec, s[2:3]
	scratch_load_dword v0, off, off offset:4 ; 4-byte Folded Reload
	v_readlane_b32 s0, v95, 4
	v_readlane_b32 s1, v95, 5
	s_waitcnt vmcnt(0)
	ds_write_b16 v0, v2
	scratch_load_dword v0, off, off offset:8 ; 4-byte Folded Reload
	s_waitcnt vmcnt(0)
	ds_write_b16 v0, v4 offset:128
	scratch_load_dword v0, off, off offset:12 ; 4-byte Folded Reload
	s_waitcnt vmcnt(0)
	ds_write_b16 v0, v3 offset:256
	;; [unrolled: 3-line block ×8, first 2 shown]
	scratch_load_dword v0, off, off offset:40 ; 4-byte Folded Reload
	v_lshl_add_u64 v[8:9], s[0:1], 0, v[16:17]
	s_waitcnt vmcnt(0)
	ds_write_b16 v0, v13 offset:1152
	scratch_load_dword v0, off, off offset:44 ; 4-byte Folded Reload
	s_waitcnt vmcnt(0)
	ds_write_b16 v0, v12 offset:1280
	scratch_load_dword v0, off, off offset:48 ; 4-byte Folded Reload
	;; [unrolled: 3-line block ×6, first 2 shown]
	s_waitcnt vmcnt(0)
	ds_write_b16 v0, v20 offset:1920
	; wave barrier
	scratch_load_dword v4, off, off         ; 4-byte Folded Reload
	s_waitcnt vmcnt(0)
	ds_read_b128 v[0:3], v4
	ds_read_b128 v[4:7], v4 offset:16
	s_waitcnt lgkmcnt(0)
	; wave barrier
	s_waitcnt lgkmcnt(0)
	s_and_saveexec_b64 s[2:3], s[18:19]
	s_cbranch_execz .LBB119_47
; %bb.46:                               ;   in Loop: Header=BB119_13 Depth=1
	global_load_ushort v10, v[8:9], off
.LBB119_47:                             ;   in Loop: Header=BB119_13 Depth=1
	s_or_b64 exec, exec, s[2:3]
	v_mov_b32_e32 v11, 0
	v_mov_b32_e32 v12, 0
	s_and_saveexec_b64 s[2:3], s[20:21]
	s_cbranch_execz .LBB119_49
; %bb.48:                               ;   in Loop: Header=BB119_13 Depth=1
	global_load_ushort v12, v[8:9], off offset:128
.LBB119_49:                             ;   in Loop: Header=BB119_13 Depth=1
	s_or_b64 exec, exec, s[2:3]
	s_and_saveexec_b64 s[2:3], s[22:23]
	s_cbranch_execz .LBB119_51
; %bb.50:                               ;   in Loop: Header=BB119_13 Depth=1
	global_load_ushort v11, v[8:9], off offset:256
.LBB119_51:                             ;   in Loop: Header=BB119_13 Depth=1
	s_or_b64 exec, exec, s[2:3]
	v_mov_b32_e32 v13, 0
	v_mov_b32_e32 v14, 0
	s_and_saveexec_b64 s[2:3], s[24:25]
	s_cbranch_execz .LBB119_53
; %bb.52:                               ;   in Loop: Header=BB119_13 Depth=1
	global_load_ushort v14, v[8:9], off offset:384
.LBB119_53:                             ;   in Loop: Header=BB119_13 Depth=1
	s_or_b64 exec, exec, s[2:3]
	s_and_saveexec_b64 s[2:3], s[26:27]
	s_cbranch_execz .LBB119_55
; %bb.54:                               ;   in Loop: Header=BB119_13 Depth=1
	global_load_ushort v13, v[8:9], off offset:512
.LBB119_55:                             ;   in Loop: Header=BB119_13 Depth=1
	;; [unrolled: 14-line block ×6, first 2 shown]
	s_or_b64 exec, exec, s[2:3]
	v_mov_b32_e32 v25, 0
	v_mov_b32_e32 v26, 0
	s_and_saveexec_b64 s[2:3], s[46:47]
	s_cbranch_execnz .LBB119_216
; %bb.72:                               ;   in Loop: Header=BB119_13 Depth=1
	s_or_b64 exec, exec, s[2:3]
	s_and_saveexec_b64 s[2:3], s[48:49]
	s_cbranch_execnz .LBB119_217
.LBB119_73:                             ;   in Loop: Header=BB119_13 Depth=1
	s_or_b64 exec, exec, s[2:3]
	v_mov_b32_e32 v27, 0
	s_and_saveexec_b64 s[2:3], s[50:51]
	s_cbranch_execz .LBB119_75
.LBB119_74:                             ;   in Loop: Header=BB119_13 Depth=1
	global_load_ushort v27, v[8:9], off offset:1920
.LBB119_75:                             ;   in Loop: Header=BB119_13 Depth=1
	s_or_b64 exec, exec, s[2:3]
	scratch_load_dword v8, off, off offset:4 ; 4-byte Folded Reload
	v_readlane_b32 s0, v95, 2
	s_waitcnt vmcnt(0)
	ds_write_b16 v8, v10
	scratch_load_dword v8, off, off offset:8 ; 4-byte Folded Reload
	s_waitcnt vmcnt(0)
	ds_write_b16 v8, v12 offset:128
	scratch_load_dword v8, off, off offset:12 ; 4-byte Folded Reload
	s_waitcnt vmcnt(0)
	ds_write_b16 v8, v11 offset:256
	;; [unrolled: 3-line block ×15, first 2 shown]
	; wave barrier
	scratch_load_dword v8, off, off         ; 4-byte Folded Reload
	s_waitcnt vmcnt(0)
	ds_read_b128 v[12:15], v8
	ds_read_b128 v[8:11], v8 offset:16
	s_waitcnt lgkmcnt(1)
	v_cvt_f32_f16_e32 v18, v12
	v_add_f32_e32 v70, s0, v18
	v_cmp_ge_f32_e32 vcc, s6, v70
	s_and_b64 s[2:3], s[4:5], vcc
	s_and_saveexec_b64 s[52:53], s[2:3]
	s_cbranch_execz .LBB119_77
; %bb.76:                               ;   in Loop: Header=BB119_13 Depth=1
	v_mul_f32_e32 v18, 0x3fb8aa3b, v70
	v_rndne_f32_e32 v19, v18
	v_sub_f32_e32 v20, v18, v19
	v_fma_f32 v18, v70, s7, -v18
	v_fmac_f32_e32 v18, 0x32a5705f, v70
	v_add_f32_e32 v18, v20, v18
	v_cvt_i32_f32_e32 v19, v19
	v_exp_f32_e32 v18, v18
	v_cmp_ngt_f32_e32 vcc, s8, v70
	v_ldexp_f32 v18, v18, v19
	s_nop 0
	v_cndmask_b32_e32 v18, 0, v18, vcc
	v_cmp_nlt_f32_e32 vcc, s9, v70
	s_nop 1
	v_cndmask_b32_e32 v34, v41, v18, vcc
	v_add_f32_e32 v20, 1.0, v34
	v_add_f32_e32 v18, -1.0, v20
	v_sub_f32_e32 v19, v18, v20
	v_add_f32_e32 v19, 1.0, v19
	v_sub_f32_e32 v18, v34, v18
	v_add_f32_e32 v21, v18, v19
	v_frexp_mant_f32_e32 v22, v20
	v_cvt_f64_f32_e32 v[18:19], v20
	v_frexp_exp_i32_f64_e32 v18, v[18:19]
	v_cmp_gt_f32_e32 vcc, s11, v22
	v_cmp_gt_f32_e64 s[2:3], s54, v34
	s_nop 0
	v_subbrev_co_u32_e32 v26, vcc, 0, v18, vcc
	v_sub_u32_e32 v18, 0, v26
	v_ldexp_f32 v19, v20, v18
	v_add_f32_e32 v20, -1.0, v19
	v_add_f32_e32 v22, 1.0, v19
	v_ldexp_f32 v18, v21, v18
	v_add_f32_e32 v21, 1.0, v20
	v_add_f32_e32 v23, -1.0, v22
	v_sub_f32_e32 v21, v19, v21
	v_sub_f32_e32 v19, v19, v23
	v_add_f32_e32 v21, v18, v21
	v_add_f32_e32 v18, v18, v19
	;; [unrolled: 1-line block ×3, first 2 shown]
	v_rcp_f32_e32 v29, v27
	v_sub_f32_e32 v19, v22, v27
	v_add_f32_e32 v28, v18, v19
	v_add_f32_e32 v19, v20, v21
	v_mul_f32_e32 v31, v19, v29
	v_sub_f32_e32 v18, v20, v19
	v_mul_f32_e32 v20, v27, v31
	v_fma_f32 v22, v31, v27, -v20
	v_fmac_f32_e32 v22, v31, v28
	v_add_f32_e32 v30, v21, v18
	v_add_f32_e32 v18, v20, v22
	v_sub_f32_e32 v21, v19, v18
	v_pk_add_f32 v[24:25], v[18:19], v[20:21] neg_lo:[0,1] neg_hi:[0,1]
	v_mov_b32_e32 v23, v18
	v_pk_add_f32 v[18:19], v[24:25], v[22:23] neg_lo:[0,1] neg_hi:[0,1]
	v_cmp_eq_f32_e32 vcc, s10, v34
	v_add_f32_e32 v19, v30, v19
	v_add_f32_e32 v18, v18, v19
	;; [unrolled: 1-line block ×3, first 2 shown]
	v_mul_f32_e32 v30, v29, v19
	v_mul_f32_e32 v20, v27, v30
	v_fma_f32 v22, v30, v27, -v20
	v_fmac_f32_e32 v22, v30, v28
	v_sub_f32_e32 v21, v21, v19
	v_add_f32_e32 v27, v18, v21
	v_add_f32_e32 v18, v20, v22
	v_sub_f32_e32 v21, v19, v18
	v_pk_add_f32 v[24:25], v[18:19], v[20:21] neg_lo:[0,1] neg_hi:[0,1]
	v_mov_b32_e32 v23, v18
	v_pk_add_f32 v[18:19], v[24:25], v[22:23] neg_lo:[0,1] neg_hi:[0,1]
	s_or_b64 vcc, s[2:3], vcc
	v_add_f32_e32 v19, v27, v19
	v_add_f32_e32 v18, v18, v19
	;; [unrolled: 1-line block ×4, first 2 shown]
	v_sub_f32_e32 v20, v19, v31
	v_mul_f32_e32 v18, v29, v18
	v_sub_f32_e32 v20, v30, v20
	v_add_f32_e32 v20, v20, v18
	v_add_f32_e32 v22, v19, v20
	v_mul_f32_e32 v23, v22, v22
	v_fmamk_f32 v18, v23, 0x3e9b6dac, v40
	v_fmaak_f32 v43, v23, v18, 0x3f2aaada
	v_cvt_f32_i32_e32 v18, v26
	v_sub_f32_e32 v19, v22, v19
	v_sub_f32_e32 v19, v20, v19
	v_ldexp_f32 v24, v19, 1
	v_mul_f32_e32 v19, v22, v23
	v_ldexp_f32 v21, v22, 1
	v_pk_mul_f32 v[22:23], v[18:19], v[42:43]
	s_nop 0
	v_fma_f32 v20, v18, s33, -v22
	v_fmac_f32_e32 v20, 0xb102e308, v18
	v_pk_add_f32 v[18:19], v[22:23], v[20:21]
	s_nop 0
	v_sub_f32_e32 v21, v19, v21
	v_sub_f32_e32 v21, v23, v21
	v_add_f32_e32 v25, v24, v21
	v_mov_b32_e32 v24, v22
	v_pk_add_f32 v[22:23], v[18:19], v[22:23] neg_lo:[0,1] neg_hi:[0,1]
	v_pk_add_f32 v[26:27], v[18:19], v[24:25]
	v_mov_b32_e32 v21, v18
	v_mov_b32_e32 v23, v27
	v_pk_add_f32 v[28:29], v[20:21], v[22:23] neg_lo:[0,1] neg_hi:[0,1]
	v_pk_add_f32 v[20:21], v[20:21], v[22:23]
	v_mov_b32_e32 v24, v25
	v_mov_b32_e32 v22, v21
	v_pk_add_f32 v[30:31], v[22:23], v[18:19] neg_lo:[0,1] neg_hi:[0,1]
	v_mov_b32_e32 v20, v27
	v_mov_b32_e32 v23, v30
	v_pk_add_f32 v[32:33], v[26:27], v[22:23] neg_lo:[0,1] neg_hi:[0,1]
	v_mov_b32_e32 v26, v19
	v_mov_b32_e32 v27, v30
	;; [unrolled: 1-line block ×3, first 2 shown]
	v_pk_add_f32 v[20:21], v[20:21], v[26:27] neg_lo:[0,1] neg_hi:[0,1]
	v_mov_b32_e32 v25, v18
	v_pk_add_f32 v[18:19], v[24:25], v[20:21] neg_lo:[0,1] neg_hi:[0,1]
	v_mov_b32_e32 v32, v28
	v_pk_add_f32 v[20:21], v[32:33], v[18:19]
	s_nop 0
	v_mov_b32_e32 v24, v21
	v_pk_add_f32 v[24:25], v[20:21], v[24:25]
	s_nop 0
	v_pk_add_f32 v[22:23], v[22:23], v[24:25]
	v_mov_b32_e32 v19, v24
	v_mov_b32_e32 v21, v22
	v_pk_add_f32 v[26:27], v[20:21], v[28:29] neg_lo:[0,1] neg_hi:[0,1]
	s_nop 0
	v_sub_f32_e32 v20, v20, v26
	v_pk_add_f32 v[18:19], v[18:19], v[26:27] neg_lo:[0,1] neg_hi:[0,1]
	v_sub_f32_e32 v20, v28, v20
	v_add_f32_e32 v18, v18, v20
	v_add_f32_e32 v18, v18, v19
	;; [unrolled: 1-line block ×3, first 2 shown]
	v_cndmask_b32_e32 v70, v18, v34, vcc
.LBB119_77:                             ;   in Loop: Header=BB119_13 Depth=1
	s_or_b64 exec, exec, s[52:53]
	v_cvt_f32_f16_sdwa v12, v12 dst_sel:DWORD dst_unused:UNUSED_PAD src0_sel:WORD_1
	v_readlane_b32 s0, v95, 2
	s_nop 1
	v_add_f32_e32 v19, s0, v12
	v_cmp_ge_f32_e32 vcc, s6, v19
	s_and_b64 s[2:3], s[4:5], vcc
	s_and_saveexec_b64 s[52:53], s[2:3]
	s_cbranch_execz .LBB119_79
; %bb.78:                               ;   in Loop: Header=BB119_13 Depth=1
	v_mul_f32_e32 v12, 0x3fb8aa3b, v19
	v_rndne_f32_e32 v18, v12
	v_sub_f32_e32 v20, v12, v18
	v_fma_f32 v12, v19, s7, -v12
	v_fmac_f32_e32 v12, 0x32a5705f, v19
	v_add_f32_e32 v12, v20, v12
	v_cvt_i32_f32_e32 v18, v18
	v_exp_f32_e32 v12, v12
	v_cmp_ngt_f32_e32 vcc, s8, v19
	v_ldexp_f32 v12, v12, v18
	s_nop 0
	v_cndmask_b32_e32 v12, 0, v12, vcc
	v_cmp_nlt_f32_e32 vcc, s9, v19
	s_nop 1
	v_cndmask_b32_e32 v32, v41, v12, vcc
	v_add_f32_e32 v12, 1.0, v32
	v_add_f32_e32 v18, -1.0, v12
	v_sub_f32_e32 v19, v18, v12
	v_add_f32_e32 v19, 1.0, v19
	v_sub_f32_e32 v18, v32, v18
	v_add_f32_e32 v20, v18, v19
	v_frexp_mant_f32_e32 v21, v12
	v_cvt_f64_f32_e32 v[18:19], v12
	v_frexp_exp_i32_f64_e32 v18, v[18:19]
	v_cmp_gt_f32_e32 vcc, s11, v21
	v_cmp_gt_f32_e64 s[2:3], s54, v32
	s_nop 0
	v_subbrev_co_u32_e32 v26, vcc, 0, v18, vcc
	v_sub_u32_e32 v18, 0, v26
	v_ldexp_f32 v12, v12, v18
	v_ldexp_f32 v18, v20, v18
	v_add_f32_e32 v20, -1.0, v12
	v_add_f32_e32 v19, 1.0, v20
	v_sub_f32_e32 v19, v12, v19
	v_add_f32_e32 v21, v18, v19
	v_add_f32_e32 v19, 1.0, v12
	v_add_f32_e32 v22, -1.0, v19
	v_sub_f32_e32 v12, v12, v22
	v_add_f32_e32 v12, v18, v12
	v_add_f32_e32 v27, v19, v12
	v_rcp_f32_e32 v28, v27
	v_sub_f32_e32 v18, v19, v27
	v_add_f32_e32 v19, v20, v21
	v_add_f32_e32 v12, v12, v18
	v_mul_f32_e32 v30, v19, v28
	v_sub_f32_e32 v18, v20, v19
	v_mul_f32_e32 v20, v27, v30
	v_fma_f32 v22, v30, v27, -v20
	v_fmac_f32_e32 v22, v30, v12
	v_add_f32_e32 v29, v21, v18
	v_add_f32_e32 v18, v20, v22
	v_sub_f32_e32 v21, v19, v18
	v_pk_add_f32 v[24:25], v[18:19], v[20:21] neg_lo:[0,1] neg_hi:[0,1]
	v_mov_b32_e32 v23, v18
	v_pk_add_f32 v[18:19], v[24:25], v[22:23] neg_lo:[0,1] neg_hi:[0,1]
	v_cmp_eq_f32_e32 vcc, s10, v32
	v_add_f32_e32 v19, v29, v19
	v_add_f32_e32 v18, v18, v19
	v_add_f32_e32 v19, v21, v18
	v_mul_f32_e32 v29, v28, v19
	v_mul_f32_e32 v20, v27, v29
	v_fma_f32 v22, v29, v27, -v20
	v_fmac_f32_e32 v22, v29, v12
	v_sub_f32_e32 v12, v21, v19
	v_add_f32_e32 v12, v18, v12
	v_add_f32_e32 v18, v20, v22
	v_sub_f32_e32 v21, v19, v18
	v_pk_add_f32 v[24:25], v[18:19], v[20:21] neg_lo:[0,1] neg_hi:[0,1]
	v_mov_b32_e32 v23, v18
	v_pk_add_f32 v[18:19], v[24:25], v[22:23] neg_lo:[0,1] neg_hi:[0,1]
	s_or_b64 vcc, s[2:3], vcc
	v_add_f32_e32 v12, v12, v19
	v_add_f32_e32 v12, v18, v12
	;; [unrolled: 1-line block ×4, first 2 shown]
	v_sub_f32_e32 v18, v19, v30
	v_mul_f32_e32 v12, v28, v12
	v_sub_f32_e32 v18, v29, v18
	v_add_f32_e32 v12, v18, v12
	v_add_f32_e32 v20, v19, v12
	v_mul_f32_e32 v22, v20, v20
	v_fmamk_f32 v18, v22, 0x3e9b6dac, v40
	v_fmaak_f32 v43, v22, v18, 0x3f2aaada
	v_cvt_f32_i32_e32 v18, v26
	v_sub_f32_e32 v19, v20, v19
	v_sub_f32_e32 v12, v12, v19
	v_mul_f32_e32 v19, v20, v22
	v_pk_mul_f32 v[22:23], v[18:19], v[42:43]
	v_ldexp_f32 v21, v20, 1
	v_fma_f32 v20, v18, s33, -v22
	v_fmac_f32_e32 v20, 0xb102e308, v18
	v_pk_add_f32 v[18:19], v[22:23], v[20:21]
	v_ldexp_f32 v12, v12, 1
	v_sub_f32_e32 v21, v19, v21
	v_sub_f32_e32 v21, v23, v21
	v_add_f32_e32 v25, v12, v21
	v_mov_b32_e32 v24, v22
	v_pk_add_f32 v[22:23], v[18:19], v[22:23] neg_lo:[0,1] neg_hi:[0,1]
	v_pk_add_f32 v[26:27], v[18:19], v[24:25]
	v_mov_b32_e32 v21, v18
	v_mov_b32_e32 v23, v27
	v_pk_add_f32 v[28:29], v[20:21], v[22:23] neg_lo:[0,1] neg_hi:[0,1]
	v_pk_add_f32 v[20:21], v[20:21], v[22:23]
	s_nop 0
	v_mov_b32_e32 v12, v21
	v_pk_add_f32 v[22:23], v[12:13], v[18:19] neg_lo:[0,1] neg_hi:[0,1]
	v_mov_b32_e32 v20, v27
	v_mov_b32_e32 v23, v22
	v_pk_add_f32 v[30:31], v[26:27], v[22:23] neg_lo:[0,1] neg_hi:[0,1]
	v_mov_b32_e32 v26, v19
	v_mov_b32_e32 v27, v22
	;; [unrolled: 1-line block ×3, first 2 shown]
	v_pk_add_f32 v[20:21], v[20:21], v[26:27] neg_lo:[0,1] neg_hi:[0,1]
	v_mov_b32_e32 v22, v25
	v_mov_b32_e32 v23, v18
	v_pk_add_f32 v[18:19], v[22:23], v[20:21] neg_lo:[0,1] neg_hi:[0,1]
	v_mov_b32_e32 v30, v28
	v_pk_add_f32 v[20:21], v[30:31], v[18:19]
	s_nop 0
	v_mov_b32_e32 v22, v21
	v_pk_add_f32 v[22:23], v[20:21], v[22:23]
	s_nop 0
	v_pk_add_f32 v[24:25], v[12:13], v[22:23]
	v_mov_b32_e32 v19, v22
	v_mov_b32_e32 v21, v24
	v_pk_add_f32 v[26:27], v[20:21], v[28:29] neg_lo:[0,1] neg_hi:[0,1]
	s_nop 0
	v_sub_f32_e32 v12, v20, v26
	v_pk_add_f32 v[18:19], v[18:19], v[26:27] neg_lo:[0,1] neg_hi:[0,1]
	v_sub_f32_e32 v12, v28, v12
	v_add_f32_e32 v12, v18, v12
	v_add_f32_e32 v12, v12, v19
	;; [unrolled: 1-line block ×3, first 2 shown]
	v_cndmask_b32_e32 v19, v12, v32, vcc
.LBB119_79:                             ;   in Loop: Header=BB119_13 Depth=1
	s_or_b64 exec, exec, s[52:53]
	v_cvt_f32_f16_e32 v12, v13
	v_readlane_b32 s0, v95, 2
	s_nop 1
	v_add_f32_e32 v20, s0, v12
	v_cmp_ge_f32_e32 vcc, s6, v20
	s_and_b64 s[2:3], s[4:5], vcc
	s_and_saveexec_b64 s[52:53], s[2:3]
	s_cbranch_execz .LBB119_81
; %bb.80:                               ;   in Loop: Header=BB119_13 Depth=1
	v_mul_f32_e32 v12, 0x3fb8aa3b, v20
	v_rndne_f32_e32 v18, v12
	v_sub_f32_e32 v21, v12, v18
	v_fma_f32 v12, v20, s7, -v12
	v_fmac_f32_e32 v12, 0x32a5705f, v20
	v_add_f32_e32 v12, v21, v12
	v_cvt_i32_f32_e32 v18, v18
	v_exp_f32_e32 v12, v12
	v_cmp_ngt_f32_e32 vcc, s8, v20
	v_ldexp_f32 v12, v12, v18
	s_nop 0
	v_cndmask_b32_e32 v12, 0, v12, vcc
	v_cmp_nlt_f32_e32 vcc, s9, v20
	s_nop 1
	v_cndmask_b32_e32 v34, v41, v12, vcc
	v_add_f32_e32 v12, 1.0, v34
	v_add_f32_e32 v18, -1.0, v12
	v_sub_f32_e32 v20, v18, v12
	v_add_f32_e32 v20, 1.0, v20
	v_sub_f32_e32 v18, v34, v18
	v_add_f32_e32 v18, v18, v20
	v_frexp_mant_f32_e32 v22, v12
	v_cvt_f64_f32_e32 v[20:21], v12
	v_frexp_exp_i32_f64_e32 v20, v[20:21]
	v_cmp_gt_f32_e32 vcc, s11, v22
	v_cmp_gt_f32_e64 s[2:3], s54, v34
	s_nop 0
	v_subbrev_co_u32_e32 v28, vcc, 0, v20, vcc
	v_sub_u32_e32 v20, 0, v28
	v_ldexp_f32 v12, v12, v20
	v_ldexp_f32 v18, v18, v20
	v_add_f32_e32 v20, -1.0, v12
	v_add_f32_e32 v21, 1.0, v20
	v_sub_f32_e32 v21, v12, v21
	v_add_f32_e32 v22, v18, v21
	v_add_f32_e32 v21, 1.0, v12
	v_add_f32_e32 v23, -1.0, v21
	v_sub_f32_e32 v12, v12, v23
	v_add_f32_e32 v12, v18, v12
	v_add_f32_e32 v18, v21, v12
	v_rcp_f32_e32 v29, v18
	v_sub_f32_e32 v21, v21, v18
	v_add_f32_e32 v12, v12, v21
	v_add_f32_e32 v21, v20, v22
	v_sub_f32_e32 v20, v20, v21
	v_mul_f32_e32 v31, v21, v29
	v_add_f32_e32 v30, v22, v20
	v_mul_f32_e32 v22, v18, v31
	v_fma_f32 v24, v31, v18, -v22
	v_fmac_f32_e32 v24, v31, v12
	v_add_f32_e32 v20, v22, v24
	v_sub_f32_e32 v23, v21, v20
	v_pk_add_f32 v[26:27], v[20:21], v[22:23] neg_lo:[0,1] neg_hi:[0,1]
	v_mov_b32_e32 v25, v20
	v_pk_add_f32 v[20:21], v[26:27], v[24:25] neg_lo:[0,1] neg_hi:[0,1]
	v_cmp_eq_f32_e32 vcc, s10, v34
	v_add_f32_e32 v21, v30, v21
	v_add_f32_e32 v20, v20, v21
	;; [unrolled: 1-line block ×3, first 2 shown]
	v_mul_f32_e32 v30, v29, v21
	v_mul_f32_e32 v22, v18, v30
	v_fma_f32 v24, v30, v18, -v22
	v_fmac_f32_e32 v24, v30, v12
	v_sub_f32_e32 v12, v23, v21
	v_add_f32_e32 v12, v20, v12
	v_add_f32_e32 v20, v22, v24
	v_sub_f32_e32 v23, v21, v20
	v_pk_add_f32 v[26:27], v[20:21], v[22:23] neg_lo:[0,1] neg_hi:[0,1]
	v_mov_b32_e32 v25, v20
	v_pk_add_f32 v[20:21], v[26:27], v[24:25] neg_lo:[0,1] neg_hi:[0,1]
	v_add_f32_e32 v18, v31, v30
	v_add_f32_e32 v12, v12, v21
	;; [unrolled: 1-line block ×4, first 2 shown]
	v_sub_f32_e32 v20, v18, v31
	v_mul_f32_e32 v12, v29, v12
	v_sub_f32_e32 v20, v30, v20
	v_add_f32_e32 v12, v20, v12
	v_add_f32_e32 v21, v18, v12
	v_mul_f32_e32 v22, v21, v21
	v_fmamk_f32 v20, v22, 0x3e9b6dac, v40
	v_fmaak_f32 v43, v22, v20, 0x3f2aaada
	v_cvt_f32_i32_e32 v20, v28
	v_sub_f32_e32 v18, v21, v18
	v_ldexp_f32 v23, v21, 1
	v_mul_f32_e32 v21, v21, v22
	v_pk_mul_f32 v[24:25], v[20:21], v[42:43]
	v_sub_f32_e32 v12, v12, v18
	v_fma_f32 v22, v20, s33, -v24
	v_fmac_f32_e32 v22, 0xb102e308, v20
	v_pk_add_f32 v[20:21], v[24:25], v[22:23]
	v_ldexp_f32 v12, v12, 1
	v_sub_f32_e32 v18, v21, v23
	v_sub_f32_e32 v18, v25, v18
	v_add_f32_e32 v27, v12, v18
	v_mov_b32_e32 v26, v24
	v_pk_add_f32 v[24:25], v[20:21], v[24:25] neg_lo:[0,1] neg_hi:[0,1]
	v_pk_add_f32 v[28:29], v[20:21], v[26:27]
	v_mov_b32_e32 v23, v20
	v_mov_b32_e32 v25, v29
	v_pk_add_f32 v[30:31], v[22:23], v[24:25] neg_lo:[0,1] neg_hi:[0,1]
	v_pk_add_f32 v[22:23], v[22:23], v[24:25]
	s_or_b64 vcc, s[2:3], vcc
	v_mov_b32_e32 v12, v23
	v_pk_add_f32 v[24:25], v[12:13], v[20:21] neg_lo:[0,1] neg_hi:[0,1]
	v_mov_b32_e32 v22, v29
	v_mov_b32_e32 v25, v24
	v_pk_add_f32 v[32:33], v[28:29], v[24:25] neg_lo:[0,1] neg_hi:[0,1]
	v_mov_b32_e32 v28, v21
	v_mov_b32_e32 v29, v24
	;; [unrolled: 1-line block ×3, first 2 shown]
	v_pk_add_f32 v[22:23], v[22:23], v[28:29] neg_lo:[0,1] neg_hi:[0,1]
	v_mov_b32_e32 v24, v27
	v_mov_b32_e32 v25, v20
	v_pk_add_f32 v[20:21], v[24:25], v[22:23] neg_lo:[0,1] neg_hi:[0,1]
	v_mov_b32_e32 v32, v30
	v_pk_add_f32 v[22:23], v[32:33], v[20:21]
	s_nop 0
	v_mov_b32_e32 v18, v23
	v_pk_add_f32 v[24:25], v[22:23], v[18:19]
	s_nop 0
	v_pk_add_f32 v[26:27], v[12:13], v[24:25]
	v_mov_b32_e32 v21, v24
	v_mov_b32_e32 v23, v26
	v_pk_add_f32 v[28:29], v[22:23], v[30:31] neg_lo:[0,1] neg_hi:[0,1]
	s_nop 0
	v_sub_f32_e32 v12, v22, v28
	v_pk_add_f32 v[20:21], v[20:21], v[28:29] neg_lo:[0,1] neg_hi:[0,1]
	v_sub_f32_e32 v12, v30, v12
	v_add_f32_e32 v12, v20, v12
	v_add_f32_e32 v12, v12, v21
	;; [unrolled: 1-line block ×3, first 2 shown]
	v_cndmask_b32_e32 v20, v12, v34, vcc
.LBB119_81:                             ;   in Loop: Header=BB119_13 Depth=1
	s_or_b64 exec, exec, s[52:53]
	v_cvt_f32_f16_sdwa v12, v13 dst_sel:DWORD dst_unused:UNUSED_PAD src0_sel:WORD_1
	v_readlane_b32 s0, v95, 2
	s_nop 1
	v_add_f32_e32 v21, s0, v12
	v_cmp_ge_f32_e32 vcc, s6, v21
	s_and_b64 s[2:3], s[4:5], vcc
	s_and_saveexec_b64 s[52:53], s[2:3]
	s_cbranch_execz .LBB119_83
; %bb.82:                               ;   in Loop: Header=BB119_13 Depth=1
	v_mul_f32_e32 v12, 0x3fb8aa3b, v21
	v_rndne_f32_e32 v13, v12
	v_sub_f32_e32 v18, v12, v13
	v_fma_f32 v12, v21, s7, -v12
	v_fmac_f32_e32 v12, 0x32a5705f, v21
	v_add_f32_e32 v12, v18, v12
	v_cvt_i32_f32_e32 v13, v13
	v_exp_f32_e32 v12, v12
	v_cmp_ngt_f32_e32 vcc, s8, v21
	v_ldexp_f32 v12, v12, v13
	s_nop 0
	v_cndmask_b32_e32 v12, 0, v12, vcc
	v_cmp_nlt_f32_e32 vcc, s9, v21
	s_nop 1
	v_cndmask_b32_e32 v34, v41, v12, vcc
	v_add_f32_e32 v18, 1.0, v34
	v_add_f32_e32 v12, -1.0, v18
	v_sub_f32_e32 v13, v12, v18
	v_add_f32_e32 v13, 1.0, v13
	v_sub_f32_e32 v12, v34, v12
	v_add_f32_e32 v21, v12, v13
	v_frexp_mant_f32_e32 v22, v18
	v_cvt_f64_f32_e32 v[12:13], v18
	v_frexp_exp_i32_f64_e32 v12, v[12:13]
	v_cmp_gt_f32_e32 vcc, s11, v22
	v_cmp_gt_f32_e64 s[2:3], s54, v34
	s_nop 0
	v_subbrev_co_u32_e32 v28, vcc, 0, v12, vcc
	v_sub_u32_e32 v12, 0, v28
	v_ldexp_f32 v13, v18, v12
	v_add_f32_e32 v18, -1.0, v13
	v_add_f32_e32 v22, 1.0, v13
	v_ldexp_f32 v12, v21, v12
	v_add_f32_e32 v21, 1.0, v18
	v_add_f32_e32 v23, -1.0, v22
	v_sub_f32_e32 v21, v13, v21
	v_sub_f32_e32 v13, v13, v23
	v_add_f32_e32 v21, v12, v21
	v_add_f32_e32 v12, v12, v13
	;; [unrolled: 1-line block ×3, first 2 shown]
	v_rcp_f32_e32 v31, v29
	v_sub_f32_e32 v13, v22, v29
	v_add_f32_e32 v30, v12, v13
	v_add_f32_e32 v13, v18, v21
	v_sub_f32_e32 v12, v18, v13
	v_add_f32_e32 v18, v21, v12
	v_mul_f32_e32 v21, v13, v31
	v_mul_f32_e32 v22, v29, v21
	v_fma_f32 v24, v21, v29, -v22
	v_fmac_f32_e32 v24, v21, v30
	v_add_f32_e32 v12, v22, v24
	v_sub_f32_e32 v23, v13, v12
	v_pk_add_f32 v[26:27], v[12:13], v[22:23] neg_lo:[0,1] neg_hi:[0,1]
	v_mov_b32_e32 v25, v12
	v_pk_add_f32 v[12:13], v[26:27], v[24:25] neg_lo:[0,1] neg_hi:[0,1]
	v_cmp_eq_f32_e32 vcc, s10, v34
	v_add_f32_e32 v13, v18, v13
	v_add_f32_e32 v12, v12, v13
	;; [unrolled: 1-line block ×3, first 2 shown]
	v_mul_f32_e32 v18, v31, v13
	v_mul_f32_e32 v22, v29, v18
	v_fma_f32 v24, v18, v29, -v22
	v_fmac_f32_e32 v24, v18, v30
	v_sub_f32_e32 v23, v23, v13
	v_add_f32_e32 v29, v12, v23
	v_add_f32_e32 v12, v22, v24
	v_sub_f32_e32 v23, v13, v12
	v_pk_add_f32 v[26:27], v[12:13], v[22:23] neg_lo:[0,1] neg_hi:[0,1]
	v_mov_b32_e32 v25, v12
	v_pk_add_f32 v[12:13], v[26:27], v[24:25] neg_lo:[0,1] neg_hi:[0,1]
	s_or_b64 vcc, s[2:3], vcc
	v_add_f32_e32 v13, v29, v13
	v_add_f32_e32 v12, v12, v13
	;; [unrolled: 1-line block ×4, first 2 shown]
	v_sub_f32_e32 v21, v13, v21
	v_mul_f32_e32 v12, v31, v12
	v_sub_f32_e32 v18, v18, v21
	v_add_f32_e32 v18, v18, v12
	v_add_f32_e32 v21, v13, v18
	v_mul_f32_e32 v22, v21, v21
	v_fmamk_f32 v12, v22, 0x3e9b6dac, v40
	v_fmaak_f32 v43, v22, v12, 0x3f2aaada
	v_cvt_f32_i32_e32 v12, v28
	v_sub_f32_e32 v13, v21, v13
	v_sub_f32_e32 v13, v18, v13
	v_ldexp_f32 v18, v13, 1
	v_mul_f32_e32 v13, v21, v22
	v_pk_mul_f32 v[24:25], v[12:13], v[42:43]
	v_ldexp_f32 v23, v21, 1
	v_fma_f32 v22, v12, s33, -v24
	v_fmac_f32_e32 v22, 0xb102e308, v12
	v_pk_add_f32 v[12:13], v[24:25], v[22:23]
	v_mov_b32_e32 v26, v24
	v_sub_f32_e32 v21, v13, v23
	v_sub_f32_e32 v21, v25, v21
	v_add_f32_e32 v27, v18, v21
	v_pk_add_f32 v[24:25], v[12:13], v[24:25] neg_lo:[0,1] neg_hi:[0,1]
	v_pk_add_f32 v[28:29], v[12:13], v[26:27]
	v_mov_b32_e32 v23, v12
	v_mov_b32_e32 v25, v29
	v_pk_add_f32 v[30:31], v[22:23], v[24:25] neg_lo:[0,1] neg_hi:[0,1]
	v_pk_add_f32 v[22:23], v[22:23], v[24:25]
	s_nop 0
	v_mov_b32_e32 v18, v23
	v_pk_add_f32 v[24:25], v[18:19], v[12:13] neg_lo:[0,1] neg_hi:[0,1]
	v_mov_b32_e32 v22, v29
	v_mov_b32_e32 v21, v24
	v_pk_add_f32 v[32:33], v[28:29], v[20:21] neg_lo:[0,1] neg_hi:[0,1]
	v_mov_b32_e32 v28, v13
	v_mov_b32_e32 v29, v24
	;; [unrolled: 1-line block ×3, first 2 shown]
	v_pk_add_f32 v[22:23], v[22:23], v[28:29] neg_lo:[0,1] neg_hi:[0,1]
	v_mov_b32_e32 v24, v27
	v_mov_b32_e32 v25, v12
	v_pk_add_f32 v[12:13], v[24:25], v[22:23] neg_lo:[0,1] neg_hi:[0,1]
	v_mov_b32_e32 v32, v30
	v_pk_add_f32 v[22:23], v[32:33], v[12:13]
	s_nop 0
	v_mov_b32_e32 v24, v23
	v_pk_add_f32 v[24:25], v[22:23], v[24:25]
	s_nop 0
	v_pk_add_f32 v[26:27], v[18:19], v[24:25]
	v_mov_b32_e32 v13, v24
	v_mov_b32_e32 v23, v26
	v_pk_add_f32 v[28:29], v[22:23], v[30:31] neg_lo:[0,1] neg_hi:[0,1]
	s_nop 0
	v_sub_f32_e32 v18, v22, v28
	v_pk_add_f32 v[12:13], v[12:13], v[28:29] neg_lo:[0,1] neg_hi:[0,1]
	v_sub_f32_e32 v18, v30, v18
	v_add_f32_e32 v12, v12, v18
	v_add_f32_e32 v12, v12, v13
	;; [unrolled: 1-line block ×3, first 2 shown]
	v_cndmask_b32_e32 v21, v12, v34, vcc
.LBB119_83:                             ;   in Loop: Header=BB119_13 Depth=1
	s_or_b64 exec, exec, s[52:53]
	v_cvt_f32_f16_e32 v12, v14
	v_readlane_b32 s0, v95, 2
	s_nop 1
	v_add_f32_e32 v18, s0, v12
	v_cmp_ge_f32_e32 vcc, s6, v18
	s_and_b64 s[2:3], s[4:5], vcc
	s_and_saveexec_b64 s[52:53], s[2:3]
	s_cbranch_execz .LBB119_85
; %bb.84:                               ;   in Loop: Header=BB119_13 Depth=1
	v_mul_f32_e32 v12, 0x3fb8aa3b, v18
	v_rndne_f32_e32 v13, v12
	v_sub_f32_e32 v22, v12, v13
	v_fma_f32 v12, v18, s7, -v12
	v_fmac_f32_e32 v12, 0x32a5705f, v18
	v_add_f32_e32 v12, v22, v12
	v_cvt_i32_f32_e32 v13, v13
	v_exp_f32_e32 v12, v12
	v_cmp_ngt_f32_e32 vcc, s8, v18
	v_ldexp_f32 v12, v12, v13
	s_nop 0
	v_cndmask_b32_e32 v12, 0, v12, vcc
	v_cmp_nlt_f32_e32 vcc, s9, v18
	s_nop 1
	v_cndmask_b32_e32 v34, v41, v12, vcc
	v_add_f32_e32 v18, 1.0, v34
	v_add_f32_e32 v12, -1.0, v18
	v_sub_f32_e32 v13, v12, v18
	v_add_f32_e32 v13, 1.0, v13
	v_sub_f32_e32 v12, v34, v12
	v_add_f32_e32 v22, v12, v13
	v_frexp_mant_f32_e32 v23, v18
	v_cvt_f64_f32_e32 v[12:13], v18
	v_frexp_exp_i32_f64_e32 v12, v[12:13]
	v_cmp_gt_f32_e32 vcc, s11, v23
	v_cmp_gt_f32_e64 s[2:3], s54, v34
	s_nop 0
	v_subbrev_co_u32_e32 v28, vcc, 0, v12, vcc
	v_sub_u32_e32 v12, 0, v28
	v_ldexp_f32 v13, v18, v12
	v_add_f32_e32 v18, -1.0, v13
	v_add_f32_e32 v23, 1.0, v13
	v_ldexp_f32 v12, v22, v12
	v_add_f32_e32 v22, 1.0, v18
	v_add_f32_e32 v24, -1.0, v23
	v_sub_f32_e32 v22, v13, v22
	v_sub_f32_e32 v13, v13, v24
	v_add_f32_e32 v22, v12, v22
	v_add_f32_e32 v12, v12, v13
	;; [unrolled: 1-line block ×3, first 2 shown]
	v_rcp_f32_e32 v31, v29
	v_sub_f32_e32 v13, v23, v29
	v_add_f32_e32 v30, v12, v13
	v_add_f32_e32 v13, v18, v22
	v_sub_f32_e32 v12, v18, v13
	v_mul_f32_e32 v32, v13, v31
	v_add_f32_e32 v18, v22, v12
	v_mul_f32_e32 v22, v29, v32
	v_fma_f32 v24, v32, v29, -v22
	v_fmac_f32_e32 v24, v32, v30
	v_add_f32_e32 v12, v22, v24
	v_sub_f32_e32 v23, v13, v12
	v_pk_add_f32 v[26:27], v[12:13], v[22:23] neg_lo:[0,1] neg_hi:[0,1]
	v_mov_b32_e32 v25, v12
	v_pk_add_f32 v[12:13], v[26:27], v[24:25] neg_lo:[0,1] neg_hi:[0,1]
	v_cmp_eq_f32_e32 vcc, s10, v34
	v_add_f32_e32 v13, v18, v13
	v_add_f32_e32 v12, v12, v13
	;; [unrolled: 1-line block ×3, first 2 shown]
	v_mul_f32_e32 v18, v31, v13
	v_mul_f32_e32 v22, v29, v18
	v_fma_f32 v24, v18, v29, -v22
	v_fmac_f32_e32 v24, v18, v30
	v_sub_f32_e32 v23, v23, v13
	v_add_f32_e32 v29, v12, v23
	v_add_f32_e32 v12, v22, v24
	v_sub_f32_e32 v23, v13, v12
	v_pk_add_f32 v[26:27], v[12:13], v[22:23] neg_lo:[0,1] neg_hi:[0,1]
	v_mov_b32_e32 v25, v12
	v_pk_add_f32 v[12:13], v[26:27], v[24:25] neg_lo:[0,1] neg_hi:[0,1]
	s_or_b64 vcc, s[2:3], vcc
	v_add_f32_e32 v13, v29, v13
	v_add_f32_e32 v12, v12, v13
	;; [unrolled: 1-line block ×4, first 2 shown]
	v_sub_f32_e32 v22, v13, v32
	v_mul_f32_e32 v12, v31, v12
	v_sub_f32_e32 v18, v18, v22
	v_add_f32_e32 v18, v18, v12
	v_add_f32_e32 v22, v13, v18
	v_mul_f32_e32 v24, v22, v22
	v_fmamk_f32 v12, v24, 0x3e9b6dac, v40
	v_fmaak_f32 v43, v24, v12, 0x3f2aaada
	v_cvt_f32_i32_e32 v12, v28
	v_sub_f32_e32 v13, v22, v13
	v_sub_f32_e32 v13, v18, v13
	v_ldexp_f32 v18, v13, 1
	v_mul_f32_e32 v13, v22, v24
	v_pk_mul_f32 v[24:25], v[12:13], v[42:43]
	v_ldexp_f32 v23, v22, 1
	v_fma_f32 v22, v12, s33, -v24
	v_fmac_f32_e32 v22, 0xb102e308, v12
	v_pk_add_f32 v[12:13], v[24:25], v[22:23]
	v_mov_b32_e32 v26, v24
	v_sub_f32_e32 v23, v13, v23
	v_sub_f32_e32 v23, v25, v23
	v_add_f32_e32 v27, v18, v23
	v_pk_add_f32 v[24:25], v[12:13], v[24:25] neg_lo:[0,1] neg_hi:[0,1]
	v_pk_add_f32 v[28:29], v[12:13], v[26:27]
	v_mov_b32_e32 v23, v12
	v_mov_b32_e32 v25, v29
	v_pk_add_f32 v[30:31], v[22:23], v[24:25] neg_lo:[0,1] neg_hi:[0,1]
	v_pk_add_f32 v[22:23], v[22:23], v[24:25]
	s_nop 0
	v_mov_b32_e32 v18, v23
	v_pk_add_f32 v[24:25], v[18:19], v[12:13] neg_lo:[0,1] neg_hi:[0,1]
	v_mov_b32_e32 v22, v29
	v_mov_b32_e32 v25, v24
	v_pk_add_f32 v[32:33], v[28:29], v[24:25] neg_lo:[0,1] neg_hi:[0,1]
	v_mov_b32_e32 v28, v13
	v_mov_b32_e32 v29, v24
	;; [unrolled: 1-line block ×3, first 2 shown]
	v_pk_add_f32 v[22:23], v[22:23], v[28:29] neg_lo:[0,1] neg_hi:[0,1]
	v_mov_b32_e32 v24, v27
	v_mov_b32_e32 v25, v12
	v_pk_add_f32 v[12:13], v[24:25], v[22:23] neg_lo:[0,1] neg_hi:[0,1]
	v_mov_b32_e32 v32, v30
	v_pk_add_f32 v[22:23], v[32:33], v[12:13]
	s_nop 0
	v_mov_b32_e32 v24, v23
	v_pk_add_f32 v[24:25], v[22:23], v[24:25]
	s_nop 0
	v_pk_add_f32 v[26:27], v[18:19], v[24:25]
	v_mov_b32_e32 v13, v24
	v_mov_b32_e32 v23, v26
	v_pk_add_f32 v[28:29], v[22:23], v[30:31] neg_lo:[0,1] neg_hi:[0,1]
	s_nop 0
	v_sub_f32_e32 v18, v22, v28
	v_pk_add_f32 v[12:13], v[12:13], v[28:29] neg_lo:[0,1] neg_hi:[0,1]
	v_sub_f32_e32 v18, v30, v18
	v_add_f32_e32 v12, v12, v18
	v_add_f32_e32 v12, v12, v13
	;; [unrolled: 1-line block ×3, first 2 shown]
	v_cndmask_b32_e32 v18, v12, v34, vcc
.LBB119_85:                             ;   in Loop: Header=BB119_13 Depth=1
	s_or_b64 exec, exec, s[52:53]
	v_cvt_f32_f16_sdwa v12, v14 dst_sel:DWORD dst_unused:UNUSED_PAD src0_sel:WORD_1
	v_readlane_b32 s0, v95, 2
	s_nop 1
	v_add_f32_e32 v66, s0, v12
	v_cmp_ge_f32_e32 vcc, s6, v66
	s_and_b64 s[2:3], s[4:5], vcc
	s_and_saveexec_b64 s[52:53], s[2:3]
	s_cbranch_execz .LBB119_87
; %bb.86:                               ;   in Loop: Header=BB119_13 Depth=1
	v_mul_f32_e32 v12, 0x3fb8aa3b, v66
	v_rndne_f32_e32 v13, v12
	v_sub_f32_e32 v14, v12, v13
	v_fma_f32 v12, v66, s7, -v12
	v_fmac_f32_e32 v12, 0x32a5705f, v66
	v_add_f32_e32 v12, v14, v12
	v_cvt_i32_f32_e32 v13, v13
	v_exp_f32_e32 v12, v12
	v_cmp_ngt_f32_e32 vcc, s8, v66
	v_ldexp_f32 v12, v12, v13
	s_nop 0
	v_cndmask_b32_e32 v12, 0, v12, vcc
	v_cmp_nlt_f32_e32 vcc, s9, v66
	s_nop 1
	v_cndmask_b32_e32 v34, v41, v12, vcc
	v_add_f32_e32 v14, 1.0, v34
	v_add_f32_e32 v12, -1.0, v14
	v_sub_f32_e32 v13, v12, v14
	v_add_f32_e32 v13, 1.0, v13
	v_sub_f32_e32 v12, v34, v12
	v_add_f32_e32 v22, v12, v13
	v_frexp_mant_f32_e32 v23, v14
	v_cvt_f64_f32_e32 v[12:13], v14
	v_frexp_exp_i32_f64_e32 v12, v[12:13]
	v_cmp_gt_f32_e32 vcc, s11, v23
	v_cmp_gt_f32_e64 s[2:3], s54, v34
	s_nop 0
	v_subbrev_co_u32_e32 v28, vcc, 0, v12, vcc
	v_sub_u32_e32 v12, 0, v28
	v_ldexp_f32 v13, v14, v12
	v_add_f32_e32 v14, -1.0, v13
	v_add_f32_e32 v23, 1.0, v13
	v_ldexp_f32 v12, v22, v12
	v_add_f32_e32 v22, 1.0, v14
	v_add_f32_e32 v24, -1.0, v23
	v_sub_f32_e32 v22, v13, v22
	v_sub_f32_e32 v13, v13, v24
	v_add_f32_e32 v22, v12, v22
	v_add_f32_e32 v12, v12, v13
	;; [unrolled: 1-line block ×3, first 2 shown]
	v_rcp_f32_e32 v31, v29
	v_sub_f32_e32 v13, v23, v29
	v_add_f32_e32 v30, v12, v13
	v_add_f32_e32 v13, v14, v22
	v_sub_f32_e32 v12, v14, v13
	v_mul_f32_e32 v32, v13, v31
	v_add_f32_e32 v14, v22, v12
	v_mul_f32_e32 v22, v29, v32
	v_fma_f32 v24, v32, v29, -v22
	v_fmac_f32_e32 v24, v32, v30
	v_add_f32_e32 v12, v22, v24
	v_sub_f32_e32 v23, v13, v12
	v_pk_add_f32 v[26:27], v[12:13], v[22:23] neg_lo:[0,1] neg_hi:[0,1]
	v_mov_b32_e32 v25, v12
	v_pk_add_f32 v[12:13], v[26:27], v[24:25] neg_lo:[0,1] neg_hi:[0,1]
	v_cmp_eq_f32_e32 vcc, s10, v34
	v_add_f32_e32 v13, v14, v13
	v_add_f32_e32 v12, v12, v13
	;; [unrolled: 1-line block ×3, first 2 shown]
	v_mul_f32_e32 v14, v31, v13
	v_mul_f32_e32 v22, v29, v14
	v_fma_f32 v24, v14, v29, -v22
	v_fmac_f32_e32 v24, v14, v30
	v_sub_f32_e32 v23, v23, v13
	v_add_f32_e32 v29, v12, v23
	v_add_f32_e32 v12, v22, v24
	v_sub_f32_e32 v23, v13, v12
	v_pk_add_f32 v[26:27], v[12:13], v[22:23] neg_lo:[0,1] neg_hi:[0,1]
	v_mov_b32_e32 v25, v12
	v_pk_add_f32 v[12:13], v[26:27], v[24:25] neg_lo:[0,1] neg_hi:[0,1]
	s_or_b64 vcc, s[2:3], vcc
	v_add_f32_e32 v13, v29, v13
	v_add_f32_e32 v12, v12, v13
	v_add_f32_e32 v13, v32, v14
	v_add_f32_e32 v12, v23, v12
	v_sub_f32_e32 v22, v13, v32
	v_mul_f32_e32 v12, v31, v12
	v_sub_f32_e32 v14, v14, v22
	v_add_f32_e32 v14, v14, v12
	v_add_f32_e32 v22, v13, v14
	v_mul_f32_e32 v24, v22, v22
	v_fmamk_f32 v12, v24, 0x3e9b6dac, v40
	v_fmaak_f32 v43, v24, v12, 0x3f2aaada
	v_cvt_f32_i32_e32 v12, v28
	v_sub_f32_e32 v13, v22, v13
	v_sub_f32_e32 v13, v14, v13
	v_ldexp_f32 v14, v13, 1
	v_mul_f32_e32 v13, v22, v24
	v_pk_mul_f32 v[24:25], v[12:13], v[42:43]
	v_ldexp_f32 v23, v22, 1
	v_fma_f32 v22, v12, s33, -v24
	v_fmac_f32_e32 v22, 0xb102e308, v12
	v_pk_add_f32 v[12:13], v[24:25], v[22:23]
	v_mov_b32_e32 v26, v24
	v_sub_f32_e32 v23, v13, v23
	v_sub_f32_e32 v23, v25, v23
	v_add_f32_e32 v27, v14, v23
	v_pk_add_f32 v[24:25], v[12:13], v[24:25] neg_lo:[0,1] neg_hi:[0,1]
	v_pk_add_f32 v[28:29], v[12:13], v[26:27]
	v_mov_b32_e32 v23, v12
	v_mov_b32_e32 v25, v29
	v_pk_add_f32 v[30:31], v[22:23], v[24:25] neg_lo:[0,1] neg_hi:[0,1]
	v_pk_add_f32 v[22:23], v[22:23], v[24:25]
	s_nop 0
	v_mov_b32_e32 v14, v23
	v_pk_add_f32 v[24:25], v[14:15], v[12:13] neg_lo:[0,1] neg_hi:[0,1]
	v_mov_b32_e32 v22, v29
	v_mov_b32_e32 v25, v24
	v_pk_add_f32 v[32:33], v[28:29], v[24:25] neg_lo:[0,1] neg_hi:[0,1]
	v_mov_b32_e32 v28, v13
	v_mov_b32_e32 v29, v24
	;; [unrolled: 1-line block ×3, first 2 shown]
	v_pk_add_f32 v[22:23], v[22:23], v[28:29] neg_lo:[0,1] neg_hi:[0,1]
	v_mov_b32_e32 v24, v27
	v_mov_b32_e32 v25, v12
	v_pk_add_f32 v[12:13], v[24:25], v[22:23] neg_lo:[0,1] neg_hi:[0,1]
	v_mov_b32_e32 v32, v30
	v_pk_add_f32 v[22:23], v[32:33], v[12:13]
	s_nop 0
	v_mov_b32_e32 v24, v23
	v_pk_add_f32 v[24:25], v[22:23], v[24:25]
	s_nop 0
	v_pk_add_f32 v[26:27], v[14:15], v[24:25]
	v_mov_b32_e32 v13, v24
	v_mov_b32_e32 v23, v26
	v_pk_add_f32 v[28:29], v[22:23], v[30:31] neg_lo:[0,1] neg_hi:[0,1]
	s_nop 0
	v_sub_f32_e32 v14, v22, v28
	v_pk_add_f32 v[12:13], v[12:13], v[28:29] neg_lo:[0,1] neg_hi:[0,1]
	v_sub_f32_e32 v14, v30, v14
	v_add_f32_e32 v12, v12, v14
	v_add_f32_e32 v12, v12, v13
	;; [unrolled: 1-line block ×3, first 2 shown]
	v_cndmask_b32_e32 v66, v12, v34, vcc
.LBB119_87:                             ;   in Loop: Header=BB119_13 Depth=1
	s_or_b64 exec, exec, s[52:53]
	v_cvt_f32_f16_e32 v12, v15
	v_readlane_b32 s0, v95, 2
	s_nop 1
	v_add_f32_e32 v67, s0, v12
	v_cmp_ge_f32_e32 vcc, s6, v67
	s_and_b64 s[2:3], s[4:5], vcc
	s_and_saveexec_b64 s[52:53], s[2:3]
	s_cbranch_execz .LBB119_89
; %bb.88:                               ;   in Loop: Header=BB119_13 Depth=1
	v_mul_f32_e32 v12, 0x3fb8aa3b, v67
	v_rndne_f32_e32 v13, v12
	v_sub_f32_e32 v14, v12, v13
	v_fma_f32 v12, v67, s7, -v12
	v_fmac_f32_e32 v12, 0x32a5705f, v67
	v_add_f32_e32 v12, v14, v12
	v_cvt_i32_f32_e32 v13, v13
	v_exp_f32_e32 v12, v12
	v_cmp_ngt_f32_e32 vcc, s8, v67
	v_ldexp_f32 v12, v12, v13
	s_nop 0
	v_cndmask_b32_e32 v12, 0, v12, vcc
	v_cmp_nlt_f32_e32 vcc, s9, v67
	s_nop 1
	v_cndmask_b32_e32 v34, v41, v12, vcc
	v_add_f32_e32 v14, 1.0, v34
	v_add_f32_e32 v12, -1.0, v14
	v_sub_f32_e32 v13, v12, v14
	v_add_f32_e32 v13, 1.0, v13
	v_sub_f32_e32 v12, v34, v12
	v_add_f32_e32 v22, v12, v13
	v_frexp_mant_f32_e32 v23, v14
	v_cvt_f64_f32_e32 v[12:13], v14
	v_frexp_exp_i32_f64_e32 v12, v[12:13]
	v_cmp_gt_f32_e32 vcc, s11, v23
	v_cmp_gt_f32_e64 s[2:3], s54, v34
	s_nop 0
	v_subbrev_co_u32_e32 v28, vcc, 0, v12, vcc
	v_sub_u32_e32 v12, 0, v28
	v_ldexp_f32 v13, v14, v12
	v_add_f32_e32 v14, -1.0, v13
	v_add_f32_e32 v23, 1.0, v13
	v_ldexp_f32 v12, v22, v12
	v_add_f32_e32 v22, 1.0, v14
	v_add_f32_e32 v24, -1.0, v23
	v_sub_f32_e32 v22, v13, v22
	v_sub_f32_e32 v13, v13, v24
	v_add_f32_e32 v22, v12, v22
	v_add_f32_e32 v12, v12, v13
	;; [unrolled: 1-line block ×3, first 2 shown]
	v_rcp_f32_e32 v31, v29
	v_sub_f32_e32 v13, v23, v29
	v_add_f32_e32 v30, v12, v13
	v_add_f32_e32 v13, v14, v22
	v_sub_f32_e32 v12, v14, v13
	v_mul_f32_e32 v32, v13, v31
	v_add_f32_e32 v14, v22, v12
	v_mul_f32_e32 v22, v29, v32
	v_fma_f32 v24, v32, v29, -v22
	v_fmac_f32_e32 v24, v32, v30
	v_add_f32_e32 v12, v22, v24
	v_sub_f32_e32 v23, v13, v12
	v_pk_add_f32 v[26:27], v[12:13], v[22:23] neg_lo:[0,1] neg_hi:[0,1]
	v_mov_b32_e32 v25, v12
	v_pk_add_f32 v[12:13], v[26:27], v[24:25] neg_lo:[0,1] neg_hi:[0,1]
	v_cmp_eq_f32_e32 vcc, s10, v34
	v_add_f32_e32 v13, v14, v13
	v_add_f32_e32 v12, v12, v13
	v_add_f32_e32 v13, v23, v12
	v_mul_f32_e32 v14, v31, v13
	v_mul_f32_e32 v22, v29, v14
	v_fma_f32 v24, v14, v29, -v22
	v_fmac_f32_e32 v24, v14, v30
	v_sub_f32_e32 v23, v23, v13
	v_add_f32_e32 v29, v12, v23
	v_add_f32_e32 v12, v22, v24
	v_sub_f32_e32 v23, v13, v12
	v_pk_add_f32 v[26:27], v[12:13], v[22:23] neg_lo:[0,1] neg_hi:[0,1]
	v_mov_b32_e32 v25, v12
	v_pk_add_f32 v[12:13], v[26:27], v[24:25] neg_lo:[0,1] neg_hi:[0,1]
	s_or_b64 vcc, s[2:3], vcc
	v_add_f32_e32 v13, v29, v13
	v_add_f32_e32 v12, v12, v13
	;; [unrolled: 1-line block ×4, first 2 shown]
	v_sub_f32_e32 v22, v13, v32
	v_mul_f32_e32 v12, v31, v12
	v_sub_f32_e32 v14, v14, v22
	v_add_f32_e32 v14, v14, v12
	v_add_f32_e32 v22, v13, v14
	v_mul_f32_e32 v24, v22, v22
	v_fmamk_f32 v12, v24, 0x3e9b6dac, v40
	v_fmaak_f32 v43, v24, v12, 0x3f2aaada
	v_cvt_f32_i32_e32 v12, v28
	v_sub_f32_e32 v13, v22, v13
	v_sub_f32_e32 v13, v14, v13
	v_ldexp_f32 v14, v13, 1
	v_mul_f32_e32 v13, v22, v24
	v_pk_mul_f32 v[24:25], v[12:13], v[42:43]
	v_ldexp_f32 v23, v22, 1
	v_fma_f32 v22, v12, s33, -v24
	v_fmac_f32_e32 v22, 0xb102e308, v12
	v_pk_add_f32 v[12:13], v[24:25], v[22:23]
	v_mov_b32_e32 v26, v24
	v_sub_f32_e32 v23, v13, v23
	v_sub_f32_e32 v23, v25, v23
	v_add_f32_e32 v27, v14, v23
	v_pk_add_f32 v[24:25], v[12:13], v[24:25] neg_lo:[0,1] neg_hi:[0,1]
	v_pk_add_f32 v[28:29], v[12:13], v[26:27]
	v_mov_b32_e32 v23, v12
	v_mov_b32_e32 v25, v29
	v_pk_add_f32 v[30:31], v[22:23], v[24:25] neg_lo:[0,1] neg_hi:[0,1]
	v_pk_add_f32 v[22:23], v[22:23], v[24:25]
	s_nop 0
	v_mov_b32_e32 v14, v23
	v_pk_add_f32 v[24:25], v[14:15], v[12:13] neg_lo:[0,1] neg_hi:[0,1]
	v_mov_b32_e32 v22, v29
	v_mov_b32_e32 v25, v24
	v_pk_add_f32 v[32:33], v[28:29], v[24:25] neg_lo:[0,1] neg_hi:[0,1]
	v_mov_b32_e32 v28, v13
	v_mov_b32_e32 v29, v24
	;; [unrolled: 1-line block ×3, first 2 shown]
	v_pk_add_f32 v[22:23], v[22:23], v[28:29] neg_lo:[0,1] neg_hi:[0,1]
	v_mov_b32_e32 v24, v27
	v_mov_b32_e32 v25, v12
	v_pk_add_f32 v[12:13], v[24:25], v[22:23] neg_lo:[0,1] neg_hi:[0,1]
	v_mov_b32_e32 v32, v30
	v_pk_add_f32 v[22:23], v[32:33], v[12:13]
	s_nop 0
	v_mov_b32_e32 v24, v23
	v_pk_add_f32 v[24:25], v[22:23], v[24:25]
	s_nop 0
	v_pk_add_f32 v[26:27], v[14:15], v[24:25]
	v_mov_b32_e32 v13, v24
	v_mov_b32_e32 v23, v26
	v_pk_add_f32 v[28:29], v[22:23], v[30:31] neg_lo:[0,1] neg_hi:[0,1]
	s_nop 0
	v_sub_f32_e32 v14, v22, v28
	v_pk_add_f32 v[12:13], v[12:13], v[28:29] neg_lo:[0,1] neg_hi:[0,1]
	v_sub_f32_e32 v14, v30, v14
	v_add_f32_e32 v12, v12, v14
	v_add_f32_e32 v12, v12, v13
	v_add_f32_e32 v12, v26, v12
	v_cndmask_b32_e32 v67, v12, v34, vcc
.LBB119_89:                             ;   in Loop: Header=BB119_13 Depth=1
	s_or_b64 exec, exec, s[52:53]
	v_cvt_f32_f16_sdwa v12, v15 dst_sel:DWORD dst_unused:UNUSED_PAD src0_sel:WORD_1
	v_readlane_b32 s0, v95, 2
	s_nop 1
	v_add_f32_e32 v88, s0, v12
	v_cmp_ge_f32_e32 vcc, s6, v88
	s_and_b64 s[2:3], s[4:5], vcc
	s_and_saveexec_b64 s[52:53], s[2:3]
	s_cbranch_execz .LBB119_91
; %bb.90:                               ;   in Loop: Header=BB119_13 Depth=1
	v_mul_f32_e32 v12, 0x3fb8aa3b, v88
	v_rndne_f32_e32 v13, v12
	v_sub_f32_e32 v14, v12, v13
	v_fma_f32 v12, v88, s7, -v12
	v_fmac_f32_e32 v12, 0x32a5705f, v88
	v_add_f32_e32 v12, v14, v12
	v_cvt_i32_f32_e32 v13, v13
	v_exp_f32_e32 v12, v12
	v_cmp_ngt_f32_e32 vcc, s8, v88
	v_ldexp_f32 v12, v12, v13
	s_nop 0
	v_cndmask_b32_e32 v12, 0, v12, vcc
	v_cmp_nlt_f32_e32 vcc, s9, v88
	s_nop 1
	v_cndmask_b32_e32 v34, v41, v12, vcc
	v_add_f32_e32 v14, 1.0, v34
	v_add_f32_e32 v12, -1.0, v14
	v_sub_f32_e32 v13, v12, v14
	v_add_f32_e32 v13, 1.0, v13
	v_sub_f32_e32 v12, v34, v12
	v_add_f32_e32 v15, v12, v13
	v_frexp_mant_f32_e32 v22, v14
	v_cvt_f64_f32_e32 v[12:13], v14
	v_frexp_exp_i32_f64_e32 v12, v[12:13]
	v_cmp_gt_f32_e32 vcc, s11, v22
	v_cmp_gt_f32_e64 s[2:3], s54, v34
	s_nop 0
	v_subbrev_co_u32_e32 v26, vcc, 0, v12, vcc
	v_sub_u32_e32 v12, 0, v26
	v_ldexp_f32 v13, v14, v12
	v_add_f32_e32 v14, -1.0, v13
	v_add_f32_e32 v22, 1.0, v13
	v_ldexp_f32 v12, v15, v12
	v_add_f32_e32 v15, 1.0, v14
	v_add_f32_e32 v23, -1.0, v22
	v_sub_f32_e32 v15, v13, v15
	v_sub_f32_e32 v13, v13, v23
	v_add_f32_e32 v15, v12, v15
	v_add_f32_e32 v12, v12, v13
	;; [unrolled: 1-line block ×3, first 2 shown]
	v_rcp_f32_e32 v29, v27
	v_sub_f32_e32 v13, v22, v27
	v_add_f32_e32 v28, v12, v13
	v_add_f32_e32 v13, v14, v15
	v_mul_f32_e32 v31, v13, v29
	v_sub_f32_e32 v12, v14, v13
	v_mul_f32_e32 v14, v27, v31
	v_fma_f32 v22, v31, v27, -v14
	v_fmac_f32_e32 v22, v31, v28
	v_add_f32_e32 v30, v15, v12
	v_add_f32_e32 v12, v14, v22
	v_sub_f32_e32 v15, v13, v12
	v_pk_add_f32 v[24:25], v[12:13], v[14:15] neg_lo:[0,1] neg_hi:[0,1]
	v_mov_b32_e32 v23, v12
	v_pk_add_f32 v[12:13], v[24:25], v[22:23] neg_lo:[0,1] neg_hi:[0,1]
	v_cmp_eq_f32_e32 vcc, s10, v34
	v_add_f32_e32 v13, v30, v13
	v_add_f32_e32 v12, v12, v13
	;; [unrolled: 1-line block ×3, first 2 shown]
	v_mul_f32_e32 v30, v29, v13
	v_mul_f32_e32 v14, v27, v30
	v_fma_f32 v22, v30, v27, -v14
	v_fmac_f32_e32 v22, v30, v28
	v_sub_f32_e32 v15, v15, v13
	v_add_f32_e32 v27, v12, v15
	v_add_f32_e32 v12, v14, v22
	v_sub_f32_e32 v15, v13, v12
	v_pk_add_f32 v[24:25], v[12:13], v[14:15] neg_lo:[0,1] neg_hi:[0,1]
	v_mov_b32_e32 v23, v12
	v_pk_add_f32 v[12:13], v[24:25], v[22:23] neg_lo:[0,1] neg_hi:[0,1]
	s_or_b64 vcc, s[2:3], vcc
	v_add_f32_e32 v13, v27, v13
	v_add_f32_e32 v12, v12, v13
	;; [unrolled: 1-line block ×4, first 2 shown]
	v_sub_f32_e32 v14, v13, v31
	v_mul_f32_e32 v12, v29, v12
	v_sub_f32_e32 v14, v30, v14
	v_add_f32_e32 v14, v14, v12
	v_add_f32_e32 v22, v13, v14
	v_mul_f32_e32 v23, v22, v22
	v_fmamk_f32 v12, v23, 0x3e9b6dac, v40
	v_fmaak_f32 v43, v23, v12, 0x3f2aaada
	v_cvt_f32_i32_e32 v12, v26
	v_sub_f32_e32 v13, v22, v13
	v_sub_f32_e32 v13, v14, v13
	v_ldexp_f32 v24, v13, 1
	v_mul_f32_e32 v13, v22, v23
	v_ldexp_f32 v15, v22, 1
	v_pk_mul_f32 v[22:23], v[12:13], v[42:43]
	s_nop 0
	v_fma_f32 v14, v12, s33, -v22
	v_fmac_f32_e32 v14, 0xb102e308, v12
	v_pk_add_f32 v[12:13], v[22:23], v[14:15]
	s_nop 0
	v_sub_f32_e32 v15, v13, v15
	v_sub_f32_e32 v15, v23, v15
	v_add_f32_e32 v25, v24, v15
	v_mov_b32_e32 v24, v22
	v_pk_add_f32 v[22:23], v[12:13], v[22:23] neg_lo:[0,1] neg_hi:[0,1]
	v_pk_add_f32 v[26:27], v[12:13], v[24:25]
	v_mov_b32_e32 v15, v12
	v_mov_b32_e32 v23, v27
	v_pk_add_f32 v[28:29], v[14:15], v[22:23] neg_lo:[0,1] neg_hi:[0,1]
	v_pk_add_f32 v[14:15], v[14:15], v[22:23]
	v_mov_b32_e32 v24, v25
	v_mov_b32_e32 v22, v15
	v_pk_add_f32 v[30:31], v[22:23], v[12:13] neg_lo:[0,1] neg_hi:[0,1]
	v_mov_b32_e32 v14, v27
	v_mov_b32_e32 v23, v30
	v_pk_add_f32 v[32:33], v[26:27], v[22:23] neg_lo:[0,1] neg_hi:[0,1]
	v_mov_b32_e32 v26, v13
	v_mov_b32_e32 v27, v30
	v_mov_b32_e32 v29, v15
	v_pk_add_f32 v[14:15], v[14:15], v[26:27] neg_lo:[0,1] neg_hi:[0,1]
	v_mov_b32_e32 v25, v12
	v_pk_add_f32 v[12:13], v[24:25], v[14:15] neg_lo:[0,1] neg_hi:[0,1]
	v_mov_b32_e32 v32, v28
	v_pk_add_f32 v[14:15], v[32:33], v[12:13]
	s_nop 0
	v_mov_b32_e32 v24, v15
	v_pk_add_f32 v[24:25], v[14:15], v[24:25]
	s_nop 0
	v_pk_add_f32 v[22:23], v[22:23], v[24:25]
	v_mov_b32_e32 v13, v24
	v_mov_b32_e32 v15, v22
	v_pk_add_f32 v[26:27], v[14:15], v[28:29] neg_lo:[0,1] neg_hi:[0,1]
	s_nop 0
	v_sub_f32_e32 v14, v14, v26
	v_pk_add_f32 v[12:13], v[12:13], v[26:27] neg_lo:[0,1] neg_hi:[0,1]
	v_sub_f32_e32 v14, v28, v14
	v_add_f32_e32 v12, v12, v14
	v_add_f32_e32 v12, v12, v13
	;; [unrolled: 1-line block ×3, first 2 shown]
	v_cndmask_b32_e32 v88, v12, v34, vcc
.LBB119_91:                             ;   in Loop: Header=BB119_13 Depth=1
	s_or_b64 exec, exec, s[52:53]
	s_waitcnt lgkmcnt(0)
	v_cvt_f32_f16_e32 v12, v8
	v_readlane_b32 s0, v95, 2
	s_nop 1
	v_add_f32_e32 v89, s0, v12
	v_cmp_ge_f32_e32 vcc, s6, v89
	s_and_b64 s[2:3], s[4:5], vcc
	s_and_saveexec_b64 s[52:53], s[2:3]
	s_cbranch_execz .LBB119_93
; %bb.92:                               ;   in Loop: Header=BB119_13 Depth=1
	v_mul_f32_e32 v12, 0x3fb8aa3b, v89
	v_rndne_f32_e32 v13, v12
	v_sub_f32_e32 v14, v12, v13
	v_fma_f32 v12, v89, s7, -v12
	v_fmac_f32_e32 v12, 0x32a5705f, v89
	v_add_f32_e32 v12, v14, v12
	v_cvt_i32_f32_e32 v13, v13
	v_exp_f32_e32 v12, v12
	v_cmp_ngt_f32_e32 vcc, s8, v89
	v_ldexp_f32 v12, v12, v13
	s_nop 0
	v_cndmask_b32_e32 v12, 0, v12, vcc
	v_cmp_nlt_f32_e32 vcc, s9, v89
	s_nop 1
	v_cndmask_b32_e32 v34, v41, v12, vcc
	v_add_f32_e32 v14, 1.0, v34
	v_add_f32_e32 v12, -1.0, v14
	v_sub_f32_e32 v13, v12, v14
	v_add_f32_e32 v13, 1.0, v13
	v_sub_f32_e32 v12, v34, v12
	v_add_f32_e32 v15, v12, v13
	v_frexp_mant_f32_e32 v22, v14
	v_cvt_f64_f32_e32 v[12:13], v14
	v_frexp_exp_i32_f64_e32 v12, v[12:13]
	v_cmp_gt_f32_e32 vcc, s11, v22
	v_cmp_gt_f32_e64 s[2:3], s54, v34
	s_nop 0
	v_subbrev_co_u32_e32 v26, vcc, 0, v12, vcc
	v_sub_u32_e32 v12, 0, v26
	v_ldexp_f32 v13, v14, v12
	v_add_f32_e32 v14, -1.0, v13
	v_add_f32_e32 v22, 1.0, v13
	v_ldexp_f32 v12, v15, v12
	v_add_f32_e32 v15, 1.0, v14
	v_add_f32_e32 v23, -1.0, v22
	v_sub_f32_e32 v15, v13, v15
	v_sub_f32_e32 v13, v13, v23
	v_add_f32_e32 v15, v12, v15
	v_add_f32_e32 v12, v12, v13
	;; [unrolled: 1-line block ×3, first 2 shown]
	v_rcp_f32_e32 v29, v27
	v_sub_f32_e32 v13, v22, v27
	v_add_f32_e32 v28, v12, v13
	v_add_f32_e32 v13, v14, v15
	v_mul_f32_e32 v31, v13, v29
	v_sub_f32_e32 v12, v14, v13
	v_mul_f32_e32 v14, v27, v31
	v_fma_f32 v22, v31, v27, -v14
	v_fmac_f32_e32 v22, v31, v28
	v_add_f32_e32 v30, v15, v12
	v_add_f32_e32 v12, v14, v22
	v_sub_f32_e32 v15, v13, v12
	v_pk_add_f32 v[24:25], v[12:13], v[14:15] neg_lo:[0,1] neg_hi:[0,1]
	v_mov_b32_e32 v23, v12
	v_pk_add_f32 v[12:13], v[24:25], v[22:23] neg_lo:[0,1] neg_hi:[0,1]
	v_cmp_eq_f32_e32 vcc, s10, v34
	v_add_f32_e32 v13, v30, v13
	v_add_f32_e32 v12, v12, v13
	;; [unrolled: 1-line block ×3, first 2 shown]
	v_mul_f32_e32 v30, v29, v13
	v_mul_f32_e32 v14, v27, v30
	v_fma_f32 v22, v30, v27, -v14
	v_fmac_f32_e32 v22, v30, v28
	v_sub_f32_e32 v15, v15, v13
	v_add_f32_e32 v27, v12, v15
	v_add_f32_e32 v12, v14, v22
	v_sub_f32_e32 v15, v13, v12
	v_pk_add_f32 v[24:25], v[12:13], v[14:15] neg_lo:[0,1] neg_hi:[0,1]
	v_mov_b32_e32 v23, v12
	v_pk_add_f32 v[12:13], v[24:25], v[22:23] neg_lo:[0,1] neg_hi:[0,1]
	s_or_b64 vcc, s[2:3], vcc
	v_add_f32_e32 v13, v27, v13
	v_add_f32_e32 v12, v12, v13
	;; [unrolled: 1-line block ×4, first 2 shown]
	v_sub_f32_e32 v14, v13, v31
	v_mul_f32_e32 v12, v29, v12
	v_sub_f32_e32 v14, v30, v14
	v_add_f32_e32 v14, v14, v12
	v_add_f32_e32 v22, v13, v14
	v_mul_f32_e32 v23, v22, v22
	v_fmamk_f32 v12, v23, 0x3e9b6dac, v40
	v_fmaak_f32 v43, v23, v12, 0x3f2aaada
	v_cvt_f32_i32_e32 v12, v26
	v_sub_f32_e32 v13, v22, v13
	v_sub_f32_e32 v13, v14, v13
	v_ldexp_f32 v24, v13, 1
	v_mul_f32_e32 v13, v22, v23
	v_ldexp_f32 v15, v22, 1
	v_pk_mul_f32 v[22:23], v[12:13], v[42:43]
	s_nop 0
	v_fma_f32 v14, v12, s33, -v22
	v_fmac_f32_e32 v14, 0xb102e308, v12
	v_pk_add_f32 v[12:13], v[22:23], v[14:15]
	s_nop 0
	v_sub_f32_e32 v15, v13, v15
	v_sub_f32_e32 v15, v23, v15
	v_add_f32_e32 v25, v24, v15
	v_mov_b32_e32 v24, v22
	v_pk_add_f32 v[22:23], v[12:13], v[22:23] neg_lo:[0,1] neg_hi:[0,1]
	v_pk_add_f32 v[26:27], v[12:13], v[24:25]
	v_mov_b32_e32 v15, v12
	v_mov_b32_e32 v23, v27
	v_pk_add_f32 v[28:29], v[14:15], v[22:23] neg_lo:[0,1] neg_hi:[0,1]
	v_pk_add_f32 v[14:15], v[14:15], v[22:23]
	v_mov_b32_e32 v24, v25
	v_mov_b32_e32 v22, v15
	v_pk_add_f32 v[30:31], v[22:23], v[12:13] neg_lo:[0,1] neg_hi:[0,1]
	v_mov_b32_e32 v14, v27
	v_mov_b32_e32 v23, v30
	v_pk_add_f32 v[32:33], v[26:27], v[22:23] neg_lo:[0,1] neg_hi:[0,1]
	v_mov_b32_e32 v26, v13
	v_mov_b32_e32 v27, v30
	;; [unrolled: 1-line block ×3, first 2 shown]
	v_pk_add_f32 v[14:15], v[14:15], v[26:27] neg_lo:[0,1] neg_hi:[0,1]
	v_mov_b32_e32 v25, v12
	v_pk_add_f32 v[12:13], v[24:25], v[14:15] neg_lo:[0,1] neg_hi:[0,1]
	v_mov_b32_e32 v32, v28
	v_pk_add_f32 v[14:15], v[32:33], v[12:13]
	s_nop 0
	v_mov_b32_e32 v24, v15
	v_pk_add_f32 v[24:25], v[14:15], v[24:25]
	s_nop 0
	v_pk_add_f32 v[22:23], v[22:23], v[24:25]
	v_mov_b32_e32 v13, v24
	v_mov_b32_e32 v15, v22
	v_pk_add_f32 v[26:27], v[14:15], v[28:29] neg_lo:[0,1] neg_hi:[0,1]
	s_nop 0
	v_sub_f32_e32 v14, v14, v26
	v_pk_add_f32 v[12:13], v[12:13], v[26:27] neg_lo:[0,1] neg_hi:[0,1]
	v_sub_f32_e32 v14, v28, v14
	v_add_f32_e32 v12, v12, v14
	v_add_f32_e32 v12, v12, v13
	;; [unrolled: 1-line block ×3, first 2 shown]
	v_cndmask_b32_e32 v89, v12, v34, vcc
.LBB119_93:                             ;   in Loop: Header=BB119_13 Depth=1
	s_or_b64 exec, exec, s[52:53]
	v_cvt_f32_f16_sdwa v8, v8 dst_sel:DWORD dst_unused:UNUSED_PAD src0_sel:WORD_1
	v_readlane_b32 s0, v95, 2
	s_nop 1
	v_add_f32_e32 v90, s0, v8
	v_cmp_ge_f32_e32 vcc, s6, v90
	s_and_b64 s[2:3], s[4:5], vcc
	s_and_saveexec_b64 s[52:53], s[2:3]
	s_cbranch_execz .LBB119_95
; %bb.94:                               ;   in Loop: Header=BB119_13 Depth=1
	v_mul_f32_e32 v8, 0x3fb8aa3b, v90
	v_rndne_f32_e32 v12, v8
	v_sub_f32_e32 v13, v8, v12
	v_fma_f32 v8, v90, s7, -v8
	v_fmac_f32_e32 v8, 0x32a5705f, v90
	v_add_f32_e32 v8, v13, v8
	v_cvt_i32_f32_e32 v12, v12
	v_exp_f32_e32 v8, v8
	v_cmp_ngt_f32_e32 vcc, s8, v90
	v_ldexp_f32 v8, v8, v12
	s_nop 0
	v_cndmask_b32_e32 v8, 0, v8, vcc
	v_cmp_nlt_f32_e32 vcc, s9, v90
	s_nop 1
	v_cndmask_b32_e32 v32, v41, v8, vcc
	v_add_f32_e32 v8, 1.0, v32
	v_add_f32_e32 v12, -1.0, v8
	v_sub_f32_e32 v13, v12, v8
	v_add_f32_e32 v13, 1.0, v13
	v_sub_f32_e32 v12, v32, v12
	v_add_f32_e32 v14, v12, v13
	v_frexp_mant_f32_e32 v15, v8
	v_cvt_f64_f32_e32 v[12:13], v8
	v_frexp_exp_i32_f64_e32 v12, v[12:13]
	v_cmp_gt_f32_e32 vcc, s11, v15
	v_cmp_gt_f32_e64 s[2:3], s54, v32
	s_nop 0
	v_subbrev_co_u32_e32 v26, vcc, 0, v12, vcc
	v_sub_u32_e32 v12, 0, v26
	v_ldexp_f32 v8, v8, v12
	v_ldexp_f32 v12, v14, v12
	v_add_f32_e32 v14, -1.0, v8
	v_add_f32_e32 v13, 1.0, v14
	v_sub_f32_e32 v13, v8, v13
	v_add_f32_e32 v15, v12, v13
	v_add_f32_e32 v13, 1.0, v8
	v_add_f32_e32 v22, -1.0, v13
	v_sub_f32_e32 v8, v8, v22
	v_add_f32_e32 v8, v12, v8
	v_add_f32_e32 v27, v13, v8
	v_rcp_f32_e32 v28, v27
	v_sub_f32_e32 v12, v13, v27
	v_add_f32_e32 v13, v14, v15
	v_add_f32_e32 v8, v8, v12
	v_mul_f32_e32 v30, v13, v28
	v_sub_f32_e32 v12, v14, v13
	v_mul_f32_e32 v14, v27, v30
	v_fma_f32 v22, v30, v27, -v14
	v_fmac_f32_e32 v22, v30, v8
	v_add_f32_e32 v29, v15, v12
	v_add_f32_e32 v12, v14, v22
	v_sub_f32_e32 v15, v13, v12
	v_pk_add_f32 v[24:25], v[12:13], v[14:15] neg_lo:[0,1] neg_hi:[0,1]
	v_mov_b32_e32 v23, v12
	v_pk_add_f32 v[12:13], v[24:25], v[22:23] neg_lo:[0,1] neg_hi:[0,1]
	v_cmp_eq_f32_e32 vcc, s10, v32
	v_add_f32_e32 v13, v29, v13
	v_add_f32_e32 v12, v12, v13
	;; [unrolled: 1-line block ×3, first 2 shown]
	v_mul_f32_e32 v29, v28, v13
	v_mul_f32_e32 v14, v27, v29
	v_fma_f32 v22, v29, v27, -v14
	v_fmac_f32_e32 v22, v29, v8
	v_sub_f32_e32 v8, v15, v13
	v_add_f32_e32 v8, v12, v8
	v_add_f32_e32 v12, v14, v22
	v_sub_f32_e32 v15, v13, v12
	v_pk_add_f32 v[24:25], v[12:13], v[14:15] neg_lo:[0,1] neg_hi:[0,1]
	v_mov_b32_e32 v23, v12
	v_pk_add_f32 v[12:13], v[24:25], v[22:23] neg_lo:[0,1] neg_hi:[0,1]
	s_or_b64 vcc, s[2:3], vcc
	v_add_f32_e32 v8, v8, v13
	v_add_f32_e32 v8, v12, v8
	;; [unrolled: 1-line block ×4, first 2 shown]
	v_sub_f32_e32 v12, v13, v30
	v_mul_f32_e32 v8, v28, v8
	v_sub_f32_e32 v12, v29, v12
	v_add_f32_e32 v8, v12, v8
	v_add_f32_e32 v14, v13, v8
	v_mul_f32_e32 v22, v14, v14
	v_fmamk_f32 v12, v22, 0x3e9b6dac, v40
	v_fmaak_f32 v43, v22, v12, 0x3f2aaada
	v_cvt_f32_i32_e32 v12, v26
	v_sub_f32_e32 v13, v14, v13
	v_sub_f32_e32 v8, v8, v13
	v_mul_f32_e32 v13, v14, v22
	v_pk_mul_f32 v[22:23], v[12:13], v[42:43]
	v_ldexp_f32 v15, v14, 1
	v_fma_f32 v14, v12, s33, -v22
	v_fmac_f32_e32 v14, 0xb102e308, v12
	v_pk_add_f32 v[12:13], v[22:23], v[14:15]
	v_ldexp_f32 v8, v8, 1
	v_sub_f32_e32 v15, v13, v15
	v_sub_f32_e32 v15, v23, v15
	v_add_f32_e32 v25, v8, v15
	v_mov_b32_e32 v24, v22
	v_pk_add_f32 v[22:23], v[12:13], v[22:23] neg_lo:[0,1] neg_hi:[0,1]
	v_pk_add_f32 v[26:27], v[12:13], v[24:25]
	v_mov_b32_e32 v15, v12
	v_mov_b32_e32 v23, v27
	v_pk_add_f32 v[28:29], v[14:15], v[22:23] neg_lo:[0,1] neg_hi:[0,1]
	v_pk_add_f32 v[14:15], v[14:15], v[22:23]
	s_nop 0
	v_mov_b32_e32 v8, v15
	v_pk_add_f32 v[22:23], v[8:9], v[12:13] neg_lo:[0,1] neg_hi:[0,1]
	v_mov_b32_e32 v14, v27
	v_mov_b32_e32 v23, v22
	v_pk_add_f32 v[30:31], v[26:27], v[22:23] neg_lo:[0,1] neg_hi:[0,1]
	v_mov_b32_e32 v26, v13
	v_mov_b32_e32 v27, v22
	;; [unrolled: 1-line block ×3, first 2 shown]
	v_pk_add_f32 v[14:15], v[14:15], v[26:27] neg_lo:[0,1] neg_hi:[0,1]
	v_mov_b32_e32 v22, v25
	v_mov_b32_e32 v23, v12
	v_pk_add_f32 v[12:13], v[22:23], v[14:15] neg_lo:[0,1] neg_hi:[0,1]
	v_mov_b32_e32 v30, v28
	v_pk_add_f32 v[14:15], v[30:31], v[12:13]
	s_nop 0
	v_mov_b32_e32 v22, v15
	v_pk_add_f32 v[22:23], v[14:15], v[22:23]
	s_nop 0
	v_pk_add_f32 v[24:25], v[8:9], v[22:23]
	v_mov_b32_e32 v13, v22
	v_mov_b32_e32 v15, v24
	v_pk_add_f32 v[26:27], v[14:15], v[28:29] neg_lo:[0,1] neg_hi:[0,1]
	s_nop 0
	v_sub_f32_e32 v8, v14, v26
	v_pk_add_f32 v[12:13], v[12:13], v[26:27] neg_lo:[0,1] neg_hi:[0,1]
	v_sub_f32_e32 v8, v28, v8
	v_add_f32_e32 v8, v12, v8
	v_add_f32_e32 v8, v8, v13
	;; [unrolled: 1-line block ×3, first 2 shown]
	v_cndmask_b32_e32 v90, v8, v32, vcc
.LBB119_95:                             ;   in Loop: Header=BB119_13 Depth=1
	s_or_b64 exec, exec, s[52:53]
	v_cvt_f32_f16_e32 v8, v9
	v_readlane_b32 s0, v95, 2
	s_nop 1
	v_add_f32_e32 v91, s0, v8
	v_cmp_ge_f32_e32 vcc, s6, v91
	s_and_b64 s[2:3], s[4:5], vcc
	s_and_saveexec_b64 s[52:53], s[2:3]
	s_cbranch_execz .LBB119_97
; %bb.96:                               ;   in Loop: Header=BB119_13 Depth=1
	v_mul_f32_e32 v8, 0x3fb8aa3b, v91
	v_rndne_f32_e32 v12, v8
	v_sub_f32_e32 v13, v8, v12
	v_fma_f32 v8, v91, s7, -v8
	v_fmac_f32_e32 v8, 0x32a5705f, v91
	v_add_f32_e32 v8, v13, v8
	v_cvt_i32_f32_e32 v12, v12
	v_exp_f32_e32 v8, v8
	v_cmp_ngt_f32_e32 vcc, s8, v91
	v_ldexp_f32 v8, v8, v12
	s_nop 0
	v_cndmask_b32_e32 v8, 0, v8, vcc
	v_cmp_nlt_f32_e32 vcc, s9, v91
	s_nop 1
	v_cndmask_b32_e32 v32, v41, v8, vcc
	v_add_f32_e32 v8, 1.0, v32
	v_add_f32_e32 v12, -1.0, v8
	v_sub_f32_e32 v13, v12, v8
	v_add_f32_e32 v13, 1.0, v13
	v_sub_f32_e32 v12, v32, v12
	v_add_f32_e32 v14, v12, v13
	v_frexp_mant_f32_e32 v15, v8
	v_cvt_f64_f32_e32 v[12:13], v8
	v_frexp_exp_i32_f64_e32 v12, v[12:13]
	v_cmp_gt_f32_e32 vcc, s11, v15
	v_cmp_gt_f32_e64 s[2:3], s54, v32
	s_nop 0
	v_subbrev_co_u32_e32 v26, vcc, 0, v12, vcc
	v_sub_u32_e32 v12, 0, v26
	v_ldexp_f32 v8, v8, v12
	v_ldexp_f32 v12, v14, v12
	v_add_f32_e32 v14, -1.0, v8
	v_add_f32_e32 v13, 1.0, v14
	v_sub_f32_e32 v13, v8, v13
	v_add_f32_e32 v15, v12, v13
	v_add_f32_e32 v13, 1.0, v8
	v_add_f32_e32 v22, -1.0, v13
	v_sub_f32_e32 v8, v8, v22
	v_add_f32_e32 v8, v12, v8
	v_add_f32_e32 v27, v13, v8
	v_rcp_f32_e32 v28, v27
	v_sub_f32_e32 v12, v13, v27
	v_add_f32_e32 v13, v14, v15
	v_add_f32_e32 v8, v8, v12
	v_mul_f32_e32 v30, v13, v28
	v_sub_f32_e32 v12, v14, v13
	v_mul_f32_e32 v14, v27, v30
	v_fma_f32 v22, v30, v27, -v14
	v_fmac_f32_e32 v22, v30, v8
	v_add_f32_e32 v29, v15, v12
	v_add_f32_e32 v12, v14, v22
	v_sub_f32_e32 v15, v13, v12
	v_pk_add_f32 v[24:25], v[12:13], v[14:15] neg_lo:[0,1] neg_hi:[0,1]
	v_mov_b32_e32 v23, v12
	v_pk_add_f32 v[12:13], v[24:25], v[22:23] neg_lo:[0,1] neg_hi:[0,1]
	v_cmp_eq_f32_e32 vcc, s10, v32
	v_add_f32_e32 v13, v29, v13
	v_add_f32_e32 v12, v12, v13
	;; [unrolled: 1-line block ×3, first 2 shown]
	v_mul_f32_e32 v29, v28, v13
	v_mul_f32_e32 v14, v27, v29
	v_fma_f32 v22, v29, v27, -v14
	v_fmac_f32_e32 v22, v29, v8
	v_sub_f32_e32 v8, v15, v13
	v_add_f32_e32 v8, v12, v8
	v_add_f32_e32 v12, v14, v22
	v_sub_f32_e32 v15, v13, v12
	v_pk_add_f32 v[24:25], v[12:13], v[14:15] neg_lo:[0,1] neg_hi:[0,1]
	v_mov_b32_e32 v23, v12
	v_pk_add_f32 v[12:13], v[24:25], v[22:23] neg_lo:[0,1] neg_hi:[0,1]
	s_or_b64 vcc, s[2:3], vcc
	v_add_f32_e32 v8, v8, v13
	v_add_f32_e32 v8, v12, v8
	;; [unrolled: 1-line block ×4, first 2 shown]
	v_sub_f32_e32 v12, v13, v30
	v_mul_f32_e32 v8, v28, v8
	v_sub_f32_e32 v12, v29, v12
	v_add_f32_e32 v8, v12, v8
	v_add_f32_e32 v14, v13, v8
	v_mul_f32_e32 v22, v14, v14
	v_fmamk_f32 v12, v22, 0x3e9b6dac, v40
	v_fmaak_f32 v43, v22, v12, 0x3f2aaada
	v_cvt_f32_i32_e32 v12, v26
	v_sub_f32_e32 v13, v14, v13
	v_sub_f32_e32 v8, v8, v13
	v_mul_f32_e32 v13, v14, v22
	v_pk_mul_f32 v[22:23], v[12:13], v[42:43]
	v_ldexp_f32 v15, v14, 1
	v_fma_f32 v14, v12, s33, -v22
	v_fmac_f32_e32 v14, 0xb102e308, v12
	v_pk_add_f32 v[12:13], v[22:23], v[14:15]
	v_ldexp_f32 v8, v8, 1
	v_sub_f32_e32 v15, v13, v15
	v_sub_f32_e32 v15, v23, v15
	v_add_f32_e32 v25, v8, v15
	v_mov_b32_e32 v24, v22
	v_pk_add_f32 v[22:23], v[12:13], v[22:23] neg_lo:[0,1] neg_hi:[0,1]
	v_pk_add_f32 v[26:27], v[12:13], v[24:25]
	v_mov_b32_e32 v15, v12
	v_mov_b32_e32 v23, v27
	v_pk_add_f32 v[28:29], v[14:15], v[22:23] neg_lo:[0,1] neg_hi:[0,1]
	v_pk_add_f32 v[14:15], v[14:15], v[22:23]
	s_nop 0
	v_mov_b32_e32 v8, v15
	v_pk_add_f32 v[22:23], v[8:9], v[12:13] neg_lo:[0,1] neg_hi:[0,1]
	v_mov_b32_e32 v14, v27
	v_mov_b32_e32 v23, v22
	v_pk_add_f32 v[30:31], v[26:27], v[22:23] neg_lo:[0,1] neg_hi:[0,1]
	v_mov_b32_e32 v26, v13
	v_mov_b32_e32 v27, v22
	;; [unrolled: 1-line block ×3, first 2 shown]
	v_pk_add_f32 v[14:15], v[14:15], v[26:27] neg_lo:[0,1] neg_hi:[0,1]
	v_mov_b32_e32 v22, v25
	v_mov_b32_e32 v23, v12
	v_pk_add_f32 v[12:13], v[22:23], v[14:15] neg_lo:[0,1] neg_hi:[0,1]
	v_mov_b32_e32 v30, v28
	v_pk_add_f32 v[14:15], v[30:31], v[12:13]
	s_nop 0
	v_mov_b32_e32 v22, v15
	v_pk_add_f32 v[22:23], v[14:15], v[22:23]
	s_nop 0
	v_pk_add_f32 v[24:25], v[8:9], v[22:23]
	v_mov_b32_e32 v13, v22
	v_mov_b32_e32 v15, v24
	v_pk_add_f32 v[26:27], v[14:15], v[28:29] neg_lo:[0,1] neg_hi:[0,1]
	s_nop 0
	v_sub_f32_e32 v8, v14, v26
	v_pk_add_f32 v[12:13], v[12:13], v[26:27] neg_lo:[0,1] neg_hi:[0,1]
	v_sub_f32_e32 v8, v28, v8
	v_add_f32_e32 v8, v12, v8
	v_add_f32_e32 v8, v8, v13
	;; [unrolled: 1-line block ×3, first 2 shown]
	v_cndmask_b32_e32 v91, v8, v32, vcc
.LBB119_97:                             ;   in Loop: Header=BB119_13 Depth=1
	s_or_b64 exec, exec, s[52:53]
	v_cvt_f32_f16_sdwa v8, v9 dst_sel:DWORD dst_unused:UNUSED_PAD src0_sel:WORD_1
	v_readlane_b32 s0, v95, 2
	s_nop 1
	v_add_f32_e32 v92, s0, v8
	v_cmp_ge_f32_e32 vcc, s6, v92
	s_and_b64 s[2:3], s[4:5], vcc
	s_and_saveexec_b64 s[52:53], s[2:3]
	s_cbranch_execz .LBB119_99
; %bb.98:                               ;   in Loop: Header=BB119_13 Depth=1
	v_mul_f32_e32 v8, 0x3fb8aa3b, v92
	v_rndne_f32_e32 v9, v8
	v_sub_f32_e32 v12, v8, v9
	v_fma_f32 v8, v92, s7, -v8
	v_fmac_f32_e32 v8, 0x32a5705f, v92
	v_add_f32_e32 v8, v12, v8
	v_cvt_i32_f32_e32 v9, v9
	v_exp_f32_e32 v8, v8
	v_cmp_ngt_f32_e32 vcc, s8, v92
	v_ldexp_f32 v8, v8, v9
	s_nop 0
	v_cndmask_b32_e32 v8, 0, v8, vcc
	v_cmp_nlt_f32_e32 vcc, s9, v92
	s_nop 1
	v_cndmask_b32_e32 v32, v41, v8, vcc
	v_add_f32_e32 v12, 1.0, v32
	v_add_f32_e32 v8, -1.0, v12
	v_sub_f32_e32 v9, v8, v12
	v_add_f32_e32 v9, 1.0, v9
	v_sub_f32_e32 v8, v32, v8
	v_add_f32_e32 v13, v8, v9
	v_frexp_mant_f32_e32 v14, v12
	v_cvt_f64_f32_e32 v[8:9], v12
	v_frexp_exp_i32_f64_e32 v8, v[8:9]
	v_cmp_gt_f32_e32 vcc, s11, v14
	v_cmp_gt_f32_e64 s[2:3], s54, v32
	s_nop 0
	v_subbrev_co_u32_e32 v24, vcc, 0, v8, vcc
	v_sub_u32_e32 v8, 0, v24
	v_ldexp_f32 v9, v12, v8
	v_add_f32_e32 v12, -1.0, v9
	v_add_f32_e32 v14, 1.0, v9
	v_ldexp_f32 v8, v13, v8
	v_add_f32_e32 v13, 1.0, v12
	v_add_f32_e32 v15, -1.0, v14
	v_sub_f32_e32 v13, v9, v13
	v_sub_f32_e32 v9, v9, v15
	v_add_f32_e32 v13, v8, v13
	v_add_f32_e32 v8, v8, v9
	;; [unrolled: 1-line block ×3, first 2 shown]
	v_rcp_f32_e32 v27, v25
	v_sub_f32_e32 v9, v14, v25
	v_add_f32_e32 v26, v8, v9
	v_add_f32_e32 v9, v12, v13
	v_mul_f32_e32 v29, v9, v27
	v_sub_f32_e32 v8, v12, v9
	v_mul_f32_e32 v12, v25, v29
	v_fma_f32 v14, v29, v25, -v12
	v_fmac_f32_e32 v14, v29, v26
	v_add_f32_e32 v28, v13, v8
	v_add_f32_e32 v8, v12, v14
	v_sub_f32_e32 v13, v9, v8
	v_pk_add_f32 v[22:23], v[8:9], v[12:13] neg_lo:[0,1] neg_hi:[0,1]
	v_mov_b32_e32 v15, v8
	v_pk_add_f32 v[8:9], v[22:23], v[14:15] neg_lo:[0,1] neg_hi:[0,1]
	v_cmp_eq_f32_e32 vcc, s10, v32
	v_add_f32_e32 v9, v28, v9
	v_add_f32_e32 v8, v8, v9
	;; [unrolled: 1-line block ×3, first 2 shown]
	v_mul_f32_e32 v28, v27, v9
	v_mul_f32_e32 v12, v25, v28
	v_fma_f32 v14, v28, v25, -v12
	v_fmac_f32_e32 v14, v28, v26
	v_sub_f32_e32 v13, v13, v9
	v_add_f32_e32 v25, v8, v13
	v_add_f32_e32 v8, v12, v14
	v_sub_f32_e32 v13, v9, v8
	v_pk_add_f32 v[22:23], v[8:9], v[12:13] neg_lo:[0,1] neg_hi:[0,1]
	v_mov_b32_e32 v15, v8
	v_pk_add_f32 v[8:9], v[22:23], v[14:15] neg_lo:[0,1] neg_hi:[0,1]
	s_or_b64 vcc, s[2:3], vcc
	v_add_f32_e32 v9, v25, v9
	v_add_f32_e32 v8, v8, v9
	;; [unrolled: 1-line block ×4, first 2 shown]
	v_sub_f32_e32 v12, v9, v29
	v_mul_f32_e32 v8, v27, v8
	v_sub_f32_e32 v12, v28, v12
	v_add_f32_e32 v12, v12, v8
	v_add_f32_e32 v14, v9, v12
	v_mul_f32_e32 v15, v14, v14
	v_fmamk_f32 v8, v15, 0x3e9b6dac, v40
	v_fmaak_f32 v43, v15, v8, 0x3f2aaada
	v_cvt_f32_i32_e32 v8, v24
	v_sub_f32_e32 v9, v14, v9
	v_sub_f32_e32 v9, v12, v9
	v_ldexp_f32 v22, v9, 1
	v_mul_f32_e32 v9, v14, v15
	v_ldexp_f32 v13, v14, 1
	v_pk_mul_f32 v[14:15], v[8:9], v[42:43]
	s_nop 0
	v_fma_f32 v12, v8, s33, -v14
	v_fmac_f32_e32 v12, 0xb102e308, v8
	v_pk_add_f32 v[8:9], v[14:15], v[12:13]
	s_nop 0
	v_sub_f32_e32 v13, v9, v13
	v_sub_f32_e32 v13, v15, v13
	v_add_f32_e32 v23, v22, v13
	v_mov_b32_e32 v22, v14
	v_pk_add_f32 v[14:15], v[8:9], v[14:15] neg_lo:[0,1] neg_hi:[0,1]
	v_pk_add_f32 v[24:25], v[8:9], v[22:23]
	v_mov_b32_e32 v13, v8
	v_mov_b32_e32 v15, v25
	v_pk_add_f32 v[26:27], v[12:13], v[14:15] neg_lo:[0,1] neg_hi:[0,1]
	v_pk_add_f32 v[12:13], v[12:13], v[14:15]
	v_mov_b32_e32 v22, v23
	v_mov_b32_e32 v14, v13
	v_pk_add_f32 v[28:29], v[14:15], v[8:9] neg_lo:[0,1] neg_hi:[0,1]
	v_mov_b32_e32 v12, v25
	v_mov_b32_e32 v15, v28
	v_pk_add_f32 v[30:31], v[24:25], v[14:15] neg_lo:[0,1] neg_hi:[0,1]
	v_mov_b32_e32 v24, v9
	v_mov_b32_e32 v25, v28
	;; [unrolled: 1-line block ×3, first 2 shown]
	v_pk_add_f32 v[12:13], v[12:13], v[24:25] neg_lo:[0,1] neg_hi:[0,1]
	v_mov_b32_e32 v23, v8
	v_pk_add_f32 v[8:9], v[22:23], v[12:13] neg_lo:[0,1] neg_hi:[0,1]
	v_mov_b32_e32 v30, v26
	v_pk_add_f32 v[12:13], v[30:31], v[8:9]
	s_nop 0
	v_mov_b32_e32 v22, v13
	v_pk_add_f32 v[22:23], v[12:13], v[22:23]
	s_nop 0
	v_pk_add_f32 v[14:15], v[14:15], v[22:23]
	v_mov_b32_e32 v9, v22
	v_mov_b32_e32 v13, v14
	v_pk_add_f32 v[24:25], v[12:13], v[26:27] neg_lo:[0,1] neg_hi:[0,1]
	s_nop 0
	v_sub_f32_e32 v12, v12, v24
	v_pk_add_f32 v[8:9], v[8:9], v[24:25] neg_lo:[0,1] neg_hi:[0,1]
	v_sub_f32_e32 v12, v26, v12
	v_add_f32_e32 v8, v8, v12
	v_add_f32_e32 v8, v8, v9
	;; [unrolled: 1-line block ×3, first 2 shown]
	v_cndmask_b32_e32 v92, v8, v32, vcc
.LBB119_99:                             ;   in Loop: Header=BB119_13 Depth=1
	s_or_b64 exec, exec, s[52:53]
	v_cvt_f32_f16_e32 v8, v10
	v_readlane_b32 s0, v95, 2
	s_nop 1
	v_add_f32_e32 v93, s0, v8
	v_cmp_ge_f32_e32 vcc, s6, v93
	s_and_b64 s[2:3], s[4:5], vcc
	s_and_saveexec_b64 s[52:53], s[2:3]
	s_cbranch_execz .LBB119_101
; %bb.100:                              ;   in Loop: Header=BB119_13 Depth=1
	v_mul_f32_e32 v8, 0x3fb8aa3b, v93
	v_rndne_f32_e32 v9, v8
	v_sub_f32_e32 v12, v8, v9
	v_fma_f32 v8, v93, s7, -v8
	v_fmac_f32_e32 v8, 0x32a5705f, v93
	v_add_f32_e32 v8, v12, v8
	v_cvt_i32_f32_e32 v9, v9
	v_exp_f32_e32 v8, v8
	v_cmp_ngt_f32_e32 vcc, s8, v93
	v_ldexp_f32 v8, v8, v9
	s_nop 0
	v_cndmask_b32_e32 v8, 0, v8, vcc
	v_cmp_nlt_f32_e32 vcc, s9, v93
	s_nop 1
	v_cndmask_b32_e32 v32, v41, v8, vcc
	v_add_f32_e32 v12, 1.0, v32
	v_add_f32_e32 v8, -1.0, v12
	v_sub_f32_e32 v9, v8, v12
	v_add_f32_e32 v9, 1.0, v9
	v_sub_f32_e32 v8, v32, v8
	v_add_f32_e32 v13, v8, v9
	v_frexp_mant_f32_e32 v14, v12
	v_cvt_f64_f32_e32 v[8:9], v12
	v_frexp_exp_i32_f64_e32 v8, v[8:9]
	v_cmp_gt_f32_e32 vcc, s11, v14
	v_cmp_gt_f32_e64 s[2:3], s54, v32
	s_nop 0
	v_subbrev_co_u32_e32 v24, vcc, 0, v8, vcc
	v_sub_u32_e32 v8, 0, v24
	v_ldexp_f32 v9, v12, v8
	v_add_f32_e32 v12, -1.0, v9
	v_add_f32_e32 v14, 1.0, v9
	v_ldexp_f32 v8, v13, v8
	v_add_f32_e32 v13, 1.0, v12
	v_add_f32_e32 v15, -1.0, v14
	v_sub_f32_e32 v13, v9, v13
	v_sub_f32_e32 v9, v9, v15
	v_add_f32_e32 v13, v8, v13
	v_add_f32_e32 v8, v8, v9
	;; [unrolled: 1-line block ×3, first 2 shown]
	v_rcp_f32_e32 v27, v25
	v_sub_f32_e32 v9, v14, v25
	v_add_f32_e32 v26, v8, v9
	v_add_f32_e32 v9, v12, v13
	v_mul_f32_e32 v29, v9, v27
	v_sub_f32_e32 v8, v12, v9
	v_mul_f32_e32 v12, v25, v29
	v_fma_f32 v14, v29, v25, -v12
	v_fmac_f32_e32 v14, v29, v26
	v_add_f32_e32 v28, v13, v8
	v_add_f32_e32 v8, v12, v14
	v_sub_f32_e32 v13, v9, v8
	v_pk_add_f32 v[22:23], v[8:9], v[12:13] neg_lo:[0,1] neg_hi:[0,1]
	v_mov_b32_e32 v15, v8
	v_pk_add_f32 v[8:9], v[22:23], v[14:15] neg_lo:[0,1] neg_hi:[0,1]
	v_cmp_eq_f32_e32 vcc, s10, v32
	v_add_f32_e32 v9, v28, v9
	v_add_f32_e32 v8, v8, v9
	v_add_f32_e32 v9, v13, v8
	v_mul_f32_e32 v28, v27, v9
	v_mul_f32_e32 v12, v25, v28
	v_fma_f32 v14, v28, v25, -v12
	v_fmac_f32_e32 v14, v28, v26
	v_sub_f32_e32 v13, v13, v9
	v_add_f32_e32 v25, v8, v13
	v_add_f32_e32 v8, v12, v14
	v_sub_f32_e32 v13, v9, v8
	v_pk_add_f32 v[22:23], v[8:9], v[12:13] neg_lo:[0,1] neg_hi:[0,1]
	v_mov_b32_e32 v15, v8
	v_pk_add_f32 v[8:9], v[22:23], v[14:15] neg_lo:[0,1] neg_hi:[0,1]
	s_or_b64 vcc, s[2:3], vcc
	v_add_f32_e32 v9, v25, v9
	v_add_f32_e32 v8, v8, v9
	;; [unrolled: 1-line block ×4, first 2 shown]
	v_sub_f32_e32 v12, v9, v29
	v_mul_f32_e32 v8, v27, v8
	v_sub_f32_e32 v12, v28, v12
	v_add_f32_e32 v12, v12, v8
	v_add_f32_e32 v14, v9, v12
	v_mul_f32_e32 v15, v14, v14
	v_fmamk_f32 v8, v15, 0x3e9b6dac, v40
	v_fmaak_f32 v43, v15, v8, 0x3f2aaada
	v_cvt_f32_i32_e32 v8, v24
	v_sub_f32_e32 v9, v14, v9
	v_sub_f32_e32 v9, v12, v9
	v_ldexp_f32 v22, v9, 1
	v_mul_f32_e32 v9, v14, v15
	v_ldexp_f32 v13, v14, 1
	v_pk_mul_f32 v[14:15], v[8:9], v[42:43]
	s_nop 0
	v_fma_f32 v12, v8, s33, -v14
	v_fmac_f32_e32 v12, 0xb102e308, v8
	v_pk_add_f32 v[8:9], v[14:15], v[12:13]
	s_nop 0
	v_sub_f32_e32 v13, v9, v13
	v_sub_f32_e32 v13, v15, v13
	v_add_f32_e32 v23, v22, v13
	v_mov_b32_e32 v22, v14
	v_pk_add_f32 v[14:15], v[8:9], v[14:15] neg_lo:[0,1] neg_hi:[0,1]
	v_pk_add_f32 v[24:25], v[8:9], v[22:23]
	v_mov_b32_e32 v13, v8
	v_mov_b32_e32 v15, v25
	v_pk_add_f32 v[26:27], v[12:13], v[14:15] neg_lo:[0,1] neg_hi:[0,1]
	v_pk_add_f32 v[12:13], v[12:13], v[14:15]
	v_mov_b32_e32 v22, v23
	v_mov_b32_e32 v14, v13
	v_pk_add_f32 v[28:29], v[14:15], v[8:9] neg_lo:[0,1] neg_hi:[0,1]
	v_mov_b32_e32 v12, v25
	v_mov_b32_e32 v15, v28
	v_pk_add_f32 v[30:31], v[24:25], v[14:15] neg_lo:[0,1] neg_hi:[0,1]
	v_mov_b32_e32 v24, v9
	v_mov_b32_e32 v25, v28
	;; [unrolled: 1-line block ×3, first 2 shown]
	v_pk_add_f32 v[12:13], v[12:13], v[24:25] neg_lo:[0,1] neg_hi:[0,1]
	v_mov_b32_e32 v23, v8
	v_pk_add_f32 v[8:9], v[22:23], v[12:13] neg_lo:[0,1] neg_hi:[0,1]
	v_mov_b32_e32 v30, v26
	v_pk_add_f32 v[12:13], v[30:31], v[8:9]
	s_nop 0
	v_mov_b32_e32 v22, v13
	v_pk_add_f32 v[22:23], v[12:13], v[22:23]
	s_nop 0
	v_pk_add_f32 v[14:15], v[14:15], v[22:23]
	v_mov_b32_e32 v9, v22
	v_mov_b32_e32 v13, v14
	v_pk_add_f32 v[24:25], v[12:13], v[26:27] neg_lo:[0,1] neg_hi:[0,1]
	s_nop 0
	v_sub_f32_e32 v12, v12, v24
	v_pk_add_f32 v[8:9], v[8:9], v[24:25] neg_lo:[0,1] neg_hi:[0,1]
	v_sub_f32_e32 v12, v26, v12
	v_add_f32_e32 v8, v8, v12
	v_add_f32_e32 v8, v8, v9
	;; [unrolled: 1-line block ×3, first 2 shown]
	v_cndmask_b32_e32 v93, v8, v32, vcc
.LBB119_101:                            ;   in Loop: Header=BB119_13 Depth=1
	s_or_b64 exec, exec, s[52:53]
	v_cvt_f32_f16_sdwa v8, v10 dst_sel:DWORD dst_unused:UNUSED_PAD src0_sel:WORD_1
	v_readlane_b32 s0, v95, 2
	s_nop 1
	v_add_f32_e32 v94, s0, v8
	v_cmp_ge_f32_e32 vcc, s6, v94
	s_and_b64 s[2:3], s[4:5], vcc
	s_and_saveexec_b64 s[52:53], s[2:3]
	s_cbranch_execz .LBB119_103
; %bb.102:                              ;   in Loop: Header=BB119_13 Depth=1
	v_mul_f32_e32 v8, 0x3fb8aa3b, v94
	v_rndne_f32_e32 v9, v8
	v_sub_f32_e32 v10, v8, v9
	v_fma_f32 v8, v94, s7, -v8
	v_fmac_f32_e32 v8, 0x32a5705f, v94
	v_add_f32_e32 v8, v10, v8
	v_cvt_i32_f32_e32 v9, v9
	v_exp_f32_e32 v8, v8
	v_cmp_ngt_f32_e32 vcc, s8, v94
	v_ldexp_f32 v8, v8, v9
	s_nop 0
	v_cndmask_b32_e32 v8, 0, v8, vcc
	v_cmp_nlt_f32_e32 vcc, s9, v94
	s_nop 1
	v_cndmask_b32_e32 v30, v41, v8, vcc
	v_add_f32_e32 v10, 1.0, v30
	v_add_f32_e32 v8, -1.0, v10
	v_sub_f32_e32 v9, v8, v10
	v_add_f32_e32 v9, 1.0, v9
	v_sub_f32_e32 v8, v30, v8
	v_add_f32_e32 v12, v8, v9
	v_frexp_mant_f32_e32 v13, v10
	v_cvt_f64_f32_e32 v[8:9], v10
	v_frexp_exp_i32_f64_e32 v8, v[8:9]
	v_cmp_gt_f32_e32 vcc, s11, v13
	v_cmp_gt_f32_e64 s[2:3], s54, v30
	s_nop 0
	v_subbrev_co_u32_e32 v24, vcc, 0, v8, vcc
	v_sub_u32_e32 v8, 0, v24
	v_ldexp_f32 v9, v10, v8
	v_add_f32_e32 v10, -1.0, v9
	v_add_f32_e32 v13, 1.0, v9
	v_ldexp_f32 v8, v12, v8
	v_add_f32_e32 v12, 1.0, v10
	v_add_f32_e32 v14, -1.0, v13
	v_sub_f32_e32 v12, v9, v12
	v_sub_f32_e32 v9, v9, v14
	v_add_f32_e32 v12, v8, v12
	v_add_f32_e32 v8, v8, v9
	;; [unrolled: 1-line block ×3, first 2 shown]
	v_rcp_f32_e32 v27, v25
	v_sub_f32_e32 v9, v13, v25
	v_add_f32_e32 v26, v8, v9
	v_add_f32_e32 v9, v10, v12
	v_sub_f32_e32 v8, v10, v9
	v_mul_f32_e32 v28, v9, v27
	v_add_f32_e32 v10, v12, v8
	v_mul_f32_e32 v12, v25, v28
	v_fma_f32 v14, v28, v25, -v12
	v_fmac_f32_e32 v14, v28, v26
	v_add_f32_e32 v8, v12, v14
	v_sub_f32_e32 v13, v9, v8
	v_pk_add_f32 v[22:23], v[8:9], v[12:13] neg_lo:[0,1] neg_hi:[0,1]
	v_mov_b32_e32 v15, v8
	v_pk_add_f32 v[8:9], v[22:23], v[14:15] neg_lo:[0,1] neg_hi:[0,1]
	v_cmp_eq_f32_e32 vcc, s10, v30
	v_add_f32_e32 v9, v10, v9
	v_add_f32_e32 v8, v8, v9
	;; [unrolled: 1-line block ×3, first 2 shown]
	v_mul_f32_e32 v10, v27, v9
	v_mul_f32_e32 v12, v25, v10
	v_fma_f32 v14, v10, v25, -v12
	v_fmac_f32_e32 v14, v10, v26
	v_sub_f32_e32 v13, v13, v9
	v_add_f32_e32 v25, v8, v13
	v_add_f32_e32 v8, v12, v14
	v_sub_f32_e32 v13, v9, v8
	v_pk_add_f32 v[22:23], v[8:9], v[12:13] neg_lo:[0,1] neg_hi:[0,1]
	v_mov_b32_e32 v15, v8
	v_pk_add_f32 v[8:9], v[22:23], v[14:15] neg_lo:[0,1] neg_hi:[0,1]
	s_or_b64 vcc, s[2:3], vcc
	v_add_f32_e32 v9, v25, v9
	v_add_f32_e32 v8, v8, v9
	v_add_f32_e32 v9, v28, v10
	v_add_f32_e32 v8, v13, v8
	v_sub_f32_e32 v12, v9, v28
	v_mul_f32_e32 v8, v27, v8
	v_sub_f32_e32 v10, v10, v12
	v_add_f32_e32 v10, v10, v8
	v_add_f32_e32 v12, v9, v10
	v_mul_f32_e32 v14, v12, v12
	v_fmamk_f32 v8, v14, 0x3e9b6dac, v40
	v_fmaak_f32 v43, v14, v8, 0x3f2aaada
	v_cvt_f32_i32_e32 v8, v24
	v_sub_f32_e32 v9, v12, v9
	v_sub_f32_e32 v9, v10, v9
	v_ldexp_f32 v10, v9, 1
	v_mul_f32_e32 v9, v12, v14
	v_pk_mul_f32 v[14:15], v[8:9], v[42:43]
	v_ldexp_f32 v13, v12, 1
	v_fma_f32 v12, v8, s33, -v14
	v_fmac_f32_e32 v12, 0xb102e308, v8
	v_pk_add_f32 v[8:9], v[14:15], v[12:13]
	v_mov_b32_e32 v22, v14
	v_sub_f32_e32 v13, v9, v13
	v_sub_f32_e32 v13, v15, v13
	v_add_f32_e32 v23, v10, v13
	v_pk_add_f32 v[14:15], v[8:9], v[14:15] neg_lo:[0,1] neg_hi:[0,1]
	v_pk_add_f32 v[24:25], v[8:9], v[22:23]
	v_mov_b32_e32 v13, v8
	v_mov_b32_e32 v15, v25
	v_pk_add_f32 v[26:27], v[12:13], v[14:15] neg_lo:[0,1] neg_hi:[0,1]
	v_pk_add_f32 v[12:13], v[12:13], v[14:15]
	s_nop 0
	v_mov_b32_e32 v10, v13
	v_pk_add_f32 v[14:15], v[10:11], v[8:9] neg_lo:[0,1] neg_hi:[0,1]
	v_mov_b32_e32 v12, v25
	v_mov_b32_e32 v15, v14
	v_pk_add_f32 v[28:29], v[24:25], v[14:15] neg_lo:[0,1] neg_hi:[0,1]
	v_mov_b32_e32 v24, v9
	v_mov_b32_e32 v25, v14
	;; [unrolled: 1-line block ×3, first 2 shown]
	v_pk_add_f32 v[12:13], v[12:13], v[24:25] neg_lo:[0,1] neg_hi:[0,1]
	v_mov_b32_e32 v14, v23
	v_mov_b32_e32 v15, v8
	v_pk_add_f32 v[8:9], v[14:15], v[12:13] neg_lo:[0,1] neg_hi:[0,1]
	v_mov_b32_e32 v28, v26
	v_pk_add_f32 v[12:13], v[28:29], v[8:9]
	s_nop 0
	v_mov_b32_e32 v14, v13
	v_pk_add_f32 v[14:15], v[12:13], v[14:15]
	s_nop 0
	v_pk_add_f32 v[22:23], v[10:11], v[14:15]
	v_mov_b32_e32 v9, v14
	v_mov_b32_e32 v13, v22
	v_pk_add_f32 v[24:25], v[12:13], v[26:27] neg_lo:[0,1] neg_hi:[0,1]
	s_nop 0
	v_sub_f32_e32 v10, v12, v24
	v_pk_add_f32 v[8:9], v[8:9], v[24:25] neg_lo:[0,1] neg_hi:[0,1]
	v_sub_f32_e32 v10, v26, v10
	v_add_f32_e32 v8, v8, v10
	v_add_f32_e32 v8, v8, v9
	;; [unrolled: 1-line block ×3, first 2 shown]
	v_cndmask_b32_e32 v94, v8, v30, vcc
.LBB119_103:                            ;   in Loop: Header=BB119_13 Depth=1
	s_or_b64 exec, exec, s[52:53]
	v_cvt_f32_f16_e32 v8, v11
	v_readlane_b32 s0, v95, 2
	s_nop 1
	v_add_f32_e32 v56, s0, v8
	v_cmp_ge_f32_e32 vcc, s6, v56
	s_and_b64 s[2:3], s[4:5], vcc
	s_and_saveexec_b64 s[52:53], s[2:3]
	s_cbranch_execz .LBB119_105
; %bb.104:                              ;   in Loop: Header=BB119_13 Depth=1
	v_mul_f32_e32 v8, 0x3fb8aa3b, v56
	v_rndne_f32_e32 v9, v8
	v_sub_f32_e32 v10, v8, v9
	v_fma_f32 v8, v56, s7, -v8
	v_fmac_f32_e32 v8, 0x32a5705f, v56
	v_add_f32_e32 v8, v10, v8
	v_cvt_i32_f32_e32 v9, v9
	v_exp_f32_e32 v8, v8
	v_cmp_ngt_f32_e32 vcc, s8, v56
	v_ldexp_f32 v8, v8, v9
	s_nop 0
	v_cndmask_b32_e32 v8, 0, v8, vcc
	v_cmp_nlt_f32_e32 vcc, s9, v56
	s_nop 1
	v_cndmask_b32_e32 v30, v41, v8, vcc
	v_add_f32_e32 v10, 1.0, v30
	v_add_f32_e32 v8, -1.0, v10
	v_sub_f32_e32 v9, v8, v10
	v_add_f32_e32 v9, 1.0, v9
	v_sub_f32_e32 v8, v30, v8
	v_add_f32_e32 v12, v8, v9
	v_frexp_mant_f32_e32 v13, v10
	v_cvt_f64_f32_e32 v[8:9], v10
	v_frexp_exp_i32_f64_e32 v8, v[8:9]
	v_cmp_gt_f32_e32 vcc, s11, v13
	v_cmp_gt_f32_e64 s[2:3], s54, v30
	s_nop 0
	v_subbrev_co_u32_e32 v24, vcc, 0, v8, vcc
	v_sub_u32_e32 v8, 0, v24
	v_ldexp_f32 v9, v10, v8
	v_add_f32_e32 v10, -1.0, v9
	v_add_f32_e32 v13, 1.0, v9
	v_ldexp_f32 v8, v12, v8
	v_add_f32_e32 v12, 1.0, v10
	v_add_f32_e32 v14, -1.0, v13
	v_sub_f32_e32 v12, v9, v12
	v_sub_f32_e32 v9, v9, v14
	v_add_f32_e32 v12, v8, v12
	v_add_f32_e32 v8, v8, v9
	v_add_f32_e32 v25, v13, v8
	v_rcp_f32_e32 v27, v25
	v_sub_f32_e32 v9, v13, v25
	v_add_f32_e32 v26, v8, v9
	v_add_f32_e32 v9, v10, v12
	v_sub_f32_e32 v8, v10, v9
	v_mul_f32_e32 v28, v9, v27
	v_add_f32_e32 v10, v12, v8
	v_mul_f32_e32 v12, v25, v28
	v_fma_f32 v14, v28, v25, -v12
	v_fmac_f32_e32 v14, v28, v26
	v_add_f32_e32 v8, v12, v14
	v_sub_f32_e32 v13, v9, v8
	v_pk_add_f32 v[22:23], v[8:9], v[12:13] neg_lo:[0,1] neg_hi:[0,1]
	v_mov_b32_e32 v15, v8
	v_pk_add_f32 v[8:9], v[22:23], v[14:15] neg_lo:[0,1] neg_hi:[0,1]
	v_cmp_eq_f32_e32 vcc, s10, v30
	v_add_f32_e32 v9, v10, v9
	v_add_f32_e32 v8, v8, v9
	;; [unrolled: 1-line block ×3, first 2 shown]
	v_mul_f32_e32 v10, v27, v9
	v_mul_f32_e32 v12, v25, v10
	v_fma_f32 v14, v10, v25, -v12
	v_fmac_f32_e32 v14, v10, v26
	v_sub_f32_e32 v13, v13, v9
	v_add_f32_e32 v25, v8, v13
	v_add_f32_e32 v8, v12, v14
	v_sub_f32_e32 v13, v9, v8
	v_pk_add_f32 v[22:23], v[8:9], v[12:13] neg_lo:[0,1] neg_hi:[0,1]
	v_mov_b32_e32 v15, v8
	v_pk_add_f32 v[8:9], v[22:23], v[14:15] neg_lo:[0,1] neg_hi:[0,1]
	s_or_b64 vcc, s[2:3], vcc
	v_add_f32_e32 v9, v25, v9
	v_add_f32_e32 v8, v8, v9
	;; [unrolled: 1-line block ×4, first 2 shown]
	v_sub_f32_e32 v12, v9, v28
	v_mul_f32_e32 v8, v27, v8
	v_sub_f32_e32 v10, v10, v12
	v_add_f32_e32 v10, v10, v8
	v_add_f32_e32 v12, v9, v10
	v_mul_f32_e32 v14, v12, v12
	v_fmamk_f32 v8, v14, 0x3e9b6dac, v40
	v_fmaak_f32 v43, v14, v8, 0x3f2aaada
	v_cvt_f32_i32_e32 v8, v24
	v_sub_f32_e32 v9, v12, v9
	v_sub_f32_e32 v9, v10, v9
	v_ldexp_f32 v10, v9, 1
	v_mul_f32_e32 v9, v12, v14
	v_pk_mul_f32 v[14:15], v[8:9], v[42:43]
	v_ldexp_f32 v13, v12, 1
	v_fma_f32 v12, v8, s33, -v14
	v_fmac_f32_e32 v12, 0xb102e308, v8
	v_pk_add_f32 v[8:9], v[14:15], v[12:13]
	v_mov_b32_e32 v22, v14
	v_sub_f32_e32 v13, v9, v13
	v_sub_f32_e32 v13, v15, v13
	v_add_f32_e32 v23, v10, v13
	v_pk_add_f32 v[14:15], v[8:9], v[14:15] neg_lo:[0,1] neg_hi:[0,1]
	v_pk_add_f32 v[24:25], v[8:9], v[22:23]
	v_mov_b32_e32 v13, v8
	v_mov_b32_e32 v15, v25
	v_pk_add_f32 v[26:27], v[12:13], v[14:15] neg_lo:[0,1] neg_hi:[0,1]
	v_pk_add_f32 v[12:13], v[12:13], v[14:15]
	s_nop 0
	v_mov_b32_e32 v10, v13
	v_pk_add_f32 v[14:15], v[10:11], v[8:9] neg_lo:[0,1] neg_hi:[0,1]
	v_mov_b32_e32 v12, v25
	v_mov_b32_e32 v15, v14
	v_pk_add_f32 v[28:29], v[24:25], v[14:15] neg_lo:[0,1] neg_hi:[0,1]
	v_mov_b32_e32 v24, v9
	v_mov_b32_e32 v25, v14
	v_mov_b32_e32 v27, v13
	v_pk_add_f32 v[12:13], v[12:13], v[24:25] neg_lo:[0,1] neg_hi:[0,1]
	v_mov_b32_e32 v14, v23
	v_mov_b32_e32 v15, v8
	v_pk_add_f32 v[8:9], v[14:15], v[12:13] neg_lo:[0,1] neg_hi:[0,1]
	v_mov_b32_e32 v28, v26
	v_pk_add_f32 v[12:13], v[28:29], v[8:9]
	s_nop 0
	v_mov_b32_e32 v14, v13
	v_pk_add_f32 v[14:15], v[12:13], v[14:15]
	s_nop 0
	v_pk_add_f32 v[22:23], v[10:11], v[14:15]
	v_mov_b32_e32 v9, v14
	v_mov_b32_e32 v13, v22
	v_pk_add_f32 v[24:25], v[12:13], v[26:27] neg_lo:[0,1] neg_hi:[0,1]
	s_nop 0
	v_sub_f32_e32 v10, v12, v24
	v_pk_add_f32 v[8:9], v[8:9], v[24:25] neg_lo:[0,1] neg_hi:[0,1]
	v_sub_f32_e32 v10, v26, v10
	v_add_f32_e32 v8, v8, v10
	v_add_f32_e32 v8, v8, v9
	;; [unrolled: 1-line block ×3, first 2 shown]
	v_cndmask_b32_e32 v56, v8, v30, vcc
.LBB119_105:                            ;   in Loop: Header=BB119_13 Depth=1
	s_or_b64 exec, exec, s[52:53]
	v_cvt_f32_f16_sdwa v8, v11 dst_sel:DWORD dst_unused:UNUSED_PAD src0_sel:WORD_1
	v_readlane_b32 s0, v95, 2
	s_nop 1
	v_add_f32_e32 v23, s0, v8
	v_cmp_ge_f32_e32 vcc, s6, v23
	s_and_b64 s[2:3], s[4:5], vcc
	s_and_saveexec_b64 s[52:53], s[2:3]
	s_cbranch_execz .LBB119_107
; %bb.106:                              ;   in Loop: Header=BB119_13 Depth=1
	v_mul_f32_e32 v8, 0x3fb8aa3b, v23
	v_rndne_f32_e32 v9, v8
	v_sub_f32_e32 v10, v8, v9
	v_fma_f32 v8, v23, s7, -v8
	v_fmac_f32_e32 v8, 0x32a5705f, v23
	v_add_f32_e32 v8, v10, v8
	v_cvt_i32_f32_e32 v9, v9
	v_exp_f32_e32 v8, v8
	v_cmp_ngt_f32_e32 vcc, s8, v23
	v_ldexp_f32 v8, v8, v9
	s_nop 0
	v_cndmask_b32_e32 v8, 0, v8, vcc
	v_cmp_nlt_f32_e32 vcc, s9, v23
	s_nop 1
	v_cndmask_b32_e32 v30, v41, v8, vcc
	v_add_f32_e32 v10, 1.0, v30
	v_add_f32_e32 v8, -1.0, v10
	v_sub_f32_e32 v9, v8, v10
	v_add_f32_e32 v9, 1.0, v9
	v_sub_f32_e32 v8, v30, v8
	v_add_f32_e32 v11, v8, v9
	v_frexp_mant_f32_e32 v12, v10
	v_cvt_f64_f32_e32 v[8:9], v10
	v_frexp_exp_i32_f64_e32 v8, v[8:9]
	v_cmp_gt_f32_e32 vcc, s11, v12
	v_cmp_gt_f32_e64 s[2:3], s54, v30
	s_nop 0
	v_subbrev_co_u32_e32 v22, vcc, 0, v8, vcc
	v_sub_u32_e32 v8, 0, v22
	v_ldexp_f32 v9, v10, v8
	v_add_f32_e32 v10, -1.0, v9
	v_add_f32_e32 v12, 1.0, v9
	v_ldexp_f32 v8, v11, v8
	v_add_f32_e32 v11, 1.0, v10
	v_add_f32_e32 v13, -1.0, v12
	v_sub_f32_e32 v11, v9, v11
	v_sub_f32_e32 v9, v9, v13
	v_add_f32_e32 v11, v8, v11
	v_add_f32_e32 v8, v8, v9
	;; [unrolled: 1-line block ×3, first 2 shown]
	v_rcp_f32_e32 v25, v23
	v_sub_f32_e32 v9, v12, v23
	v_add_f32_e32 v24, v8, v9
	v_add_f32_e32 v9, v10, v11
	v_mul_f32_e32 v27, v9, v25
	v_sub_f32_e32 v8, v10, v9
	v_mul_f32_e32 v10, v23, v27
	v_fma_f32 v12, v27, v23, -v10
	v_fmac_f32_e32 v12, v27, v24
	v_add_f32_e32 v26, v11, v8
	v_add_f32_e32 v8, v10, v12
	v_sub_f32_e32 v11, v9, v8
	v_pk_add_f32 v[14:15], v[8:9], v[10:11] neg_lo:[0,1] neg_hi:[0,1]
	v_mov_b32_e32 v13, v8
	v_pk_add_f32 v[8:9], v[14:15], v[12:13] neg_lo:[0,1] neg_hi:[0,1]
	v_cmp_eq_f32_e32 vcc, s10, v30
	v_add_f32_e32 v9, v26, v9
	v_add_f32_e32 v8, v8, v9
	v_add_f32_e32 v9, v11, v8
	v_mul_f32_e32 v26, v25, v9
	v_mul_f32_e32 v10, v23, v26
	v_fma_f32 v12, v26, v23, -v10
	v_fmac_f32_e32 v12, v26, v24
	v_sub_f32_e32 v11, v11, v9
	v_add_f32_e32 v23, v8, v11
	v_add_f32_e32 v8, v10, v12
	v_sub_f32_e32 v11, v9, v8
	v_pk_add_f32 v[14:15], v[8:9], v[10:11] neg_lo:[0,1] neg_hi:[0,1]
	v_mov_b32_e32 v13, v8
	v_pk_add_f32 v[8:9], v[14:15], v[12:13] neg_lo:[0,1] neg_hi:[0,1]
	s_or_b64 vcc, s[2:3], vcc
	v_add_f32_e32 v9, v23, v9
	v_add_f32_e32 v8, v8, v9
	;; [unrolled: 1-line block ×4, first 2 shown]
	v_sub_f32_e32 v10, v9, v27
	v_mul_f32_e32 v8, v25, v8
	v_sub_f32_e32 v10, v26, v10
	v_add_f32_e32 v10, v10, v8
	v_add_f32_e32 v12, v9, v10
	v_mul_f32_e32 v13, v12, v12
	v_fmamk_f32 v8, v13, 0x3e9b6dac, v40
	v_fmaak_f32 v43, v13, v8, 0x3f2aaada
	v_cvt_f32_i32_e32 v8, v22
	v_sub_f32_e32 v9, v12, v9
	v_sub_f32_e32 v9, v10, v9
	v_ldexp_f32 v14, v9, 1
	v_mul_f32_e32 v9, v12, v13
	v_ldexp_f32 v11, v12, 1
	v_pk_mul_f32 v[12:13], v[8:9], v[42:43]
	s_nop 0
	v_fma_f32 v10, v8, s33, -v12
	v_fmac_f32_e32 v10, 0xb102e308, v8
	v_pk_add_f32 v[8:9], v[12:13], v[10:11]
	s_nop 0
	v_sub_f32_e32 v11, v9, v11
	v_sub_f32_e32 v11, v13, v11
	v_add_f32_e32 v15, v14, v11
	v_mov_b32_e32 v14, v12
	v_pk_add_f32 v[12:13], v[8:9], v[12:13] neg_lo:[0,1] neg_hi:[0,1]
	v_pk_add_f32 v[22:23], v[8:9], v[14:15]
	v_mov_b32_e32 v11, v8
	v_mov_b32_e32 v13, v23
	v_pk_add_f32 v[24:25], v[10:11], v[12:13] neg_lo:[0,1] neg_hi:[0,1]
	v_pk_add_f32 v[10:11], v[10:11], v[12:13]
	v_mov_b32_e32 v14, v15
	v_mov_b32_e32 v12, v11
	v_pk_add_f32 v[26:27], v[12:13], v[8:9] neg_lo:[0,1] neg_hi:[0,1]
	v_mov_b32_e32 v10, v23
	v_mov_b32_e32 v13, v26
	v_pk_add_f32 v[28:29], v[22:23], v[12:13] neg_lo:[0,1] neg_hi:[0,1]
	v_mov_b32_e32 v22, v9
	v_mov_b32_e32 v23, v26
	;; [unrolled: 1-line block ×3, first 2 shown]
	v_pk_add_f32 v[10:11], v[10:11], v[22:23] neg_lo:[0,1] neg_hi:[0,1]
	v_mov_b32_e32 v15, v8
	v_pk_add_f32 v[8:9], v[14:15], v[10:11] neg_lo:[0,1] neg_hi:[0,1]
	v_mov_b32_e32 v28, v24
	v_pk_add_f32 v[10:11], v[28:29], v[8:9]
	s_nop 0
	v_mov_b32_e32 v14, v11
	v_pk_add_f32 v[14:15], v[10:11], v[14:15]
	s_nop 0
	v_pk_add_f32 v[12:13], v[12:13], v[14:15]
	v_mov_b32_e32 v9, v14
	v_mov_b32_e32 v11, v12
	v_pk_add_f32 v[22:23], v[10:11], v[24:25] neg_lo:[0,1] neg_hi:[0,1]
	s_nop 0
	v_sub_f32_e32 v10, v10, v22
	v_pk_add_f32 v[8:9], v[8:9], v[22:23] neg_lo:[0,1] neg_hi:[0,1]
	v_sub_f32_e32 v10, v24, v10
	v_add_f32_e32 v8, v8, v10
	v_add_f32_e32 v8, v8, v9
	;; [unrolled: 1-line block ×3, first 2 shown]
	v_cndmask_b32_e32 v23, v8, v30, vcc
.LBB119_107:                            ;   in Loop: Header=BB119_13 Depth=1
	s_or_b64 exec, exec, s[52:53]
	v_cvt_f32_f16_e32 v8, v7
	v_cvt_f32_f16_sdwa v9, v6 dst_sel:DWORD dst_unused:UNUSED_PAD src0_sel:WORD_1
	v_cvt_f32_f16_e32 v6, v6
	v_cvt_f32_f16_sdwa v11, v7 dst_sel:DWORD dst_unused:UNUSED_PAD src0_sel:WORD_1
	v_cvt_f32_f16_sdwa v7, v5 dst_sel:DWORD dst_unused:UNUSED_PAD src0_sel:WORD_1
	v_cvt_f32_f16_e32 v5, v5
	v_cvt_f32_f16_sdwa v10, v4 dst_sel:DWORD dst_unused:UNUSED_PAD src0_sel:WORD_1
	v_cvt_f32_f16_e32 v4, v4
	;; [unrolled: 2-line block ×6, first 2 shown]
	v_readlane_b32 s0, v95, 3
	s_waitcnt lgkmcnt(0)
	; wave barrier
	s_nop 0
	v_mul_f32_e32 v24, s0, v8
	v_mul_f32_e32 v27, s0, v9
	;; [unrolled: 1-line block ×16, first 2 shown]
	v_readlane_b32 s0, v95, 29
	v_readlane_b32 s1, v95, 30
	s_and_b64 vcc, exec, s[0:1]
	s_cbranch_vccz .LBB119_200
; %bb.108:                              ;   in Loop: Header=BB119_13 Depth=1
	v_mul_f32_e32 v78, v70, v0
	scratch_load_dword v0, off, off offset:248 ; 4-byte Folded Reload
	v_readlane_b32 s0, v95, 7
	v_readlane_b32 s1, v95, 8
	scratch_store_dwordx2 off, v[42:43], off offset:164 ; 8-byte Folded Spill
	v_mul_f32_e32 v8, v56, v8
	v_lshl_add_u64 v[40:41], s[0:1], 0, v[16:17]
	v_readlane_b32 s0, v95, 21
	v_readlane_b32 s1, v95, 22
	v_mul_f32_e32 v6, v93, v6
	v_mul_f32_e32 v5, v91, v5
	v_lshl_add_u64 v[42:43], s[0:1], 0, v[16:17]
	v_readlane_b32 s1, v95, 51
	s_cmp_lg_u32 s1, 0
	v_readlane_b32 s0, v95, 44
	s_cselect_b64 s[2:3], -1, 0
	s_cmp_eq_u32 s1, s0
	v_readlane_b32 s0, v95, 33
	v_readlane_b32 s1, v95, 34
	s_cselect_b64 s[94:95], -1, 0
	s_mov_b32 s88, 0
	v_mul_f32_e32 v11, v23, v11
	scratch_store_dword off, v8, off offset:72 ; 4-byte Folded Spill
	v_mul_f32_e32 v8, v94, v9
	scratch_store_dword off, v6, off offset:80 ; 4-byte Folded Spill
	;; [unrolled: 2-line block ×3, first 2 shown]
	v_mul_f32_e32 v5, v90, v10
	v_mul_f32_e32 v63, v89, v4
	;; [unrolled: 1-line block ×9, first 2 shown]
	s_mov_b32 s86, s88
	s_mov_b32 s98, s88
	;; [unrolled: 1-line block ×3, first 2 shown]
	v_readlane_b32 s90, v95, 47
	scratch_store_dword off, v11, off offset:68 ; 4-byte Folded Spill
	scratch_store_dword off, v8, off offset:76 ; 4-byte Folded Spill
	;; [unrolled: 1-line block ×4, first 2 shown]
	s_waitcnt vmcnt(8)
	v_cmp_gt_u32_e32 vcc, s82, v0
	scratch_load_dword v0, off, off offset:252 ; 4-byte Folded Reload
	s_or_b64 s[52:53], s[0:1], vcc
	s_waitcnt vmcnt(0)
	v_cmp_gt_u32_e32 vcc, s82, v0
	scratch_load_dword v0, off, off offset:256 ; 4-byte Folded Reload
	s_or_b64 s[54:55], s[0:1], vcc
	;; [unrolled: 4-line block ×15, first 2 shown]
	s_waitcnt vmcnt(0)
	v_cmp_gt_u32_e32 vcc, s82, v0
	s_or_b64 s[82:83], s[0:1], vcc
	v_readlane_b32 s0, v95, 31
	v_readlane_b32 s1, v95, 32
	s_mov_b32 s33, s1
	s_branch .LBB119_110
.LBB119_109:                            ;   in Loop: Header=BB119_110 Depth=2
	s_or_b64 exec, exec, s[92:93]
	v_mul_f32_e32 v44, v79, v60
	v_fma_f32 v45, v79, v61, v8
	v_cndmask_b32_e64 v8, v45, v8, s[16:17]
	v_cndmask_b32_e64 v44, v44, v79, s[16:17]
	s_waitcnt lgkmcnt(0)
	v_fmac_f32_e32 v8, v54, v44
	v_fmac_f32_e32 v9, v8, v80
	;; [unrolled: 1-line block ×13, first 2 shown]
	v_readlane_b32 s4, v95, 23
	v_fmac_f32_e32 v15, v14, v16
	v_readlane_b32 s5, v95, 24
	v_readlane_b32 s6, v95, 25
	v_readlane_b32 s7, v95, 26
	v_fmac_f32_e32 v52, v15, v58
	s_add_i32 s96, s96, s6
	v_readlane_b32 s4, v95, 17
	v_fmac_f32_e32 v53, v52, v59
	v_cvt_f32_f16_sdwa v45, v4 dst_sel:DWORD dst_unused:UNUSED_PAD src0_sel:WORD_1
	v_cvt_f32_f16_sdwa v55, v5 dst_sel:DWORD dst_unused:UNUSED_PAD src0_sel:WORD_1
	v_cvt_f32_f16_e32 v44, v4
	v_cvt_f32_f16_e32 v54, v5
	v_cvt_f32_f16_sdwa v5, v6 dst_sel:DWORD dst_unused:UNUSED_PAD src0_sel:WORD_1
	v_cvt_f32_f16_sdwa v59, v7 dst_sel:DWORD dst_unused:UNUSED_PAD src0_sel:WORD_1
	v_cvt_f32_f16_e32 v4, v6
	v_cvt_f32_f16_e32 v58, v7
	;; [unrolled: 4-line block ×4, first 2 shown]
	v_readlane_b32 s5, v95, 18
	v_readlane_b32 s6, v95, 19
	;; [unrolled: 1-line block ×3, first 2 shown]
	s_add_i32 s98, s98, s4
	v_readlane_b32 s4, v95, 9
	v_readlane_b32 s5, v95, 10
	;; [unrolled: 1-line block ×3, first 2 shown]
	s_add_i32 s90, s90, 8
	s_add_i32 s33, s33, -1
	s_add_i32 s86, s86, s8
	s_add_i32 s88, s88, s5
	v_pk_fma_f32 v[36:37], v[10:11], v[54:55], v[36:37]
	v_pk_fma_f32 v[38:39], v[8:9], v[44:45], v[38:39]
	;; [unrolled: 1-line block ×7, first 2 shown]
	s_cmp_eq_u32 s33, 0
	v_pk_fma_f32 v[26:27], v[14:15], v[0:1], v[26:27]
	v_readlane_b32 s6, v95, 11
	v_readlane_b32 s7, v95, 12
	;; [unrolled: 1-line block ×5, first 2 shown]
	s_cbranch_scc1 .LBB119_199
.LBB119_110:                            ;   Parent Loop BB119_13 Depth=1
                                        ; =>  This Inner Loop Header: Depth=2
	s_lshl_b64 s[92:93], s[88:89], 2
	s_add_u32 s92, s97, s92
	v_readlane_b32 s0, v95, 6
	s_addc_u32 s93, s0, s93
	global_load_dword v46, v17, s[92:93]
	s_mov_b32 s87, s89
	v_lshl_add_u64 v[0:1], s[86:87], 1, v[40:41]
	v_mov_b32_e32 v2, 0
	v_mov_b32_e32 v3, 0
	s_and_saveexec_b64 s[92:93], s[18:19]
	s_cbranch_execnz .LBB119_146
; %bb.111:                              ;   in Loop: Header=BB119_110 Depth=2
	s_or_b64 exec, exec, s[92:93]
	s_and_saveexec_b64 s[92:93], s[20:21]
	s_cbranch_execnz .LBB119_147
.LBB119_112:                            ;   in Loop: Header=BB119_110 Depth=2
	s_or_b64 exec, exec, s[92:93]
	v_mov_b32_e32 v4, 0
	s_and_saveexec_b64 s[92:93], s[22:23]
	s_cbranch_execnz .LBB119_148
.LBB119_113:                            ;   in Loop: Header=BB119_110 Depth=2
	s_or_b64 exec, exec, s[92:93]
	s_and_saveexec_b64 s[92:93], s[24:25]
	s_cbranch_execnz .LBB119_149
.LBB119_114:                            ;   in Loop: Header=BB119_110 Depth=2
	s_or_b64 exec, exec, s[92:93]
	v_mov_b32_e32 v5, 0
	s_and_saveexec_b64 s[92:93], s[26:27]
	s_cbranch_execnz .LBB119_150
.LBB119_115:                            ;   in Loop: Header=BB119_110 Depth=2
	s_or_b64 exec, exec, s[92:93]
	s_and_saveexec_b64 s[92:93], s[28:29]
	s_cbranch_execnz .LBB119_151
.LBB119_116:                            ;   in Loop: Header=BB119_110 Depth=2
	s_or_b64 exec, exec, s[92:93]
	v_mov_b32_e32 v6, 0
	s_and_saveexec_b64 s[92:93], s[30:31]
	s_cbranch_execnz .LBB119_152
.LBB119_117:                            ;   in Loop: Header=BB119_110 Depth=2
	s_or_b64 exec, exec, s[92:93]
	s_and_saveexec_b64 s[92:93], s[34:35]
	s_cbranch_execnz .LBB119_153
.LBB119_118:                            ;   in Loop: Header=BB119_110 Depth=2
	s_or_b64 exec, exec, s[92:93]
	v_mov_b32_e32 v7, 0
	s_and_saveexec_b64 s[92:93], s[36:37]
	s_cbranch_execnz .LBB119_154
.LBB119_119:                            ;   in Loop: Header=BB119_110 Depth=2
	s_or_b64 exec, exec, s[92:93]
	s_and_saveexec_b64 s[92:93], s[38:39]
	s_cbranch_execnz .LBB119_155
.LBB119_120:                            ;   in Loop: Header=BB119_110 Depth=2
	s_or_b64 exec, exec, s[92:93]
	v_mov_b32_e32 v8, 0
	s_and_saveexec_b64 s[92:93], s[40:41]
	s_cbranch_execnz .LBB119_156
.LBB119_121:                            ;   in Loop: Header=BB119_110 Depth=2
	s_or_b64 exec, exec, s[92:93]
	s_and_saveexec_b64 s[92:93], s[42:43]
	s_cbranch_execnz .LBB119_157
.LBB119_122:                            ;   in Loop: Header=BB119_110 Depth=2
	s_or_b64 exec, exec, s[92:93]
	v_mov_b32_e32 v9, 0
	s_and_saveexec_b64 s[92:93], s[44:45]
	s_cbranch_execnz .LBB119_158
.LBB119_123:                            ;   in Loop: Header=BB119_110 Depth=2
	s_or_b64 exec, exec, s[92:93]
	s_and_saveexec_b64 s[92:93], s[46:47]
	s_cbranch_execnz .LBB119_159
.LBB119_124:                            ;   in Loop: Header=BB119_110 Depth=2
	s_or_b64 exec, exec, s[92:93]
	v_mov_b32_e32 v10, 0
	s_and_saveexec_b64 s[92:93], s[48:49]
	s_cbranch_execnz .LBB119_160
.LBB119_125:                            ;   in Loop: Header=BB119_110 Depth=2
	s_or_b64 exec, exec, s[92:93]
	s_and_saveexec_b64 s[92:93], s[50:51]
	s_cbranch_execz .LBB119_127
.LBB119_126:                            ;   in Loop: Header=BB119_110 Depth=2
	global_load_ushort v0, v[0:1], off offset:1920
	s_waitcnt vmcnt(0)
	v_lshl_or_b32 v10, v0, 16, v10
.LBB119_127:                            ;   in Loop: Header=BB119_110 Depth=2
	s_or_b64 exec, exec, s[92:93]
	scratch_load_dword v0, off, off offset:4 ; 4-byte Folded Reload
	s_mov_b32 s99, s89
	s_waitcnt vmcnt(0)
	ds_write_b16 v0, v3
	scratch_load_dword v0, off, off offset:8 ; 4-byte Folded Reload
	v_mov_b32_e32 v3, 0
	s_waitcnt vmcnt(0)
	ds_write_b16 v0, v2 offset:128
	scratch_load_dword v0, off, off offset:12 ; 4-byte Folded Reload
	v_mov_b32_e32 v2, 0
	s_waitcnt vmcnt(0)
	ds_write_b16 v0, v4 offset:256
	scratch_load_dword v0, off, off offset:16 ; 4-byte Folded Reload
	s_waitcnt vmcnt(0)
	ds_write_b16_d16_hi v0, v4 offset:384
	scratch_load_dword v0, off, off offset:20 ; 4-byte Folded Reload
	s_waitcnt vmcnt(0)
	ds_write_b16 v0, v5 offset:512
	scratch_load_dword v0, off, off offset:24 ; 4-byte Folded Reload
	s_waitcnt vmcnt(0)
	ds_write_b16_d16_hi v0, v5 offset:640
	scratch_load_dword v0, off, off offset:28 ; 4-byte Folded Reload
	;; [unrolled: 6-line block ×6, first 2 shown]
	s_waitcnt vmcnt(0)
	ds_write_b16 v0, v10 offset:1792
	scratch_load_dword v0, off, off offset:64 ; 4-byte Folded Reload
	s_waitcnt vmcnt(0)
	ds_write_b16_d16_hi v0, v10 offset:1920
	; wave barrier
	scratch_load_dword v0, off, off         ; 4-byte Folded Reload
	s_waitcnt vmcnt(0)
	ds_read_b128 v[12:15], v0
	ds_read_b128 v[8:11], v0 offset:16
	v_lshl_add_u64 v[0:1], s[98:99], 1, v[42:43]
	s_and_saveexec_b64 s[92:93], s[18:19]
	s_cbranch_execnz .LBB119_161
; %bb.128:                              ;   in Loop: Header=BB119_110 Depth=2
	s_or_b64 exec, exec, s[92:93]
	s_and_saveexec_b64 s[92:93], s[20:21]
	s_cbranch_execnz .LBB119_162
.LBB119_129:                            ;   in Loop: Header=BB119_110 Depth=2
	s_or_b64 exec, exec, s[92:93]
	v_mov_b32_e32 v4, 0
	s_and_saveexec_b64 s[92:93], s[22:23]
	s_cbranch_execnz .LBB119_163
.LBB119_130:                            ;   in Loop: Header=BB119_110 Depth=2
	s_or_b64 exec, exec, s[92:93]
	s_and_saveexec_b64 s[92:93], s[24:25]
	s_cbranch_execnz .LBB119_164
.LBB119_131:                            ;   in Loop: Header=BB119_110 Depth=2
	s_or_b64 exec, exec, s[92:93]
	v_mov_b32_e32 v5, 0
	s_and_saveexec_b64 s[92:93], s[26:27]
	s_cbranch_execnz .LBB119_165
.LBB119_132:                            ;   in Loop: Header=BB119_110 Depth=2
	s_or_b64 exec, exec, s[92:93]
	s_and_saveexec_b64 s[92:93], s[28:29]
	s_cbranch_execnz .LBB119_166
.LBB119_133:                            ;   in Loop: Header=BB119_110 Depth=2
	s_or_b64 exec, exec, s[92:93]
	v_mov_b32_e32 v6, 0
	s_and_saveexec_b64 s[92:93], s[30:31]
	s_cbranch_execnz .LBB119_167
.LBB119_134:                            ;   in Loop: Header=BB119_110 Depth=2
	s_or_b64 exec, exec, s[92:93]
	s_and_saveexec_b64 s[92:93], s[34:35]
	s_cbranch_execnz .LBB119_168
.LBB119_135:                            ;   in Loop: Header=BB119_110 Depth=2
	s_or_b64 exec, exec, s[92:93]
	v_mov_b32_e32 v7, 0
	s_and_saveexec_b64 s[92:93], s[36:37]
	s_cbranch_execnz .LBB119_169
.LBB119_136:                            ;   in Loop: Header=BB119_110 Depth=2
	s_or_b64 exec, exec, s[92:93]
	s_and_saveexec_b64 s[92:93], s[38:39]
	s_cbranch_execnz .LBB119_170
.LBB119_137:                            ;   in Loop: Header=BB119_110 Depth=2
	s_or_b64 exec, exec, s[92:93]
	v_mov_b32_e32 v16, 0
	s_and_saveexec_b64 s[92:93], s[40:41]
	s_cbranch_execnz .LBB119_171
.LBB119_138:                            ;   in Loop: Header=BB119_110 Depth=2
	s_or_b64 exec, exec, s[92:93]
	s_and_saveexec_b64 s[92:93], s[42:43]
	s_cbranch_execnz .LBB119_172
.LBB119_139:                            ;   in Loop: Header=BB119_110 Depth=2
	s_or_b64 exec, exec, s[92:93]
	v_mov_b32_e32 v22, 0
	s_and_saveexec_b64 s[92:93], s[44:45]
	s_cbranch_execnz .LBB119_173
.LBB119_140:                            ;   in Loop: Header=BB119_110 Depth=2
	s_or_b64 exec, exec, s[92:93]
	s_and_saveexec_b64 s[92:93], s[46:47]
	s_cbranch_execnz .LBB119_174
.LBB119_141:                            ;   in Loop: Header=BB119_110 Depth=2
	s_or_b64 exec, exec, s[92:93]
	v_mov_b32_e32 v44, 0
	s_and_saveexec_b64 s[92:93], s[48:49]
	s_cbranch_execnz .LBB119_175
.LBB119_142:                            ;   in Loop: Header=BB119_110 Depth=2
	s_or_b64 exec, exec, s[92:93]
	s_and_saveexec_b64 s[92:93], s[50:51]
	s_cbranch_execz .LBB119_144
.LBB119_143:                            ;   in Loop: Header=BB119_110 Depth=2
	global_load_ushort v0, v[0:1], off offset:1920
	s_waitcnt vmcnt(0)
	v_lshl_or_b32 v44, v0, 16, v44
.LBB119_144:                            ;   in Loop: Header=BB119_110 Depth=2
	s_or_b64 exec, exec, s[92:93]
	scratch_load_dword v0, off, off offset:4 ; 4-byte Folded Reload
	s_andn2_b64 vcc, exec, s[2:3]
	s_waitcnt vmcnt(0)
	ds_write_b16 v0, v3 offset:2112
	scratch_load_dword v0, off, off offset:96 ; 4-byte Folded Reload
	s_waitcnt vmcnt(0)
	ds_write_b16 v0, v2 offset:128
	scratch_load_dword v0, off, off offset:100 ; 4-byte Folded Reload
	;; [unrolled: 3-line block ×3, first 2 shown]
	s_waitcnt vmcnt(0)
	ds_write_b16_d16_hi v0, v4 offset:384
	scratch_load_dword v0, off, off offset:108 ; 4-byte Folded Reload
	s_waitcnt vmcnt(0)
	ds_write_b16 v0, v5 offset:512
	scratch_load_dword v0, off, off offset:112 ; 4-byte Folded Reload
	s_waitcnt vmcnt(0)
	ds_write_b16_d16_hi v0, v5 offset:640
	scratch_load_dword v0, off, off offset:116 ; 4-byte Folded Reload
	s_waitcnt vmcnt(0)
	ds_write_b16 v0, v6 offset:768
	scratch_load_dword v0, off, off offset:120 ; 4-byte Folded Reload
	s_waitcnt vmcnt(0)
	ds_write_b16_d16_hi v0, v6 offset:896
	scratch_load_dword v0, off, off offset:124 ; 4-byte Folded Reload
	s_waitcnt vmcnt(0)
	ds_write_b16 v0, v7 offset:1024
	scratch_load_dword v0, off, off offset:128 ; 4-byte Folded Reload
	s_waitcnt vmcnt(0)
	ds_write_b16_d16_hi v0, v7 offset:1152
	scratch_load_dword v0, off, off offset:132 ; 4-byte Folded Reload
	s_waitcnt vmcnt(0)
	ds_write_b16 v0, v16 offset:1280
	scratch_load_dword v0, off, off offset:136 ; 4-byte Folded Reload
	s_waitcnt vmcnt(0)
	ds_write_b16_d16_hi v0, v16 offset:1408
	scratch_load_dword v0, off, off offset:140 ; 4-byte Folded Reload
	s_waitcnt vmcnt(0)
	ds_write_b16 v0, v22 offset:1536
	scratch_load_dword v0, off, off offset:144 ; 4-byte Folded Reload
	s_waitcnt vmcnt(0)
	ds_write_b16_d16_hi v0, v22 offset:1664
	scratch_load_dword v0, off, off offset:148 ; 4-byte Folded Reload
	s_waitcnt vmcnt(0)
	ds_write_b16 v0, v44 offset:1792
	scratch_load_dword v0, off, off offset:152 ; 4-byte Folded Reload
	s_waitcnt vmcnt(0)
	ds_write_b16_d16_hi v0, v44 offset:1920
	; wave barrier
	scratch_load_dword v0, off, off         ; 4-byte Folded Reload
	s_waitcnt vmcnt(0)
	ds_read_b128 v[4:7], v0 offset:2112
	scratch_load_dword v0, off, off offset:156 ; 4-byte Folded Reload
	s_waitcnt vmcnt(0)
	ds_read_b128 v[0:3], v0 offset:16
	s_cbranch_vccnz .LBB119_176
; %bb.145:                              ;   in Loop: Header=BB119_110 Depth=2
	v_mov_b32_e32 v16, s90
	ds_read_b64 v[44:45], v16
	s_cbranch_execz .LBB119_177
	s_branch .LBB119_180
.LBB119_146:                            ;   in Loop: Header=BB119_110 Depth=2
	global_load_ushort v3, v[0:1], off
	s_or_b64 exec, exec, s[92:93]
	s_and_saveexec_b64 s[92:93], s[20:21]
	s_cbranch_execz .LBB119_112
.LBB119_147:                            ;   in Loop: Header=BB119_110 Depth=2
	global_load_ushort v2, v[0:1], off offset:128
	s_or_b64 exec, exec, s[92:93]
	v_mov_b32_e32 v4, 0
	s_and_saveexec_b64 s[92:93], s[22:23]
	s_cbranch_execz .LBB119_113
.LBB119_148:                            ;   in Loop: Header=BB119_110 Depth=2
	global_load_ushort v4, v[0:1], off offset:256
	s_or_b64 exec, exec, s[92:93]
	s_and_saveexec_b64 s[92:93], s[24:25]
	s_cbranch_execz .LBB119_114
.LBB119_149:                            ;   in Loop: Header=BB119_110 Depth=2
	global_load_ushort v5, v[0:1], off offset:384
	s_waitcnt vmcnt(0)
	v_lshl_or_b32 v4, v5, 16, v4
	s_or_b64 exec, exec, s[92:93]
	v_mov_b32_e32 v5, 0
	s_and_saveexec_b64 s[92:93], s[26:27]
	s_cbranch_execz .LBB119_115
.LBB119_150:                            ;   in Loop: Header=BB119_110 Depth=2
	global_load_ushort v5, v[0:1], off offset:512
	s_or_b64 exec, exec, s[92:93]
	s_and_saveexec_b64 s[92:93], s[28:29]
	s_cbranch_execz .LBB119_116
.LBB119_151:                            ;   in Loop: Header=BB119_110 Depth=2
	global_load_ushort v6, v[0:1], off offset:640
	s_waitcnt vmcnt(0)
	v_lshl_or_b32 v5, v6, 16, v5
	s_or_b64 exec, exec, s[92:93]
	v_mov_b32_e32 v6, 0
	s_and_saveexec_b64 s[92:93], s[30:31]
	s_cbranch_execz .LBB119_117
.LBB119_152:                            ;   in Loop: Header=BB119_110 Depth=2
	global_load_ushort v6, v[0:1], off offset:768
	s_or_b64 exec, exec, s[92:93]
	s_and_saveexec_b64 s[92:93], s[34:35]
	s_cbranch_execz .LBB119_118
.LBB119_153:                            ;   in Loop: Header=BB119_110 Depth=2
	global_load_ushort v7, v[0:1], off offset:896
	s_waitcnt vmcnt(0)
	v_lshl_or_b32 v6, v7, 16, v6
	s_or_b64 exec, exec, s[92:93]
	v_mov_b32_e32 v7, 0
	s_and_saveexec_b64 s[92:93], s[36:37]
	s_cbranch_execz .LBB119_119
.LBB119_154:                            ;   in Loop: Header=BB119_110 Depth=2
	global_load_ushort v7, v[0:1], off offset:1024
	s_or_b64 exec, exec, s[92:93]
	s_and_saveexec_b64 s[92:93], s[38:39]
	s_cbranch_execz .LBB119_120
.LBB119_155:                            ;   in Loop: Header=BB119_110 Depth=2
	global_load_ushort v8, v[0:1], off offset:1152
	s_waitcnt vmcnt(0)
	v_lshl_or_b32 v7, v8, 16, v7
	s_or_b64 exec, exec, s[92:93]
	v_mov_b32_e32 v8, 0
	s_and_saveexec_b64 s[92:93], s[40:41]
	s_cbranch_execz .LBB119_121
.LBB119_156:                            ;   in Loop: Header=BB119_110 Depth=2
	global_load_ushort v8, v[0:1], off offset:1280
	s_or_b64 exec, exec, s[92:93]
	s_and_saveexec_b64 s[92:93], s[42:43]
	s_cbranch_execz .LBB119_122
.LBB119_157:                            ;   in Loop: Header=BB119_110 Depth=2
	global_load_ushort v9, v[0:1], off offset:1408
	s_waitcnt vmcnt(0)
	v_lshl_or_b32 v8, v9, 16, v8
	s_or_b64 exec, exec, s[92:93]
	v_mov_b32_e32 v9, 0
	s_and_saveexec_b64 s[92:93], s[44:45]
	s_cbranch_execz .LBB119_123
.LBB119_158:                            ;   in Loop: Header=BB119_110 Depth=2
	global_load_ushort v9, v[0:1], off offset:1536
	s_or_b64 exec, exec, s[92:93]
	s_and_saveexec_b64 s[92:93], s[46:47]
	s_cbranch_execz .LBB119_124
.LBB119_159:                            ;   in Loop: Header=BB119_110 Depth=2
	global_load_ushort v10, v[0:1], off offset:1664
	s_waitcnt vmcnt(0)
	v_lshl_or_b32 v9, v10, 16, v9
	s_or_b64 exec, exec, s[92:93]
	v_mov_b32_e32 v10, 0
	s_and_saveexec_b64 s[92:93], s[48:49]
	s_cbranch_execz .LBB119_125
.LBB119_160:                            ;   in Loop: Header=BB119_110 Depth=2
	global_load_ushort v10, v[0:1], off offset:1792
	s_or_b64 exec, exec, s[92:93]
	s_and_saveexec_b64 s[92:93], s[50:51]
	s_cbranch_execnz .LBB119_126
	s_branch .LBB119_127
.LBB119_161:                            ;   in Loop: Header=BB119_110 Depth=2
	global_load_ushort v3, v[0:1], off
	s_or_b64 exec, exec, s[92:93]
	s_and_saveexec_b64 s[92:93], s[20:21]
	s_cbranch_execz .LBB119_129
.LBB119_162:                            ;   in Loop: Header=BB119_110 Depth=2
	global_load_ushort v2, v[0:1], off offset:128
	s_or_b64 exec, exec, s[92:93]
	v_mov_b32_e32 v4, 0
	s_and_saveexec_b64 s[92:93], s[22:23]
	s_cbranch_execz .LBB119_130
.LBB119_163:                            ;   in Loop: Header=BB119_110 Depth=2
	global_load_ushort v4, v[0:1], off offset:256
	s_or_b64 exec, exec, s[92:93]
	s_and_saveexec_b64 s[92:93], s[24:25]
	s_cbranch_execz .LBB119_131
.LBB119_164:                            ;   in Loop: Header=BB119_110 Depth=2
	global_load_ushort v5, v[0:1], off offset:384
	s_waitcnt vmcnt(0)
	v_lshl_or_b32 v4, v5, 16, v4
	s_or_b64 exec, exec, s[92:93]
	v_mov_b32_e32 v5, 0
	s_and_saveexec_b64 s[92:93], s[26:27]
	s_cbranch_execz .LBB119_132
.LBB119_165:                            ;   in Loop: Header=BB119_110 Depth=2
	global_load_ushort v5, v[0:1], off offset:512
	s_or_b64 exec, exec, s[92:93]
	s_and_saveexec_b64 s[92:93], s[28:29]
	s_cbranch_execz .LBB119_133
.LBB119_166:                            ;   in Loop: Header=BB119_110 Depth=2
	global_load_ushort v6, v[0:1], off offset:640
	s_waitcnt vmcnt(0)
	v_lshl_or_b32 v5, v6, 16, v5
	s_or_b64 exec, exec, s[92:93]
	v_mov_b32_e32 v6, 0
	s_and_saveexec_b64 s[92:93], s[30:31]
	s_cbranch_execz .LBB119_134
.LBB119_167:                            ;   in Loop: Header=BB119_110 Depth=2
	global_load_ushort v6, v[0:1], off offset:768
	s_or_b64 exec, exec, s[92:93]
	s_and_saveexec_b64 s[92:93], s[34:35]
	s_cbranch_execz .LBB119_135
.LBB119_168:                            ;   in Loop: Header=BB119_110 Depth=2
	global_load_ushort v7, v[0:1], off offset:896
	s_waitcnt vmcnt(0)
	v_lshl_or_b32 v6, v7, 16, v6
	s_or_b64 exec, exec, s[92:93]
	v_mov_b32_e32 v7, 0
	s_and_saveexec_b64 s[92:93], s[36:37]
	s_cbranch_execz .LBB119_136
.LBB119_169:                            ;   in Loop: Header=BB119_110 Depth=2
	global_load_ushort v7, v[0:1], off offset:1024
	s_or_b64 exec, exec, s[92:93]
	s_and_saveexec_b64 s[92:93], s[38:39]
	s_cbranch_execz .LBB119_137
.LBB119_170:                            ;   in Loop: Header=BB119_110 Depth=2
	global_load_ushort v16, v[0:1], off offset:1152
	s_waitcnt vmcnt(0)
	v_lshl_or_b32 v7, v16, 16, v7
	s_or_b64 exec, exec, s[92:93]
	v_mov_b32_e32 v16, 0
	s_and_saveexec_b64 s[92:93], s[40:41]
	s_cbranch_execz .LBB119_138
.LBB119_171:                            ;   in Loop: Header=BB119_110 Depth=2
	global_load_ushort v16, v[0:1], off offset:1280
	s_or_b64 exec, exec, s[92:93]
	s_and_saveexec_b64 s[92:93], s[42:43]
	s_cbranch_execz .LBB119_139
.LBB119_172:                            ;   in Loop: Header=BB119_110 Depth=2
	global_load_ushort v22, v[0:1], off offset:1408
	s_waitcnt vmcnt(0)
	v_lshl_or_b32 v16, v22, 16, v16
	s_or_b64 exec, exec, s[92:93]
	v_mov_b32_e32 v22, 0
	s_and_saveexec_b64 s[92:93], s[44:45]
	s_cbranch_execz .LBB119_140
.LBB119_173:                            ;   in Loop: Header=BB119_110 Depth=2
	global_load_ushort v22, v[0:1], off offset:1536
	s_or_b64 exec, exec, s[92:93]
	s_and_saveexec_b64 s[92:93], s[46:47]
	s_cbranch_execz .LBB119_141
.LBB119_174:                            ;   in Loop: Header=BB119_110 Depth=2
	global_load_ushort v44, v[0:1], off offset:1664
	s_waitcnt vmcnt(0)
	v_lshl_or_b32 v22, v44, 16, v22
	s_or_b64 exec, exec, s[92:93]
	v_mov_b32_e32 v44, 0
	s_and_saveexec_b64 s[92:93], s[48:49]
	s_cbranch_execz .LBB119_142
.LBB119_175:                            ;   in Loop: Header=BB119_110 Depth=2
	global_load_ushort v44, v[0:1], off offset:1792
	s_or_b64 exec, exec, s[92:93]
	s_and_saveexec_b64 s[92:93], s[50:51]
	s_cbranch_execnz .LBB119_143
	s_branch .LBB119_144
.LBB119_176:                            ;   in Loop: Header=BB119_110 Depth=2
                                        ; implicit-def: $vgpr45
.LBB119_177:                            ;   in Loop: Header=BB119_110 Depth=2
	v_readlane_b32 s0, v95, 0
	v_readlane_b32 s1, v95, 1
	s_andn2_b64 vcc, exec, s[0:1]
	s_waitcnt lgkmcnt(0)
	v_mov_b32_e32 v45, 0
	s_cbranch_vccnz .LBB119_179
; %bb.178:                              ;   in Loop: Header=BB119_110 Depth=2
	s_mov_b32 s97, s89
	s_lshl_b64 s[92:93], s[96:97], 2
	v_readlane_b32 s0, v95, 27
	s_add_u32 s92, s0, s92
	v_readlane_b32 s0, v95, 28
	s_addc_u32 s93, s0, s93
	global_load_dword v45, v17, s[92:93]
	v_readlane_b32 s97, v95, 48
.LBB119_179:                            ;   in Loop: Header=BB119_110 Depth=2
	v_mov_b32_e32 v44, 1.0
.LBB119_180:                            ;   in Loop: Header=BB119_110 Depth=2
	v_mul_f32_e32 v52, 0x3fb8aa3b, v46
	s_waitcnt lgkmcnt(14)
	v_cvt_f32_f16_e32 v49, v8
	v_cvt_f32_f16_sdwa v50, v8 dst_sel:DWORD dst_unused:UNUSED_PAD src0_sel:WORD_1
	v_mul_f32_e32 v8, v52, v70
	v_cmp_gt_f32_e32 vcc, s91, v8
	v_cvt_f32_f16_e32 v55, v10
	v_cvt_f32_f16_sdwa v58, v10 dst_sel:DWORD dst_unused:UNUSED_PAD src0_sel:WORD_1
	v_cndmask_b32_e32 v8, 0, v68, vcc
	v_mul_f32_e32 v10, v52, v19
	v_cvt_f32_f16_e32 v51, v9
	v_cvt_f32_f16_sdwa v54, v9 dst_sel:DWORD dst_unused:UNUSED_PAD src0_sel:WORD_1
	v_fmac_f32_e32 v8, v52, v70
	v_cndmask_b32_e32 v9, 1.0, v69, vcc
	v_cmp_gt_f32_e32 vcc, s91, v10
	v_exp_f32_e32 v8, v8
	v_cvt_f32_f16_e32 v16, v12
	v_cndmask_b32_e32 v10, 0, v68, vcc
	v_fmac_f32_e32 v10, v52, v19
	v_cvt_f32_f16_sdwa v12, v12 dst_sel:DWORD dst_unused:UNUSED_PAD src0_sel:WORD_1
	v_exp_f32_e32 v10, v10
	v_cvt_f32_f16_e32 v59, v11
	v_cvt_f32_f16_sdwa v53, v11 dst_sel:DWORD dst_unused:UNUSED_PAD src0_sel:WORD_1
	v_mul_f32_e32 v9, v8, v9
	v_mul_f32_e32 v11, v52, v20
	v_cndmask_b32_e64 v79, 1.0, v9, s[52:53]
	v_cndmask_b32_e32 v9, 1.0, v69, vcc
	v_cmp_gt_f32_e32 vcc, s91, v11
	v_mul_f32_e32 v10, v10, v9
	v_mul_f32_e32 v9, v77, v12
	v_cndmask_b32_e32 v11, 0, v68, vcc
	v_mul_f32_e32 v12, v52, v21
	v_fmac_f32_e32 v11, v52, v20
	v_cndmask_b32_e64 v80, 1.0, v10, s[54:55]
	v_cndmask_b32_e32 v10, 1.0, v69, vcc
	v_cmp_gt_f32_e32 vcc, s91, v12
	v_exp_f32_e32 v11, v11
	v_cvt_f32_f16_e32 v22, v13
	v_cndmask_b32_e32 v12, 0, v68, vcc
	v_fmac_f32_e32 v12, v52, v21
	v_cvt_f32_f16_sdwa v13, v13 dst_sel:DWORD dst_unused:UNUSED_PAD src0_sel:WORD_1
	v_exp_f32_e32 v12, v12
	v_mul_f32_e32 v11, v11, v10
	v_cndmask_b32_e64 v81, 1.0, v11, s[56:57]
	v_cndmask_b32_e32 v11, 1.0, v69, vcc
	v_mul_f32_e32 v12, v12, v11
	v_mul_f32_e32 v11, v75, v13
	;; [unrolled: 1-line block ×3, first 2 shown]
	v_cmp_gt_f32_e32 vcc, s91, v13
	v_mul_f32_e32 v8, v78, v16
	v_mul_f32_e32 v16, v52, v66
	v_cndmask_b32_e32 v13, 0, v68, vcc
	v_fmac_f32_e32 v13, v52, v18
	v_cndmask_b32_e64 v82, 1.0, v12, s[58:59]
	v_cndmask_b32_e32 v12, 1.0, v69, vcc
	v_cmp_gt_f32_e32 vcc, s91, v16
	v_exp_f32_e32 v13, v13
	v_cvt_f32_f16_e32 v47, v14
	v_cndmask_b32_e32 v16, 0, v68, vcc
	v_fmac_f32_e32 v16, v52, v66
	v_cvt_f32_f16_sdwa v14, v14 dst_sel:DWORD dst_unused:UNUSED_PAD src0_sel:WORD_1
	v_exp_f32_e32 v16, v16
	v_mul_f32_e32 v13, v13, v12
	v_cndmask_b32_e64 v83, 1.0, v13, s[60:61]
	v_cndmask_b32_e32 v13, 1.0, v69, vcc
	v_mul_f32_e32 v16, v16, v13
	v_mul_f32_e32 v13, v73, v14
	;; [unrolled: 1-line block ×3, first 2 shown]
	v_cmp_gt_f32_e32 vcc, s91, v14
	v_cvt_f32_f16_e32 v48, v15
	v_cvt_f32_f16_sdwa v15, v15 dst_sel:DWORD dst_unused:UNUSED_PAD src0_sel:WORD_1
	v_cndmask_b32_e32 v14, 0, v68, vcc
	v_fmac_f32_e32 v14, v52, v67
	v_exp_f32_e32 v14, v14
	v_mul_f32_e32 v15, v64, v15
	v_mul_f32_e32 v12, v74, v47
	v_cndmask_b32_e64 v84, 1.0, v16, s[62:63]
	v_cndmask_b32_e32 v16, 1.0, v69, vcc
	v_cndmask_b32_e64 v47, 0, v15, s[66:67]
	v_mul_f32_e32 v15, v63, v49
	v_mul_f32_e32 v14, v14, v16
	;; [unrolled: 1-line block ×3, first 2 shown]
	v_cndmask_b32_e64 v48, 0, v15, s[68:69]
	scratch_load_dword v15, off, off offset:92 ; 4-byte Folded Reload
	v_mul_f32_e32 v10, v76, v22
	v_mul_f32_e32 v22, v52, v88
	v_cmp_gt_f32_e32 vcc, s91, v22
	v_cndmask_b32_e64 v46, 0, v16, s[64:65]
	v_mul_f32_e32 v16, v52, v89
	v_cndmask_b32_e32 v22, 0, v68, vcc
	v_fmac_f32_e32 v22, v52, v88
	v_cndmask_b32_e64 v85, 1.0, v14, s[64:65]
	v_cndmask_b32_e32 v14, 1.0, v69, vcc
	v_cmp_gt_f32_e32 vcc, s91, v16
	v_exp_f32_e32 v22, v22
	v_cndmask_b32_e64 v8, 0, v8, s[52:53]
	v_cndmask_b32_e32 v16, 0, v68, vcc
	v_fmac_f32_e32 v16, v52, v89
	v_exp_f32_e32 v16, v16
	v_mul_f32_e32 v14, v22, v14
	v_cndmask_b32_e64 v86, 1.0, v14, s[66:67]
	v_cndmask_b32_e32 v14, 1.0, v69, vcc
	v_mul_f32_e32 v14, v16, v14
	v_mul_f32_e32 v16, v52, v90
	v_cmp_gt_f32_e32 vcc, s91, v16
	v_cndmask_b32_e64 v65, 1.0, v14, s[68:69]
	v_cndmask_b32_e64 v9, 0, v9, s[54:55]
	v_cndmask_b32_e32 v16, 0, v68, vcc
	v_fmac_f32_e32 v16, v52, v90
	v_exp_f32_e32 v16, v16
	v_cndmask_b32_e32 v14, 1.0, v69, vcc
	v_cndmask_b32_e64 v10, 0, v10, s[56:57]
	v_cndmask_b32_e64 v11, 0, v11, s[58:59]
	v_mul_f32_e32 v14, v16, v14
	v_mul_f32_e32 v16, v52, v91
	v_cmp_gt_f32_e32 vcc, s91, v16
	v_cndmask_b32_e64 v71, 1.0, v14, s[70:71]
	v_cndmask_b32_e64 v12, 0, v12, s[60:61]
	v_cndmask_b32_e32 v16, 0, v68, vcc
	v_fmac_f32_e32 v16, v52, v91
	v_exp_f32_e32 v16, v16
	v_cndmask_b32_e32 v14, 1.0, v69, vcc
	v_cndmask_b32_e64 v13, 0, v13, s[62:63]
	v_readlane_b32 s0, v95, 35
	v_mul_f32_e32 v14, v16, v14
	v_mul_f32_e32 v16, v52, v92
	v_cmp_gt_f32_e32 vcc, s91, v16
	v_cndmask_b32_e64 v22, 1.0, v14, s[72:73]
	v_readlane_b32 s1, v95, 36
	v_cndmask_b32_e32 v16, 0, v68, vcc
	v_fmac_f32_e32 v16, v52, v92
	v_exp_f32_e32 v16, v16
	v_cndmask_b32_e32 v14, 1.0, v69, vcc
	v_mul_f32_e32 v14, v16, v14
	v_mul_f32_e32 v16, v52, v93
	v_cmp_gt_f32_e32 vcc, s91, v16
	v_cndmask_b32_e64 v87, 1.0, v14, s[74:75]
	s_waitcnt vmcnt(0)
	v_mul_f32_e32 v15, v15, v50
	v_cndmask_b32_e64 v49, 0, v15, s[70:71]
	scratch_load_dword v15, off, off offset:88 ; 4-byte Folded Reload
	v_cndmask_b32_e32 v16, 0, v68, vcc
	v_fmac_f32_e32 v16, v52, v93
	v_exp_f32_e32 v16, v16
	v_cndmask_b32_e32 v14, 1.0, v69, vcc
	s_waitcnt vmcnt(0)
	v_mul_f32_e32 v15, v15, v51
	v_cndmask_b32_e64 v50, 0, v15, s[72:73]
	scratch_load_dword v15, off, off offset:84 ; 4-byte Folded Reload
	s_waitcnt vmcnt(0)
	v_mul_f32_e32 v15, v15, v54
	v_cndmask_b32_e64 v51, 0, v15, s[74:75]
	v_mul_f32_e32 v15, v16, v14
	scratch_load_dword v14, off, off offset:80 ; 4-byte Folded Reload
	v_mul_f32_e32 v16, v52, v94
	v_cmp_gt_f32_e32 vcc, s91, v16
	v_mul_f32_e32 v54, v52, v56
	v_cndmask_b32_e64 v57, 1.0, v15, s[76:77]
	v_cndmask_b32_e32 v16, 0, v68, vcc
	v_fmac_f32_e32 v16, v52, v94
	v_cndmask_b32_e32 v15, 1.0, v69, vcc
	v_cmp_gt_f32_e32 vcc, s91, v54
	v_exp_f32_e32 v16, v16
	s_nop 0
	v_cndmask_b32_e32 v54, 0, v68, vcc
	v_fmac_f32_e32 v54, v52, v56
	v_exp_f32_e32 v54, v54
	v_mul_f32_e32 v16, v16, v15
	scratch_load_dword v15, off, off offset:76 ; 4-byte Folded Reload
	v_cndmask_b32_e64 v16, 1.0, v16, s[78:79]
	s_waitcnt vmcnt(1)
	v_mul_f32_e32 v14, v14, v55
	v_cndmask_b32_e32 v55, 1.0, v69, vcc
	v_mul_f32_e32 v54, v54, v55
	scratch_load_dword v55, off, off offset:72 ; 4-byte Folded Reload
	v_cndmask_b32_e64 v14, 0, v14, s[76:77]
	s_waitcnt vmcnt(1)
	v_mul_f32_e32 v15, v15, v58
	v_mul_f32_e32 v58, v52, v23
	v_cmp_gt_f32_e32 vcc, s91, v58
	v_cndmask_b32_e64 v15, 0, v15, s[78:79]
	s_waitcnt vmcnt(0)
	v_mul_f32_e32 v55, v55, v59
	v_cndmask_b32_e32 v58, 0, v68, vcc
	v_fmac_f32_e32 v58, v52, v23
	v_cndmask_b32_e64 v52, 0, v55, s[80:81]
	scratch_load_dword v55, off, off offset:68 ; 4-byte Folded Reload
	v_exp_f32_e32 v59, v58
	v_cndmask_b32_e64 v58, 1.0, v54, s[80:81]
	v_cndmask_b32_e32 v54, 1.0, v69, vcc
	v_mul_f32_e32 v54, v59, v54
	v_cndmask_b32_e64 v59, 1.0, v54, s[82:83]
	v_mul_f32_e32 v54, v80, v79
	v_mul_f32_e32 v54, v54, v81
	;; [unrolled: 1-line block ×15, first 2 shown]
	s_waitcnt vmcnt(0)
	v_mul_f32_e32 v53, v55, v53
	v_fma_f32 v55, v80, v8, v9
	v_fma_f32 v55, v55, v81, v10
	;; [unrolled: 1-line block ×13, first 2 shown]
	v_cndmask_b32_e64 v53, 0, v53, s[82:83]
	v_fma_f32 v55, v55, v58, v52
	v_fma_f32 v62, v55, v59, v53
	v_mov_b32_dpp v61, v54 row_shr:1 row_mask:0xf bank_mask:0xf
	s_nop 0
	v_mov_b32_dpp v60, v62 row_shr:1 row_mask:0xf bank_mask:0xf
	s_and_saveexec_b64 s[92:93], s[0:1]
; %bb.181:                              ;   in Loop: Header=BB119_110 Depth=2
	v_mul_f32_e32 v61, v54, v61
	v_fmac_f32_e32 v62, v54, v60
	v_mov_b32_e32 v54, v61
; %bb.182:                              ;   in Loop: Header=BB119_110 Depth=2
	s_or_b64 exec, exec, s[92:93]
	v_readlane_b32 s0, v95, 37
	v_mov_b32_dpp v60, v54 row_shr:2 row_mask:0xf bank_mask:0xf
	v_mov_b32_dpp v61, v62 row_shr:2 row_mask:0xf bank_mask:0xf
	v_readlane_b32 s1, v95, 38
	s_and_saveexec_b64 s[92:93], s[0:1]
; %bb.183:                              ;   in Loop: Header=BB119_110 Depth=2
	v_fmac_f32_e32 v62, v54, v61
	v_mul_f32_e32 v54, v54, v60
; %bb.184:                              ;   in Loop: Header=BB119_110 Depth=2
	s_or_b64 exec, exec, s[92:93]
	s_nop 0
	v_mov_b32_dpp v60, v54 row_shr:4 row_mask:0xf bank_mask:0xf
	v_mov_b32_dpp v61, v62 row_shr:4 row_mask:0xf bank_mask:0xf
	s_and_saveexec_b64 s[92:93], s[84:85]
; %bb.185:                              ;   in Loop: Header=BB119_110 Depth=2
	v_fmac_f32_e32 v62, v54, v61
	v_mul_f32_e32 v54, v54, v60
; %bb.186:                              ;   in Loop: Header=BB119_110 Depth=2
	s_or_b64 exec, exec, s[92:93]
	v_readlane_b32 s0, v95, 39
	v_mov_b32_dpp v60, v54 row_shr:8 row_mask:0xf bank_mask:0xf
	v_mov_b32_dpp v61, v62 row_shr:8 row_mask:0xf bank_mask:0xf
	v_readlane_b32 s1, v95, 40
	s_and_saveexec_b64 s[92:93], s[0:1]
; %bb.187:                              ;   in Loop: Header=BB119_110 Depth=2
	v_fmac_f32_e32 v62, v54, v61
	v_mul_f32_e32 v54, v54, v60
; %bb.188:                              ;   in Loop: Header=BB119_110 Depth=2
	s_or_b64 exec, exec, s[92:93]
	v_readlane_b32 s0, v95, 41
	v_mov_b32_dpp v60, v54 row_bcast:15 row_mask:0xf bank_mask:0xf
	v_mov_b32_dpp v61, v62 row_bcast:15 row_mask:0xf bank_mask:0xf
	v_readlane_b32 s1, v95, 42
	s_and_saveexec_b64 s[92:93], s[0:1]
; %bb.189:                              ;   in Loop: Header=BB119_110 Depth=2
	v_fmac_f32_e32 v62, v54, v61
	v_mul_f32_e32 v54, v54, v60
; %bb.190:                              ;   in Loop: Header=BB119_110 Depth=2
	s_or_b64 exec, exec, s[92:93]
	s_nop 0
	v_mov_b32_dpp v60, v54 row_bcast:31 row_mask:0xf bank_mask:0xf
	v_mov_b32_dpp v61, v62 row_bcast:31 row_mask:0xf bank_mask:0xf
	v_mov_b32_e32 v55, v62
	v_mul_f32_e32 v60, v54, v60
	v_fmac_f32_e32 v55, v54, v61
	v_readlane_b32 s0, v95, 45
	v_cndmask_b32_e64 v54, v54, v60, s[12:13]
	v_cndmask_b32_e64 v55, v62, v55, s[12:13]
	v_readlane_b32 s1, v95, 46
	s_and_saveexec_b64 s[92:93], s[0:1]
	s_cbranch_execz .LBB119_192
; %bb.191:                              ;   in Loop: Header=BB119_110 Depth=2
	ds_write_b64 v17, v[54:55] offset:4224
.LBB119_192:                            ;   in Loop: Header=BB119_110 Depth=2
	s_or_b64 exec, exec, s[92:93]
	scratch_load_dword v61, off, off offset:160 ; 4-byte Folded Reload
	s_waitcnt lgkmcnt(0)
	; wave barrier
	s_waitcnt vmcnt(0) lgkmcnt(0)
	ds_bpermute_b32 v60, v61, v54
	ds_bpermute_b32 v61, v61, v55
	v_mov_b32_e32 v55, v45
	s_and_saveexec_b64 s[92:93], s[14:15]
	s_cbranch_execz .LBB119_196
; %bb.193:                              ;   in Loop: Header=BB119_110 Depth=2
	ds_read_b64 v[54:55], v17 offset:4224
	s_and_saveexec_b64 vcc, s[16:17]
	s_cbranch_execz .LBB119_195
; %bb.194:                              ;   in Loop: Header=BB119_110 Depth=2
	ds_write_b64 v17, v[44:45] offset:4224
.LBB119_195:                            ;   in Loop: Header=BB119_110 Depth=2
	s_or_b64 exec, exec, vcc
	s_waitcnt lgkmcnt(0)
	v_fmac_f32_e32 v55, v45, v54
	v_mul_f32_e32 v44, v44, v54
	v_mov_b32_e32 v45, v55
.LBB119_196:                            ;   in Loop: Header=BB119_110 Depth=2
	s_or_b64 exec, exec, s[92:93]
	s_waitcnt lgkmcnt(0)
	; wave barrier
	s_waitcnt lgkmcnt(0)
	ds_read_b32 v54, v17 offset:4228
	s_and_saveexec_b64 s[92:93], s[16:17]
	s_cbranch_execz .LBB119_109
; %bb.197:                              ;   in Loop: Header=BB119_110 Depth=2
	v_mov_b32_e32 v62, s90
	s_andn2_b64 vcc, exec, s[94:95]
	ds_write_b64 v62, v[44:45]
	s_cbranch_vccnz .LBB119_109
; %bb.198:                              ;   in Loop: Header=BB119_110 Depth=2
	s_mov_b32 s97, s89
	s_lshl_b64 s[0:1], s[96:97], 2
	v_readlane_b32 s4, v95, 27
	s_add_u32 s0, s4, s0
	v_readlane_b32 s4, v95, 28
	v_readlane_b32 s97, v95, 48
	s_addc_u32 s1, s4, s1
	global_store_dword v17, v55, s[0:1]
	s_branch .LBB119_109
.LBB119_199:                            ;   in Loop: Header=BB119_13 Depth=1
	scratch_load_dwordx2 v[42:43], off, off offset:164 ; 8-byte Folded Reload
	v_readlane_b32 s4, v95, 49
	v_readlane_b32 s5, v95, 50
	s_mov_b32 s6, 0x41a00000
	s_mov_b32 s7, 0x3fb8aa3b
	;; [unrolled: 1-line block ×8, first 2 shown]
	v_mov_b32_e32 v40, 0x3ecc95a3
	v_mov_b32_e32 v41, 0x7f800000
.LBB119_200:                            ;   in Loop: Header=BB119_13 Depth=1
	v_cvt_f16_f32_e32 v0, v39
	v_cvt_f16_f32_e32 v4, v38
	s_waitcnt lgkmcnt(0)
	; wave barrier
	v_cvt_f16_f32_e32 v1, v37
	v_pack_b32_f16 v0, v4, v0
	scratch_load_dword v4, off, off         ; 4-byte Folded Reload
	v_cvt_f16_f32_e32 v5, v36
	v_cvt_f16_f32_e32 v2, v35
	v_cvt_f16_f32_e32 v6, v34
	v_cvt_f16_f32_e32 v3, v33
	v_cvt_f16_f32_e32 v7, v32
	v_cvt_f16_f32_e32 v8, v31
	v_cvt_f16_f32_e32 v9, v30
	v_cvt_f16_f32_e32 v10, v29
	v_cvt_f16_f32_e32 v11, v28
	v_cvt_f16_f32_e32 v12, v27
	v_cvt_f16_f32_e32 v13, v26
	v_cvt_f16_f32_e32 v14, v25
	v_cvt_f16_f32_e32 v15, v24
	v_pack_b32_f16 v3, v7, v3
	v_pack_b32_f16 v2, v6, v2
	;; [unrolled: 1-line block ×3, first 2 shown]
	v_readlane_b32 s0, v95, 52
	v_readlane_b32 s1, v95, 53
	s_mov_b32 s1, s89
	s_waitcnt vmcnt(0)
	ds_write_b128 v4, v[0:3]
	v_pack_b32_f16 v3, v15, v14
	v_pack_b32_f16 v2, v13, v12
	;; [unrolled: 1-line block ×4, first 2 shown]
	ds_write_b128 v4, v[0:3] offset:16
	; wave barrier
	scratch_load_dword v0, off, off offset:8 ; 4-byte Folded Reload
	s_waitcnt vmcnt(0)
	ds_read_u16 v16, v0 offset:128
	scratch_load_dword v0, off, off offset:12 ; 4-byte Folded Reload
	s_waitcnt vmcnt(0)
	ds_read_u16 v15, v0 offset:256
	;; [unrolled: 3-line block ×15, first 2 shown]
	scratch_load_dwordx2 v[0:1], off, off offset:240 ; 8-byte Folded Reload
	s_waitcnt vmcnt(0)
	v_lshl_add_u64 v[0:1], s[0:1], 1, v[0:1]
	s_and_saveexec_b64 s[2:3], s[18:19]
	s_cbranch_execnz .LBB119_218
; %bb.201:                              ;   in Loop: Header=BB119_13 Depth=1
	s_or_b64 exec, exec, s[2:3]
	s_and_saveexec_b64 s[2:3], s[20:21]
	s_cbranch_execnz .LBB119_219
.LBB119_202:                            ;   in Loop: Header=BB119_13 Depth=1
	s_or_b64 exec, exec, s[2:3]
	s_and_saveexec_b64 s[2:3], s[22:23]
	s_cbranch_execnz .LBB119_220
.LBB119_203:                            ;   in Loop: Header=BB119_13 Depth=1
	s_or_b64 exec, exec, s[2:3]
	s_and_saveexec_b64 s[2:3], s[24:25]
	s_cbranch_execnz .LBB119_221
.LBB119_204:                            ;   in Loop: Header=BB119_13 Depth=1
	s_or_b64 exec, exec, s[2:3]
	s_and_saveexec_b64 s[2:3], s[26:27]
	s_cbranch_execnz .LBB119_222
.LBB119_205:                            ;   in Loop: Header=BB119_13 Depth=1
	s_or_b64 exec, exec, s[2:3]
	s_and_saveexec_b64 s[2:3], s[28:29]
	s_cbranch_execnz .LBB119_223
.LBB119_206:                            ;   in Loop: Header=BB119_13 Depth=1
	s_or_b64 exec, exec, s[2:3]
	s_and_saveexec_b64 s[2:3], s[30:31]
	s_cbranch_execnz .LBB119_224
.LBB119_207:                            ;   in Loop: Header=BB119_13 Depth=1
	s_or_b64 exec, exec, s[2:3]
	s_and_saveexec_b64 s[2:3], s[34:35]
	s_cbranch_execnz .LBB119_225
.LBB119_208:                            ;   in Loop: Header=BB119_13 Depth=1
	s_or_b64 exec, exec, s[2:3]
	s_and_saveexec_b64 s[2:3], s[36:37]
	s_cbranch_execnz .LBB119_226
.LBB119_209:                            ;   in Loop: Header=BB119_13 Depth=1
	s_or_b64 exec, exec, s[2:3]
	s_and_saveexec_b64 s[2:3], s[38:39]
	s_cbranch_execnz .LBB119_227
.LBB119_210:                            ;   in Loop: Header=BB119_13 Depth=1
	s_or_b64 exec, exec, s[2:3]
	s_and_saveexec_b64 s[2:3], s[40:41]
	s_cbranch_execnz .LBB119_228
.LBB119_211:                            ;   in Loop: Header=BB119_13 Depth=1
	s_or_b64 exec, exec, s[2:3]
	s_and_saveexec_b64 s[2:3], s[42:43]
	s_cbranch_execnz .LBB119_229
.LBB119_212:                            ;   in Loop: Header=BB119_13 Depth=1
	s_or_b64 exec, exec, s[2:3]
	s_and_saveexec_b64 s[2:3], s[44:45]
	s_cbranch_execnz .LBB119_230
.LBB119_213:                            ;   in Loop: Header=BB119_13 Depth=1
	s_or_b64 exec, exec, s[2:3]
	s_and_saveexec_b64 s[2:3], s[46:47]
	s_cbranch_execnz .LBB119_231
.LBB119_214:                            ;   in Loop: Header=BB119_13 Depth=1
	s_or_b64 exec, exec, s[2:3]
	s_and_saveexec_b64 s[2:3], s[48:49]
	s_cbranch_execnz .LBB119_232
.LBB119_215:                            ;   in Loop: Header=BB119_13 Depth=1
	s_or_b64 exec, exec, s[2:3]
	s_and_saveexec_b64 s[2:3], s[50:51]
	s_cbranch_execz .LBB119_12
	s_branch .LBB119_233
.LBB119_216:                            ;   in Loop: Header=BB119_13 Depth=1
	global_load_ushort v26, v[8:9], off offset:1664
	s_or_b64 exec, exec, s[2:3]
	s_and_saveexec_b64 s[2:3], s[48:49]
	s_cbranch_execz .LBB119_73
.LBB119_217:                            ;   in Loop: Header=BB119_13 Depth=1
	global_load_ushort v25, v[8:9], off offset:1792
	s_or_b64 exec, exec, s[2:3]
	v_mov_b32_e32 v27, 0
	s_and_saveexec_b64 s[2:3], s[50:51]
	s_cbranch_execnz .LBB119_74
	s_branch .LBB119_75
.LBB119_218:                            ;   in Loop: Header=BB119_13 Depth=1
	scratch_load_dword v18, off, off offset:4 ; 4-byte Folded Reload
	s_waitcnt vmcnt(0)
	ds_read_u16 v18, v18
	s_waitcnt lgkmcnt(0)
	global_store_short v[0:1], v18, off
	s_or_b64 exec, exec, s[2:3]
	s_and_saveexec_b64 s[2:3], s[20:21]
	s_cbranch_execz .LBB119_202
.LBB119_219:                            ;   in Loop: Header=BB119_13 Depth=1
	s_waitcnt lgkmcnt(14)
	global_store_short v[0:1], v16, off offset:128
	s_or_b64 exec, exec, s[2:3]
	s_and_saveexec_b64 s[2:3], s[22:23]
	s_cbranch_execz .LBB119_203
.LBB119_220:                            ;   in Loop: Header=BB119_13 Depth=1
	s_waitcnt lgkmcnt(13)
	global_store_short v[0:1], v15, off offset:256
	s_or_b64 exec, exec, s[2:3]
	s_and_saveexec_b64 s[2:3], s[24:25]
	s_cbranch_execz .LBB119_204
.LBB119_221:                            ;   in Loop: Header=BB119_13 Depth=1
	s_waitcnt lgkmcnt(12)
	global_store_short v[0:1], v14, off offset:384
	s_or_b64 exec, exec, s[2:3]
	s_and_saveexec_b64 s[2:3], s[26:27]
	s_cbranch_execz .LBB119_205
.LBB119_222:                            ;   in Loop: Header=BB119_13 Depth=1
	s_waitcnt lgkmcnt(11)
	global_store_short v[0:1], v13, off offset:512
	s_or_b64 exec, exec, s[2:3]
	s_and_saveexec_b64 s[2:3], s[28:29]
	s_cbranch_execz .LBB119_206
.LBB119_223:                            ;   in Loop: Header=BB119_13 Depth=1
	s_waitcnt lgkmcnt(10)
	global_store_short v[0:1], v12, off offset:640
	s_or_b64 exec, exec, s[2:3]
	s_and_saveexec_b64 s[2:3], s[30:31]
	s_cbranch_execz .LBB119_207
.LBB119_224:                            ;   in Loop: Header=BB119_13 Depth=1
	s_waitcnt lgkmcnt(9)
	global_store_short v[0:1], v11, off offset:768
	s_or_b64 exec, exec, s[2:3]
	s_and_saveexec_b64 s[2:3], s[34:35]
	s_cbranch_execz .LBB119_208
.LBB119_225:                            ;   in Loop: Header=BB119_13 Depth=1
	s_waitcnt lgkmcnt(8)
	global_store_short v[0:1], v10, off offset:896
	s_or_b64 exec, exec, s[2:3]
	s_and_saveexec_b64 s[2:3], s[36:37]
	s_cbranch_execz .LBB119_209
.LBB119_226:                            ;   in Loop: Header=BB119_13 Depth=1
	s_waitcnt lgkmcnt(7)
	global_store_short v[0:1], v9, off offset:1024
	s_or_b64 exec, exec, s[2:3]
	s_and_saveexec_b64 s[2:3], s[38:39]
	s_cbranch_execz .LBB119_210
.LBB119_227:                            ;   in Loop: Header=BB119_13 Depth=1
	s_waitcnt lgkmcnt(6)
	global_store_short v[0:1], v8, off offset:1152
	s_or_b64 exec, exec, s[2:3]
	s_and_saveexec_b64 s[2:3], s[40:41]
	s_cbranch_execz .LBB119_211
.LBB119_228:                            ;   in Loop: Header=BB119_13 Depth=1
	s_waitcnt lgkmcnt(5)
	global_store_short v[0:1], v7, off offset:1280
	s_or_b64 exec, exec, s[2:3]
	s_and_saveexec_b64 s[2:3], s[42:43]
	s_cbranch_execz .LBB119_212
.LBB119_229:                            ;   in Loop: Header=BB119_13 Depth=1
	s_waitcnt lgkmcnt(4)
	global_store_short v[0:1], v6, off offset:1408
	s_or_b64 exec, exec, s[2:3]
	s_and_saveexec_b64 s[2:3], s[44:45]
	s_cbranch_execz .LBB119_213
.LBB119_230:                            ;   in Loop: Header=BB119_13 Depth=1
	s_waitcnt lgkmcnt(3)
	global_store_short v[0:1], v5, off offset:1536
	s_or_b64 exec, exec, s[2:3]
	s_and_saveexec_b64 s[2:3], s[46:47]
	s_cbranch_execz .LBB119_214
.LBB119_231:                            ;   in Loop: Header=BB119_13 Depth=1
	s_waitcnt lgkmcnt(2)
	global_store_short v[0:1], v4, off offset:1664
	s_or_b64 exec, exec, s[2:3]
	s_and_saveexec_b64 s[2:3], s[48:49]
	s_cbranch_execz .LBB119_215
.LBB119_232:                            ;   in Loop: Header=BB119_13 Depth=1
	s_waitcnt lgkmcnt(1)
	global_store_short v[0:1], v3, off offset:1792
	s_or_b64 exec, exec, s[2:3]
	s_and_saveexec_b64 s[2:3], s[50:51]
	s_cbranch_execz .LBB119_12
.LBB119_233:                            ;   in Loop: Header=BB119_13 Depth=1
	s_waitcnt lgkmcnt(0)
	global_store_short v[0:1], v2, off offset:1920
	s_branch .LBB119_12
.LBB119_234:
	s_endpgm
	.section	.rodata,"a",@progbits
	.p2align	6, 0x0
	.amdhsa_kernel _Z25selective_scan_fwd_kernelI32Selective_Scan_fwd_kernel_traitsILi64ELi16ELi1ELb0ELb1ELb1ELb0ELb0EN3c104HalfEffEEv13SSMParamsBase
		.amdhsa_group_segment_fixed_size 0
		.amdhsa_private_segment_fixed_size 316
		.amdhsa_kernarg_size 248
		.amdhsa_user_sgpr_count 2
		.amdhsa_user_sgpr_dispatch_ptr 0
		.amdhsa_user_sgpr_queue_ptr 0
		.amdhsa_user_sgpr_kernarg_segment_ptr 1
		.amdhsa_user_sgpr_dispatch_id 0
		.amdhsa_user_sgpr_kernarg_preload_length 0
		.amdhsa_user_sgpr_kernarg_preload_offset 0
		.amdhsa_user_sgpr_private_segment_size 0
		.amdhsa_uses_dynamic_stack 0
		.amdhsa_enable_private_segment 1
		.amdhsa_system_sgpr_workgroup_id_x 1
		.amdhsa_system_sgpr_workgroup_id_y 1
		.amdhsa_system_sgpr_workgroup_id_z 0
		.amdhsa_system_sgpr_workgroup_info 0
		.amdhsa_system_vgpr_workitem_id 0
		.amdhsa_next_free_vgpr 96
		.amdhsa_next_free_sgpr 100
		.amdhsa_accum_offset 96
		.amdhsa_reserve_vcc 1
		.amdhsa_float_round_mode_32 0
		.amdhsa_float_round_mode_16_64 0
		.amdhsa_float_denorm_mode_32 3
		.amdhsa_float_denorm_mode_16_64 3
		.amdhsa_dx10_clamp 1
		.amdhsa_ieee_mode 1
		.amdhsa_fp16_overflow 0
		.amdhsa_tg_split 0
		.amdhsa_exception_fp_ieee_invalid_op 0
		.amdhsa_exception_fp_denorm_src 0
		.amdhsa_exception_fp_ieee_div_zero 0
		.amdhsa_exception_fp_ieee_overflow 0
		.amdhsa_exception_fp_ieee_underflow 0
		.amdhsa_exception_fp_ieee_inexact 0
		.amdhsa_exception_int_div_zero 0
	.end_amdhsa_kernel
	.section	.text._Z25selective_scan_fwd_kernelI32Selective_Scan_fwd_kernel_traitsILi64ELi16ELi1ELb0ELb1ELb1ELb0ELb0EN3c104HalfEffEEv13SSMParamsBase,"axG",@progbits,_Z25selective_scan_fwd_kernelI32Selective_Scan_fwd_kernel_traitsILi64ELi16ELi1ELb0ELb1ELb1ELb0ELb0EN3c104HalfEffEEv13SSMParamsBase,comdat
.Lfunc_end119:
	.size	_Z25selective_scan_fwd_kernelI32Selective_Scan_fwd_kernel_traitsILi64ELi16ELi1ELb0ELb1ELb1ELb0ELb0EN3c104HalfEffEEv13SSMParamsBase, .Lfunc_end119-_Z25selective_scan_fwd_kernelI32Selective_Scan_fwd_kernel_traitsILi64ELi16ELi1ELb0ELb1ELb1ELb0ELb0EN3c104HalfEffEEv13SSMParamsBase
                                        ; -- End function
	.section	.AMDGPU.csdata,"",@progbits
; Kernel info:
; codeLenInByte = 22372
; NumSgprs: 106
; NumVgprs: 96
; NumAgprs: 0
; TotalNumVgprs: 96
; ScratchSize: 316
; MemoryBound: 0
; FloatMode: 240
; IeeeMode: 1
; LDSByteSize: 0 bytes/workgroup (compile time only)
; SGPRBlocks: 13
; VGPRBlocks: 11
; NumSGPRsForWavesPerEU: 106
; NumVGPRsForWavesPerEU: 96
; AccumOffset: 96
; Occupancy: 5
; WaveLimiterHint : 0
; COMPUTE_PGM_RSRC2:SCRATCH_EN: 1
; COMPUTE_PGM_RSRC2:USER_SGPR: 2
; COMPUTE_PGM_RSRC2:TRAP_HANDLER: 0
; COMPUTE_PGM_RSRC2:TGID_X_EN: 1
; COMPUTE_PGM_RSRC2:TGID_Y_EN: 1
; COMPUTE_PGM_RSRC2:TGID_Z_EN: 0
; COMPUTE_PGM_RSRC2:TIDIG_COMP_CNT: 0
; COMPUTE_PGM_RSRC3_GFX90A:ACCUM_OFFSET: 23
; COMPUTE_PGM_RSRC3_GFX90A:TG_SPLIT: 0
	.section	.text._Z25selective_scan_fwd_kernelI32Selective_Scan_fwd_kernel_traitsILi128ELi16ELi1ELb1ELb1ELb1ELb1ELb1EN3c104HalfEffEEv13SSMParamsBase,"axG",@progbits,_Z25selective_scan_fwd_kernelI32Selective_Scan_fwd_kernel_traitsILi128ELi16ELi1ELb1ELb1ELb1ELb1ELb1EN3c104HalfEffEEv13SSMParamsBase,comdat
	.protected	_Z25selective_scan_fwd_kernelI32Selective_Scan_fwd_kernel_traitsILi128ELi16ELi1ELb1ELb1ELb1ELb1ELb1EN3c104HalfEffEEv13SSMParamsBase ; -- Begin function _Z25selective_scan_fwd_kernelI32Selective_Scan_fwd_kernel_traitsILi128ELi16ELi1ELb1ELb1ELb1ELb1ELb1EN3c104HalfEffEEv13SSMParamsBase
	.globl	_Z25selective_scan_fwd_kernelI32Selective_Scan_fwd_kernel_traitsILi128ELi16ELi1ELb1ELb1ELb1ELb1ELb1EN3c104HalfEffEEv13SSMParamsBase
	.p2align	8
	.type	_Z25selective_scan_fwd_kernelI32Selective_Scan_fwd_kernel_traitsILi128ELi16ELi1ELb1ELb1ELb1ELb1ELb1EN3c104HalfEffEEv13SSMParamsBase,@function
_Z25selective_scan_fwd_kernelI32Selective_Scan_fwd_kernel_traitsILi128ELi16ELi1ELb1ELb1ELb1ELb1ELb1EN3c104HalfEffEEv13SSMParamsBase: ; @_Z25selective_scan_fwd_kernelI32Selective_Scan_fwd_kernel_traitsILi128ELi16ELi1ELb1ELb1ELb1ELb1ELb1EN3c104HalfEffEEv13SSMParamsBase
; %bb.0:
	s_load_dword s15, s[0:1], 0x18
	s_load_dwordx4 s[4:7], s[0:1], 0xe8
	s_load_dwordx8 s[20:27], s[0:1], 0xc8
	s_mov_b32 s8, s3
	s_ashr_i32 s3, s2, 31
	s_lshl_b64 s[12:13], s[2:3], 2
	s_waitcnt lgkmcnt(0)
	s_abs_i32 s14, s15
	v_cvt_f32_u32_e32 v1, s14
	s_add_u32 s10, s26, s12
	s_addc_u32 s11, s27, s13
	s_cmp_eq_u64 s[6:7], 0
	v_rcp_iflag_f32_e32 v1, v1
                                        ; implicit-def: $vgpr166 : SGPR spill to VGPR lane
	s_nop 0
	v_mul_f32_e32 v1, 0x4f7ffffe, v1
	v_cvt_u32_f32_e32 v1, v1
	s_nop 0
	v_readfirstlane_b32 s16, v1
	s_cbranch_scc1 .LBB120_2
; %bb.1:
	s_add_u32 s6, s6, s2
	s_addc_u32 s7, s7, s3
	v_mov_b32_e32 v1, 0
	global_load_ubyte v1, v1, s[6:7]
	s_waitcnt vmcnt(0)
	v_and_b32_e32 v1, 1, v1
	v_cmp_eq_u32_e64 s[6:7], 1, v1
	s_branch .LBB120_3
.LBB120_2:
	s_mov_b64 s[6:7], 0
.LBB120_3:
	s_nop 0
	v_writelane_b32 v166, s6, 0
	s_cmp_eq_u64 s[4:5], 0
	s_nop 0
	v_writelane_b32 v166, s7, 1
	s_load_dwordx2 s[6:7], s[0:1], 0x20
	s_cbranch_scc1 .LBB120_5
; %bb.4:
	s_add_u32 s2, s4, s12
	s_addc_u32 s3, s5, s13
	s_load_dword s2, s[2:3], 0x0
	s_waitcnt lgkmcnt(0)
	s_ashr_i32 s3, s2, 31
.LBB120_5:
	s_waitcnt lgkmcnt(0)
	s_cmp_eq_u64 s[6:7], s[2:3]
	s_cbranch_scc1 .LBB120_302
; %bb.6:
	s_load_dwordx16 s[36:51], s[0:1], 0x88
	s_load_dwordx2 s[4:5], s[10:11], 0x0
	s_mov_b32 s3, 0
	v_writelane_b32 v166, s3, 2
	v_writelane_b32 v166, s3, 3
	s_waitcnt lgkmcnt(0)
	s_cmp_eq_u64 s[42:43], 0
	s_cbranch_scc1 .LBB120_8
; %bb.7:
	s_ashr_i32 s9, s8, 31
	s_lshl_b64 s[6:7], s[8:9], 2
	s_add_u32 s6, s42, s6
	s_addc_u32 s7, s43, s7
	s_load_dword s3, s[6:7], 0x0
	s_waitcnt lgkmcnt(0)
	v_writelane_b32 v166, s3, 3
.LBB120_8:
	s_cmp_eq_u64 s[48:49], 0
	s_cbranch_scc1 .LBB120_10
; %bb.9:
	s_ashr_i32 s9, s8, 31
	s_lshl_b64 s[6:7], s[8:9], 2
	s_add_u32 s6, s48, s6
	s_addc_u32 s7, s49, s7
	s_load_dword s3, s[6:7], 0x0
	s_waitcnt lgkmcnt(0)
	v_writelane_b32 v166, s3, 2
.LBB120_10:
	s_sub_i32 s17, s5, s4
	s_cmp_lt_i32 s17, 1
	s_cbranch_scc1 .LBB120_302
; %bb.11:
	s_sub_i32 s3, 0, s14
	s_mul_i32 s3, s3, s16
	s_mul_hi_u32 s3, s16, s3
	s_add_i32 s16, s16, s3
	s_load_dword s3, s[0:1], 0x84
	s_abs_i32 s5, s8
	s_load_dwordx8 s[52:59], s[0:1], 0x2c
	s_load_dwordx2 s[10:11], s[0:1], 0x7c
	s_load_dwordx4 s[28:31], s[0:1], 0x6c
	s_load_dwordx8 s[60:67], s[0:1], 0x4c
	s_load_dword s13, s[0:1], 0xc
	s_load_dword s9, s[0:1], 0x28
	s_ashr_i32 s0, s8, 31
	s_waitcnt lgkmcnt(0)
	v_writelane_b32 v166, s3, 4
	s_mul_hi_u32 s3, s5, s16
	s_ashr_i32 s1, s15, 31
	s_xor_b32 s0, s0, s1
	s_mul_i32 s1, s3, s14
	s_sub_i32 s1, s5, s1
	s_add_i32 s5, s3, 1
	s_sub_i32 s6, s1, s14
	s_cmp_ge_u32 s1, s14
	s_cselect_b32 s3, s5, s3
	s_cselect_b32 s1, s6, s1
	s_add_i32 s5, s3, 1
	s_cmp_ge_u32 s1, s14
	s_cselect_b32 s1, s5, s3
	s_xor_b32 s1, s1, s0
	s_mul_i32 s6, s4, s62
	s_mov_b32 s7, 0
	s_sub_i32 s3, s1, s0
	s_lshl_b64 s[0:1], s[6:7], 1
	s_add_u32 s5, s44, s0
	s_mul_i32 s6, s63, s8
	s_addc_u32 s12, s45, s1
	s_lshl_b64 s[0:1], s[6:7], 1
	s_add_u32 s14, s5, s0
	s_mul_i32 s6, s4, s64
	s_addc_u32 s15, s12, s1
	;; [unrolled: 4-line block ×3, first 2 shown]
	s_lshl_b64 s[0:1], s[6:7], 1
	s_add_u32 s0, s5, s0
	s_addc_u32 s1, s12, s1
	v_writelane_b32 v166, s0, 5
	s_mul_i32 s6, s52, s8
	v_mbcnt_lo_u32_b32 v1, -1, 0
	v_writelane_b32 v166, s1, 6
	s_lshl_b64 s[0:1], s[6:7], 2
	s_add_u32 s0, s36, s0
	v_writelane_b32 v166, s0, 7
	s_addc_u32 s0, s37, s1
	s_mul_i32 s6, s4, s54
	v_writelane_b32 v166, s0, 8
	s_lshl_b64 s[0:1], s[6:7], 1
	s_add_u32 s5, s38, s0
	s_mul_i32 s6, s3, s57
	s_addc_u32 s12, s39, s1
	s_lshl_b64 s[0:1], s[6:7], 1
	s_add_u32 s0, s5, s0
	s_addc_u32 s1, s12, s1
	v_writelane_b32 v166, s0, 9
	v_lshlrev_b32_e32 v19, 4, v0
	v_mbcnt_hi_u32_b32 v18, -1, v1
	v_writelane_b32 v166, s1, 10
	v_writelane_b32 v166, s52, 11
	v_and_b32_e32 v2, 0x400, v19
	v_or_b32_e32 v72, v18, v2
	v_writelane_b32 v166, s53, 12
	v_writelane_b32 v166, s54, 13
	s_mul_i32 s6, s4, s58
	v_lshrrev_b32_e32 v1, 5, v72
	v_writelane_b32 v166, s55, 14
	s_lshl_b64 s[0:1], s[6:7], 1
	v_and_b32_e32 v1, 34, v1
	v_writelane_b32 v166, s56, 15
	s_add_u32 s5, s40, s0
	s_mul_i32 s6, s3, s61
	v_add_u32_e32 v3, 64, v72
	v_or_b32_e32 v4, 0x80, v72
	v_add_u32_e32 v5, 0xc0, v72
	v_add_u32_e32 v1, v1, v72
	v_writelane_b32 v166, s57, 16
	s_addc_u32 s12, s41, s1
	s_lshl_b64 s[0:1], s[6:7], 1
	v_lshl_add_u32 v88, v1, 1, 0
	v_lshrrev_b32_e32 v1, 5, v3
	v_lshrrev_b32_e32 v3, 5, v4
	v_lshrrev_b32_e32 v4, 5, v5
	v_writelane_b32 v166, s58, 17
	s_add_u32 s0, s5, s0
	v_or_b32_e32 v75, 0x100, v72
	v_and_b32_e32 v4, 46, v4
	v_writelane_b32 v166, s59, 18
	s_addc_u32 s1, s12, s1
	v_add_lshl_u32 v8, v4, v72, 1
	v_lshrrev_b32_e32 v4, 5, v75
	v_writelane_b32 v166, s0, 19
	s_mul_i32 s6, s2, s10
	v_add_u32_e32 v6, 0x140, v72
	v_and_b32_e32 v4, 42, v4
	v_writelane_b32 v166, s1, 20
	s_lshl_b64 s[0:1], s[6:7], 2
	v_add_lshl_u32 v9, v4, v72, 1
	v_lshrrev_b32_e32 v4, 5, v6
	s_add_u32 s2, s20, s0
	s_mul_i32 s6, s11, s8
	v_or_b32_e32 v78, 0x180, v72
	v_and_b32_e32 v4, 46, v4
	s_addc_u32 s3, s21, s1
	s_lshl_b64 s[0:1], s[6:7], 2
	v_add_lshl_u32 v10, v4, v72, 1
	v_lshrrev_b32_e32 v4, 5, v78
	s_add_u32 s0, s2, s0
	v_add_u32_e32 v79, 0x1c0, v72
	v_and_b32_e32 v4, 46, v4
	v_writelane_b32 v166, s0, 21
	s_addc_u32 s0, s3, s1
	v_add_lshl_u32 v11, v4, v72, 1
	v_lshrrev_b32_e32 v4, 5, v79
	v_writelane_b32 v166, s0, 22
	s_add_i32 s0, s17, 0x7ff
	v_or_b32_e32 v80, 0x200, v72
	v_and_b32_e32 v4, 62, v4
	s_lshr_b32 s0, s0, 11
	v_add_lshl_u32 v12, v4, v72, 1
	v_lshrrev_b32_e32 v4, 5, v80
	v_add_u32_e32 v81, 0x240, v72
	v_and_b32_e32 v4, 50, v4
	s_bitcmp1_b32 s9, 0
	v_add_lshl_u32 v13, v4, v72, 1
	v_lshrrev_b32_e32 v4, 5, v81
	s_cselect_b64 s[2:3], -1, 0
	v_or_b32_e32 v82, 0x280, v72
	v_and_b32_e32 v4, 54, v4
	v_writelane_b32 v166, s2, 23
	v_add_lshl_u32 v14, v4, v72, 1
	v_lshrrev_b32_e32 v4, 5, v82
	v_writelane_b32 v166, s3, 24
	s_cmp_gt_i32 s13, 0
	v_add_u32_e32 v83, 0x2c0, v72
	v_and_b32_e32 v4, 54, v4
	v_writelane_b32 v166, s13, 25
	s_cselect_b64 s[2:3], -1, 0
	v_add_lshl_u32 v15, v4, v72, 1
	v_lshrrev_b32_e32 v4, 5, v83
	v_writelane_b32 v166, s2, 26
	v_or_b32_e32 v84, 0x300, v72
	v_and_b32_e32 v4, 62, v4
	v_writelane_b32 v166, s3, 27
	v_add_lshl_u32 v26, v4, v72, 1
	v_lshrrev_b32_e32 v4, 5, v84
	v_writelane_b32 v166, s17, 28
	v_add_u32_e32 v85, 0x340, v72
	v_and_b32_e32 v4, 58, v4
	v_writelane_b32 v166, s0, 29
	s_add_i32 s0, s0, -1
	s_mul_i32 s6, s4, s28
	v_add_lshl_u32 v27, v4, v72, 1
	v_lshrrev_b32_e32 v4, 5, v85
	s_add_i32 s9, 0, 0x1080
	s_and_b32 s10, s17, 0x7ff
	v_writelane_b32 v166, s0, 30
	s_lshl_b64 s[0:1], s[6:7], 1
	v_or_b32_e32 v86, 0x380, v72
	v_and_b32_e32 v4, 62, v4
	s_add_u32 s2, s50, s0
	s_mul_i32 s6, s29, s8
	v_add_lshl_u32 v28, v4, v72, 1
	v_lshrrev_b32_e32 v4, 5, v86
	s_addc_u32 s3, s51, s1
	s_lshl_b64 s[0:1], s[6:7], 1
	s_mul_i32 s6, s4, s66
	v_writelane_b32 v166, s60, 31
	v_and_b32_e32 v4, 62, v4
	v_add_lshl_u32 v29, v4, v72, 1
	v_writelane_b32 v166, s61, 32
	v_and_b32_e32 v4, 64, v0
	v_writelane_b32 v166, s62, 33
	v_add_u16_e32 v6, v18, v4
	s_add_u32 s2, s2, s0
	v_writelane_b32 v166, s63, 34
	v_lshrrev_b16_e32 v6, 1, v6
	s_addc_u32 s3, s3, s1
	s_lshl_b64 s[0:1], s[6:7], 1
	v_writelane_b32 v166, s64, 35
	v_add_lshl_u32 v5, v18, v4, 4
	v_and_b32_e32 v6, 0x7e, v6
	s_add_u32 s5, s22, s0
	v_writelane_b32 v166, s65, 36
	s_mul_i32 s6, s67, s8
	v_add_lshl_u32 v30, v6, v5, 1
	s_addc_u32 s11, s23, s1
	v_writelane_b32 v166, s66, 37
	s_lshl_b64 s[0:1], s[6:7], 1
	v_and_b32_e32 v5, 15, v18
	v_writelane_b32 v166, s67, 38
	s_add_u32 s12, s5, s0
	s_mul_i32 s6, s4, s30
	v_cmp_lt_u32_e64 s[16:17], 1, v5
	s_addc_u32 s13, s11, s1
	s_lshl_b64 s[0:1], s[6:7], 1
	v_writelane_b32 v166, s16, 39
	s_add_u32 s4, s24, s0
	s_mul_i32 s6, s31, s8
	v_writelane_b32 v166, s17, 40
	v_cmp_lt_u32_e64 s[16:17], 3, v5
	s_addc_u32 s5, s25, s1
	s_lshl_b64 s[0:1], s[6:7], 1
	v_writelane_b32 v166, s16, 41
	s_add_u32 s4, s4, s0
	s_addc_u32 s5, s5, s1
	v_writelane_b32 v166, s17, 42
	v_cmp_lt_u32_e64 s[16:17], 7, v5
	v_cmp_eq_u32_e64 s[0:1], 0, v5
	v_and_b32_e32 v5, 16, v18
	v_writelane_b32 v166, s16, 43
	v_or_b32_e32 v4, 63, v4
	v_mov_b32_e32 v17, 0
	v_writelane_b32 v166, s17, 44
	v_cmp_ne_u32_e64 s[16:17], 0, v5
	v_lshlrev_b32_e32 v16, 1, v18
	s_cmp_eq_u32 s10, 0
	v_writelane_b32 v166, s16, 45
	v_lshlrev_b32_e32 v6, 1, v2
	v_mov_b32_e32 v7, v17
	v_writelane_b32 v166, s17, 46
	v_cmp_eq_u32_e64 s[16:17], v4, v0
	v_and_b32_e32 v4, 1, v18
	v_add_u32_e32 v87, 0x3c0, v72
	v_writelane_b32 v166, s16, 47
	v_and_b32_e32 v1, 38, v1
	v_add_lshl_u32 v1, v1, v72, 1
	v_writelane_b32 v166, s17, 48
	v_cmp_eq_u32_e64 s[16:17], 0, v4
	v_lshl_add_u64 v[4:5], s[2:3], 0, v[16:17]
	s_cselect_b64 s[2:3], -1, 0
	v_writelane_b32 v166, s16, 49
	v_lshl_add_u64 v[20:21], v[4:5], 0, v[6:7]
	v_lshl_add_u64 v[4:5], s[12:13], 0, v[16:17]
	v_writelane_b32 v166, s17, 50
	v_writelane_b32 v166, s2, 51
	v_lshl_add_u64 v[22:23], v[4:5], 0, v[6:7]
	v_lshl_add_u64 v[4:5], s[4:5], 0, v[16:17]
	v_writelane_b32 v166, s3, 52
	v_cmp_lt_u32_e64 s[2:3], 31, v18
	v_lshl_add_u64 v[24:25], v[4:5], 0, v[6:7]
	v_add_u32_e32 v4, -1, v18
	v_writelane_b32 v166, s2, 53
	v_and_b32_e32 v5, 64, v18
	v_lshrrev_b32_e32 v6, 5, v87
	v_writelane_b32 v166, s3, 54
	v_cmp_gt_u32_e64 s[2:3], 2, v0
	v_add_u32_e32 v89, 0, v1
	v_and_b32_e32 v3, 38, v3
	v_writelane_b32 v166, s2, 55
	v_and_b32_e32 v6, 0x7e, v6
	v_add_u32_e32 v101, s9, v1
	v_writelane_b32 v166, s3, 56
	v_cmp_gt_u32_e64 s[2:3], 64, v0
	v_lshrrev_b32_e32 v1, 3, v0
	v_cmp_lt_i32_e32 vcc, v4, v5
	v_writelane_b32 v166, s2, 57
	v_add_lshl_u32 v3, v3, v72, 1
	v_add_lshl_u32 v6, v6, v72, 1
	v_and_b32_e32 v1, 8, v1
	v_writelane_b32 v166, s3, 58
	v_cmp_lt_u32_e64 s[20:21], 63, v0
	v_cmp_eq_u32_e64 s[22:23], 0, v0
	v_lshl_add_u32 v122, v0, 3, 0
	v_cndmask_b32_e32 v0, v4, v18, vcc
	s_add_i32 s2, 0, 0x2110
	v_add_u32_e32 v90, 0, v3
	v_add_u32_e32 v91, 0, v8
	;; [unrolled: 1-line block ×31, first 2 shown]
	v_lshlrev_b32_e32 v123, 2, v0
	v_cmp_eq_u32_e64 s[24:25], 0, v18
	v_lshlrev_b32_e32 v26, 1, v2
	s_mov_b32 s6, 0x41a00000
	s_mov_b32 s8, 0x3fb8aa3b
	;; [unrolled: 1-line block ×8, first 2 shown]
	v_writelane_b32 v166, s2, 59
	s_mov_b32 s33, 0xc2fc0000
	s_mov_b32 s3, 0
	v_mov_b32_e32 v139, 0x3ecc95a3
	v_mov_b32_e32 v140, 0x7f800000
	;; [unrolled: 1-line block ×5, first 2 shown]
                                        ; implicit-def: $vgpr0
	s_branch .LBB120_13
.LBB120_12:                             ;   in Loop: Header=BB120_13 Depth=1
	s_or_b64 exec, exec, s[2:3]
	v_readlane_b32 s2, v166, 5
	v_readlane_b32 s3, v166, 6
	s_add_u32 s2, s2, 0x1000
	s_addc_u32 s3, s3, 0
	v_writelane_b32 v166, s2, 5
	s_nop 1
	v_writelane_b32 v166, s3, 6
	s_nop 0
	v_readlane_b32 s14, v166, 63
	v_readlane_b32 s15, v167, 0
	s_add_u32 s14, s14, 0x1000
	s_addc_u32 s15, s15, 0
	v_readlane_b32 s2, v166, 9
	v_readlane_b32 s3, v166, 10
	s_add_u32 s2, s2, 0x1000
	s_addc_u32 s3, s3, 0
	v_writelane_b32 v166, s2, 9
	s_nop 1
	v_writelane_b32 v166, s3, 10
	s_nop 0
	v_readlane_b32 s2, v166, 19
	v_readlane_b32 s3, v166, 20
	s_add_u32 s2, s2, 0x1000
	s_addc_u32 s3, s3, 0
	v_writelane_b32 v166, s2, 19
	s_nop 1
	v_writelane_b32 v166, s3, 20
	s_nop 0
	v_readlane_b32 s3, v166, 60
	s_add_i32 s3, s3, 1
	v_readlane_b32 s2, v166, 29
	s_cmp_lg_u32 s3, s2
	s_cbranch_scc0 .LBB120_302
.LBB120_13:                             ; =>This Loop Header: Depth=1
                                        ;     Child Loop BB120_110 Depth 2
	s_lshl_b32 s18, s3, 11
	v_writelane_b32 v166, s3, 60
	s_mov_b32 s4, s18
	v_readlane_b32 s2, v166, 28
	v_writelane_b32 v166, s4, 61
	s_waitcnt lgkmcnt(14)
	v_lshlrev_b32_e32 v16, 1, v18
	s_sub_i32 s88, s2, s18
	v_writelane_b32 v166, s5, 62
                                        ; implicit-def: $vgpr167 : SGPR spill to VGPR lane
	v_writelane_b32 v166, s14, 63
	v_mov_b32_e32 v27, v17
	v_cmp_gt_u32_e64 s[26:27], s88, v72
	v_lshl_add_u64 v[0:1], s[14:15], 0, v[16:17]
	v_writelane_b32 v167, s15, 0
	v_lshl_add_u64 v[0:1], v[0:1], 0, v[26:27]
	s_waitcnt lgkmcnt(0)
	v_mov_b32_e32 v2, 0
	s_barrier
	s_and_saveexec_b64 s[2:3], s[26:27]
	s_cbranch_execz .LBB120_15
; %bb.14:                               ;   in Loop: Header=BB120_13 Depth=1
	global_load_ushort v2, v[0:1], off
.LBB120_15:                             ;   in Loop: Header=BB120_13 Depth=1
	s_or_b64 exec, exec, s[2:3]
	v_add_u32_e32 v3, 64, v72
	v_cmp_gt_u32_e64 s[28:29], s88, v3
	v_mov_b32_e32 v3, 0
	v_mov_b32_e32 v4, 0
	s_and_saveexec_b64 s[2:3], s[28:29]
	s_cbranch_execz .LBB120_17
; %bb.16:                               ;   in Loop: Header=BB120_13 Depth=1
	global_load_ushort v4, v[0:1], off offset:128
.LBB120_17:                             ;   in Loop: Header=BB120_13 Depth=1
	s_or_b64 exec, exec, s[2:3]
	v_or_b32_e32 v5, 0x80, v72
	v_cmp_gt_u32_e64 s[30:31], s88, v5
	s_and_saveexec_b64 s[2:3], s[30:31]
	s_cbranch_execz .LBB120_19
; %bb.18:                               ;   in Loop: Header=BB120_13 Depth=1
	global_load_ushort v3, v[0:1], off offset:256
.LBB120_19:                             ;   in Loop: Header=BB120_13 Depth=1
	s_or_b64 exec, exec, s[2:3]
	v_add_u32_e32 v5, 0xc0, v72
	v_cmp_gt_u32_e64 s[34:35], s88, v5
	v_mov_b32_e32 v5, 0
	v_mov_b32_e32 v6, 0
	s_and_saveexec_b64 s[2:3], s[34:35]
	s_cbranch_execz .LBB120_21
; %bb.20:                               ;   in Loop: Header=BB120_13 Depth=1
	global_load_ushort v6, v[0:1], off offset:384
.LBB120_21:                             ;   in Loop: Header=BB120_13 Depth=1
	s_or_b64 exec, exec, s[2:3]
	v_cmp_gt_u32_e64 s[36:37], s88, v75
	s_and_saveexec_b64 s[2:3], s[36:37]
	s_cbranch_execz .LBB120_23
; %bb.22:                               ;   in Loop: Header=BB120_13 Depth=1
	global_load_ushort v5, v[0:1], off offset:512
.LBB120_23:                             ;   in Loop: Header=BB120_13 Depth=1
	s_or_b64 exec, exec, s[2:3]
	v_add_u32_e32 v7, 0x140, v72
	v_cmp_gt_u32_e64 s[38:39], s88, v7
	v_mov_b32_e32 v7, 0
	v_mov_b32_e32 v8, 0
	s_and_saveexec_b64 s[2:3], s[38:39]
	s_cbranch_execz .LBB120_25
; %bb.24:                               ;   in Loop: Header=BB120_13 Depth=1
	global_load_ushort v8, v[0:1], off offset:640
.LBB120_25:                             ;   in Loop: Header=BB120_13 Depth=1
	s_or_b64 exec, exec, s[2:3]
	v_cmp_gt_u32_e64 s[40:41], s88, v78
	s_and_saveexec_b64 s[2:3], s[40:41]
	s_cbranch_execz .LBB120_27
; %bb.26:                               ;   in Loop: Header=BB120_13 Depth=1
	global_load_ushort v7, v[0:1], off offset:768
.LBB120_27:                             ;   in Loop: Header=BB120_13 Depth=1
	s_or_b64 exec, exec, s[2:3]
	v_cmp_gt_u32_e64 s[42:43], s88, v79
	v_mov_b32_e32 v9, 0
	v_mov_b32_e32 v11, 0
	s_and_saveexec_b64 s[2:3], s[42:43]
	s_cbranch_execz .LBB120_29
; %bb.28:                               ;   in Loop: Header=BB120_13 Depth=1
	global_load_ushort v11, v[0:1], off offset:896
.LBB120_29:                             ;   in Loop: Header=BB120_13 Depth=1
	s_or_b64 exec, exec, s[2:3]
	v_cmp_gt_u32_e64 s[44:45], s88, v80
	s_and_saveexec_b64 s[2:3], s[44:45]
	s_cbranch_execz .LBB120_31
; %bb.30:                               ;   in Loop: Header=BB120_13 Depth=1
	global_load_ushort v9, v[0:1], off offset:1024
.LBB120_31:                             ;   in Loop: Header=BB120_13 Depth=1
	s_or_b64 exec, exec, s[2:3]
	;; [unrolled: 16-line block ×5, first 2 shown]
	v_cmp_gt_u32_e64 s[58:59], s88, v87
	v_mov_b32_e32 v10, 0
	v_mov_b32_e32 v30, 0
	s_and_saveexec_b64 s[2:3], s[58:59]
	s_cbranch_execz .LBB120_45
; %bb.44:                               ;   in Loop: Header=BB120_13 Depth=1
	global_load_ushort v30, v[0:1], off offset:1920
.LBB120_45:                             ;   in Loop: Header=BB120_13 Depth=1
	s_or_b64 exec, exec, s[2:3]
	s_waitcnt vmcnt(0)
	ds_write_b16 v88, v2
	ds_write_b16 v89, v4 offset:128
	ds_write_b16 v90, v3 offset:256
	;; [unrolled: 1-line block ×15, first 2 shown]
	; wave barrier
	ds_read_b128 v[0:3], v119
	ds_read_b128 v[4:7], v119 offset:16
	v_readlane_b32 s2, v166, 5
	v_readlane_b32 s3, v166, 6
	v_mov_b32_e32 v27, v17
	s_waitcnt lgkmcnt(0)
	v_lshl_add_u64 v[8:9], s[2:3], 0, v[16:17]
	v_lshl_add_u64 v[8:9], v[8:9], 0, v[26:27]
	s_barrier
	s_and_saveexec_b64 s[2:3], s[26:27]
	s_cbranch_execz .LBB120_47
; %bb.46:                               ;   in Loop: Header=BB120_13 Depth=1
	global_load_ushort v10, v[8:9], off
.LBB120_47:                             ;   in Loop: Header=BB120_13 Depth=1
	s_or_b64 exec, exec, s[2:3]
	v_mov_b32_e32 v11, 0
	v_mov_b32_e32 v12, 0
	s_and_saveexec_b64 s[2:3], s[28:29]
	s_cbranch_execz .LBB120_49
; %bb.48:                               ;   in Loop: Header=BB120_13 Depth=1
	global_load_ushort v12, v[8:9], off offset:128
.LBB120_49:                             ;   in Loop: Header=BB120_13 Depth=1
	s_or_b64 exec, exec, s[2:3]
	s_and_saveexec_b64 s[2:3], s[30:31]
	s_cbranch_execz .LBB120_51
; %bb.50:                               ;   in Loop: Header=BB120_13 Depth=1
	global_load_ushort v11, v[8:9], off offset:256
.LBB120_51:                             ;   in Loop: Header=BB120_13 Depth=1
	s_or_b64 exec, exec, s[2:3]
	v_mov_b32_e32 v13, 0
	v_mov_b32_e32 v14, 0
	s_and_saveexec_b64 s[2:3], s[34:35]
	s_cbranch_execz .LBB120_53
; %bb.52:                               ;   in Loop: Header=BB120_13 Depth=1
	global_load_ushort v14, v[8:9], off offset:384
.LBB120_53:                             ;   in Loop: Header=BB120_13 Depth=1
	s_or_b64 exec, exec, s[2:3]
	s_and_saveexec_b64 s[2:3], s[36:37]
	s_cbranch_execz .LBB120_55
; %bb.54:                               ;   in Loop: Header=BB120_13 Depth=1
	global_load_ushort v13, v[8:9], off offset:512
.LBB120_55:                             ;   in Loop: Header=BB120_13 Depth=1
	s_or_b64 exec, exec, s[2:3]
	v_mov_b32_e32 v15, 0
	v_mov_b32_e32 v27, 0
	s_and_saveexec_b64 s[2:3], s[38:39]
	s_cbranch_execz .LBB120_57
; %bb.56:                               ;   in Loop: Header=BB120_13 Depth=1
	global_load_ushort v27, v[8:9], off offset:640
.LBB120_57:                             ;   in Loop: Header=BB120_13 Depth=1
	s_or_b64 exec, exec, s[2:3]
	s_and_saveexec_b64 s[2:3], s[40:41]
	s_cbranch_execz .LBB120_59
; %bb.58:                               ;   in Loop: Header=BB120_13 Depth=1
	global_load_ushort v15, v[8:9], off offset:768
.LBB120_59:                             ;   in Loop: Header=BB120_13 Depth=1
	s_or_b64 exec, exec, s[2:3]
	v_mov_b32_e32 v29, 0
	v_mov_b32_e32 v30, 0
	s_and_saveexec_b64 s[2:3], s[42:43]
	s_cbranch_execz .LBB120_61
; %bb.60:                               ;   in Loop: Header=BB120_13 Depth=1
	global_load_ushort v30, v[8:9], off offset:896
.LBB120_61:                             ;   in Loop: Header=BB120_13 Depth=1
	s_or_b64 exec, exec, s[2:3]
	s_and_saveexec_b64 s[2:3], s[44:45]
	s_cbranch_execz .LBB120_63
; %bb.62:                               ;   in Loop: Header=BB120_13 Depth=1
	global_load_ushort v29, v[8:9], off offset:1024
.LBB120_63:                             ;   in Loop: Header=BB120_13 Depth=1
	s_or_b64 exec, exec, s[2:3]
	v_mov_b32_e32 v31, 0
	v_mov_b32_e32 v32, 0
	s_and_saveexec_b64 s[2:3], s[46:47]
	s_cbranch_execz .LBB120_65
; %bb.64:                               ;   in Loop: Header=BB120_13 Depth=1
	global_load_ushort v32, v[8:9], off offset:1152
.LBB120_65:                             ;   in Loop: Header=BB120_13 Depth=1
	s_or_b64 exec, exec, s[2:3]
	s_and_saveexec_b64 s[2:3], s[48:49]
	s_cbranch_execz .LBB120_67
; %bb.66:                               ;   in Loop: Header=BB120_13 Depth=1
	global_load_ushort v31, v[8:9], off offset:1280
.LBB120_67:                             ;   in Loop: Header=BB120_13 Depth=1
	s_or_b64 exec, exec, s[2:3]
	v_mov_b32_e32 v33, 0
	v_mov_b32_e32 v34, 0
	s_and_saveexec_b64 s[2:3], s[50:51]
	s_cbranch_execz .LBB120_69
; %bb.68:                               ;   in Loop: Header=BB120_13 Depth=1
	global_load_ushort v34, v[8:9], off offset:1408
.LBB120_69:                             ;   in Loop: Header=BB120_13 Depth=1
	s_or_b64 exec, exec, s[2:3]
	s_and_saveexec_b64 s[2:3], s[52:53]
	s_cbranch_execz .LBB120_71
; %bb.70:                               ;   in Loop: Header=BB120_13 Depth=1
	global_load_ushort v33, v[8:9], off offset:1536
.LBB120_71:                             ;   in Loop: Header=BB120_13 Depth=1
	s_or_b64 exec, exec, s[2:3]
	v_mov_b32_e32 v35, 0
	v_mov_b32_e32 v36, 0
	s_and_saveexec_b64 s[2:3], s[54:55]
	s_cbranch_execnz .LBB120_269
; %bb.72:                               ;   in Loop: Header=BB120_13 Depth=1
	s_or_b64 exec, exec, s[2:3]
	s_and_saveexec_b64 s[2:3], s[56:57]
	s_cbranch_execnz .LBB120_270
.LBB120_73:                             ;   in Loop: Header=BB120_13 Depth=1
	s_or_b64 exec, exec, s[2:3]
	v_mov_b32_e32 v37, 0
	s_and_saveexec_b64 s[2:3], s[58:59]
	s_cbranch_execz .LBB120_75
.LBB120_74:                             ;   in Loop: Header=BB120_13 Depth=1
	global_load_ushort v37, v[8:9], off offset:1920
.LBB120_75:                             ;   in Loop: Header=BB120_13 Depth=1
	s_or_b64 exec, exec, s[2:3]
	s_waitcnt vmcnt(0)
	ds_write_b16 v88, v10
	ds_write_b16 v89, v12 offset:128
	ds_write_b16 v90, v11 offset:256
	;; [unrolled: 1-line block ×15, first 2 shown]
	; wave barrier
	ds_read_b128 v[12:15], v119
	ds_read_b128 v[8:11], v119 offset:16
	v_readlane_b32 s2, v166, 2
	s_waitcnt lgkmcnt(1)
	v_cvt_f32_f16_e32 v27, v12
	v_add_f32_e32 v143, s2, v27
	v_readlane_b32 s2, v166, 23
	v_cmp_ge_f32_e32 vcc, s6, v143
	v_readlane_b32 s3, v166, 24
	s_and_b64 s[2:3], s[2:3], vcc
	s_and_saveexec_b64 s[4:5], s[2:3]
	s_cbranch_execz .LBB120_77
; %bb.76:                               ;   in Loop: Header=BB120_13 Depth=1
	v_mul_f32_e32 v27, 0x3fb8aa3b, v143
	v_rndne_f32_e32 v29, v27
	v_sub_f32_e32 v30, v27, v29
	v_fma_f32 v27, v143, s8, -v27
	v_fmac_f32_e32 v27, 0x32a5705f, v143
	v_add_f32_e32 v27, v30, v27
	v_cvt_i32_f32_e32 v29, v29
	v_exp_f32_e32 v27, v27
	v_cmp_ngt_f32_e32 vcc, s9, v143
	v_ldexp_f32 v27, v27, v29
	s_nop 0
	v_cndmask_b32_e32 v27, 0, v27, vcc
	v_cmp_nlt_f32_e32 vcc, s10, v143
	s_nop 1
	v_cndmask_b32_e32 v46, v140, v27, vcc
	v_add_f32_e32 v27, 1.0, v46
	v_add_f32_e32 v29, -1.0, v27
	v_sub_f32_e32 v30, v29, v27
	v_add_f32_e32 v30, 1.0, v30
	v_sub_f32_e32 v29, v46, v29
	v_add_f32_e32 v29, v29, v30
	v_frexp_mant_f32_e32 v32, v27
	v_cvt_f64_f32_e32 v[30:31], v27
	v_frexp_exp_i32_f64_e32 v30, v[30:31]
	v_cmp_gt_f32_e32 vcc, s12, v32
	v_cmp_gt_f32_e64 s[60:61], s16, v46
	s_nop 0
	v_subbrev_co_u32_e32 v38, vcc, 0, v30, vcc
	v_sub_u32_e32 v30, 0, v38
	v_ldexp_f32 v27, v27, v30
	v_ldexp_f32 v29, v29, v30
	v_add_f32_e32 v30, -1.0, v27
	v_add_f32_e32 v31, 1.0, v30
	v_sub_f32_e32 v31, v27, v31
	v_add_f32_e32 v32, v29, v31
	v_add_f32_e32 v31, 1.0, v27
	v_add_f32_e32 v33, -1.0, v31
	v_sub_f32_e32 v27, v27, v33
	v_add_f32_e32 v27, v29, v27
	v_add_f32_e32 v29, v31, v27
	v_rcp_f32_e32 v39, v29
	v_sub_f32_e32 v31, v31, v29
	v_add_f32_e32 v27, v27, v31
	v_add_f32_e32 v31, v30, v32
	v_sub_f32_e32 v30, v30, v31
	v_mul_f32_e32 v41, v31, v39
	v_add_f32_e32 v40, v32, v30
	v_mul_f32_e32 v32, v29, v41
	v_fma_f32 v34, v41, v29, -v32
	v_fmac_f32_e32 v34, v41, v27
	v_add_f32_e32 v30, v32, v34
	v_sub_f32_e32 v33, v31, v30
	v_pk_add_f32 v[36:37], v[30:31], v[32:33] neg_lo:[0,1] neg_hi:[0,1]
	v_mov_b32_e32 v35, v30
	v_pk_add_f32 v[30:31], v[36:37], v[34:35] neg_lo:[0,1] neg_hi:[0,1]
	v_cmp_eq_f32_e32 vcc, s11, v46
	v_add_f32_e32 v31, v40, v31
	v_add_f32_e32 v30, v30, v31
	;; [unrolled: 1-line block ×3, first 2 shown]
	v_mul_f32_e32 v40, v39, v31
	v_mul_f32_e32 v32, v29, v40
	v_fma_f32 v34, v40, v29, -v32
	v_fmac_f32_e32 v34, v40, v27
	v_sub_f32_e32 v27, v33, v31
	v_add_f32_e32 v27, v30, v27
	v_add_f32_e32 v30, v32, v34
	v_sub_f32_e32 v33, v31, v30
	v_pk_add_f32 v[36:37], v[30:31], v[32:33] neg_lo:[0,1] neg_hi:[0,1]
	v_mov_b32_e32 v35, v30
	v_pk_add_f32 v[30:31], v[36:37], v[34:35] neg_lo:[0,1] neg_hi:[0,1]
	s_or_b64 vcc, s[60:61], vcc
	v_add_f32_e32 v27, v27, v31
	v_add_f32_e32 v27, v30, v27
	;; [unrolled: 1-line block ×4, first 2 shown]
	v_sub_f32_e32 v29, v31, v41
	v_mul_f32_e32 v27, v39, v27
	v_sub_f32_e32 v29, v40, v29
	v_add_f32_e32 v27, v29, v27
	v_add_f32_e32 v32, v31, v27
	v_cvt_f32_i32_e32 v30, v38
	v_mul_f32_e32 v34, v32, v32
	v_fmamk_f32 v29, v34, 0x3e9b6dac, v139
	v_sub_f32_e32 v31, v32, v31
	v_fmaak_f32 v29, v34, v29, 0x3f2aaada
	v_sub_f32_e32 v27, v27, v31
	v_mul_f32_e32 v31, v32, v34
	v_pk_mul_f32 v[34:35], v[30:31], v[28:29]
	v_ldexp_f32 v33, v32, 1
	v_fma_f32 v32, v30, s13, -v34
	v_fmac_f32_e32 v32, 0xb102e308, v30
	v_pk_add_f32 v[30:31], v[34:35], v[32:33]
	v_ldexp_f32 v27, v27, 1
	v_sub_f32_e32 v29, v31, v33
	v_sub_f32_e32 v29, v35, v29
	v_add_f32_e32 v37, v27, v29
	v_mov_b32_e32 v36, v34
	v_pk_add_f32 v[34:35], v[30:31], v[34:35] neg_lo:[0,1] neg_hi:[0,1]
	v_pk_add_f32 v[38:39], v[30:31], v[36:37]
	v_mov_b32_e32 v33, v30
	v_mov_b32_e32 v35, v39
	v_pk_add_f32 v[40:41], v[32:33], v[34:35] neg_lo:[0,1] neg_hi:[0,1]
	v_pk_add_f32 v[32:33], v[32:33], v[34:35]
	v_mov_b32_e32 v36, v37
	v_mov_b32_e32 v34, v33
	v_pk_add_f32 v[42:43], v[34:35], v[30:31] neg_lo:[0,1] neg_hi:[0,1]
	v_mov_b32_e32 v32, v39
	v_mov_b32_e32 v27, v42
	v_pk_add_f32 v[44:45], v[38:39], v[26:27] neg_lo:[0,1] neg_hi:[0,1]
	v_mov_b32_e32 v38, v31
	v_mov_b32_e32 v39, v42
	;; [unrolled: 1-line block ×3, first 2 shown]
	v_pk_add_f32 v[32:33], v[32:33], v[38:39] neg_lo:[0,1] neg_hi:[0,1]
	v_mov_b32_e32 v37, v30
	v_pk_add_f32 v[30:31], v[36:37], v[32:33] neg_lo:[0,1] neg_hi:[0,1]
	v_mov_b32_e32 v44, v40
	v_pk_add_f32 v[32:33], v[44:45], v[30:31]
	s_nop 0
	v_mov_b32_e32 v36, v33
	v_pk_add_f32 v[36:37], v[32:33], v[36:37]
	s_nop 0
	v_pk_add_f32 v[34:35], v[34:35], v[36:37]
	v_mov_b32_e32 v31, v36
	v_mov_b32_e32 v33, v34
	v_pk_add_f32 v[38:39], v[32:33], v[40:41] neg_lo:[0,1] neg_hi:[0,1]
	s_nop 0
	v_sub_f32_e32 v27, v32, v38
	v_pk_add_f32 v[30:31], v[30:31], v[38:39] neg_lo:[0,1] neg_hi:[0,1]
	v_sub_f32_e32 v27, v40, v27
	v_add_f32_e32 v27, v30, v27
	v_add_f32_e32 v27, v27, v31
	;; [unrolled: 1-line block ×3, first 2 shown]
	v_cndmask_b32_e32 v143, v27, v46, vcc
.LBB120_77:                             ;   in Loop: Header=BB120_13 Depth=1
	s_or_b64 exec, exec, s[4:5]
	v_cvt_f32_f16_sdwa v12, v12 dst_sel:DWORD dst_unused:UNUSED_PAD src0_sel:WORD_1
	v_readlane_b32 s2, v166, 2
	s_nop 1
	v_add_f32_e32 v144, s2, v12
	v_readlane_b32 s2, v166, 23
	v_cmp_ge_f32_e32 vcc, s6, v144
	v_readlane_b32 s3, v166, 24
	s_and_b64 s[2:3], s[2:3], vcc
	s_and_saveexec_b64 s[4:5], s[2:3]
	s_cbranch_execz .LBB120_79
; %bb.78:                               ;   in Loop: Header=BB120_13 Depth=1
	v_mul_f32_e32 v12, 0x3fb8aa3b, v144
	v_rndne_f32_e32 v27, v12
	v_sub_f32_e32 v29, v12, v27
	v_fma_f32 v12, v144, s8, -v12
	v_fmac_f32_e32 v12, 0x32a5705f, v144
	v_add_f32_e32 v12, v29, v12
	v_cvt_i32_f32_e32 v27, v27
	v_exp_f32_e32 v12, v12
	v_cmp_ngt_f32_e32 vcc, s9, v144
	v_ldexp_f32 v12, v12, v27
	s_nop 0
	v_cndmask_b32_e32 v12, 0, v12, vcc
	v_cmp_nlt_f32_e32 vcc, s10, v144
	s_nop 1
	v_cndmask_b32_e32 v44, v140, v12, vcc
	v_add_f32_e32 v12, 1.0, v44
	v_add_f32_e32 v27, -1.0, v12
	v_sub_f32_e32 v29, v27, v12
	v_add_f32_e32 v29, 1.0, v29
	v_sub_f32_e32 v27, v44, v27
	v_add_f32_e32 v27, v27, v29
	v_frexp_mant_f32_e32 v29, v12
	v_cvt_f64_f32_e32 v[30:31], v12
	v_frexp_exp_i32_f64_e32 v30, v[30:31]
	v_cmp_gt_f32_e32 vcc, s12, v29
	v_cmp_gt_f32_e64 s[60:61], s16, v44
	s_nop 0
	v_subbrev_co_u32_e32 v38, vcc, 0, v30, vcc
	v_sub_u32_e32 v29, 0, v38
	v_ldexp_f32 v12, v12, v29
	v_ldexp_f32 v27, v27, v29
	v_add_f32_e32 v29, -1.0, v12
	v_add_f32_e32 v31, 1.0, v12
	v_add_f32_e32 v30, 1.0, v29
	v_add_f32_e32 v32, -1.0, v31
	v_sub_f32_e32 v30, v12, v30
	v_sub_f32_e32 v12, v12, v32
	v_add_f32_e32 v12, v27, v12
	v_add_f32_e32 v30, v27, v30
	;; [unrolled: 1-line block ×3, first 2 shown]
	v_rcp_f32_e32 v39, v27
	v_sub_f32_e32 v31, v31, v27
	v_add_f32_e32 v12, v12, v31
	v_add_f32_e32 v31, v29, v30
	v_mul_f32_e32 v40, v31, v39
	v_mul_f32_e32 v32, v27, v40
	v_fma_f32 v34, v40, v27, -v32
	v_sub_f32_e32 v29, v29, v31
	v_fmac_f32_e32 v34, v40, v12
	v_add_f32_e32 v29, v30, v29
	v_add_f32_e32 v30, v32, v34
	v_sub_f32_e32 v33, v31, v30
	v_pk_add_f32 v[36:37], v[30:31], v[32:33] neg_lo:[0,1] neg_hi:[0,1]
	v_mov_b32_e32 v35, v30
	v_pk_add_f32 v[30:31], v[36:37], v[34:35] neg_lo:[0,1] neg_hi:[0,1]
	v_cmp_eq_f32_e32 vcc, s11, v44
	v_add_f32_e32 v29, v29, v31
	v_add_f32_e32 v29, v30, v29
	;; [unrolled: 1-line block ×3, first 2 shown]
	v_mul_f32_e32 v41, v39, v31
	v_mul_f32_e32 v32, v27, v41
	v_fma_f32 v34, v41, v27, -v32
	v_fmac_f32_e32 v34, v41, v12
	v_add_f32_e32 v30, v32, v34
	v_sub_f32_e32 v12, v33, v31
	v_sub_f32_e32 v33, v31, v30
	v_pk_add_f32 v[36:37], v[30:31], v[32:33] neg_lo:[0,1] neg_hi:[0,1]
	v_mov_b32_e32 v35, v30
	v_add_f32_e32 v12, v29, v12
	v_pk_add_f32 v[30:31], v[36:37], v[34:35] neg_lo:[0,1] neg_hi:[0,1]
	v_add_f32_e32 v27, v40, v41
	v_add_f32_e32 v12, v12, v31
	;; [unrolled: 1-line block ×4, first 2 shown]
	v_sub_f32_e32 v29, v27, v40
	v_mul_f32_e32 v12, v39, v12
	v_sub_f32_e32 v29, v41, v29
	v_add_f32_e32 v12, v29, v12
	v_add_f32_e32 v31, v27, v12
	v_cvt_f32_i32_e32 v30, v38
	v_mul_f32_e32 v32, v31, v31
	v_fmamk_f32 v29, v32, 0x3e9b6dac, v139
	v_fmaak_f32 v29, v32, v29, 0x3f2aaada
	v_sub_f32_e32 v27, v31, v27
	v_ldexp_f32 v33, v31, 1
	v_mul_f32_e32 v31, v31, v32
	v_pk_mul_f32 v[34:35], v[30:31], v[28:29]
	v_sub_f32_e32 v12, v12, v27
	v_fma_f32 v32, v30, s13, -v34
	v_fmac_f32_e32 v32, 0xb102e308, v30
	v_pk_add_f32 v[30:31], v[34:35], v[32:33]
	v_ldexp_f32 v12, v12, 1
	v_sub_f32_e32 v27, v31, v33
	v_sub_f32_e32 v27, v35, v27
	v_add_f32_e32 v37, v12, v27
	v_mov_b32_e32 v36, v34
	v_pk_add_f32 v[34:35], v[30:31], v[34:35] neg_lo:[0,1] neg_hi:[0,1]
	v_pk_add_f32 v[38:39], v[30:31], v[36:37]
	v_mov_b32_e32 v33, v30
	v_mov_b32_e32 v35, v39
	v_pk_add_f32 v[40:41], v[32:33], v[34:35] neg_lo:[0,1] neg_hi:[0,1]
	v_pk_add_f32 v[32:33], v[32:33], v[34:35]
	s_or_b64 vcc, s[60:61], vcc
	v_mov_b32_e32 v12, v33
	v_pk_add_f32 v[34:35], v[12:13], v[30:31] neg_lo:[0,1] neg_hi:[0,1]
	v_mov_b32_e32 v32, v39
	v_mov_b32_e32 v27, v34
	v_pk_add_f32 v[42:43], v[38:39], v[26:27] neg_lo:[0,1] neg_hi:[0,1]
	v_mov_b32_e32 v38, v31
	v_mov_b32_e32 v39, v34
	;; [unrolled: 1-line block ×3, first 2 shown]
	v_pk_add_f32 v[32:33], v[32:33], v[38:39] neg_lo:[0,1] neg_hi:[0,1]
	v_mov_b32_e32 v34, v37
	v_mov_b32_e32 v35, v30
	v_pk_add_f32 v[30:31], v[34:35], v[32:33] neg_lo:[0,1] neg_hi:[0,1]
	v_mov_b32_e32 v42, v40
	v_pk_add_f32 v[32:33], v[42:43], v[30:31]
	s_nop 0
	v_mov_b32_e32 v34, v33
	v_pk_add_f32 v[34:35], v[32:33], v[34:35]
	s_nop 0
	v_pk_add_f32 v[36:37], v[12:13], v[34:35]
	v_mov_b32_e32 v31, v34
	v_mov_b32_e32 v33, v36
	v_pk_add_f32 v[38:39], v[32:33], v[40:41] neg_lo:[0,1] neg_hi:[0,1]
	s_nop 0
	v_sub_f32_e32 v12, v32, v38
	v_pk_add_f32 v[30:31], v[30:31], v[38:39] neg_lo:[0,1] neg_hi:[0,1]
	v_sub_f32_e32 v12, v40, v12
	v_add_f32_e32 v12, v30, v12
	v_add_f32_e32 v12, v12, v31
	;; [unrolled: 1-line block ×3, first 2 shown]
	v_cndmask_b32_e32 v144, v12, v44, vcc
.LBB120_79:                             ;   in Loop: Header=BB120_13 Depth=1
	s_or_b64 exec, exec, s[4:5]
	v_cvt_f32_f16_e32 v12, v13
	v_readlane_b32 s2, v166, 2
	s_nop 1
	v_add_f32_e32 v145, s2, v12
	v_readlane_b32 s2, v166, 23
	v_cmp_ge_f32_e32 vcc, s6, v145
	v_readlane_b32 s3, v166, 24
	s_and_b64 s[2:3], s[2:3], vcc
	s_and_saveexec_b64 s[4:5], s[2:3]
	s_cbranch_execz .LBB120_81
; %bb.80:                               ;   in Loop: Header=BB120_13 Depth=1
	v_mul_f32_e32 v12, 0x3fb8aa3b, v145
	v_rndne_f32_e32 v27, v12
	v_sub_f32_e32 v29, v12, v27
	v_fma_f32 v12, v145, s8, -v12
	v_fmac_f32_e32 v12, 0x32a5705f, v145
	v_add_f32_e32 v12, v29, v12
	v_cvt_i32_f32_e32 v27, v27
	v_exp_f32_e32 v12, v12
	v_cmp_ngt_f32_e32 vcc, s9, v145
	v_ldexp_f32 v12, v12, v27
	s_nop 0
	v_cndmask_b32_e32 v12, 0, v12, vcc
	v_cmp_nlt_f32_e32 vcc, s10, v145
	s_nop 1
	v_cndmask_b32_e32 v44, v140, v12, vcc
	v_add_f32_e32 v12, 1.0, v44
	v_add_f32_e32 v27, -1.0, v12
	v_sub_f32_e32 v29, v27, v12
	v_add_f32_e32 v29, 1.0, v29
	v_sub_f32_e32 v27, v44, v27
	v_add_f32_e32 v27, v27, v29
	v_frexp_mant_f32_e32 v29, v12
	v_cvt_f64_f32_e32 v[30:31], v12
	v_frexp_exp_i32_f64_e32 v30, v[30:31]
	v_cmp_gt_f32_e32 vcc, s12, v29
	v_cmp_gt_f32_e64 s[60:61], s16, v44
	s_nop 0
	v_subbrev_co_u32_e32 v38, vcc, 0, v30, vcc
	v_sub_u32_e32 v29, 0, v38
	v_ldexp_f32 v12, v12, v29
	v_ldexp_f32 v27, v27, v29
	v_add_f32_e32 v29, -1.0, v12
	v_add_f32_e32 v31, 1.0, v12
	v_add_f32_e32 v30, 1.0, v29
	v_add_f32_e32 v32, -1.0, v31
	v_sub_f32_e32 v30, v12, v30
	v_sub_f32_e32 v12, v12, v32
	v_add_f32_e32 v12, v27, v12
	v_add_f32_e32 v30, v27, v30
	;; [unrolled: 1-line block ×3, first 2 shown]
	v_rcp_f32_e32 v39, v27
	v_sub_f32_e32 v31, v31, v27
	v_add_f32_e32 v12, v12, v31
	v_add_f32_e32 v31, v29, v30
	v_mul_f32_e32 v40, v31, v39
	v_mul_f32_e32 v32, v27, v40
	v_fma_f32 v34, v40, v27, -v32
	v_sub_f32_e32 v29, v29, v31
	v_fmac_f32_e32 v34, v40, v12
	v_add_f32_e32 v29, v30, v29
	v_add_f32_e32 v30, v32, v34
	v_sub_f32_e32 v33, v31, v30
	v_pk_add_f32 v[36:37], v[30:31], v[32:33] neg_lo:[0,1] neg_hi:[0,1]
	v_mov_b32_e32 v35, v30
	v_pk_add_f32 v[30:31], v[36:37], v[34:35] neg_lo:[0,1] neg_hi:[0,1]
	v_cmp_eq_f32_e32 vcc, s11, v44
	v_add_f32_e32 v29, v29, v31
	v_add_f32_e32 v29, v30, v29
	;; [unrolled: 1-line block ×3, first 2 shown]
	v_mul_f32_e32 v41, v39, v31
	v_mul_f32_e32 v32, v27, v41
	v_fma_f32 v34, v41, v27, -v32
	v_fmac_f32_e32 v34, v41, v12
	v_add_f32_e32 v30, v32, v34
	v_sub_f32_e32 v12, v33, v31
	v_sub_f32_e32 v33, v31, v30
	v_pk_add_f32 v[36:37], v[30:31], v[32:33] neg_lo:[0,1] neg_hi:[0,1]
	v_mov_b32_e32 v35, v30
	v_add_f32_e32 v12, v29, v12
	v_pk_add_f32 v[30:31], v[36:37], v[34:35] neg_lo:[0,1] neg_hi:[0,1]
	v_add_f32_e32 v27, v40, v41
	v_add_f32_e32 v12, v12, v31
	;; [unrolled: 1-line block ×4, first 2 shown]
	v_sub_f32_e32 v29, v27, v40
	v_mul_f32_e32 v12, v39, v12
	v_sub_f32_e32 v29, v41, v29
	v_add_f32_e32 v12, v29, v12
	v_add_f32_e32 v31, v27, v12
	v_cvt_f32_i32_e32 v30, v38
	v_mul_f32_e32 v32, v31, v31
	v_fmamk_f32 v29, v32, 0x3e9b6dac, v139
	v_fmaak_f32 v29, v32, v29, 0x3f2aaada
	v_sub_f32_e32 v27, v31, v27
	v_ldexp_f32 v33, v31, 1
	v_mul_f32_e32 v31, v31, v32
	v_pk_mul_f32 v[34:35], v[30:31], v[28:29]
	v_sub_f32_e32 v12, v12, v27
	v_fma_f32 v32, v30, s13, -v34
	v_fmac_f32_e32 v32, 0xb102e308, v30
	v_pk_add_f32 v[30:31], v[34:35], v[32:33]
	v_ldexp_f32 v12, v12, 1
	v_sub_f32_e32 v27, v31, v33
	v_sub_f32_e32 v27, v35, v27
	v_add_f32_e32 v37, v12, v27
	v_mov_b32_e32 v36, v34
	v_pk_add_f32 v[34:35], v[30:31], v[34:35] neg_lo:[0,1] neg_hi:[0,1]
	v_pk_add_f32 v[38:39], v[30:31], v[36:37]
	v_mov_b32_e32 v33, v30
	v_mov_b32_e32 v35, v39
	v_pk_add_f32 v[40:41], v[32:33], v[34:35] neg_lo:[0,1] neg_hi:[0,1]
	v_pk_add_f32 v[32:33], v[32:33], v[34:35]
	s_or_b64 vcc, s[60:61], vcc
	v_mov_b32_e32 v12, v33
	v_pk_add_f32 v[34:35], v[12:13], v[30:31] neg_lo:[0,1] neg_hi:[0,1]
	v_mov_b32_e32 v32, v39
	v_mov_b32_e32 v27, v34
	v_pk_add_f32 v[42:43], v[38:39], v[26:27] neg_lo:[0,1] neg_hi:[0,1]
	v_mov_b32_e32 v38, v31
	v_mov_b32_e32 v39, v34
	;; [unrolled: 1-line block ×3, first 2 shown]
	v_pk_add_f32 v[32:33], v[32:33], v[38:39] neg_lo:[0,1] neg_hi:[0,1]
	v_mov_b32_e32 v34, v37
	v_mov_b32_e32 v35, v30
	v_pk_add_f32 v[30:31], v[34:35], v[32:33] neg_lo:[0,1] neg_hi:[0,1]
	v_mov_b32_e32 v42, v40
	v_pk_add_f32 v[32:33], v[42:43], v[30:31]
	s_nop 0
	v_mov_b32_e32 v34, v33
	v_pk_add_f32 v[34:35], v[32:33], v[34:35]
	s_nop 0
	v_pk_add_f32 v[36:37], v[12:13], v[34:35]
	v_mov_b32_e32 v31, v34
	v_mov_b32_e32 v33, v36
	v_pk_add_f32 v[38:39], v[32:33], v[40:41] neg_lo:[0,1] neg_hi:[0,1]
	s_nop 0
	v_sub_f32_e32 v12, v32, v38
	v_pk_add_f32 v[30:31], v[30:31], v[38:39] neg_lo:[0,1] neg_hi:[0,1]
	v_sub_f32_e32 v12, v40, v12
	v_add_f32_e32 v12, v30, v12
	v_add_f32_e32 v12, v12, v31
	;; [unrolled: 1-line block ×3, first 2 shown]
	v_cndmask_b32_e32 v145, v12, v44, vcc
.LBB120_81:                             ;   in Loop: Header=BB120_13 Depth=1
	s_or_b64 exec, exec, s[4:5]
	v_cvt_f32_f16_sdwa v12, v13 dst_sel:DWORD dst_unused:UNUSED_PAD src0_sel:WORD_1
	v_readlane_b32 s2, v166, 2
	s_nop 1
	v_add_f32_e32 v146, s2, v12
	v_readlane_b32 s2, v166, 23
	v_cmp_ge_f32_e32 vcc, s6, v146
	v_readlane_b32 s3, v166, 24
	s_and_b64 s[2:3], s[2:3], vcc
	s_and_saveexec_b64 s[4:5], s[2:3]
	s_cbranch_execz .LBB120_83
; %bb.82:                               ;   in Loop: Header=BB120_13 Depth=1
	v_mul_f32_e32 v12, 0x3fb8aa3b, v146
	v_rndne_f32_e32 v13, v12
	v_sub_f32_e32 v27, v12, v13
	v_fma_f32 v12, v146, s8, -v12
	v_fmac_f32_e32 v12, 0x32a5705f, v146
	v_add_f32_e32 v12, v27, v12
	v_cvt_i32_f32_e32 v13, v13
	v_exp_f32_e32 v12, v12
	v_cmp_ngt_f32_e32 vcc, s9, v146
	v_ldexp_f32 v12, v12, v13
	s_nop 0
	v_cndmask_b32_e32 v12, 0, v12, vcc
	v_cmp_nlt_f32_e32 vcc, s10, v146
	s_nop 1
	v_cndmask_b32_e32 v44, v140, v12, vcc
	v_add_f32_e32 v27, 1.0, v44
	v_add_f32_e32 v12, -1.0, v27
	v_sub_f32_e32 v13, v12, v27
	v_add_f32_e32 v13, 1.0, v13
	v_sub_f32_e32 v12, v44, v12
	v_add_f32_e32 v29, v12, v13
	v_frexp_mant_f32_e32 v30, v27
	v_cvt_f64_f32_e32 v[12:13], v27
	v_frexp_exp_i32_f64_e32 v12, v[12:13]
	v_cmp_gt_f32_e32 vcc, s12, v30
	v_cmp_gt_f32_e64 s[60:61], s16, v44
	s_nop 0
	v_subbrev_co_u32_e32 v36, vcc, 0, v12, vcc
	v_sub_u32_e32 v12, 0, v36
	v_ldexp_f32 v13, v27, v12
	v_add_f32_e32 v27, -1.0, v13
	v_add_f32_e32 v30, 1.0, v13
	v_ldexp_f32 v12, v29, v12
	v_add_f32_e32 v29, 1.0, v27
	v_add_f32_e32 v31, -1.0, v30
	v_sub_f32_e32 v29, v13, v29
	v_sub_f32_e32 v13, v13, v31
	v_add_f32_e32 v29, v12, v29
	v_add_f32_e32 v12, v12, v13
	;; [unrolled: 1-line block ×3, first 2 shown]
	v_rcp_f32_e32 v39, v37
	v_sub_f32_e32 v13, v30, v37
	v_add_f32_e32 v38, v12, v13
	v_add_f32_e32 v13, v27, v29
	v_sub_f32_e32 v12, v27, v13
	v_add_f32_e32 v27, v29, v12
	v_mul_f32_e32 v29, v13, v39
	v_mul_f32_e32 v30, v37, v29
	v_fma_f32 v32, v29, v37, -v30
	v_fmac_f32_e32 v32, v29, v38
	v_add_f32_e32 v12, v30, v32
	v_sub_f32_e32 v31, v13, v12
	v_pk_add_f32 v[34:35], v[12:13], v[30:31] neg_lo:[0,1] neg_hi:[0,1]
	v_mov_b32_e32 v33, v12
	v_pk_add_f32 v[12:13], v[34:35], v[32:33] neg_lo:[0,1] neg_hi:[0,1]
	v_cmp_eq_f32_e32 vcc, s11, v44
	v_add_f32_e32 v13, v27, v13
	v_add_f32_e32 v12, v12, v13
	;; [unrolled: 1-line block ×3, first 2 shown]
	v_mul_f32_e32 v27, v39, v13
	v_mul_f32_e32 v30, v37, v27
	v_fma_f32 v32, v27, v37, -v30
	v_fmac_f32_e32 v32, v27, v38
	v_sub_f32_e32 v31, v31, v13
	v_add_f32_e32 v37, v12, v31
	v_add_f32_e32 v12, v30, v32
	v_sub_f32_e32 v31, v13, v12
	v_pk_add_f32 v[34:35], v[12:13], v[30:31] neg_lo:[0,1] neg_hi:[0,1]
	v_mov_b32_e32 v33, v12
	v_pk_add_f32 v[12:13], v[34:35], v[32:33] neg_lo:[0,1] neg_hi:[0,1]
	s_or_b64 vcc, s[60:61], vcc
	v_add_f32_e32 v13, v37, v13
	v_add_f32_e32 v12, v12, v13
	;; [unrolled: 1-line block ×4, first 2 shown]
	v_sub_f32_e32 v29, v13, v29
	v_mul_f32_e32 v12, v39, v12
	v_sub_f32_e32 v27, v27, v29
	v_add_f32_e32 v27, v27, v12
	v_add_f32_e32 v30, v13, v27
	v_mul_f32_e32 v32, v30, v30
	v_fmamk_f32 v12, v32, 0x3e9b6dac, v139
	v_fmaak_f32 v29, v32, v12, 0x3f2aaada
	v_cvt_f32_i32_e32 v12, v36
	v_sub_f32_e32 v13, v30, v13
	v_sub_f32_e32 v13, v27, v13
	v_ldexp_f32 v27, v13, 1
	v_mul_f32_e32 v13, v30, v32
	v_pk_mul_f32 v[32:33], v[12:13], v[28:29]
	v_ldexp_f32 v31, v30, 1
	v_fma_f32 v30, v12, s13, -v32
	v_fmac_f32_e32 v30, 0xb102e308, v12
	v_pk_add_f32 v[12:13], v[32:33], v[30:31]
	v_mov_b32_e32 v34, v32
	v_sub_f32_e32 v29, v13, v31
	v_sub_f32_e32 v29, v33, v29
	v_add_f32_e32 v35, v27, v29
	v_pk_add_f32 v[32:33], v[12:13], v[32:33] neg_lo:[0,1] neg_hi:[0,1]
	v_pk_add_f32 v[36:37], v[12:13], v[34:35]
	v_mov_b32_e32 v31, v12
	v_mov_b32_e32 v33, v37
	v_pk_add_f32 v[38:39], v[30:31], v[32:33] neg_lo:[0,1] neg_hi:[0,1]
	v_pk_add_f32 v[30:31], v[30:31], v[32:33]
	v_mov_b32_e32 v34, v35
	v_mov_b32_e32 v32, v31
	v_pk_add_f32 v[40:41], v[32:33], v[12:13] neg_lo:[0,1] neg_hi:[0,1]
	v_mov_b32_e32 v30, v37
	v_mov_b32_e32 v27, v40
	v_pk_add_f32 v[42:43], v[36:37], v[26:27] neg_lo:[0,1] neg_hi:[0,1]
	v_mov_b32_e32 v36, v13
	v_mov_b32_e32 v37, v40
	;; [unrolled: 1-line block ×3, first 2 shown]
	v_pk_add_f32 v[30:31], v[30:31], v[36:37] neg_lo:[0,1] neg_hi:[0,1]
	v_mov_b32_e32 v35, v12
	v_pk_add_f32 v[12:13], v[34:35], v[30:31] neg_lo:[0,1] neg_hi:[0,1]
	v_mov_b32_e32 v42, v38
	v_pk_add_f32 v[30:31], v[42:43], v[12:13]
	s_nop 0
	v_mov_b32_e32 v34, v31
	v_pk_add_f32 v[34:35], v[30:31], v[34:35]
	s_nop 0
	v_pk_add_f32 v[32:33], v[32:33], v[34:35]
	v_mov_b32_e32 v13, v34
	v_mov_b32_e32 v31, v32
	v_pk_add_f32 v[36:37], v[30:31], v[38:39] neg_lo:[0,1] neg_hi:[0,1]
	s_nop 0
	v_sub_f32_e32 v27, v30, v36
	v_pk_add_f32 v[12:13], v[12:13], v[36:37] neg_lo:[0,1] neg_hi:[0,1]
	v_sub_f32_e32 v27, v38, v27
	v_add_f32_e32 v12, v12, v27
	v_add_f32_e32 v12, v12, v13
	;; [unrolled: 1-line block ×3, first 2 shown]
	v_cndmask_b32_e32 v146, v12, v44, vcc
.LBB120_83:                             ;   in Loop: Header=BB120_13 Depth=1
	s_or_b64 exec, exec, s[4:5]
	v_cvt_f32_f16_e32 v12, v14
	v_readlane_b32 s2, v166, 2
	s_nop 1
	v_add_f32_e32 v147, s2, v12
	v_readlane_b32 s2, v166, 23
	v_cmp_ge_f32_e32 vcc, s6, v147
	v_readlane_b32 s3, v166, 24
	s_and_b64 s[2:3], s[2:3], vcc
	s_and_saveexec_b64 s[4:5], s[2:3]
	s_cbranch_execz .LBB120_85
; %bb.84:                               ;   in Loop: Header=BB120_13 Depth=1
	v_mul_f32_e32 v12, 0x3fb8aa3b, v147
	v_rndne_f32_e32 v13, v12
	v_sub_f32_e32 v27, v12, v13
	v_fma_f32 v12, v147, s8, -v12
	v_fmac_f32_e32 v12, 0x32a5705f, v147
	v_add_f32_e32 v12, v27, v12
	v_cvt_i32_f32_e32 v13, v13
	v_exp_f32_e32 v12, v12
	v_cmp_ngt_f32_e32 vcc, s9, v147
	v_ldexp_f32 v12, v12, v13
	s_nop 0
	v_cndmask_b32_e32 v12, 0, v12, vcc
	v_cmp_nlt_f32_e32 vcc, s10, v147
	s_nop 1
	v_cndmask_b32_e32 v44, v140, v12, vcc
	v_add_f32_e32 v27, 1.0, v44
	v_add_f32_e32 v12, -1.0, v27
	v_sub_f32_e32 v13, v12, v27
	v_add_f32_e32 v13, 1.0, v13
	v_sub_f32_e32 v12, v44, v12
	v_add_f32_e32 v29, v12, v13
	v_frexp_mant_f32_e32 v30, v27
	v_cvt_f64_f32_e32 v[12:13], v27
	v_frexp_exp_i32_f64_e32 v12, v[12:13]
	v_cmp_gt_f32_e32 vcc, s12, v30
	v_cmp_gt_f32_e64 s[60:61], s16, v44
	s_nop 0
	v_subbrev_co_u32_e32 v36, vcc, 0, v12, vcc
	v_sub_u32_e32 v12, 0, v36
	v_ldexp_f32 v13, v27, v12
	v_add_f32_e32 v27, -1.0, v13
	v_add_f32_e32 v30, 1.0, v13
	v_ldexp_f32 v12, v29, v12
	v_add_f32_e32 v29, 1.0, v27
	v_add_f32_e32 v31, -1.0, v30
	v_sub_f32_e32 v29, v13, v29
	v_sub_f32_e32 v13, v13, v31
	v_add_f32_e32 v29, v12, v29
	v_add_f32_e32 v12, v12, v13
	;; [unrolled: 1-line block ×3, first 2 shown]
	v_rcp_f32_e32 v39, v37
	v_sub_f32_e32 v13, v30, v37
	v_add_f32_e32 v38, v12, v13
	v_add_f32_e32 v13, v27, v29
	v_sub_f32_e32 v12, v27, v13
	v_add_f32_e32 v27, v29, v12
	v_mul_f32_e32 v29, v13, v39
	v_mul_f32_e32 v30, v37, v29
	v_fma_f32 v32, v29, v37, -v30
	v_fmac_f32_e32 v32, v29, v38
	v_add_f32_e32 v12, v30, v32
	v_sub_f32_e32 v31, v13, v12
	v_pk_add_f32 v[34:35], v[12:13], v[30:31] neg_lo:[0,1] neg_hi:[0,1]
	v_mov_b32_e32 v33, v12
	v_pk_add_f32 v[12:13], v[34:35], v[32:33] neg_lo:[0,1] neg_hi:[0,1]
	v_cmp_eq_f32_e32 vcc, s11, v44
	v_add_f32_e32 v13, v27, v13
	v_add_f32_e32 v12, v12, v13
	;; [unrolled: 1-line block ×3, first 2 shown]
	v_mul_f32_e32 v27, v39, v13
	v_mul_f32_e32 v30, v37, v27
	v_fma_f32 v32, v27, v37, -v30
	v_fmac_f32_e32 v32, v27, v38
	v_sub_f32_e32 v31, v31, v13
	v_add_f32_e32 v37, v12, v31
	v_add_f32_e32 v12, v30, v32
	v_sub_f32_e32 v31, v13, v12
	v_pk_add_f32 v[34:35], v[12:13], v[30:31] neg_lo:[0,1] neg_hi:[0,1]
	v_mov_b32_e32 v33, v12
	v_pk_add_f32 v[12:13], v[34:35], v[32:33] neg_lo:[0,1] neg_hi:[0,1]
	s_or_b64 vcc, s[60:61], vcc
	v_add_f32_e32 v13, v37, v13
	v_add_f32_e32 v12, v12, v13
	v_add_f32_e32 v13, v29, v27
	v_add_f32_e32 v12, v31, v12
	v_sub_f32_e32 v29, v13, v29
	v_mul_f32_e32 v12, v39, v12
	v_sub_f32_e32 v27, v27, v29
	v_add_f32_e32 v27, v27, v12
	v_add_f32_e32 v30, v13, v27
	v_mul_f32_e32 v32, v30, v30
	v_fmamk_f32 v12, v32, 0x3e9b6dac, v139
	v_fmaak_f32 v29, v32, v12, 0x3f2aaada
	v_cvt_f32_i32_e32 v12, v36
	v_sub_f32_e32 v13, v30, v13
	v_sub_f32_e32 v13, v27, v13
	v_ldexp_f32 v27, v13, 1
	v_mul_f32_e32 v13, v30, v32
	v_pk_mul_f32 v[32:33], v[12:13], v[28:29]
	v_ldexp_f32 v31, v30, 1
	v_fma_f32 v30, v12, s13, -v32
	v_fmac_f32_e32 v30, 0xb102e308, v12
	v_pk_add_f32 v[12:13], v[32:33], v[30:31]
	v_mov_b32_e32 v34, v32
	v_sub_f32_e32 v29, v13, v31
	v_sub_f32_e32 v29, v33, v29
	v_add_f32_e32 v35, v27, v29
	v_pk_add_f32 v[32:33], v[12:13], v[32:33] neg_lo:[0,1] neg_hi:[0,1]
	v_pk_add_f32 v[36:37], v[12:13], v[34:35]
	v_mov_b32_e32 v31, v12
	v_mov_b32_e32 v33, v37
	v_pk_add_f32 v[38:39], v[30:31], v[32:33] neg_lo:[0,1] neg_hi:[0,1]
	v_pk_add_f32 v[30:31], v[30:31], v[32:33]
	v_mov_b32_e32 v34, v35
	v_mov_b32_e32 v32, v31
	v_pk_add_f32 v[40:41], v[32:33], v[12:13] neg_lo:[0,1] neg_hi:[0,1]
	v_mov_b32_e32 v30, v37
	v_mov_b32_e32 v27, v40
	v_pk_add_f32 v[42:43], v[36:37], v[26:27] neg_lo:[0,1] neg_hi:[0,1]
	v_mov_b32_e32 v36, v13
	v_mov_b32_e32 v37, v40
	;; [unrolled: 1-line block ×3, first 2 shown]
	v_pk_add_f32 v[30:31], v[30:31], v[36:37] neg_lo:[0,1] neg_hi:[0,1]
	v_mov_b32_e32 v35, v12
	v_pk_add_f32 v[12:13], v[34:35], v[30:31] neg_lo:[0,1] neg_hi:[0,1]
	v_mov_b32_e32 v42, v38
	v_pk_add_f32 v[30:31], v[42:43], v[12:13]
	s_nop 0
	v_mov_b32_e32 v34, v31
	v_pk_add_f32 v[34:35], v[30:31], v[34:35]
	s_nop 0
	v_pk_add_f32 v[32:33], v[32:33], v[34:35]
	v_mov_b32_e32 v13, v34
	v_mov_b32_e32 v31, v32
	v_pk_add_f32 v[36:37], v[30:31], v[38:39] neg_lo:[0,1] neg_hi:[0,1]
	s_nop 0
	v_sub_f32_e32 v27, v30, v36
	v_pk_add_f32 v[12:13], v[12:13], v[36:37] neg_lo:[0,1] neg_hi:[0,1]
	v_sub_f32_e32 v27, v38, v27
	v_add_f32_e32 v12, v12, v27
	v_add_f32_e32 v12, v12, v13
	;; [unrolled: 1-line block ×3, first 2 shown]
	v_cndmask_b32_e32 v147, v12, v44, vcc
.LBB120_85:                             ;   in Loop: Header=BB120_13 Depth=1
	s_or_b64 exec, exec, s[4:5]
	v_cvt_f32_f16_sdwa v12, v14 dst_sel:DWORD dst_unused:UNUSED_PAD src0_sel:WORD_1
	v_readlane_b32 s2, v166, 2
	s_nop 1
	v_add_f32_e32 v148, s2, v12
	v_readlane_b32 s2, v166, 23
	v_cmp_ge_f32_e32 vcc, s6, v148
	v_readlane_b32 s3, v166, 24
	s_and_b64 s[2:3], s[2:3], vcc
	s_and_saveexec_b64 s[4:5], s[2:3]
	s_cbranch_execz .LBB120_87
; %bb.86:                               ;   in Loop: Header=BB120_13 Depth=1
	v_mul_f32_e32 v12, 0x3fb8aa3b, v148
	v_rndne_f32_e32 v13, v12
	v_sub_f32_e32 v14, v12, v13
	v_fma_f32 v12, v148, s8, -v12
	v_fmac_f32_e32 v12, 0x32a5705f, v148
	v_add_f32_e32 v12, v14, v12
	v_cvt_i32_f32_e32 v13, v13
	v_exp_f32_e32 v12, v12
	v_cmp_ngt_f32_e32 vcc, s9, v148
	v_ldexp_f32 v12, v12, v13
	s_nop 0
	v_cndmask_b32_e32 v12, 0, v12, vcc
	v_cmp_nlt_f32_e32 vcc, s10, v148
	s_nop 1
	v_cndmask_b32_e32 v42, v140, v12, vcc
	v_add_f32_e32 v14, 1.0, v42
	v_add_f32_e32 v12, -1.0, v14
	v_sub_f32_e32 v13, v12, v14
	v_add_f32_e32 v13, 1.0, v13
	v_sub_f32_e32 v12, v42, v12
	v_add_f32_e32 v27, v12, v13
	v_frexp_mant_f32_e32 v29, v14
	v_cvt_f64_f32_e32 v[12:13], v14
	v_frexp_exp_i32_f64_e32 v12, v[12:13]
	v_cmp_gt_f32_e32 vcc, s12, v29
	v_cmp_gt_f32_e64 s[60:61], s16, v42
	s_nop 0
	v_subbrev_co_u32_e32 v36, vcc, 0, v12, vcc
	v_sub_u32_e32 v12, 0, v36
	v_ldexp_f32 v13, v14, v12
	v_add_f32_e32 v14, -1.0, v13
	v_add_f32_e32 v29, 1.0, v13
	v_ldexp_f32 v12, v27, v12
	v_add_f32_e32 v27, 1.0, v14
	v_add_f32_e32 v30, -1.0, v29
	v_sub_f32_e32 v27, v13, v27
	v_sub_f32_e32 v13, v13, v30
	v_add_f32_e32 v27, v12, v27
	v_add_f32_e32 v12, v12, v13
	;; [unrolled: 1-line block ×3, first 2 shown]
	v_rcp_f32_e32 v38, v37
	v_sub_f32_e32 v13, v29, v37
	v_add_f32_e32 v29, v12, v13
	v_add_f32_e32 v13, v14, v27
	v_sub_f32_e32 v12, v14, v13
	v_add_f32_e32 v14, v27, v12
	v_mul_f32_e32 v27, v13, v38
	v_mul_f32_e32 v30, v37, v27
	v_fma_f32 v32, v27, v37, -v30
	v_fmac_f32_e32 v32, v27, v29
	v_add_f32_e32 v12, v30, v32
	v_sub_f32_e32 v31, v13, v12
	v_pk_add_f32 v[34:35], v[12:13], v[30:31] neg_lo:[0,1] neg_hi:[0,1]
	v_mov_b32_e32 v33, v12
	v_pk_add_f32 v[12:13], v[34:35], v[32:33] neg_lo:[0,1] neg_hi:[0,1]
	v_cmp_eq_f32_e32 vcc, s11, v42
	v_add_f32_e32 v13, v14, v13
	v_add_f32_e32 v12, v12, v13
	;; [unrolled: 1-line block ×3, first 2 shown]
	v_mul_f32_e32 v14, v38, v13
	v_mul_f32_e32 v30, v37, v14
	v_fma_f32 v32, v14, v37, -v30
	v_fmac_f32_e32 v32, v14, v29
	v_sub_f32_e32 v29, v31, v13
	v_add_f32_e32 v29, v12, v29
	v_add_f32_e32 v12, v30, v32
	v_sub_f32_e32 v31, v13, v12
	v_pk_add_f32 v[34:35], v[12:13], v[30:31] neg_lo:[0,1] neg_hi:[0,1]
	v_mov_b32_e32 v33, v12
	v_pk_add_f32 v[12:13], v[34:35], v[32:33] neg_lo:[0,1] neg_hi:[0,1]
	s_or_b64 vcc, s[60:61], vcc
	v_add_f32_e32 v13, v29, v13
	v_add_f32_e32 v12, v12, v13
	v_add_f32_e32 v13, v27, v14
	v_add_f32_e32 v12, v31, v12
	v_sub_f32_e32 v27, v13, v27
	v_mul_f32_e32 v12, v38, v12
	v_sub_f32_e32 v14, v14, v27
	v_add_f32_e32 v14, v14, v12
	v_add_f32_e32 v27, v13, v14
	v_mul_f32_e32 v30, v27, v27
	v_fmamk_f32 v12, v30, 0x3e9b6dac, v139
	v_fmaak_f32 v29, v30, v12, 0x3f2aaada
	v_cvt_f32_i32_e32 v12, v36
	v_sub_f32_e32 v13, v27, v13
	v_sub_f32_e32 v13, v14, v13
	v_ldexp_f32 v14, v13, 1
	v_mul_f32_e32 v13, v27, v30
	v_pk_mul_f32 v[32:33], v[12:13], v[28:29]
	v_ldexp_f32 v31, v27, 1
	v_fma_f32 v30, v12, s13, -v32
	v_fmac_f32_e32 v30, 0xb102e308, v12
	v_pk_add_f32 v[12:13], v[32:33], v[30:31]
	v_mov_b32_e32 v34, v32
	v_sub_f32_e32 v27, v13, v31
	v_sub_f32_e32 v27, v33, v27
	v_add_f32_e32 v35, v14, v27
	v_pk_add_f32 v[32:33], v[12:13], v[32:33] neg_lo:[0,1] neg_hi:[0,1]
	v_pk_add_f32 v[36:37], v[12:13], v[34:35]
	v_mov_b32_e32 v31, v12
	v_mov_b32_e32 v33, v37
	v_pk_add_f32 v[38:39], v[30:31], v[32:33] neg_lo:[0,1] neg_hi:[0,1]
	v_pk_add_f32 v[30:31], v[30:31], v[32:33]
	s_nop 0
	v_mov_b32_e32 v14, v31
	v_pk_add_f32 v[32:33], v[14:15], v[12:13] neg_lo:[0,1] neg_hi:[0,1]
	v_mov_b32_e32 v30, v37
	v_mov_b32_e32 v27, v32
	v_pk_add_f32 v[40:41], v[36:37], v[26:27] neg_lo:[0,1] neg_hi:[0,1]
	v_mov_b32_e32 v36, v13
	v_mov_b32_e32 v37, v32
	;; [unrolled: 1-line block ×3, first 2 shown]
	v_pk_add_f32 v[30:31], v[30:31], v[36:37] neg_lo:[0,1] neg_hi:[0,1]
	v_mov_b32_e32 v32, v35
	v_mov_b32_e32 v33, v12
	v_pk_add_f32 v[12:13], v[32:33], v[30:31] neg_lo:[0,1] neg_hi:[0,1]
	v_mov_b32_e32 v40, v38
	v_pk_add_f32 v[30:31], v[40:41], v[12:13]
	s_nop 0
	v_mov_b32_e32 v32, v31
	v_pk_add_f32 v[32:33], v[30:31], v[32:33]
	s_nop 0
	v_pk_add_f32 v[34:35], v[14:15], v[32:33]
	v_mov_b32_e32 v13, v32
	v_mov_b32_e32 v31, v34
	v_pk_add_f32 v[36:37], v[30:31], v[38:39] neg_lo:[0,1] neg_hi:[0,1]
	s_nop 0
	v_sub_f32_e32 v14, v30, v36
	v_pk_add_f32 v[12:13], v[12:13], v[36:37] neg_lo:[0,1] neg_hi:[0,1]
	v_sub_f32_e32 v14, v38, v14
	v_add_f32_e32 v12, v12, v14
	v_add_f32_e32 v12, v12, v13
	;; [unrolled: 1-line block ×3, first 2 shown]
	v_cndmask_b32_e32 v148, v12, v42, vcc
.LBB120_87:                             ;   in Loop: Header=BB120_13 Depth=1
	s_or_b64 exec, exec, s[4:5]
	v_cvt_f32_f16_e32 v12, v15
	v_readlane_b32 s2, v166, 2
	s_nop 1
	v_add_f32_e32 v149, s2, v12
	v_readlane_b32 s2, v166, 23
	v_cmp_ge_f32_e32 vcc, s6, v149
	v_readlane_b32 s3, v166, 24
	s_and_b64 s[2:3], s[2:3], vcc
	s_and_saveexec_b64 s[4:5], s[2:3]
	s_cbranch_execz .LBB120_89
; %bb.88:                               ;   in Loop: Header=BB120_13 Depth=1
	v_mul_f32_e32 v12, 0x3fb8aa3b, v149
	v_rndne_f32_e32 v13, v12
	v_sub_f32_e32 v14, v12, v13
	v_fma_f32 v12, v149, s8, -v12
	v_fmac_f32_e32 v12, 0x32a5705f, v149
	v_add_f32_e32 v12, v14, v12
	v_cvt_i32_f32_e32 v13, v13
	v_exp_f32_e32 v12, v12
	v_cmp_ngt_f32_e32 vcc, s9, v149
	v_ldexp_f32 v12, v12, v13
	s_nop 0
	v_cndmask_b32_e32 v12, 0, v12, vcc
	v_cmp_nlt_f32_e32 vcc, s10, v149
	s_nop 1
	v_cndmask_b32_e32 v42, v140, v12, vcc
	v_add_f32_e32 v14, 1.0, v42
	v_add_f32_e32 v12, -1.0, v14
	v_sub_f32_e32 v13, v12, v14
	v_add_f32_e32 v13, 1.0, v13
	v_sub_f32_e32 v12, v42, v12
	v_add_f32_e32 v27, v12, v13
	v_frexp_mant_f32_e32 v29, v14
	v_cvt_f64_f32_e32 v[12:13], v14
	v_frexp_exp_i32_f64_e32 v12, v[12:13]
	v_cmp_gt_f32_e32 vcc, s12, v29
	v_cmp_gt_f32_e64 s[60:61], s16, v42
	s_nop 0
	v_subbrev_co_u32_e32 v36, vcc, 0, v12, vcc
	v_sub_u32_e32 v12, 0, v36
	v_ldexp_f32 v13, v14, v12
	v_add_f32_e32 v14, -1.0, v13
	v_add_f32_e32 v29, 1.0, v13
	v_ldexp_f32 v12, v27, v12
	v_add_f32_e32 v27, 1.0, v14
	v_add_f32_e32 v30, -1.0, v29
	v_sub_f32_e32 v27, v13, v27
	v_sub_f32_e32 v13, v13, v30
	v_add_f32_e32 v27, v12, v27
	v_add_f32_e32 v12, v12, v13
	;; [unrolled: 1-line block ×3, first 2 shown]
	v_rcp_f32_e32 v38, v37
	v_sub_f32_e32 v13, v29, v37
	v_add_f32_e32 v29, v12, v13
	v_add_f32_e32 v13, v14, v27
	v_sub_f32_e32 v12, v14, v13
	v_add_f32_e32 v14, v27, v12
	v_mul_f32_e32 v27, v13, v38
	v_mul_f32_e32 v30, v37, v27
	v_fma_f32 v32, v27, v37, -v30
	v_fmac_f32_e32 v32, v27, v29
	v_add_f32_e32 v12, v30, v32
	v_sub_f32_e32 v31, v13, v12
	v_pk_add_f32 v[34:35], v[12:13], v[30:31] neg_lo:[0,1] neg_hi:[0,1]
	v_mov_b32_e32 v33, v12
	v_pk_add_f32 v[12:13], v[34:35], v[32:33] neg_lo:[0,1] neg_hi:[0,1]
	v_cmp_eq_f32_e32 vcc, s11, v42
	v_add_f32_e32 v13, v14, v13
	v_add_f32_e32 v12, v12, v13
	;; [unrolled: 1-line block ×3, first 2 shown]
	v_mul_f32_e32 v14, v38, v13
	v_mul_f32_e32 v30, v37, v14
	v_fma_f32 v32, v14, v37, -v30
	v_fmac_f32_e32 v32, v14, v29
	v_sub_f32_e32 v29, v31, v13
	v_add_f32_e32 v29, v12, v29
	v_add_f32_e32 v12, v30, v32
	v_sub_f32_e32 v31, v13, v12
	v_pk_add_f32 v[34:35], v[12:13], v[30:31] neg_lo:[0,1] neg_hi:[0,1]
	v_mov_b32_e32 v33, v12
	v_pk_add_f32 v[12:13], v[34:35], v[32:33] neg_lo:[0,1] neg_hi:[0,1]
	s_or_b64 vcc, s[60:61], vcc
	v_add_f32_e32 v13, v29, v13
	v_add_f32_e32 v12, v12, v13
	v_add_f32_e32 v13, v27, v14
	v_add_f32_e32 v12, v31, v12
	v_sub_f32_e32 v27, v13, v27
	v_mul_f32_e32 v12, v38, v12
	v_sub_f32_e32 v14, v14, v27
	v_add_f32_e32 v14, v14, v12
	v_add_f32_e32 v27, v13, v14
	v_mul_f32_e32 v30, v27, v27
	v_fmamk_f32 v12, v30, 0x3e9b6dac, v139
	v_fmaak_f32 v29, v30, v12, 0x3f2aaada
	v_cvt_f32_i32_e32 v12, v36
	v_sub_f32_e32 v13, v27, v13
	v_sub_f32_e32 v13, v14, v13
	v_ldexp_f32 v14, v13, 1
	v_mul_f32_e32 v13, v27, v30
	v_pk_mul_f32 v[32:33], v[12:13], v[28:29]
	v_ldexp_f32 v31, v27, 1
	v_fma_f32 v30, v12, s13, -v32
	v_fmac_f32_e32 v30, 0xb102e308, v12
	v_pk_add_f32 v[12:13], v[32:33], v[30:31]
	v_mov_b32_e32 v34, v32
	v_sub_f32_e32 v27, v13, v31
	v_sub_f32_e32 v27, v33, v27
	v_add_f32_e32 v35, v14, v27
	v_pk_add_f32 v[32:33], v[12:13], v[32:33] neg_lo:[0,1] neg_hi:[0,1]
	v_pk_add_f32 v[36:37], v[12:13], v[34:35]
	v_mov_b32_e32 v31, v12
	v_mov_b32_e32 v33, v37
	v_pk_add_f32 v[38:39], v[30:31], v[32:33] neg_lo:[0,1] neg_hi:[0,1]
	v_pk_add_f32 v[30:31], v[30:31], v[32:33]
	s_nop 0
	v_mov_b32_e32 v14, v31
	v_pk_add_f32 v[32:33], v[14:15], v[12:13] neg_lo:[0,1] neg_hi:[0,1]
	v_mov_b32_e32 v30, v37
	v_mov_b32_e32 v27, v32
	v_pk_add_f32 v[40:41], v[36:37], v[26:27] neg_lo:[0,1] neg_hi:[0,1]
	v_mov_b32_e32 v36, v13
	v_mov_b32_e32 v37, v32
	v_mov_b32_e32 v39, v31
	v_pk_add_f32 v[30:31], v[30:31], v[36:37] neg_lo:[0,1] neg_hi:[0,1]
	v_mov_b32_e32 v32, v35
	v_mov_b32_e32 v33, v12
	v_pk_add_f32 v[12:13], v[32:33], v[30:31] neg_lo:[0,1] neg_hi:[0,1]
	v_mov_b32_e32 v40, v38
	v_pk_add_f32 v[30:31], v[40:41], v[12:13]
	s_nop 0
	v_mov_b32_e32 v32, v31
	v_pk_add_f32 v[32:33], v[30:31], v[32:33]
	s_nop 0
	v_pk_add_f32 v[34:35], v[14:15], v[32:33]
	v_mov_b32_e32 v13, v32
	v_mov_b32_e32 v31, v34
	v_pk_add_f32 v[36:37], v[30:31], v[38:39] neg_lo:[0,1] neg_hi:[0,1]
	s_nop 0
	v_sub_f32_e32 v14, v30, v36
	v_pk_add_f32 v[12:13], v[12:13], v[36:37] neg_lo:[0,1] neg_hi:[0,1]
	v_sub_f32_e32 v14, v38, v14
	v_add_f32_e32 v12, v12, v14
	v_add_f32_e32 v12, v12, v13
	;; [unrolled: 1-line block ×3, first 2 shown]
	v_cndmask_b32_e32 v149, v12, v42, vcc
.LBB120_89:                             ;   in Loop: Header=BB120_13 Depth=1
	s_or_b64 exec, exec, s[4:5]
	v_cvt_f32_f16_sdwa v12, v15 dst_sel:DWORD dst_unused:UNUSED_PAD src0_sel:WORD_1
	v_readlane_b32 s2, v166, 2
	s_nop 1
	v_add_f32_e32 v150, s2, v12
	v_readlane_b32 s2, v166, 23
	v_cmp_ge_f32_e32 vcc, s6, v150
	v_readlane_b32 s3, v166, 24
	s_and_b64 s[2:3], s[2:3], vcc
	s_and_saveexec_b64 s[4:5], s[2:3]
	s_cbranch_execz .LBB120_91
; %bb.90:                               ;   in Loop: Header=BB120_13 Depth=1
	v_mul_f32_e32 v12, 0x3fb8aa3b, v150
	v_rndne_f32_e32 v13, v12
	v_sub_f32_e32 v14, v12, v13
	v_fma_f32 v12, v150, s8, -v12
	v_fmac_f32_e32 v12, 0x32a5705f, v150
	v_add_f32_e32 v12, v14, v12
	v_cvt_i32_f32_e32 v13, v13
	v_exp_f32_e32 v12, v12
	v_cmp_ngt_f32_e32 vcc, s9, v150
	v_ldexp_f32 v12, v12, v13
	s_nop 0
	v_cndmask_b32_e32 v12, 0, v12, vcc
	v_cmp_nlt_f32_e32 vcc, s10, v150
	s_nop 1
	v_cndmask_b32_e32 v42, v140, v12, vcc
	v_add_f32_e32 v14, 1.0, v42
	v_add_f32_e32 v12, -1.0, v14
	v_sub_f32_e32 v13, v12, v14
	v_add_f32_e32 v13, 1.0, v13
	v_sub_f32_e32 v12, v42, v12
	v_add_f32_e32 v15, v12, v13
	v_frexp_mant_f32_e32 v27, v14
	v_cvt_f64_f32_e32 v[12:13], v14
	v_frexp_exp_i32_f64_e32 v12, v[12:13]
	v_cmp_gt_f32_e32 vcc, s12, v27
	v_cmp_gt_f32_e64 s[60:61], s16, v42
	s_nop 0
	v_subbrev_co_u32_e32 v27, vcc, 0, v12, vcc
	v_sub_u32_e32 v12, 0, v27
	v_ldexp_f32 v13, v14, v12
	v_add_f32_e32 v14, -1.0, v13
	v_add_f32_e32 v29, 1.0, v13
	v_ldexp_f32 v12, v15, v12
	v_add_f32_e32 v15, 1.0, v14
	v_add_f32_e32 v30, -1.0, v29
	v_sub_f32_e32 v15, v13, v15
	v_sub_f32_e32 v13, v13, v30
	v_add_f32_e32 v15, v12, v15
	v_add_f32_e32 v12, v12, v13
	;; [unrolled: 1-line block ×3, first 2 shown]
	v_rcp_f32_e32 v35, v34
	v_sub_f32_e32 v13, v29, v34
	v_add_f32_e32 v29, v12, v13
	v_add_f32_e32 v13, v14, v15
	v_mul_f32_e32 v37, v13, v35
	v_sub_f32_e32 v12, v14, v13
	v_mul_f32_e32 v14, v34, v37
	v_fma_f32 v30, v37, v34, -v14
	v_fmac_f32_e32 v30, v37, v29
	v_add_f32_e32 v36, v15, v12
	v_add_f32_e32 v12, v14, v30
	v_sub_f32_e32 v15, v13, v12
	v_pk_add_f32 v[32:33], v[12:13], v[14:15] neg_lo:[0,1] neg_hi:[0,1]
	v_mov_b32_e32 v31, v12
	v_pk_add_f32 v[12:13], v[32:33], v[30:31] neg_lo:[0,1] neg_hi:[0,1]
	v_cmp_eq_f32_e32 vcc, s11, v42
	v_add_f32_e32 v13, v36, v13
	v_add_f32_e32 v12, v12, v13
	v_add_f32_e32 v13, v15, v12
	v_mul_f32_e32 v36, v35, v13
	v_mul_f32_e32 v14, v34, v36
	v_fma_f32 v30, v36, v34, -v14
	v_fmac_f32_e32 v30, v36, v29
	v_sub_f32_e32 v15, v15, v13
	v_add_f32_e32 v29, v12, v15
	v_add_f32_e32 v12, v14, v30
	v_sub_f32_e32 v15, v13, v12
	v_pk_add_f32 v[32:33], v[12:13], v[14:15] neg_lo:[0,1] neg_hi:[0,1]
	v_mov_b32_e32 v31, v12
	v_pk_add_f32 v[12:13], v[32:33], v[30:31] neg_lo:[0,1] neg_hi:[0,1]
	s_or_b64 vcc, s[60:61], vcc
	v_add_f32_e32 v13, v29, v13
	v_add_f32_e32 v12, v12, v13
	;; [unrolled: 1-line block ×4, first 2 shown]
	v_sub_f32_e32 v14, v13, v37
	v_mul_f32_e32 v12, v35, v12
	v_sub_f32_e32 v14, v36, v14
	v_add_f32_e32 v14, v14, v12
	v_add_f32_e32 v30, v13, v14
	v_mul_f32_e32 v31, v30, v30
	v_fmamk_f32 v12, v31, 0x3e9b6dac, v139
	v_fmaak_f32 v29, v31, v12, 0x3f2aaada
	v_cvt_f32_i32_e32 v12, v27
	v_sub_f32_e32 v13, v30, v13
	v_sub_f32_e32 v13, v14, v13
	v_ldexp_f32 v27, v13, 1
	v_mul_f32_e32 v13, v30, v31
	v_ldexp_f32 v15, v30, 1
	v_pk_mul_f32 v[30:31], v[12:13], v[28:29]
	s_nop 0
	v_fma_f32 v14, v12, s13, -v30
	v_fmac_f32_e32 v14, 0xb102e308, v12
	v_pk_add_f32 v[12:13], v[30:31], v[14:15]
	v_mov_b32_e32 v32, v30
	v_sub_f32_e32 v15, v13, v15
	v_sub_f32_e32 v15, v31, v15
	v_add_f32_e32 v33, v27, v15
	v_pk_add_f32 v[30:31], v[12:13], v[30:31] neg_lo:[0,1] neg_hi:[0,1]
	v_pk_add_f32 v[34:35], v[12:13], v[32:33]
	v_mov_b32_e32 v15, v12
	v_mov_b32_e32 v31, v35
	v_pk_add_f32 v[36:37], v[14:15], v[30:31] neg_lo:[0,1] neg_hi:[0,1]
	v_pk_add_f32 v[14:15], v[14:15], v[30:31]
	v_mov_b32_e32 v32, v33
	v_mov_b32_e32 v30, v15
	v_pk_add_f32 v[38:39], v[30:31], v[12:13] neg_lo:[0,1] neg_hi:[0,1]
	v_mov_b32_e32 v14, v35
	v_mov_b32_e32 v27, v38
	v_pk_add_f32 v[40:41], v[34:35], v[26:27] neg_lo:[0,1] neg_hi:[0,1]
	v_mov_b32_e32 v34, v13
	v_mov_b32_e32 v35, v38
	;; [unrolled: 1-line block ×3, first 2 shown]
	v_pk_add_f32 v[14:15], v[14:15], v[34:35] neg_lo:[0,1] neg_hi:[0,1]
	v_mov_b32_e32 v33, v12
	v_pk_add_f32 v[12:13], v[32:33], v[14:15] neg_lo:[0,1] neg_hi:[0,1]
	v_mov_b32_e32 v40, v36
	v_pk_add_f32 v[14:15], v[40:41], v[12:13]
	s_nop 0
	v_mov_b32_e32 v32, v15
	v_pk_add_f32 v[32:33], v[14:15], v[32:33]
	s_nop 0
	v_pk_add_f32 v[30:31], v[30:31], v[32:33]
	v_mov_b32_e32 v13, v32
	v_mov_b32_e32 v15, v30
	v_pk_add_f32 v[34:35], v[14:15], v[36:37] neg_lo:[0,1] neg_hi:[0,1]
	s_nop 0
	v_sub_f32_e32 v14, v14, v34
	v_pk_add_f32 v[12:13], v[12:13], v[34:35] neg_lo:[0,1] neg_hi:[0,1]
	v_sub_f32_e32 v14, v36, v14
	v_add_f32_e32 v12, v12, v14
	v_add_f32_e32 v12, v12, v13
	;; [unrolled: 1-line block ×3, first 2 shown]
	v_cndmask_b32_e32 v150, v12, v42, vcc
.LBB120_91:                             ;   in Loop: Header=BB120_13 Depth=1
	s_or_b64 exec, exec, s[4:5]
	s_waitcnt lgkmcnt(0)
	v_cvt_f32_f16_e32 v12, v8
	v_readlane_b32 s2, v166, 2
	s_nop 1
	v_add_f32_e32 v151, s2, v12
	v_readlane_b32 s2, v166, 23
	v_cmp_ge_f32_e32 vcc, s6, v151
	v_readlane_b32 s3, v166, 24
	s_and_b64 s[2:3], s[2:3], vcc
	s_and_saveexec_b64 s[4:5], s[2:3]
	s_cbranch_execz .LBB120_93
; %bb.92:                               ;   in Loop: Header=BB120_13 Depth=1
	v_mul_f32_e32 v12, 0x3fb8aa3b, v151
	v_rndne_f32_e32 v13, v12
	v_sub_f32_e32 v14, v12, v13
	v_fma_f32 v12, v151, s8, -v12
	v_fmac_f32_e32 v12, 0x32a5705f, v151
	v_add_f32_e32 v12, v14, v12
	v_cvt_i32_f32_e32 v13, v13
	v_exp_f32_e32 v12, v12
	v_cmp_ngt_f32_e32 vcc, s9, v151
	v_ldexp_f32 v12, v12, v13
	s_nop 0
	v_cndmask_b32_e32 v12, 0, v12, vcc
	v_cmp_nlt_f32_e32 vcc, s10, v151
	s_nop 1
	v_cndmask_b32_e32 v42, v140, v12, vcc
	v_add_f32_e32 v14, 1.0, v42
	v_add_f32_e32 v12, -1.0, v14
	v_sub_f32_e32 v13, v12, v14
	v_add_f32_e32 v13, 1.0, v13
	v_sub_f32_e32 v12, v42, v12
	v_add_f32_e32 v15, v12, v13
	v_frexp_mant_f32_e32 v27, v14
	v_cvt_f64_f32_e32 v[12:13], v14
	v_frexp_exp_i32_f64_e32 v12, v[12:13]
	v_cmp_gt_f32_e32 vcc, s12, v27
	v_cmp_gt_f32_e64 s[60:61], s16, v42
	s_nop 0
	v_subbrev_co_u32_e32 v27, vcc, 0, v12, vcc
	v_sub_u32_e32 v12, 0, v27
	v_ldexp_f32 v13, v14, v12
	v_add_f32_e32 v14, -1.0, v13
	v_add_f32_e32 v29, 1.0, v13
	v_ldexp_f32 v12, v15, v12
	v_add_f32_e32 v15, 1.0, v14
	v_add_f32_e32 v30, -1.0, v29
	v_sub_f32_e32 v15, v13, v15
	v_sub_f32_e32 v13, v13, v30
	v_add_f32_e32 v15, v12, v15
	v_add_f32_e32 v12, v12, v13
	;; [unrolled: 1-line block ×3, first 2 shown]
	v_rcp_f32_e32 v35, v34
	v_sub_f32_e32 v13, v29, v34
	v_add_f32_e32 v29, v12, v13
	v_add_f32_e32 v13, v14, v15
	v_mul_f32_e32 v37, v13, v35
	v_sub_f32_e32 v12, v14, v13
	v_mul_f32_e32 v14, v34, v37
	v_fma_f32 v30, v37, v34, -v14
	v_fmac_f32_e32 v30, v37, v29
	v_add_f32_e32 v36, v15, v12
	v_add_f32_e32 v12, v14, v30
	v_sub_f32_e32 v15, v13, v12
	v_pk_add_f32 v[32:33], v[12:13], v[14:15] neg_lo:[0,1] neg_hi:[0,1]
	v_mov_b32_e32 v31, v12
	v_pk_add_f32 v[12:13], v[32:33], v[30:31] neg_lo:[0,1] neg_hi:[0,1]
	v_cmp_eq_f32_e32 vcc, s11, v42
	v_add_f32_e32 v13, v36, v13
	v_add_f32_e32 v12, v12, v13
	;; [unrolled: 1-line block ×3, first 2 shown]
	v_mul_f32_e32 v36, v35, v13
	v_mul_f32_e32 v14, v34, v36
	v_fma_f32 v30, v36, v34, -v14
	v_fmac_f32_e32 v30, v36, v29
	v_sub_f32_e32 v15, v15, v13
	v_add_f32_e32 v29, v12, v15
	v_add_f32_e32 v12, v14, v30
	v_sub_f32_e32 v15, v13, v12
	v_pk_add_f32 v[32:33], v[12:13], v[14:15] neg_lo:[0,1] neg_hi:[0,1]
	v_mov_b32_e32 v31, v12
	v_pk_add_f32 v[12:13], v[32:33], v[30:31] neg_lo:[0,1] neg_hi:[0,1]
	s_or_b64 vcc, s[60:61], vcc
	v_add_f32_e32 v13, v29, v13
	v_add_f32_e32 v12, v12, v13
	;; [unrolled: 1-line block ×4, first 2 shown]
	v_sub_f32_e32 v14, v13, v37
	v_mul_f32_e32 v12, v35, v12
	v_sub_f32_e32 v14, v36, v14
	v_add_f32_e32 v14, v14, v12
	v_add_f32_e32 v30, v13, v14
	v_mul_f32_e32 v31, v30, v30
	v_fmamk_f32 v12, v31, 0x3e9b6dac, v139
	v_fmaak_f32 v29, v31, v12, 0x3f2aaada
	v_cvt_f32_i32_e32 v12, v27
	v_sub_f32_e32 v13, v30, v13
	v_sub_f32_e32 v13, v14, v13
	v_ldexp_f32 v27, v13, 1
	v_mul_f32_e32 v13, v30, v31
	v_ldexp_f32 v15, v30, 1
	v_pk_mul_f32 v[30:31], v[12:13], v[28:29]
	s_nop 0
	v_fma_f32 v14, v12, s13, -v30
	v_fmac_f32_e32 v14, 0xb102e308, v12
	v_pk_add_f32 v[12:13], v[30:31], v[14:15]
	v_mov_b32_e32 v32, v30
	v_sub_f32_e32 v15, v13, v15
	v_sub_f32_e32 v15, v31, v15
	v_add_f32_e32 v33, v27, v15
	v_pk_add_f32 v[30:31], v[12:13], v[30:31] neg_lo:[0,1] neg_hi:[0,1]
	v_pk_add_f32 v[34:35], v[12:13], v[32:33]
	v_mov_b32_e32 v15, v12
	v_mov_b32_e32 v31, v35
	v_pk_add_f32 v[36:37], v[14:15], v[30:31] neg_lo:[0,1] neg_hi:[0,1]
	v_pk_add_f32 v[14:15], v[14:15], v[30:31]
	v_mov_b32_e32 v32, v33
	v_mov_b32_e32 v30, v15
	v_pk_add_f32 v[38:39], v[30:31], v[12:13] neg_lo:[0,1] neg_hi:[0,1]
	v_mov_b32_e32 v14, v35
	v_mov_b32_e32 v27, v38
	v_pk_add_f32 v[40:41], v[34:35], v[26:27] neg_lo:[0,1] neg_hi:[0,1]
	v_mov_b32_e32 v34, v13
	v_mov_b32_e32 v35, v38
	;; [unrolled: 1-line block ×3, first 2 shown]
	v_pk_add_f32 v[14:15], v[14:15], v[34:35] neg_lo:[0,1] neg_hi:[0,1]
	v_mov_b32_e32 v33, v12
	v_pk_add_f32 v[12:13], v[32:33], v[14:15] neg_lo:[0,1] neg_hi:[0,1]
	v_mov_b32_e32 v40, v36
	v_pk_add_f32 v[14:15], v[40:41], v[12:13]
	s_nop 0
	v_mov_b32_e32 v32, v15
	v_pk_add_f32 v[32:33], v[14:15], v[32:33]
	s_nop 0
	v_pk_add_f32 v[30:31], v[30:31], v[32:33]
	v_mov_b32_e32 v13, v32
	v_mov_b32_e32 v15, v30
	v_pk_add_f32 v[34:35], v[14:15], v[36:37] neg_lo:[0,1] neg_hi:[0,1]
	s_nop 0
	v_sub_f32_e32 v14, v14, v34
	v_pk_add_f32 v[12:13], v[12:13], v[34:35] neg_lo:[0,1] neg_hi:[0,1]
	v_sub_f32_e32 v14, v36, v14
	v_add_f32_e32 v12, v12, v14
	v_add_f32_e32 v12, v12, v13
	;; [unrolled: 1-line block ×3, first 2 shown]
	v_cndmask_b32_e32 v151, v12, v42, vcc
.LBB120_93:                             ;   in Loop: Header=BB120_13 Depth=1
	s_or_b64 exec, exec, s[4:5]
	v_cvt_f32_f16_sdwa v8, v8 dst_sel:DWORD dst_unused:UNUSED_PAD src0_sel:WORD_1
	v_readlane_b32 s2, v166, 2
	s_nop 1
	v_add_f32_e32 v152, s2, v8
	v_readlane_b32 s2, v166, 23
	v_cmp_ge_f32_e32 vcc, s6, v152
	v_readlane_b32 s3, v166, 24
	s_and_b64 s[2:3], s[2:3], vcc
	s_and_saveexec_b64 s[4:5], s[2:3]
	s_cbranch_execz .LBB120_95
; %bb.94:                               ;   in Loop: Header=BB120_13 Depth=1
	v_mul_f32_e32 v8, 0x3fb8aa3b, v152
	v_rndne_f32_e32 v12, v8
	v_sub_f32_e32 v13, v8, v12
	v_fma_f32 v8, v152, s8, -v8
	v_fmac_f32_e32 v8, 0x32a5705f, v152
	v_add_f32_e32 v8, v13, v8
	v_cvt_i32_f32_e32 v12, v12
	v_exp_f32_e32 v8, v8
	v_cmp_ngt_f32_e32 vcc, s9, v152
	v_ldexp_f32 v8, v8, v12
	s_nop 0
	v_cndmask_b32_e32 v8, 0, v8, vcc
	v_cmp_nlt_f32_e32 vcc, s10, v152
	s_nop 1
	v_cndmask_b32_e32 v40, v140, v8, vcc
	v_add_f32_e32 v8, 1.0, v40
	v_add_f32_e32 v12, -1.0, v8
	v_sub_f32_e32 v13, v12, v8
	v_add_f32_e32 v13, 1.0, v13
	v_sub_f32_e32 v12, v40, v12
	v_add_f32_e32 v14, v12, v13
	v_frexp_mant_f32_e32 v15, v8
	v_cvt_f64_f32_e32 v[12:13], v8
	v_frexp_exp_i32_f64_e32 v12, v[12:13]
	v_cmp_gt_f32_e32 vcc, s12, v15
	v_cmp_gt_f32_e64 s[60:61], s16, v40
	s_nop 0
	v_subbrev_co_u32_e32 v27, vcc, 0, v12, vcc
	v_sub_u32_e32 v12, 0, v27
	v_ldexp_f32 v8, v8, v12
	v_ldexp_f32 v12, v14, v12
	v_add_f32_e32 v14, -1.0, v8
	v_add_f32_e32 v13, 1.0, v14
	v_sub_f32_e32 v13, v8, v13
	v_add_f32_e32 v15, v12, v13
	v_add_f32_e32 v13, 1.0, v8
	v_add_f32_e32 v29, -1.0, v13
	v_sub_f32_e32 v8, v8, v29
	v_add_f32_e32 v8, v12, v8
	v_add_f32_e32 v29, v13, v8
	v_rcp_f32_e32 v34, v29
	v_sub_f32_e32 v12, v13, v29
	v_add_f32_e32 v13, v14, v15
	v_add_f32_e32 v8, v8, v12
	v_mul_f32_e32 v36, v13, v34
	v_sub_f32_e32 v12, v14, v13
	v_mul_f32_e32 v14, v29, v36
	v_fma_f32 v30, v36, v29, -v14
	v_fmac_f32_e32 v30, v36, v8
	v_add_f32_e32 v35, v15, v12
	v_add_f32_e32 v12, v14, v30
	v_sub_f32_e32 v15, v13, v12
	v_pk_add_f32 v[32:33], v[12:13], v[14:15] neg_lo:[0,1] neg_hi:[0,1]
	v_mov_b32_e32 v31, v12
	v_pk_add_f32 v[12:13], v[32:33], v[30:31] neg_lo:[0,1] neg_hi:[0,1]
	v_cmp_eq_f32_e32 vcc, s11, v40
	v_add_f32_e32 v13, v35, v13
	v_add_f32_e32 v12, v12, v13
	;; [unrolled: 1-line block ×3, first 2 shown]
	v_mul_f32_e32 v35, v34, v13
	v_mul_f32_e32 v14, v29, v35
	v_fma_f32 v30, v35, v29, -v14
	v_fmac_f32_e32 v30, v35, v8
	v_sub_f32_e32 v8, v15, v13
	v_add_f32_e32 v8, v12, v8
	v_add_f32_e32 v12, v14, v30
	v_sub_f32_e32 v15, v13, v12
	v_pk_add_f32 v[32:33], v[12:13], v[14:15] neg_lo:[0,1] neg_hi:[0,1]
	v_mov_b32_e32 v31, v12
	v_pk_add_f32 v[12:13], v[32:33], v[30:31] neg_lo:[0,1] neg_hi:[0,1]
	s_or_b64 vcc, s[60:61], vcc
	v_add_f32_e32 v8, v8, v13
	v_add_f32_e32 v8, v12, v8
	v_add_f32_e32 v13, v36, v35
	v_add_f32_e32 v8, v15, v8
	v_sub_f32_e32 v12, v13, v36
	v_mul_f32_e32 v8, v34, v8
	v_sub_f32_e32 v12, v35, v12
	v_add_f32_e32 v8, v12, v8
	v_add_f32_e32 v14, v13, v8
	v_mul_f32_e32 v30, v14, v14
	v_fmamk_f32 v12, v30, 0x3e9b6dac, v139
	v_fmaak_f32 v29, v30, v12, 0x3f2aaada
	v_cvt_f32_i32_e32 v12, v27
	v_sub_f32_e32 v13, v14, v13
	v_sub_f32_e32 v8, v8, v13
	v_mul_f32_e32 v13, v14, v30
	v_pk_mul_f32 v[30:31], v[12:13], v[28:29]
	v_ldexp_f32 v15, v14, 1
	v_fma_f32 v14, v12, s13, -v30
	v_fmac_f32_e32 v14, 0xb102e308, v12
	v_pk_add_f32 v[12:13], v[30:31], v[14:15]
	v_ldexp_f32 v8, v8, 1
	v_sub_f32_e32 v15, v13, v15
	v_sub_f32_e32 v15, v31, v15
	v_add_f32_e32 v33, v8, v15
	v_mov_b32_e32 v32, v30
	v_pk_add_f32 v[30:31], v[12:13], v[30:31] neg_lo:[0,1] neg_hi:[0,1]
	v_pk_add_f32 v[34:35], v[12:13], v[32:33]
	v_mov_b32_e32 v15, v12
	v_mov_b32_e32 v31, v35
	v_pk_add_f32 v[36:37], v[14:15], v[30:31] neg_lo:[0,1] neg_hi:[0,1]
	v_pk_add_f32 v[14:15], v[14:15], v[30:31]
	s_nop 0
	v_mov_b32_e32 v8, v15
	v_pk_add_f32 v[30:31], v[8:9], v[12:13] neg_lo:[0,1] neg_hi:[0,1]
	v_mov_b32_e32 v14, v35
	v_mov_b32_e32 v27, v30
	v_pk_add_f32 v[38:39], v[34:35], v[26:27] neg_lo:[0,1] neg_hi:[0,1]
	v_mov_b32_e32 v34, v13
	v_mov_b32_e32 v35, v30
	;; [unrolled: 1-line block ×3, first 2 shown]
	v_pk_add_f32 v[14:15], v[14:15], v[34:35] neg_lo:[0,1] neg_hi:[0,1]
	v_mov_b32_e32 v30, v33
	v_mov_b32_e32 v31, v12
	v_pk_add_f32 v[12:13], v[30:31], v[14:15] neg_lo:[0,1] neg_hi:[0,1]
	v_mov_b32_e32 v38, v36
	v_pk_add_f32 v[14:15], v[38:39], v[12:13]
	s_nop 0
	v_mov_b32_e32 v30, v15
	v_pk_add_f32 v[30:31], v[14:15], v[30:31]
	s_nop 0
	v_pk_add_f32 v[32:33], v[8:9], v[30:31]
	v_mov_b32_e32 v13, v30
	v_mov_b32_e32 v15, v32
	v_pk_add_f32 v[34:35], v[14:15], v[36:37] neg_lo:[0,1] neg_hi:[0,1]
	s_nop 0
	v_sub_f32_e32 v8, v14, v34
	v_pk_add_f32 v[12:13], v[12:13], v[34:35] neg_lo:[0,1] neg_hi:[0,1]
	v_sub_f32_e32 v8, v36, v8
	v_add_f32_e32 v8, v12, v8
	v_add_f32_e32 v8, v8, v13
	;; [unrolled: 1-line block ×3, first 2 shown]
	v_cndmask_b32_e32 v152, v8, v40, vcc
.LBB120_95:                             ;   in Loop: Header=BB120_13 Depth=1
	s_or_b64 exec, exec, s[4:5]
	v_cvt_f32_f16_e32 v8, v9
	v_readlane_b32 s2, v166, 2
	s_nop 1
	v_add_f32_e32 v153, s2, v8
	v_readlane_b32 s2, v166, 23
	v_cmp_ge_f32_e32 vcc, s6, v153
	v_readlane_b32 s3, v166, 24
	s_and_b64 s[2:3], s[2:3], vcc
	s_and_saveexec_b64 s[4:5], s[2:3]
	s_cbranch_execz .LBB120_97
; %bb.96:                               ;   in Loop: Header=BB120_13 Depth=1
	v_mul_f32_e32 v8, 0x3fb8aa3b, v153
	v_rndne_f32_e32 v12, v8
	v_sub_f32_e32 v13, v8, v12
	v_fma_f32 v8, v153, s8, -v8
	v_fmac_f32_e32 v8, 0x32a5705f, v153
	v_add_f32_e32 v8, v13, v8
	v_cvt_i32_f32_e32 v12, v12
	v_exp_f32_e32 v8, v8
	v_cmp_ngt_f32_e32 vcc, s9, v153
	v_ldexp_f32 v8, v8, v12
	s_nop 0
	v_cndmask_b32_e32 v8, 0, v8, vcc
	v_cmp_nlt_f32_e32 vcc, s10, v153
	s_nop 1
	v_cndmask_b32_e32 v40, v140, v8, vcc
	v_add_f32_e32 v8, 1.0, v40
	v_add_f32_e32 v12, -1.0, v8
	v_sub_f32_e32 v13, v12, v8
	v_add_f32_e32 v13, 1.0, v13
	v_sub_f32_e32 v12, v40, v12
	v_add_f32_e32 v14, v12, v13
	v_frexp_mant_f32_e32 v15, v8
	v_cvt_f64_f32_e32 v[12:13], v8
	v_frexp_exp_i32_f64_e32 v12, v[12:13]
	v_cmp_gt_f32_e32 vcc, s12, v15
	v_cmp_gt_f32_e64 s[60:61], s16, v40
	s_nop 0
	v_subbrev_co_u32_e32 v27, vcc, 0, v12, vcc
	v_sub_u32_e32 v12, 0, v27
	v_ldexp_f32 v8, v8, v12
	v_ldexp_f32 v12, v14, v12
	v_add_f32_e32 v14, -1.0, v8
	v_add_f32_e32 v13, 1.0, v14
	v_sub_f32_e32 v13, v8, v13
	v_add_f32_e32 v15, v12, v13
	v_add_f32_e32 v13, 1.0, v8
	v_add_f32_e32 v29, -1.0, v13
	v_sub_f32_e32 v8, v8, v29
	v_add_f32_e32 v8, v12, v8
	v_add_f32_e32 v29, v13, v8
	v_rcp_f32_e32 v34, v29
	v_sub_f32_e32 v12, v13, v29
	v_add_f32_e32 v13, v14, v15
	v_add_f32_e32 v8, v8, v12
	v_mul_f32_e32 v36, v13, v34
	v_sub_f32_e32 v12, v14, v13
	v_mul_f32_e32 v14, v29, v36
	v_fma_f32 v30, v36, v29, -v14
	v_fmac_f32_e32 v30, v36, v8
	v_add_f32_e32 v35, v15, v12
	v_add_f32_e32 v12, v14, v30
	v_sub_f32_e32 v15, v13, v12
	v_pk_add_f32 v[32:33], v[12:13], v[14:15] neg_lo:[0,1] neg_hi:[0,1]
	v_mov_b32_e32 v31, v12
	v_pk_add_f32 v[12:13], v[32:33], v[30:31] neg_lo:[0,1] neg_hi:[0,1]
	v_cmp_eq_f32_e32 vcc, s11, v40
	v_add_f32_e32 v13, v35, v13
	v_add_f32_e32 v12, v12, v13
	;; [unrolled: 1-line block ×3, first 2 shown]
	v_mul_f32_e32 v35, v34, v13
	v_mul_f32_e32 v14, v29, v35
	v_fma_f32 v30, v35, v29, -v14
	v_fmac_f32_e32 v30, v35, v8
	v_sub_f32_e32 v8, v15, v13
	v_add_f32_e32 v8, v12, v8
	v_add_f32_e32 v12, v14, v30
	v_sub_f32_e32 v15, v13, v12
	v_pk_add_f32 v[32:33], v[12:13], v[14:15] neg_lo:[0,1] neg_hi:[0,1]
	v_mov_b32_e32 v31, v12
	v_pk_add_f32 v[12:13], v[32:33], v[30:31] neg_lo:[0,1] neg_hi:[0,1]
	s_or_b64 vcc, s[60:61], vcc
	v_add_f32_e32 v8, v8, v13
	v_add_f32_e32 v8, v12, v8
	;; [unrolled: 1-line block ×4, first 2 shown]
	v_sub_f32_e32 v12, v13, v36
	v_mul_f32_e32 v8, v34, v8
	v_sub_f32_e32 v12, v35, v12
	v_add_f32_e32 v8, v12, v8
	v_add_f32_e32 v14, v13, v8
	v_mul_f32_e32 v30, v14, v14
	v_fmamk_f32 v12, v30, 0x3e9b6dac, v139
	v_fmaak_f32 v29, v30, v12, 0x3f2aaada
	v_cvt_f32_i32_e32 v12, v27
	v_sub_f32_e32 v13, v14, v13
	v_sub_f32_e32 v8, v8, v13
	v_mul_f32_e32 v13, v14, v30
	v_pk_mul_f32 v[30:31], v[12:13], v[28:29]
	v_ldexp_f32 v15, v14, 1
	v_fma_f32 v14, v12, s13, -v30
	v_fmac_f32_e32 v14, 0xb102e308, v12
	v_pk_add_f32 v[12:13], v[30:31], v[14:15]
	v_ldexp_f32 v8, v8, 1
	v_sub_f32_e32 v15, v13, v15
	v_sub_f32_e32 v15, v31, v15
	v_add_f32_e32 v33, v8, v15
	v_mov_b32_e32 v32, v30
	v_pk_add_f32 v[30:31], v[12:13], v[30:31] neg_lo:[0,1] neg_hi:[0,1]
	v_pk_add_f32 v[34:35], v[12:13], v[32:33]
	v_mov_b32_e32 v15, v12
	v_mov_b32_e32 v31, v35
	v_pk_add_f32 v[36:37], v[14:15], v[30:31] neg_lo:[0,1] neg_hi:[0,1]
	v_pk_add_f32 v[14:15], v[14:15], v[30:31]
	s_nop 0
	v_mov_b32_e32 v8, v15
	v_pk_add_f32 v[30:31], v[8:9], v[12:13] neg_lo:[0,1] neg_hi:[0,1]
	v_mov_b32_e32 v14, v35
	v_mov_b32_e32 v27, v30
	v_pk_add_f32 v[38:39], v[34:35], v[26:27] neg_lo:[0,1] neg_hi:[0,1]
	v_mov_b32_e32 v34, v13
	v_mov_b32_e32 v35, v30
	;; [unrolled: 1-line block ×3, first 2 shown]
	v_pk_add_f32 v[14:15], v[14:15], v[34:35] neg_lo:[0,1] neg_hi:[0,1]
	v_mov_b32_e32 v30, v33
	v_mov_b32_e32 v31, v12
	v_pk_add_f32 v[12:13], v[30:31], v[14:15] neg_lo:[0,1] neg_hi:[0,1]
	v_mov_b32_e32 v38, v36
	v_pk_add_f32 v[14:15], v[38:39], v[12:13]
	s_nop 0
	v_mov_b32_e32 v30, v15
	v_pk_add_f32 v[30:31], v[14:15], v[30:31]
	s_nop 0
	v_pk_add_f32 v[32:33], v[8:9], v[30:31]
	v_mov_b32_e32 v13, v30
	v_mov_b32_e32 v15, v32
	v_pk_add_f32 v[34:35], v[14:15], v[36:37] neg_lo:[0,1] neg_hi:[0,1]
	s_nop 0
	v_sub_f32_e32 v8, v14, v34
	v_pk_add_f32 v[12:13], v[12:13], v[34:35] neg_lo:[0,1] neg_hi:[0,1]
	v_sub_f32_e32 v8, v36, v8
	v_add_f32_e32 v8, v12, v8
	v_add_f32_e32 v8, v8, v13
	;; [unrolled: 1-line block ×3, first 2 shown]
	v_cndmask_b32_e32 v153, v8, v40, vcc
.LBB120_97:                             ;   in Loop: Header=BB120_13 Depth=1
	s_or_b64 exec, exec, s[4:5]
	v_cvt_f32_f16_sdwa v8, v9 dst_sel:DWORD dst_unused:UNUSED_PAD src0_sel:WORD_1
	v_readlane_b32 s2, v166, 2
	s_nop 1
	v_add_f32_e32 v154, s2, v8
	v_readlane_b32 s2, v166, 23
	v_cmp_ge_f32_e32 vcc, s6, v154
	v_readlane_b32 s3, v166, 24
	s_and_b64 s[2:3], s[2:3], vcc
	s_and_saveexec_b64 s[4:5], s[2:3]
	s_cbranch_execz .LBB120_99
; %bb.98:                               ;   in Loop: Header=BB120_13 Depth=1
	v_mul_f32_e32 v8, 0x3fb8aa3b, v154
	v_rndne_f32_e32 v9, v8
	v_sub_f32_e32 v12, v8, v9
	v_fma_f32 v8, v154, s8, -v8
	v_fmac_f32_e32 v8, 0x32a5705f, v154
	v_add_f32_e32 v8, v12, v8
	v_cvt_i32_f32_e32 v9, v9
	v_exp_f32_e32 v8, v8
	v_cmp_ngt_f32_e32 vcc, s9, v154
	v_ldexp_f32 v8, v8, v9
	s_nop 0
	v_cndmask_b32_e32 v8, 0, v8, vcc
	v_cmp_nlt_f32_e32 vcc, s10, v154
	s_nop 1
	v_cndmask_b32_e32 v27, v140, v8, vcc
	v_add_f32_e32 v12, 1.0, v27
	v_add_f32_e32 v8, -1.0, v12
	v_sub_f32_e32 v9, v8, v12
	v_add_f32_e32 v9, 1.0, v9
	v_sub_f32_e32 v8, v27, v8
	v_add_f32_e32 v13, v8, v9
	v_frexp_mant_f32_e32 v14, v12
	v_cvt_f64_f32_e32 v[8:9], v12
	v_frexp_exp_i32_f64_e32 v8, v[8:9]
	v_cmp_gt_f32_e32 vcc, s12, v14
	v_cmp_gt_f32_e64 s[60:61], s16, v27
	s_nop 0
	v_subbrev_co_u32_e32 v32, vcc, 0, v8, vcc
	v_sub_u32_e32 v8, 0, v32
	v_ldexp_f32 v9, v12, v8
	v_add_f32_e32 v12, -1.0, v9
	v_add_f32_e32 v14, 1.0, v9
	v_ldexp_f32 v8, v13, v8
	v_add_f32_e32 v13, 1.0, v12
	v_add_f32_e32 v15, -1.0, v14
	v_sub_f32_e32 v13, v9, v13
	v_sub_f32_e32 v9, v9, v15
	v_add_f32_e32 v13, v8, v13
	v_add_f32_e32 v8, v8, v9
	;; [unrolled: 1-line block ×3, first 2 shown]
	v_rcp_f32_e32 v34, v29
	v_sub_f32_e32 v9, v14, v29
	v_add_f32_e32 v33, v8, v9
	v_add_f32_e32 v9, v12, v13
	v_mul_f32_e32 v36, v9, v34
	v_sub_f32_e32 v8, v12, v9
	v_mul_f32_e32 v12, v29, v36
	v_fma_f32 v14, v36, v29, -v12
	v_fmac_f32_e32 v14, v36, v33
	v_add_f32_e32 v35, v13, v8
	v_add_f32_e32 v8, v12, v14
	v_sub_f32_e32 v13, v9, v8
	v_pk_add_f32 v[30:31], v[8:9], v[12:13] neg_lo:[0,1] neg_hi:[0,1]
	v_mov_b32_e32 v15, v8
	v_pk_add_f32 v[8:9], v[30:31], v[14:15] neg_lo:[0,1] neg_hi:[0,1]
	v_cmp_eq_f32_e32 vcc, s11, v27
	v_add_f32_e32 v9, v35, v9
	v_add_f32_e32 v8, v8, v9
	;; [unrolled: 1-line block ×3, first 2 shown]
	v_mul_f32_e32 v35, v34, v9
	v_mul_f32_e32 v12, v29, v35
	v_fma_f32 v14, v35, v29, -v12
	v_fmac_f32_e32 v14, v35, v33
	v_sub_f32_e32 v13, v13, v9
	v_add_f32_e32 v29, v8, v13
	v_add_f32_e32 v8, v12, v14
	v_sub_f32_e32 v13, v9, v8
	v_pk_add_f32 v[30:31], v[8:9], v[12:13] neg_lo:[0,1] neg_hi:[0,1]
	v_mov_b32_e32 v15, v8
	v_pk_add_f32 v[8:9], v[30:31], v[14:15] neg_lo:[0,1] neg_hi:[0,1]
	s_or_b64 vcc, s[60:61], vcc
	v_add_f32_e32 v9, v29, v9
	v_add_f32_e32 v8, v8, v9
	;; [unrolled: 1-line block ×4, first 2 shown]
	v_sub_f32_e32 v12, v9, v36
	v_mul_f32_e32 v8, v34, v8
	v_sub_f32_e32 v12, v35, v12
	v_add_f32_e32 v12, v12, v8
	v_add_f32_e32 v14, v9, v12
	v_mul_f32_e32 v15, v14, v14
	v_fmamk_f32 v8, v15, 0x3e9b6dac, v139
	v_fmaak_f32 v29, v15, v8, 0x3f2aaada
	v_cvt_f32_i32_e32 v8, v32
	v_sub_f32_e32 v9, v14, v9
	v_sub_f32_e32 v9, v12, v9
	v_ldexp_f32 v30, v9, 1
	v_mul_f32_e32 v9, v14, v15
	v_ldexp_f32 v13, v14, 1
	v_pk_mul_f32 v[14:15], v[8:9], v[28:29]
	s_nop 0
	v_fma_f32 v12, v8, s13, -v14
	v_fmac_f32_e32 v12, 0xb102e308, v8
	v_pk_add_f32 v[8:9], v[14:15], v[12:13]
	s_nop 0
	v_sub_f32_e32 v13, v9, v13
	v_sub_f32_e32 v13, v15, v13
	v_add_f32_e32 v31, v30, v13
	v_mov_b32_e32 v30, v14
	v_pk_add_f32 v[14:15], v[8:9], v[14:15] neg_lo:[0,1] neg_hi:[0,1]
	v_pk_add_f32 v[32:33], v[8:9], v[30:31]
	v_mov_b32_e32 v13, v8
	v_mov_b32_e32 v15, v33
	v_pk_add_f32 v[34:35], v[12:13], v[14:15] neg_lo:[0,1] neg_hi:[0,1]
	v_pk_add_f32 v[12:13], v[12:13], v[14:15]
	v_mov_b32_e32 v30, v31
	v_mov_b32_e32 v14, v13
	v_pk_add_f32 v[36:37], v[14:15], v[8:9] neg_lo:[0,1] neg_hi:[0,1]
	v_mov_b32_e32 v12, v33
	v_mov_b32_e32 v15, v36
	v_pk_add_f32 v[38:39], v[32:33], v[14:15] neg_lo:[0,1] neg_hi:[0,1]
	v_mov_b32_e32 v32, v9
	v_mov_b32_e32 v33, v36
	;; [unrolled: 1-line block ×3, first 2 shown]
	v_pk_add_f32 v[12:13], v[12:13], v[32:33] neg_lo:[0,1] neg_hi:[0,1]
	v_mov_b32_e32 v31, v8
	v_pk_add_f32 v[8:9], v[30:31], v[12:13] neg_lo:[0,1] neg_hi:[0,1]
	v_mov_b32_e32 v38, v34
	v_pk_add_f32 v[12:13], v[38:39], v[8:9]
	s_nop 0
	v_mov_b32_e32 v30, v13
	v_pk_add_f32 v[30:31], v[12:13], v[30:31]
	s_nop 0
	v_pk_add_f32 v[14:15], v[14:15], v[30:31]
	v_mov_b32_e32 v9, v30
	v_mov_b32_e32 v13, v14
	v_pk_add_f32 v[32:33], v[12:13], v[34:35] neg_lo:[0,1] neg_hi:[0,1]
	s_nop 0
	v_sub_f32_e32 v12, v12, v32
	v_pk_add_f32 v[8:9], v[8:9], v[32:33] neg_lo:[0,1] neg_hi:[0,1]
	v_sub_f32_e32 v12, v34, v12
	v_add_f32_e32 v8, v8, v12
	v_add_f32_e32 v8, v8, v9
	;; [unrolled: 1-line block ×3, first 2 shown]
	v_cndmask_b32_e32 v154, v8, v27, vcc
.LBB120_99:                             ;   in Loop: Header=BB120_13 Depth=1
	s_or_b64 exec, exec, s[4:5]
	v_cvt_f32_f16_e32 v8, v10
	v_readlane_b32 s2, v166, 2
	s_nop 1
	v_add_f32_e32 v155, s2, v8
	v_readlane_b32 s2, v166, 23
	v_cmp_ge_f32_e32 vcc, s6, v155
	v_readlane_b32 s3, v166, 24
	s_and_b64 s[2:3], s[2:3], vcc
	s_and_saveexec_b64 s[4:5], s[2:3]
	s_cbranch_execz .LBB120_101
; %bb.100:                              ;   in Loop: Header=BB120_13 Depth=1
	v_mul_f32_e32 v8, 0x3fb8aa3b, v155
	v_rndne_f32_e32 v9, v8
	v_sub_f32_e32 v12, v8, v9
	v_fma_f32 v8, v155, s8, -v8
	v_fmac_f32_e32 v8, 0x32a5705f, v155
	v_add_f32_e32 v8, v12, v8
	v_cvt_i32_f32_e32 v9, v9
	v_exp_f32_e32 v8, v8
	v_cmp_ngt_f32_e32 vcc, s9, v155
	v_ldexp_f32 v8, v8, v9
	s_nop 0
	v_cndmask_b32_e32 v8, 0, v8, vcc
	v_cmp_nlt_f32_e32 vcc, s10, v155
	s_nop 1
	v_cndmask_b32_e32 v27, v140, v8, vcc
	v_add_f32_e32 v12, 1.0, v27
	v_add_f32_e32 v8, -1.0, v12
	v_sub_f32_e32 v9, v8, v12
	v_add_f32_e32 v9, 1.0, v9
	v_sub_f32_e32 v8, v27, v8
	v_add_f32_e32 v13, v8, v9
	v_frexp_mant_f32_e32 v14, v12
	v_cvt_f64_f32_e32 v[8:9], v12
	v_frexp_exp_i32_f64_e32 v8, v[8:9]
	v_cmp_gt_f32_e32 vcc, s12, v14
	v_cmp_gt_f32_e64 s[60:61], s16, v27
	s_nop 0
	v_subbrev_co_u32_e32 v32, vcc, 0, v8, vcc
	v_sub_u32_e32 v8, 0, v32
	v_ldexp_f32 v9, v12, v8
	v_add_f32_e32 v12, -1.0, v9
	v_add_f32_e32 v14, 1.0, v9
	v_ldexp_f32 v8, v13, v8
	v_add_f32_e32 v13, 1.0, v12
	v_add_f32_e32 v15, -1.0, v14
	v_sub_f32_e32 v13, v9, v13
	v_sub_f32_e32 v9, v9, v15
	v_add_f32_e32 v13, v8, v13
	v_add_f32_e32 v8, v8, v9
	;; [unrolled: 1-line block ×3, first 2 shown]
	v_rcp_f32_e32 v34, v29
	v_sub_f32_e32 v9, v14, v29
	v_add_f32_e32 v33, v8, v9
	v_add_f32_e32 v9, v12, v13
	v_mul_f32_e32 v36, v9, v34
	v_sub_f32_e32 v8, v12, v9
	v_mul_f32_e32 v12, v29, v36
	v_fma_f32 v14, v36, v29, -v12
	v_fmac_f32_e32 v14, v36, v33
	v_add_f32_e32 v35, v13, v8
	v_add_f32_e32 v8, v12, v14
	v_sub_f32_e32 v13, v9, v8
	v_pk_add_f32 v[30:31], v[8:9], v[12:13] neg_lo:[0,1] neg_hi:[0,1]
	v_mov_b32_e32 v15, v8
	v_pk_add_f32 v[8:9], v[30:31], v[14:15] neg_lo:[0,1] neg_hi:[0,1]
	v_cmp_eq_f32_e32 vcc, s11, v27
	v_add_f32_e32 v9, v35, v9
	v_add_f32_e32 v8, v8, v9
	;; [unrolled: 1-line block ×3, first 2 shown]
	v_mul_f32_e32 v35, v34, v9
	v_mul_f32_e32 v12, v29, v35
	v_fma_f32 v14, v35, v29, -v12
	v_fmac_f32_e32 v14, v35, v33
	v_sub_f32_e32 v13, v13, v9
	v_add_f32_e32 v29, v8, v13
	v_add_f32_e32 v8, v12, v14
	v_sub_f32_e32 v13, v9, v8
	v_pk_add_f32 v[30:31], v[8:9], v[12:13] neg_lo:[0,1] neg_hi:[0,1]
	v_mov_b32_e32 v15, v8
	v_pk_add_f32 v[8:9], v[30:31], v[14:15] neg_lo:[0,1] neg_hi:[0,1]
	s_or_b64 vcc, s[60:61], vcc
	v_add_f32_e32 v9, v29, v9
	v_add_f32_e32 v8, v8, v9
	;; [unrolled: 1-line block ×4, first 2 shown]
	v_sub_f32_e32 v12, v9, v36
	v_mul_f32_e32 v8, v34, v8
	v_sub_f32_e32 v12, v35, v12
	v_add_f32_e32 v12, v12, v8
	v_add_f32_e32 v14, v9, v12
	v_mul_f32_e32 v15, v14, v14
	v_fmamk_f32 v8, v15, 0x3e9b6dac, v139
	v_fmaak_f32 v29, v15, v8, 0x3f2aaada
	v_cvt_f32_i32_e32 v8, v32
	v_sub_f32_e32 v9, v14, v9
	v_sub_f32_e32 v9, v12, v9
	v_ldexp_f32 v30, v9, 1
	v_mul_f32_e32 v9, v14, v15
	v_ldexp_f32 v13, v14, 1
	v_pk_mul_f32 v[14:15], v[8:9], v[28:29]
	s_nop 0
	v_fma_f32 v12, v8, s13, -v14
	v_fmac_f32_e32 v12, 0xb102e308, v8
	v_pk_add_f32 v[8:9], v[14:15], v[12:13]
	s_nop 0
	v_sub_f32_e32 v13, v9, v13
	v_sub_f32_e32 v13, v15, v13
	v_add_f32_e32 v31, v30, v13
	v_mov_b32_e32 v30, v14
	v_pk_add_f32 v[14:15], v[8:9], v[14:15] neg_lo:[0,1] neg_hi:[0,1]
	v_pk_add_f32 v[32:33], v[8:9], v[30:31]
	v_mov_b32_e32 v13, v8
	v_mov_b32_e32 v15, v33
	v_pk_add_f32 v[34:35], v[12:13], v[14:15] neg_lo:[0,1] neg_hi:[0,1]
	v_pk_add_f32 v[12:13], v[12:13], v[14:15]
	v_mov_b32_e32 v30, v31
	v_mov_b32_e32 v14, v13
	v_pk_add_f32 v[36:37], v[14:15], v[8:9] neg_lo:[0,1] neg_hi:[0,1]
	v_mov_b32_e32 v12, v33
	v_mov_b32_e32 v15, v36
	v_pk_add_f32 v[38:39], v[32:33], v[14:15] neg_lo:[0,1] neg_hi:[0,1]
	v_mov_b32_e32 v32, v9
	v_mov_b32_e32 v33, v36
	v_mov_b32_e32 v35, v13
	v_pk_add_f32 v[12:13], v[12:13], v[32:33] neg_lo:[0,1] neg_hi:[0,1]
	v_mov_b32_e32 v31, v8
	v_pk_add_f32 v[8:9], v[30:31], v[12:13] neg_lo:[0,1] neg_hi:[0,1]
	v_mov_b32_e32 v38, v34
	v_pk_add_f32 v[12:13], v[38:39], v[8:9]
	s_nop 0
	v_mov_b32_e32 v30, v13
	v_pk_add_f32 v[30:31], v[12:13], v[30:31]
	s_nop 0
	v_pk_add_f32 v[14:15], v[14:15], v[30:31]
	v_mov_b32_e32 v9, v30
	v_mov_b32_e32 v13, v14
	v_pk_add_f32 v[32:33], v[12:13], v[34:35] neg_lo:[0,1] neg_hi:[0,1]
	s_nop 0
	v_sub_f32_e32 v12, v12, v32
	v_pk_add_f32 v[8:9], v[8:9], v[32:33] neg_lo:[0,1] neg_hi:[0,1]
	v_sub_f32_e32 v12, v34, v12
	v_add_f32_e32 v8, v8, v12
	v_add_f32_e32 v8, v8, v9
	;; [unrolled: 1-line block ×3, first 2 shown]
	v_cndmask_b32_e32 v155, v8, v27, vcc
.LBB120_101:                            ;   in Loop: Header=BB120_13 Depth=1
	s_or_b64 exec, exec, s[4:5]
	v_cvt_f32_f16_sdwa v8, v10 dst_sel:DWORD dst_unused:UNUSED_PAD src0_sel:WORD_1
	v_readlane_b32 s2, v166, 2
	s_nop 1
	v_add_f32_e32 v156, s2, v8
	v_readlane_b32 s2, v166, 23
	v_cmp_ge_f32_e32 vcc, s6, v156
	v_readlane_b32 s3, v166, 24
	s_and_b64 s[2:3], s[2:3], vcc
	s_and_saveexec_b64 s[4:5], s[2:3]
	s_cbranch_execz .LBB120_103
; %bb.102:                              ;   in Loop: Header=BB120_13 Depth=1
	v_mul_f32_e32 v8, 0x3fb8aa3b, v156
	v_rndne_f32_e32 v9, v8
	v_sub_f32_e32 v10, v8, v9
	v_fma_f32 v8, v156, s8, -v8
	v_fmac_f32_e32 v8, 0x32a5705f, v156
	v_add_f32_e32 v8, v10, v8
	v_cvt_i32_f32_e32 v9, v9
	v_exp_f32_e32 v8, v8
	v_cmp_ngt_f32_e32 vcc, s9, v156
	v_ldexp_f32 v8, v8, v9
	s_nop 0
	v_cndmask_b32_e32 v8, 0, v8, vcc
	v_cmp_nlt_f32_e32 vcc, s10, v156
	s_nop 1
	v_cndmask_b32_e32 v27, v140, v8, vcc
	v_add_f32_e32 v10, 1.0, v27
	v_add_f32_e32 v8, -1.0, v10
	v_sub_f32_e32 v9, v8, v10
	v_add_f32_e32 v9, 1.0, v9
	v_sub_f32_e32 v8, v27, v8
	v_add_f32_e32 v12, v8, v9
	v_frexp_mant_f32_e32 v13, v10
	v_cvt_f64_f32_e32 v[8:9], v10
	v_frexp_exp_i32_f64_e32 v8, v[8:9]
	v_cmp_gt_f32_e32 vcc, s12, v13
	v_cmp_gt_f32_e64 s[60:61], s16, v27
	s_nop 0
	v_subbrev_co_u32_e32 v32, vcc, 0, v8, vcc
	v_sub_u32_e32 v8, 0, v32
	v_ldexp_f32 v9, v10, v8
	v_add_f32_e32 v10, -1.0, v9
	v_add_f32_e32 v13, 1.0, v9
	v_ldexp_f32 v8, v12, v8
	v_add_f32_e32 v12, 1.0, v10
	v_add_f32_e32 v14, -1.0, v13
	v_sub_f32_e32 v12, v9, v12
	v_sub_f32_e32 v9, v9, v14
	v_add_f32_e32 v12, v8, v12
	v_add_f32_e32 v8, v8, v9
	v_add_f32_e32 v29, v13, v8
	v_rcp_f32_e32 v34, v29
	v_sub_f32_e32 v9, v13, v29
	v_add_f32_e32 v33, v8, v9
	v_add_f32_e32 v9, v10, v12
	v_sub_f32_e32 v8, v10, v9
	v_mul_f32_e32 v35, v9, v34
	v_add_f32_e32 v10, v12, v8
	v_mul_f32_e32 v12, v29, v35
	v_fma_f32 v14, v35, v29, -v12
	v_fmac_f32_e32 v14, v35, v33
	v_add_f32_e32 v8, v12, v14
	v_sub_f32_e32 v13, v9, v8
	v_pk_add_f32 v[30:31], v[8:9], v[12:13] neg_lo:[0,1] neg_hi:[0,1]
	v_mov_b32_e32 v15, v8
	v_pk_add_f32 v[8:9], v[30:31], v[14:15] neg_lo:[0,1] neg_hi:[0,1]
	v_cmp_eq_f32_e32 vcc, s11, v27
	v_add_f32_e32 v9, v10, v9
	v_add_f32_e32 v8, v8, v9
	;; [unrolled: 1-line block ×3, first 2 shown]
	v_mul_f32_e32 v10, v34, v9
	v_mul_f32_e32 v12, v29, v10
	v_fma_f32 v14, v10, v29, -v12
	v_fmac_f32_e32 v14, v10, v33
	v_sub_f32_e32 v13, v13, v9
	v_add_f32_e32 v29, v8, v13
	v_add_f32_e32 v8, v12, v14
	v_sub_f32_e32 v13, v9, v8
	v_pk_add_f32 v[30:31], v[8:9], v[12:13] neg_lo:[0,1] neg_hi:[0,1]
	v_mov_b32_e32 v15, v8
	v_pk_add_f32 v[8:9], v[30:31], v[14:15] neg_lo:[0,1] neg_hi:[0,1]
	s_or_b64 vcc, s[60:61], vcc
	v_add_f32_e32 v9, v29, v9
	v_add_f32_e32 v8, v8, v9
	;; [unrolled: 1-line block ×4, first 2 shown]
	v_sub_f32_e32 v12, v9, v35
	v_mul_f32_e32 v8, v34, v8
	v_sub_f32_e32 v10, v10, v12
	v_add_f32_e32 v10, v10, v8
	v_add_f32_e32 v12, v9, v10
	v_mul_f32_e32 v14, v12, v12
	v_fmamk_f32 v8, v14, 0x3e9b6dac, v139
	v_fmaak_f32 v29, v14, v8, 0x3f2aaada
	v_cvt_f32_i32_e32 v8, v32
	v_sub_f32_e32 v9, v12, v9
	v_sub_f32_e32 v9, v10, v9
	v_ldexp_f32 v10, v9, 1
	v_mul_f32_e32 v9, v12, v14
	v_pk_mul_f32 v[14:15], v[8:9], v[28:29]
	v_ldexp_f32 v13, v12, 1
	v_fma_f32 v12, v8, s13, -v14
	v_fmac_f32_e32 v12, 0xb102e308, v8
	v_pk_add_f32 v[8:9], v[14:15], v[12:13]
	v_mov_b32_e32 v30, v14
	v_sub_f32_e32 v13, v9, v13
	v_sub_f32_e32 v13, v15, v13
	v_add_f32_e32 v31, v10, v13
	v_pk_add_f32 v[14:15], v[8:9], v[14:15] neg_lo:[0,1] neg_hi:[0,1]
	v_pk_add_f32 v[32:33], v[8:9], v[30:31]
	v_mov_b32_e32 v13, v8
	v_mov_b32_e32 v15, v33
	v_pk_add_f32 v[34:35], v[12:13], v[14:15] neg_lo:[0,1] neg_hi:[0,1]
	v_pk_add_f32 v[12:13], v[12:13], v[14:15]
	s_nop 0
	v_mov_b32_e32 v10, v13
	v_pk_add_f32 v[14:15], v[10:11], v[8:9] neg_lo:[0,1] neg_hi:[0,1]
	v_mov_b32_e32 v12, v33
	v_mov_b32_e32 v15, v14
	v_pk_add_f32 v[36:37], v[32:33], v[14:15] neg_lo:[0,1] neg_hi:[0,1]
	v_mov_b32_e32 v32, v9
	v_mov_b32_e32 v33, v14
	;; [unrolled: 1-line block ×3, first 2 shown]
	v_pk_add_f32 v[12:13], v[12:13], v[32:33] neg_lo:[0,1] neg_hi:[0,1]
	v_mov_b32_e32 v14, v31
	v_mov_b32_e32 v15, v8
	v_pk_add_f32 v[8:9], v[14:15], v[12:13] neg_lo:[0,1] neg_hi:[0,1]
	v_mov_b32_e32 v36, v34
	v_pk_add_f32 v[12:13], v[36:37], v[8:9]
	s_nop 0
	v_mov_b32_e32 v14, v13
	v_pk_add_f32 v[14:15], v[12:13], v[14:15]
	s_nop 0
	v_pk_add_f32 v[30:31], v[10:11], v[14:15]
	v_mov_b32_e32 v9, v14
	v_mov_b32_e32 v13, v30
	v_pk_add_f32 v[32:33], v[12:13], v[34:35] neg_lo:[0,1] neg_hi:[0,1]
	s_nop 0
	v_sub_f32_e32 v10, v12, v32
	v_pk_add_f32 v[8:9], v[8:9], v[32:33] neg_lo:[0,1] neg_hi:[0,1]
	v_sub_f32_e32 v10, v34, v10
	v_add_f32_e32 v8, v8, v10
	v_add_f32_e32 v8, v8, v9
	;; [unrolled: 1-line block ×3, first 2 shown]
	v_cndmask_b32_e32 v156, v8, v27, vcc
.LBB120_103:                            ;   in Loop: Header=BB120_13 Depth=1
	s_or_b64 exec, exec, s[4:5]
	v_cvt_f32_f16_e32 v8, v11
	v_readlane_b32 s2, v166, 2
	s_nop 1
	v_add_f32_e32 v46, s2, v8
	v_readlane_b32 s2, v166, 23
	v_cmp_ge_f32_e32 vcc, s6, v46
	v_readlane_b32 s3, v166, 24
	s_and_b64 s[2:3], s[2:3], vcc
	s_and_saveexec_b64 s[4:5], s[2:3]
	s_cbranch_execz .LBB120_105
; %bb.104:                              ;   in Loop: Header=BB120_13 Depth=1
	v_mul_f32_e32 v8, 0x3fb8aa3b, v46
	v_rndne_f32_e32 v9, v8
	v_sub_f32_e32 v10, v8, v9
	v_fma_f32 v8, v46, s8, -v8
	v_fmac_f32_e32 v8, 0x32a5705f, v46
	v_add_f32_e32 v8, v10, v8
	v_cvt_i32_f32_e32 v9, v9
	v_exp_f32_e32 v8, v8
	v_cmp_ngt_f32_e32 vcc, s9, v46
	v_ldexp_f32 v8, v8, v9
	s_nop 0
	v_cndmask_b32_e32 v8, 0, v8, vcc
	v_cmp_nlt_f32_e32 vcc, s10, v46
	s_nop 1
	v_cndmask_b32_e32 v27, v140, v8, vcc
	v_add_f32_e32 v10, 1.0, v27
	v_add_f32_e32 v8, -1.0, v10
	v_sub_f32_e32 v9, v8, v10
	v_add_f32_e32 v9, 1.0, v9
	v_sub_f32_e32 v8, v27, v8
	v_add_f32_e32 v12, v8, v9
	v_frexp_mant_f32_e32 v13, v10
	v_cvt_f64_f32_e32 v[8:9], v10
	v_frexp_exp_i32_f64_e32 v8, v[8:9]
	v_cmp_gt_f32_e32 vcc, s12, v13
	v_cmp_gt_f32_e64 s[60:61], s16, v27
	s_nop 0
	v_subbrev_co_u32_e32 v32, vcc, 0, v8, vcc
	v_sub_u32_e32 v8, 0, v32
	v_ldexp_f32 v9, v10, v8
	v_add_f32_e32 v10, -1.0, v9
	v_add_f32_e32 v13, 1.0, v9
	v_ldexp_f32 v8, v12, v8
	v_add_f32_e32 v12, 1.0, v10
	v_add_f32_e32 v14, -1.0, v13
	v_sub_f32_e32 v12, v9, v12
	v_sub_f32_e32 v9, v9, v14
	v_add_f32_e32 v12, v8, v12
	v_add_f32_e32 v8, v8, v9
	;; [unrolled: 1-line block ×3, first 2 shown]
	v_rcp_f32_e32 v34, v29
	v_sub_f32_e32 v9, v13, v29
	v_add_f32_e32 v33, v8, v9
	v_add_f32_e32 v9, v10, v12
	v_sub_f32_e32 v8, v10, v9
	v_mul_f32_e32 v35, v9, v34
	v_add_f32_e32 v10, v12, v8
	v_mul_f32_e32 v12, v29, v35
	v_fma_f32 v14, v35, v29, -v12
	v_fmac_f32_e32 v14, v35, v33
	v_add_f32_e32 v8, v12, v14
	v_sub_f32_e32 v13, v9, v8
	v_pk_add_f32 v[30:31], v[8:9], v[12:13] neg_lo:[0,1] neg_hi:[0,1]
	v_mov_b32_e32 v15, v8
	v_pk_add_f32 v[8:9], v[30:31], v[14:15] neg_lo:[0,1] neg_hi:[0,1]
	v_cmp_eq_f32_e32 vcc, s11, v27
	v_add_f32_e32 v9, v10, v9
	v_add_f32_e32 v8, v8, v9
	;; [unrolled: 1-line block ×3, first 2 shown]
	v_mul_f32_e32 v10, v34, v9
	v_mul_f32_e32 v12, v29, v10
	v_fma_f32 v14, v10, v29, -v12
	v_fmac_f32_e32 v14, v10, v33
	v_sub_f32_e32 v13, v13, v9
	v_add_f32_e32 v29, v8, v13
	v_add_f32_e32 v8, v12, v14
	v_sub_f32_e32 v13, v9, v8
	v_pk_add_f32 v[30:31], v[8:9], v[12:13] neg_lo:[0,1] neg_hi:[0,1]
	v_mov_b32_e32 v15, v8
	v_pk_add_f32 v[8:9], v[30:31], v[14:15] neg_lo:[0,1] neg_hi:[0,1]
	s_or_b64 vcc, s[60:61], vcc
	v_add_f32_e32 v9, v29, v9
	v_add_f32_e32 v8, v8, v9
	;; [unrolled: 1-line block ×4, first 2 shown]
	v_sub_f32_e32 v12, v9, v35
	v_mul_f32_e32 v8, v34, v8
	v_sub_f32_e32 v10, v10, v12
	v_add_f32_e32 v10, v10, v8
	v_add_f32_e32 v12, v9, v10
	v_mul_f32_e32 v14, v12, v12
	v_fmamk_f32 v8, v14, 0x3e9b6dac, v139
	v_fmaak_f32 v29, v14, v8, 0x3f2aaada
	v_cvt_f32_i32_e32 v8, v32
	v_sub_f32_e32 v9, v12, v9
	v_sub_f32_e32 v9, v10, v9
	v_ldexp_f32 v10, v9, 1
	v_mul_f32_e32 v9, v12, v14
	v_pk_mul_f32 v[14:15], v[8:9], v[28:29]
	v_ldexp_f32 v13, v12, 1
	v_fma_f32 v12, v8, s13, -v14
	v_fmac_f32_e32 v12, 0xb102e308, v8
	v_pk_add_f32 v[8:9], v[14:15], v[12:13]
	v_mov_b32_e32 v30, v14
	v_sub_f32_e32 v13, v9, v13
	v_sub_f32_e32 v13, v15, v13
	v_add_f32_e32 v31, v10, v13
	v_pk_add_f32 v[14:15], v[8:9], v[14:15] neg_lo:[0,1] neg_hi:[0,1]
	v_pk_add_f32 v[32:33], v[8:9], v[30:31]
	v_mov_b32_e32 v13, v8
	v_mov_b32_e32 v15, v33
	v_pk_add_f32 v[34:35], v[12:13], v[14:15] neg_lo:[0,1] neg_hi:[0,1]
	v_pk_add_f32 v[12:13], v[12:13], v[14:15]
	s_nop 0
	v_mov_b32_e32 v10, v13
	v_pk_add_f32 v[14:15], v[10:11], v[8:9] neg_lo:[0,1] neg_hi:[0,1]
	v_mov_b32_e32 v12, v33
	v_mov_b32_e32 v15, v14
	v_pk_add_f32 v[36:37], v[32:33], v[14:15] neg_lo:[0,1] neg_hi:[0,1]
	v_mov_b32_e32 v32, v9
	v_mov_b32_e32 v33, v14
	v_mov_b32_e32 v35, v13
	v_pk_add_f32 v[12:13], v[12:13], v[32:33] neg_lo:[0,1] neg_hi:[0,1]
	v_mov_b32_e32 v14, v31
	v_mov_b32_e32 v15, v8
	v_pk_add_f32 v[8:9], v[14:15], v[12:13] neg_lo:[0,1] neg_hi:[0,1]
	v_mov_b32_e32 v36, v34
	v_pk_add_f32 v[12:13], v[36:37], v[8:9]
	s_nop 0
	v_mov_b32_e32 v14, v13
	v_pk_add_f32 v[14:15], v[12:13], v[14:15]
	s_nop 0
	v_pk_add_f32 v[30:31], v[10:11], v[14:15]
	v_mov_b32_e32 v9, v14
	v_mov_b32_e32 v13, v30
	v_pk_add_f32 v[32:33], v[12:13], v[34:35] neg_lo:[0,1] neg_hi:[0,1]
	s_nop 0
	v_sub_f32_e32 v10, v12, v32
	v_pk_add_f32 v[8:9], v[8:9], v[32:33] neg_lo:[0,1] neg_hi:[0,1]
	v_sub_f32_e32 v10, v34, v10
	v_add_f32_e32 v8, v8, v10
	v_add_f32_e32 v8, v8, v9
	;; [unrolled: 1-line block ×3, first 2 shown]
	v_cndmask_b32_e32 v46, v8, v27, vcc
.LBB120_105:                            ;   in Loop: Header=BB120_13 Depth=1
	s_or_b64 exec, exec, s[4:5]
	v_cvt_f32_f16_sdwa v8, v11 dst_sel:DWORD dst_unused:UNUSED_PAD src0_sel:WORD_1
	v_readlane_b32 s2, v166, 2
	s_nop 1
	v_add_f32_e32 v47, s2, v8
	v_readlane_b32 s2, v166, 23
	v_cmp_ge_f32_e32 vcc, s6, v47
	v_readlane_b32 s3, v166, 24
	s_and_b64 s[2:3], s[2:3], vcc
	s_and_saveexec_b64 s[4:5], s[2:3]
	s_cbranch_execz .LBB120_107
; %bb.106:                              ;   in Loop: Header=BB120_13 Depth=1
	v_mul_f32_e32 v8, 0x3fb8aa3b, v47
	v_rndne_f32_e32 v9, v8
	v_sub_f32_e32 v10, v8, v9
	v_fma_f32 v8, v47, s8, -v8
	v_fmac_f32_e32 v8, 0x32a5705f, v47
	v_add_f32_e32 v8, v10, v8
	v_cvt_i32_f32_e32 v9, v9
	v_exp_f32_e32 v8, v8
	v_cmp_ngt_f32_e32 vcc, s9, v47
	v_ldexp_f32 v8, v8, v9
	s_nop 0
	v_cndmask_b32_e32 v8, 0, v8, vcc
	v_cmp_nlt_f32_e32 vcc, s10, v47
	s_nop 1
	v_cndmask_b32_e32 v27, v140, v8, vcc
	v_add_f32_e32 v10, 1.0, v27
	v_add_f32_e32 v8, -1.0, v10
	v_sub_f32_e32 v9, v8, v10
	v_add_f32_e32 v9, 1.0, v9
	v_sub_f32_e32 v8, v27, v8
	v_add_f32_e32 v11, v8, v9
	v_frexp_mant_f32_e32 v12, v10
	v_cvt_f64_f32_e32 v[8:9], v10
	v_frexp_exp_i32_f64_e32 v8, v[8:9]
	v_cmp_gt_f32_e32 vcc, s12, v12
	v_cmp_gt_f32_e64 s[60:61], s16, v27
	s_nop 0
	v_subbrev_co_u32_e32 v30, vcc, 0, v8, vcc
	v_sub_u32_e32 v8, 0, v30
	v_ldexp_f32 v9, v10, v8
	v_add_f32_e32 v10, -1.0, v9
	v_add_f32_e32 v12, 1.0, v9
	v_ldexp_f32 v8, v11, v8
	v_add_f32_e32 v11, 1.0, v10
	v_add_f32_e32 v13, -1.0, v12
	v_sub_f32_e32 v11, v9, v11
	v_sub_f32_e32 v9, v9, v13
	v_add_f32_e32 v11, v8, v11
	v_add_f32_e32 v8, v8, v9
	;; [unrolled: 1-line block ×3, first 2 shown]
	v_rcp_f32_e32 v32, v29
	v_sub_f32_e32 v9, v12, v29
	v_add_f32_e32 v31, v8, v9
	v_add_f32_e32 v9, v10, v11
	v_mul_f32_e32 v34, v9, v32
	v_sub_f32_e32 v8, v10, v9
	v_mul_f32_e32 v10, v29, v34
	v_fma_f32 v12, v34, v29, -v10
	v_fmac_f32_e32 v12, v34, v31
	v_add_f32_e32 v33, v11, v8
	v_add_f32_e32 v8, v10, v12
	v_sub_f32_e32 v11, v9, v8
	v_pk_add_f32 v[14:15], v[8:9], v[10:11] neg_lo:[0,1] neg_hi:[0,1]
	v_mov_b32_e32 v13, v8
	v_pk_add_f32 v[8:9], v[14:15], v[12:13] neg_lo:[0,1] neg_hi:[0,1]
	v_cmp_eq_f32_e32 vcc, s11, v27
	v_add_f32_e32 v9, v33, v9
	v_add_f32_e32 v8, v8, v9
	;; [unrolled: 1-line block ×3, first 2 shown]
	v_mul_f32_e32 v33, v32, v9
	v_mul_f32_e32 v10, v29, v33
	v_fma_f32 v12, v33, v29, -v10
	v_fmac_f32_e32 v12, v33, v31
	v_sub_f32_e32 v11, v11, v9
	v_add_f32_e32 v29, v8, v11
	v_add_f32_e32 v8, v10, v12
	v_sub_f32_e32 v11, v9, v8
	v_pk_add_f32 v[14:15], v[8:9], v[10:11] neg_lo:[0,1] neg_hi:[0,1]
	v_mov_b32_e32 v13, v8
	v_pk_add_f32 v[8:9], v[14:15], v[12:13] neg_lo:[0,1] neg_hi:[0,1]
	s_or_b64 vcc, s[60:61], vcc
	v_add_f32_e32 v9, v29, v9
	v_add_f32_e32 v8, v8, v9
	;; [unrolled: 1-line block ×4, first 2 shown]
	v_sub_f32_e32 v10, v9, v34
	v_mul_f32_e32 v8, v32, v8
	v_sub_f32_e32 v10, v33, v10
	v_add_f32_e32 v10, v10, v8
	v_add_f32_e32 v12, v9, v10
	v_mul_f32_e32 v13, v12, v12
	v_fmamk_f32 v8, v13, 0x3e9b6dac, v139
	v_fmaak_f32 v29, v13, v8, 0x3f2aaada
	v_cvt_f32_i32_e32 v8, v30
	v_sub_f32_e32 v9, v12, v9
	v_sub_f32_e32 v9, v10, v9
	v_ldexp_f32 v14, v9, 1
	v_mul_f32_e32 v9, v12, v13
	v_ldexp_f32 v11, v12, 1
	v_pk_mul_f32 v[12:13], v[8:9], v[28:29]
	s_nop 0
	v_fma_f32 v10, v8, s13, -v12
	v_fmac_f32_e32 v10, 0xb102e308, v8
	v_pk_add_f32 v[8:9], v[12:13], v[10:11]
	s_nop 0
	v_sub_f32_e32 v11, v9, v11
	v_sub_f32_e32 v11, v13, v11
	v_add_f32_e32 v15, v14, v11
	v_mov_b32_e32 v14, v12
	v_pk_add_f32 v[12:13], v[8:9], v[12:13] neg_lo:[0,1] neg_hi:[0,1]
	v_pk_add_f32 v[30:31], v[8:9], v[14:15]
	v_mov_b32_e32 v11, v8
	v_mov_b32_e32 v13, v31
	v_pk_add_f32 v[32:33], v[10:11], v[12:13] neg_lo:[0,1] neg_hi:[0,1]
	v_pk_add_f32 v[10:11], v[10:11], v[12:13]
	v_mov_b32_e32 v14, v15
	v_mov_b32_e32 v12, v11
	v_pk_add_f32 v[34:35], v[12:13], v[8:9] neg_lo:[0,1] neg_hi:[0,1]
	v_mov_b32_e32 v10, v31
	v_mov_b32_e32 v13, v34
	v_pk_add_f32 v[36:37], v[30:31], v[12:13] neg_lo:[0,1] neg_hi:[0,1]
	v_mov_b32_e32 v30, v9
	v_mov_b32_e32 v31, v34
	;; [unrolled: 1-line block ×3, first 2 shown]
	v_pk_add_f32 v[10:11], v[10:11], v[30:31] neg_lo:[0,1] neg_hi:[0,1]
	v_mov_b32_e32 v15, v8
	v_pk_add_f32 v[8:9], v[14:15], v[10:11] neg_lo:[0,1] neg_hi:[0,1]
	v_mov_b32_e32 v36, v32
	v_pk_add_f32 v[10:11], v[36:37], v[8:9]
	s_nop 0
	v_mov_b32_e32 v14, v11
	v_pk_add_f32 v[14:15], v[10:11], v[14:15]
	s_nop 0
	v_pk_add_f32 v[12:13], v[12:13], v[14:15]
	v_mov_b32_e32 v9, v14
	v_mov_b32_e32 v11, v12
	v_pk_add_f32 v[30:31], v[10:11], v[32:33] neg_lo:[0,1] neg_hi:[0,1]
	s_nop 0
	v_sub_f32_e32 v10, v10, v30
	v_pk_add_f32 v[8:9], v[8:9], v[30:31] neg_lo:[0,1] neg_hi:[0,1]
	v_sub_f32_e32 v10, v32, v10
	v_add_f32_e32 v8, v8, v10
	v_add_f32_e32 v8, v8, v9
	;; [unrolled: 1-line block ×3, first 2 shown]
	v_cndmask_b32_e32 v47, v8, v27, vcc
.LBB120_107:                            ;   in Loop: Header=BB120_13 Depth=1
	s_or_b64 exec, exec, s[4:5]
	v_cvt_f32_f16_e32 v8, v7
	v_cvt_f32_f16_sdwa v9, v6 dst_sel:DWORD dst_unused:UNUSED_PAD src0_sel:WORD_1
	v_cvt_f32_f16_e32 v6, v6
	v_cvt_f32_f16_sdwa v13, v7 dst_sel:DWORD dst_unused:UNUSED_PAD src0_sel:WORD_1
	v_cvt_f32_f16_sdwa v7, v5 dst_sel:DWORD dst_unused:UNUSED_PAD src0_sel:WORD_1
	v_cvt_f32_f16_e32 v5, v5
	v_cvt_f32_f16_sdwa v10, v4 dst_sel:DWORD dst_unused:UNUSED_PAD src0_sel:WORD_1
	v_cvt_f32_f16_e32 v4, v4
	;; [unrolled: 2-line block ×6, first 2 shown]
	v_readlane_b32 s2, v166, 3
	s_barrier
	s_nop 0
	v_mul_f32_e32 v32, s2, v8
	v_mul_f32_e32 v31, s2, v9
	;; [unrolled: 1-line block ×16, first 2 shown]
	v_readlane_b32 s2, v166, 26
	v_readlane_b32 s3, v166, 27
	s_and_b64 vcc, exec, s[2:3]
	s_cbranch_vccz .LBB120_204
; %bb.108:                              ;   in Loop: Header=BB120_13 Depth=1
	v_readlane_b32 s2, v166, 9
	v_readlane_b32 s3, v166, 10
	v_mul_f32_e32 v127, v143, v0
	v_cmp_gt_u32_e32 vcc, s88, v19
	v_lshl_add_u64 v[48:49], s[2:3], 0, v[16:17]
	v_readlane_b32 s2, v166, 19
	v_readlane_b32 s3, v166, 20
	v_or_b32_e32 v0, 1, v19
	v_mov_b32_e32 v27, v17
	v_lshl_add_u64 v[50:51], s[2:3], 0, v[16:17]
	v_readlane_b32 s3, v166, 60
	s_cmp_lg_u32 s3, 0
	v_readlane_b32 s2, v166, 30
	s_cselect_b64 s[94:95], -1, 0
	s_cmp_eq_u32 s3, s2
	v_readlane_b32 s2, v166, 51
	v_readlane_b32 s3, v166, 52
	s_cselect_b64 s[96:97], -1, 0
	s_or_b64 s[60:61], s[2:3], vcc
	v_cmp_gt_u32_e32 vcc, s88, v0
	v_or_b32_e32 v0, 2, v19
	s_or_b64 s[62:63], s[2:3], vcc
	v_cmp_gt_u32_e32 vcc, s88, v0
	v_or_b32_e32 v0, 3, v19
	s_or_b64 s[64:65], s[2:3], vcc
	v_cmp_gt_u32_e32 vcc, s88, v0
	v_or_b32_e32 v0, 4, v19
	s_or_b64 s[66:67], s[2:3], vcc
	v_cmp_gt_u32_e32 vcc, s88, v0
	v_or_b32_e32 v0, 5, v19
	s_or_b64 s[68:69], s[2:3], vcc
	v_cmp_gt_u32_e32 vcc, s88, v0
	v_or_b32_e32 v0, 6, v19
	s_or_b64 s[70:71], s[2:3], vcc
	v_cmp_gt_u32_e32 vcc, s88, v0
	v_or_b32_e32 v0, 7, v19
	s_or_b64 s[72:73], s[2:3], vcc
	v_cmp_gt_u32_e32 vcc, s88, v0
	v_or_b32_e32 v0, 8, v19
	s_or_b64 s[74:75], s[2:3], vcc
	v_cmp_gt_u32_e32 vcc, s88, v0
	v_or_b32_e32 v0, 9, v19
	s_or_b64 s[76:77], s[2:3], vcc
	v_cmp_gt_u32_e32 vcc, s88, v0
	v_or_b32_e32 v0, 10, v19
	s_or_b64 s[78:79], s[2:3], vcc
	v_cmp_gt_u32_e32 vcc, s88, v0
	v_or_b32_e32 v0, 11, v19
	s_or_b64 s[80:81], s[2:3], vcc
	v_cmp_gt_u32_e32 vcc, s88, v0
	v_or_b32_e32 v0, 12, v19
	s_or_b64 s[82:83], s[2:3], vcc
	v_cmp_gt_u32_e32 vcc, s88, v0
	v_or_b32_e32 v0, 13, v19
	s_or_b64 s[84:85], s[2:3], vcc
	v_cmp_gt_u32_e32 vcc, s88, v0
	v_or_b32_e32 v0, 14, v19
	s_or_b64 s[86:87], s[2:3], vcc
	v_cmp_gt_u32_e32 vcc, s88, v0
	v_or_b32_e32 v0, 15, v19
	s_mov_b32 s6, 0
	v_cmp_gt_u32_e64 s[88:89], s88, v0
	v_mul_f32_e32 v29, v47, v13
	v_lshl_add_u64 v[48:49], v[48:49], 0, v[26:27]
	v_lshl_add_u64 v[50:51], v[50:51], 0, v[26:27]
	v_mul_f32_e32 v16, v46, v8
	v_mul_f32_e32 v27, v156, v9
	;; [unrolled: 1-line block ×14, first 2 shown]
	s_or_b64 s[88:89], s[2:3], s[88:89]
	s_or_b64 s[90:91], s[2:3], vcc
	s_mov_b32 s92, s6
	s_mov_b32 s98, s6
	;; [unrolled: 1-line block ×3, first 2 shown]
	v_readlane_b32 s8, v166, 25
	v_readlane_b32 s9, v166, 59
	s_branch .LBB120_110
.LBB120_109:                            ;   in Loop: Header=BB120_110 Depth=2
	s_or_b64 exec, exec, s[2:3]
	v_cndmask_b32_e64 v8, v8, v71, s[24:25]
	v_cndmask_b32_e64 v52, v62, v70, s[24:25]
	v_mul_f32_e32 v52, v52, v129
	v_fma_f32 v8, v8, v129, v128
	v_cndmask_b32_e64 v8, v8, v128, s[22:23]
	v_cndmask_b32_e64 v52, v52, v129, s[22:23]
	s_waitcnt lgkmcnt(0)
	v_fmac_f32_e32 v8, v65, v52
	v_fmac_f32_e32 v9, v8, v130
	;; [unrolled: 1-line block ×15, first 2 shown]
	v_readlane_b32 s12, v166, 31
	v_fmac_f32_e32 v63, v61, v67
	v_cvt_f32_f16_sdwa v53, v4 dst_sel:DWORD dst_unused:UNUSED_PAD src0_sel:WORD_1
	v_cvt_f32_f16_sdwa v65, v5 dst_sel:DWORD dst_unused:UNUSED_PAD src0_sel:WORD_1
	v_cvt_f32_f16_e32 v52, v4
	v_cvt_f32_f16_e32 v64, v5
	v_cvt_f32_f16_sdwa v5, v6 dst_sel:DWORD dst_unused:UNUSED_PAD src0_sel:WORD_1
	v_cvt_f32_f16_sdwa v67, v7 dst_sel:DWORD dst_unused:UNUSED_PAD src0_sel:WORD_1
	v_cvt_f32_f16_e32 v4, v6
	v_cvt_f32_f16_e32 v66, v7
	;; [unrolled: 4-line block ×4, first 2 shown]
	v_readlane_b32 s13, v166, 32
	v_readlane_b32 s14, v166, 33
	;; [unrolled: 1-line block ×7, first 2 shown]
	s_add_i32 s98, s98, s12
	v_readlane_b32 s12, v166, 11
	v_readlane_b32 s2, v166, 4
	;; [unrolled: 1-line block ×4, first 2 shown]
	v_mov_b32_e32 v62, v61
	s_add_i32 s9, s9, 8
	s_add_i32 s8, s8, -1
	s_add_i32 s4, s4, s2
	s_add_i32 s92, s92, s16
	s_add_i32 s6, s6, s13
	v_pk_fma_f32 v[44:45], v[10:11], v[64:65], v[44:45]
	v_pk_fma_f32 v[42:43], v[8:9], v[52:53], v[42:43]
	;; [unrolled: 1-line block ×7, first 2 shown]
	s_cmp_eq_u32 s8, 0
	v_pk_fma_f32 v[30:31], v[56:57], v[0:1], v[30:31]
	v_readlane_b32 s14, v166, 13
	v_readlane_b32 s15, v166, 14
	;; [unrolled: 1-line block ×5, first 2 shown]
	s_cbranch_scc1 .LBB120_203
.LBB120_110:                            ;   Parent Loop BB120_13 Depth=1
                                        ; =>  This Inner Loop Header: Depth=2
	s_lshl_b64 s[2:3], s[6:7], 2
	v_readlane_b32 s5, v166, 7
	s_add_u32 s2, s5, s2
	v_readlane_b32 s5, v166, 8
	s_addc_u32 s3, s5, s3
	global_load_dword v54, v17, s[2:3]
	s_mov_b32 s93, s7
	v_lshl_add_u64 v[0:1], s[92:93], 1, v[48:49]
	v_mov_b32_e32 v2, 0
	v_mov_b32_e32 v3, 0
	s_and_saveexec_b64 s[2:3], s[26:27]
	s_cbranch_execnz .LBB120_146
; %bb.111:                              ;   in Loop: Header=BB120_110 Depth=2
	s_or_b64 exec, exec, s[2:3]
	s_and_saveexec_b64 s[2:3], s[28:29]
	s_cbranch_execnz .LBB120_147
.LBB120_112:                            ;   in Loop: Header=BB120_110 Depth=2
	s_or_b64 exec, exec, s[2:3]
	v_mov_b32_e32 v4, 0
	s_and_saveexec_b64 s[2:3], s[30:31]
	s_cbranch_execnz .LBB120_148
.LBB120_113:                            ;   in Loop: Header=BB120_110 Depth=2
	s_or_b64 exec, exec, s[2:3]
	s_and_saveexec_b64 s[2:3], s[34:35]
	s_cbranch_execnz .LBB120_149
.LBB120_114:                            ;   in Loop: Header=BB120_110 Depth=2
	s_or_b64 exec, exec, s[2:3]
	v_mov_b32_e32 v5, 0
	s_and_saveexec_b64 s[2:3], s[36:37]
	s_cbranch_execnz .LBB120_150
.LBB120_115:                            ;   in Loop: Header=BB120_110 Depth=2
	s_or_b64 exec, exec, s[2:3]
	s_and_saveexec_b64 s[2:3], s[38:39]
	s_cbranch_execnz .LBB120_151
.LBB120_116:                            ;   in Loop: Header=BB120_110 Depth=2
	s_or_b64 exec, exec, s[2:3]
	v_mov_b32_e32 v6, 0
	s_and_saveexec_b64 s[2:3], s[40:41]
	s_cbranch_execnz .LBB120_152
.LBB120_117:                            ;   in Loop: Header=BB120_110 Depth=2
	s_or_b64 exec, exec, s[2:3]
	s_and_saveexec_b64 s[2:3], s[42:43]
	s_cbranch_execnz .LBB120_153
.LBB120_118:                            ;   in Loop: Header=BB120_110 Depth=2
	s_or_b64 exec, exec, s[2:3]
	v_mov_b32_e32 v7, 0
	s_and_saveexec_b64 s[2:3], s[44:45]
	s_cbranch_execnz .LBB120_154
.LBB120_119:                            ;   in Loop: Header=BB120_110 Depth=2
	s_or_b64 exec, exec, s[2:3]
	s_and_saveexec_b64 s[2:3], s[46:47]
	s_cbranch_execnz .LBB120_155
.LBB120_120:                            ;   in Loop: Header=BB120_110 Depth=2
	s_or_b64 exec, exec, s[2:3]
	v_mov_b32_e32 v8, 0
	s_and_saveexec_b64 s[2:3], s[48:49]
	s_cbranch_execnz .LBB120_156
.LBB120_121:                            ;   in Loop: Header=BB120_110 Depth=2
	s_or_b64 exec, exec, s[2:3]
	s_and_saveexec_b64 s[2:3], s[50:51]
	s_cbranch_execnz .LBB120_157
.LBB120_122:                            ;   in Loop: Header=BB120_110 Depth=2
	s_or_b64 exec, exec, s[2:3]
	v_mov_b32_e32 v9, 0
	s_and_saveexec_b64 s[2:3], s[52:53]
	s_cbranch_execnz .LBB120_158
.LBB120_123:                            ;   in Loop: Header=BB120_110 Depth=2
	s_or_b64 exec, exec, s[2:3]
	s_and_saveexec_b64 s[2:3], s[54:55]
	s_cbranch_execnz .LBB120_159
.LBB120_124:                            ;   in Loop: Header=BB120_110 Depth=2
	s_or_b64 exec, exec, s[2:3]
	v_mov_b32_e32 v10, 0
	s_and_saveexec_b64 s[2:3], s[56:57]
	s_cbranch_execnz .LBB120_160
.LBB120_125:                            ;   in Loop: Header=BB120_110 Depth=2
	s_or_b64 exec, exec, s[2:3]
	s_and_saveexec_b64 s[2:3], s[58:59]
	s_cbranch_execz .LBB120_127
.LBB120_126:                            ;   in Loop: Header=BB120_110 Depth=2
	global_load_ushort v0, v[0:1], off offset:1920
	s_waitcnt vmcnt(0)
	v_lshl_or_b32 v10, v0, 16, v10
.LBB120_127:                            ;   in Loop: Header=BB120_110 Depth=2
	s_or_b64 exec, exec, s[2:3]
	s_waitcnt vmcnt(0)
	ds_write_b16 v88, v3
	ds_write_b16 v89, v2 offset:128
	ds_write_b16 v90, v4 offset:256
	ds_write_b16_d16_hi v91, v4 offset:384
	ds_write_b16 v92, v5 offset:512
	ds_write_b16_d16_hi v93, v5 offset:640
	;; [unrolled: 2-line block ×7, first 2 shown]
	; wave barrier
	ds_read_b128 v[12:15], v119
	ds_read_b128 v[8:11], v119 offset:16
	s_mov_b32 s99, s7
	v_lshl_add_u64 v[0:1], s[98:99], 1, v[50:51]
	v_mov_b32_e32 v2, 0
	v_mov_b32_e32 v3, 0
	s_and_saveexec_b64 s[2:3], s[26:27]
	s_cbranch_execnz .LBB120_161
; %bb.128:                              ;   in Loop: Header=BB120_110 Depth=2
	s_or_b64 exec, exec, s[2:3]
	s_and_saveexec_b64 s[2:3], s[28:29]
	s_cbranch_execnz .LBB120_162
.LBB120_129:                            ;   in Loop: Header=BB120_110 Depth=2
	s_or_b64 exec, exec, s[2:3]
	v_mov_b32_e32 v4, 0
	s_and_saveexec_b64 s[2:3], s[30:31]
	s_cbranch_execnz .LBB120_163
.LBB120_130:                            ;   in Loop: Header=BB120_110 Depth=2
	s_or_b64 exec, exec, s[2:3]
	s_and_saveexec_b64 s[2:3], s[34:35]
	s_cbranch_execnz .LBB120_164
.LBB120_131:                            ;   in Loop: Header=BB120_110 Depth=2
	s_or_b64 exec, exec, s[2:3]
	v_mov_b32_e32 v5, 0
	s_and_saveexec_b64 s[2:3], s[36:37]
	s_cbranch_execnz .LBB120_165
.LBB120_132:                            ;   in Loop: Header=BB120_110 Depth=2
	s_or_b64 exec, exec, s[2:3]
	s_and_saveexec_b64 s[2:3], s[38:39]
	s_cbranch_execnz .LBB120_166
.LBB120_133:                            ;   in Loop: Header=BB120_110 Depth=2
	s_or_b64 exec, exec, s[2:3]
	v_mov_b32_e32 v6, 0
	s_and_saveexec_b64 s[2:3], s[40:41]
	s_cbranch_execnz .LBB120_167
.LBB120_134:                            ;   in Loop: Header=BB120_110 Depth=2
	s_or_b64 exec, exec, s[2:3]
	s_and_saveexec_b64 s[2:3], s[42:43]
	s_cbranch_execnz .LBB120_168
.LBB120_135:                            ;   in Loop: Header=BB120_110 Depth=2
	s_or_b64 exec, exec, s[2:3]
	v_mov_b32_e32 v7, 0
	s_and_saveexec_b64 s[2:3], s[44:45]
	s_cbranch_execnz .LBB120_169
.LBB120_136:                            ;   in Loop: Header=BB120_110 Depth=2
	s_or_b64 exec, exec, s[2:3]
	s_and_saveexec_b64 s[2:3], s[46:47]
	s_cbranch_execnz .LBB120_170
.LBB120_137:                            ;   in Loop: Header=BB120_110 Depth=2
	s_or_b64 exec, exec, s[2:3]
	v_mov_b32_e32 v52, 0
	s_and_saveexec_b64 s[2:3], s[48:49]
	s_cbranch_execnz .LBB120_171
.LBB120_138:                            ;   in Loop: Header=BB120_110 Depth=2
	s_or_b64 exec, exec, s[2:3]
	s_and_saveexec_b64 s[2:3], s[50:51]
	s_cbranch_execnz .LBB120_172
.LBB120_139:                            ;   in Loop: Header=BB120_110 Depth=2
	s_or_b64 exec, exec, s[2:3]
	v_mov_b32_e32 v53, 0
	s_and_saveexec_b64 s[2:3], s[52:53]
	s_cbranch_execnz .LBB120_173
.LBB120_140:                            ;   in Loop: Header=BB120_110 Depth=2
	s_or_b64 exec, exec, s[2:3]
	s_and_saveexec_b64 s[2:3], s[54:55]
	s_cbranch_execnz .LBB120_174
.LBB120_141:                            ;   in Loop: Header=BB120_110 Depth=2
	s_or_b64 exec, exec, s[2:3]
	v_mov_b32_e32 v55, 0
	s_and_saveexec_b64 s[2:3], s[56:57]
	s_cbranch_execnz .LBB120_175
.LBB120_142:                            ;   in Loop: Header=BB120_110 Depth=2
	s_or_b64 exec, exec, s[2:3]
	s_and_saveexec_b64 s[2:3], s[58:59]
	s_cbranch_execz .LBB120_144
.LBB120_143:                            ;   in Loop: Header=BB120_110 Depth=2
	global_load_ushort v0, v[0:1], off offset:1920
	s_waitcnt vmcnt(0)
	v_lshl_or_b32 v55, v0, 16, v55
.LBB120_144:                            ;   in Loop: Header=BB120_110 Depth=2
	s_or_b64 exec, exec, s[2:3]
	s_waitcnt vmcnt(0)
	ds_write_b16 v88, v3 offset:4224
	ds_write_b16 v101, v2 offset:128
	;; [unrolled: 1-line block ×3, first 2 shown]
	ds_write_b16_d16_hi v103, v4 offset:384
	ds_write_b16 v104, v5 offset:512
	ds_write_b16_d16_hi v105, v5 offset:640
	ds_write_b16 v106, v6 offset:768
	ds_write_b16_d16_hi v107, v6 offset:896
	ds_write_b16 v108, v7 offset:1024
	ds_write_b16_d16_hi v109, v7 offset:1152
	ds_write_b16 v110, v52 offset:1280
	ds_write_b16_d16_hi v111, v52 offset:1408
	ds_write_b16 v112, v53 offset:1536
	ds_write_b16_d16_hi v114, v53 offset:1664
	ds_write_b16 v116, v55 offset:1792
	ds_write_b16_d16_hi v118, v55 offset:1920
	; wave barrier
	ds_read_b128 v[4:7], v119 offset:4224
	ds_read_b128 v[0:3], v120 offset:16
	s_andn2_b64 vcc, exec, s[94:95]
	s_cbranch_vccnz .LBB120_176
; %bb.145:                              ;   in Loop: Header=BB120_110 Depth=2
	v_mov_b32_e32 v52, s9
	ds_read_b64 v[52:53], v52
	s_cbranch_execz .LBB120_177
	s_branch .LBB120_180
.LBB120_146:                            ;   in Loop: Header=BB120_110 Depth=2
	global_load_ushort v3, v[0:1], off
	s_or_b64 exec, exec, s[2:3]
	s_and_saveexec_b64 s[2:3], s[28:29]
	s_cbranch_execz .LBB120_112
.LBB120_147:                            ;   in Loop: Header=BB120_110 Depth=2
	global_load_ushort v2, v[0:1], off offset:128
	s_or_b64 exec, exec, s[2:3]
	v_mov_b32_e32 v4, 0
	s_and_saveexec_b64 s[2:3], s[30:31]
	s_cbranch_execz .LBB120_113
.LBB120_148:                            ;   in Loop: Header=BB120_110 Depth=2
	global_load_ushort v4, v[0:1], off offset:256
	s_or_b64 exec, exec, s[2:3]
	s_and_saveexec_b64 s[2:3], s[34:35]
	s_cbranch_execz .LBB120_114
.LBB120_149:                            ;   in Loop: Header=BB120_110 Depth=2
	global_load_ushort v5, v[0:1], off offset:384
	s_waitcnt vmcnt(0)
	v_lshl_or_b32 v4, v5, 16, v4
	s_or_b64 exec, exec, s[2:3]
	v_mov_b32_e32 v5, 0
	s_and_saveexec_b64 s[2:3], s[36:37]
	s_cbranch_execz .LBB120_115
.LBB120_150:                            ;   in Loop: Header=BB120_110 Depth=2
	global_load_ushort v5, v[0:1], off offset:512
	s_or_b64 exec, exec, s[2:3]
	s_and_saveexec_b64 s[2:3], s[38:39]
	s_cbranch_execz .LBB120_116
.LBB120_151:                            ;   in Loop: Header=BB120_110 Depth=2
	global_load_ushort v6, v[0:1], off offset:640
	s_waitcnt vmcnt(0)
	v_lshl_or_b32 v5, v6, 16, v5
	s_or_b64 exec, exec, s[2:3]
	v_mov_b32_e32 v6, 0
	s_and_saveexec_b64 s[2:3], s[40:41]
	s_cbranch_execz .LBB120_117
.LBB120_152:                            ;   in Loop: Header=BB120_110 Depth=2
	global_load_ushort v6, v[0:1], off offset:768
	s_or_b64 exec, exec, s[2:3]
	s_and_saveexec_b64 s[2:3], s[42:43]
	s_cbranch_execz .LBB120_118
.LBB120_153:                            ;   in Loop: Header=BB120_110 Depth=2
	global_load_ushort v7, v[0:1], off offset:896
	s_waitcnt vmcnt(0)
	v_lshl_or_b32 v6, v7, 16, v6
	s_or_b64 exec, exec, s[2:3]
	v_mov_b32_e32 v7, 0
	s_and_saveexec_b64 s[2:3], s[44:45]
	s_cbranch_execz .LBB120_119
.LBB120_154:                            ;   in Loop: Header=BB120_110 Depth=2
	global_load_ushort v7, v[0:1], off offset:1024
	s_or_b64 exec, exec, s[2:3]
	s_and_saveexec_b64 s[2:3], s[46:47]
	s_cbranch_execz .LBB120_120
.LBB120_155:                            ;   in Loop: Header=BB120_110 Depth=2
	global_load_ushort v8, v[0:1], off offset:1152
	s_waitcnt vmcnt(0)
	v_lshl_or_b32 v7, v8, 16, v7
	s_or_b64 exec, exec, s[2:3]
	v_mov_b32_e32 v8, 0
	s_and_saveexec_b64 s[2:3], s[48:49]
	s_cbranch_execz .LBB120_121
.LBB120_156:                            ;   in Loop: Header=BB120_110 Depth=2
	global_load_ushort v8, v[0:1], off offset:1280
	s_or_b64 exec, exec, s[2:3]
	s_and_saveexec_b64 s[2:3], s[50:51]
	s_cbranch_execz .LBB120_122
.LBB120_157:                            ;   in Loop: Header=BB120_110 Depth=2
	global_load_ushort v9, v[0:1], off offset:1408
	s_waitcnt vmcnt(0)
	v_lshl_or_b32 v8, v9, 16, v8
	s_or_b64 exec, exec, s[2:3]
	v_mov_b32_e32 v9, 0
	s_and_saveexec_b64 s[2:3], s[52:53]
	s_cbranch_execz .LBB120_123
.LBB120_158:                            ;   in Loop: Header=BB120_110 Depth=2
	global_load_ushort v9, v[0:1], off offset:1536
	s_or_b64 exec, exec, s[2:3]
	s_and_saveexec_b64 s[2:3], s[54:55]
	s_cbranch_execz .LBB120_124
.LBB120_159:                            ;   in Loop: Header=BB120_110 Depth=2
	global_load_ushort v10, v[0:1], off offset:1664
	s_waitcnt vmcnt(0)
	v_lshl_or_b32 v9, v10, 16, v9
	s_or_b64 exec, exec, s[2:3]
	v_mov_b32_e32 v10, 0
	s_and_saveexec_b64 s[2:3], s[56:57]
	s_cbranch_execz .LBB120_125
.LBB120_160:                            ;   in Loop: Header=BB120_110 Depth=2
	global_load_ushort v10, v[0:1], off offset:1792
	s_or_b64 exec, exec, s[2:3]
	s_and_saveexec_b64 s[2:3], s[58:59]
	s_cbranch_execnz .LBB120_126
	s_branch .LBB120_127
.LBB120_161:                            ;   in Loop: Header=BB120_110 Depth=2
	global_load_ushort v3, v[0:1], off
	s_or_b64 exec, exec, s[2:3]
	s_and_saveexec_b64 s[2:3], s[28:29]
	s_cbranch_execz .LBB120_129
.LBB120_162:                            ;   in Loop: Header=BB120_110 Depth=2
	global_load_ushort v2, v[0:1], off offset:128
	s_or_b64 exec, exec, s[2:3]
	v_mov_b32_e32 v4, 0
	s_and_saveexec_b64 s[2:3], s[30:31]
	s_cbranch_execz .LBB120_130
.LBB120_163:                            ;   in Loop: Header=BB120_110 Depth=2
	global_load_ushort v4, v[0:1], off offset:256
	s_or_b64 exec, exec, s[2:3]
	s_and_saveexec_b64 s[2:3], s[34:35]
	s_cbranch_execz .LBB120_131
.LBB120_164:                            ;   in Loop: Header=BB120_110 Depth=2
	global_load_ushort v5, v[0:1], off offset:384
	s_waitcnt vmcnt(0)
	v_lshl_or_b32 v4, v5, 16, v4
	s_or_b64 exec, exec, s[2:3]
	v_mov_b32_e32 v5, 0
	s_and_saveexec_b64 s[2:3], s[36:37]
	s_cbranch_execz .LBB120_132
.LBB120_165:                            ;   in Loop: Header=BB120_110 Depth=2
	global_load_ushort v5, v[0:1], off offset:512
	s_or_b64 exec, exec, s[2:3]
	s_and_saveexec_b64 s[2:3], s[38:39]
	s_cbranch_execz .LBB120_133
.LBB120_166:                            ;   in Loop: Header=BB120_110 Depth=2
	global_load_ushort v6, v[0:1], off offset:640
	s_waitcnt vmcnt(0)
	v_lshl_or_b32 v5, v6, 16, v5
	s_or_b64 exec, exec, s[2:3]
	v_mov_b32_e32 v6, 0
	s_and_saveexec_b64 s[2:3], s[40:41]
	s_cbranch_execz .LBB120_134
.LBB120_167:                            ;   in Loop: Header=BB120_110 Depth=2
	global_load_ushort v6, v[0:1], off offset:768
	s_or_b64 exec, exec, s[2:3]
	s_and_saveexec_b64 s[2:3], s[42:43]
	s_cbranch_execz .LBB120_135
.LBB120_168:                            ;   in Loop: Header=BB120_110 Depth=2
	global_load_ushort v7, v[0:1], off offset:896
	s_waitcnt vmcnt(0)
	v_lshl_or_b32 v6, v7, 16, v6
	s_or_b64 exec, exec, s[2:3]
	v_mov_b32_e32 v7, 0
	s_and_saveexec_b64 s[2:3], s[44:45]
	s_cbranch_execz .LBB120_136
.LBB120_169:                            ;   in Loop: Header=BB120_110 Depth=2
	global_load_ushort v7, v[0:1], off offset:1024
	s_or_b64 exec, exec, s[2:3]
	s_and_saveexec_b64 s[2:3], s[46:47]
	s_cbranch_execz .LBB120_137
.LBB120_170:                            ;   in Loop: Header=BB120_110 Depth=2
	global_load_ushort v52, v[0:1], off offset:1152
	s_waitcnt vmcnt(0)
	v_lshl_or_b32 v7, v52, 16, v7
	s_or_b64 exec, exec, s[2:3]
	v_mov_b32_e32 v52, 0
	s_and_saveexec_b64 s[2:3], s[48:49]
	s_cbranch_execz .LBB120_138
.LBB120_171:                            ;   in Loop: Header=BB120_110 Depth=2
	global_load_ushort v52, v[0:1], off offset:1280
	s_or_b64 exec, exec, s[2:3]
	s_and_saveexec_b64 s[2:3], s[50:51]
	s_cbranch_execz .LBB120_139
.LBB120_172:                            ;   in Loop: Header=BB120_110 Depth=2
	global_load_ushort v53, v[0:1], off offset:1408
	s_waitcnt vmcnt(0)
	v_lshl_or_b32 v52, v53, 16, v52
	s_or_b64 exec, exec, s[2:3]
	v_mov_b32_e32 v53, 0
	s_and_saveexec_b64 s[2:3], s[52:53]
	s_cbranch_execz .LBB120_140
.LBB120_173:                            ;   in Loop: Header=BB120_110 Depth=2
	global_load_ushort v53, v[0:1], off offset:1536
	s_or_b64 exec, exec, s[2:3]
	s_and_saveexec_b64 s[2:3], s[54:55]
	s_cbranch_execz .LBB120_141
.LBB120_174:                            ;   in Loop: Header=BB120_110 Depth=2
	global_load_ushort v55, v[0:1], off offset:1664
	s_waitcnt vmcnt(0)
	v_lshl_or_b32 v53, v55, 16, v53
	s_or_b64 exec, exec, s[2:3]
	v_mov_b32_e32 v55, 0
	s_and_saveexec_b64 s[2:3], s[56:57]
	s_cbranch_execz .LBB120_142
.LBB120_175:                            ;   in Loop: Header=BB120_110 Depth=2
	global_load_ushort v55, v[0:1], off offset:1792
	s_or_b64 exec, exec, s[2:3]
	s_and_saveexec_b64 s[2:3], s[58:59]
	s_cbranch_execnz .LBB120_143
	s_branch .LBB120_144
.LBB120_176:                            ;   in Loop: Header=BB120_110 Depth=2
                                        ; implicit-def: $vgpr53
.LBB120_177:                            ;   in Loop: Header=BB120_110 Depth=2
	v_readlane_b32 s2, v166, 0
	v_readlane_b32 s3, v166, 1
	s_andn2_b64 vcc, exec, s[2:3]
	s_waitcnt lgkmcnt(0)
	v_mov_b32_e32 v53, 0
	s_cbranch_vccnz .LBB120_179
; %bb.178:                              ;   in Loop: Header=BB120_110 Depth=2
	s_mov_b32 s5, s7
	s_lshl_b64 s[2:3], s[4:5], 2
	v_readlane_b32 s5, v166, 21
	s_add_u32 s2, s5, s2
	v_readlane_b32 s5, v166, 22
	s_addc_u32 s3, s5, s3
	global_load_dword v53, v17, s[2:3]
.LBB120_179:                            ;   in Loop: Header=BB120_110 Depth=2
	v_mov_b32_e32 v52, 1.0
.LBB120_180:                            ;   in Loop: Header=BB120_110 Depth=2
	s_waitcnt lgkmcnt(14)
	v_cvt_f32_f16_e32 v59, v8
	v_cvt_f32_f16_sdwa v60, v8 dst_sel:DWORD dst_unused:UNUSED_PAD src0_sel:WORD_1
	v_mul_f32_e32 v8, 0x3fb8aa3b, v54
	v_cvt_f32_f16_e32 v61, v9
	v_cvt_f32_f16_sdwa v63, v9 dst_sel:DWORD dst_unused:UNUSED_PAD src0_sel:WORD_1
	v_mul_f32_e32 v9, v8, v143
	v_cmp_gt_f32_e32 vcc, s33, v9
	v_cvt_f32_f16_e32 v64, v10
	v_cvt_f32_f16_sdwa v65, v10 dst_sel:DWORD dst_unused:UNUSED_PAD src0_sel:WORD_1
	v_cndmask_b32_e32 v9, 0, v141, vcc
	v_fmac_f32_e32 v9, v8, v143
	v_exp_f32_e32 v9, v9
	v_cndmask_b32_e32 v10, 1.0, v142, vcc
	v_cvt_f32_f16_e32 v55, v12
	v_cvt_f32_f16_e32 v68, v11
	v_mul_f32_e32 v9, v9, v10
	v_cndmask_b32_e64 v129, 1.0, v9, s[60:61]
	v_mul_f32_e32 v9, v8, v144
	v_cmp_gt_f32_e32 vcc, s33, v9
	v_mul_f32_e32 v10, v127, v55
	v_cndmask_b32_e64 v128, 0, v10, s[60:61]
	v_cndmask_b32_e32 v9, 0, v141, vcc
	v_fmac_f32_e32 v9, v8, v144
	v_exp_f32_e32 v9, v9
	v_cndmask_b32_e32 v10, 1.0, v142, vcc
	v_cvt_f32_f16_sdwa v62, v11 dst_sel:DWORD dst_unused:UNUSED_PAD src0_sel:WORD_1
	v_cvt_f32_f16_sdwa v12, v12 dst_sel:DWORD dst_unused:UNUSED_PAD src0_sel:WORD_1
	v_mul_f32_e32 v10, v9, v10
	v_cndmask_b32_e64 v130, 1.0, v10, s[62:63]
	v_mul_f32_e32 v10, v8, v145
	v_cmp_gt_f32_e32 vcc, s33, v10
	v_mul_f32_e32 v9, v126, v12
	v_cvt_f32_f16_e32 v56, v13
	v_cndmask_b32_e32 v10, 0, v141, vcc
	v_fmac_f32_e32 v10, v8, v145
	v_exp_f32_e32 v10, v10
	v_cndmask_b32_e32 v11, 1.0, v142, vcc
	v_cvt_f32_f16_sdwa v13, v13 dst_sel:DWORD dst_unused:UNUSED_PAD src0_sel:WORD_1
	v_cvt_f32_f16_e32 v57, v14
	v_mul_f32_e32 v11, v10, v11
	v_cndmask_b32_e64 v131, 1.0, v11, s[64:65]
	v_mul_f32_e32 v11, v8, v146
	v_cmp_gt_f32_e32 vcc, s33, v11
	v_cvt_f32_f16_sdwa v14, v14 dst_sel:DWORD dst_unused:UNUSED_PAD src0_sel:WORD_1
	v_mul_f32_e32 v10, v125, v56
	v_cndmask_b32_e32 v11, 0, v141, vcc
	v_fmac_f32_e32 v11, v8, v146
	v_exp_f32_e32 v11, v11
	v_cndmask_b32_e32 v12, 1.0, v142, vcc
	v_cvt_f32_f16_e32 v58, v15
	v_cndmask_b32_e64 v9, 0, v9, s[62:63]
	v_mul_f32_e32 v12, v11, v12
	v_cndmask_b32_e64 v132, 1.0, v12, s[66:67]
	v_mul_f32_e32 v12, v8, v147
	v_cmp_gt_f32_e32 vcc, s33, v12
	v_mul_f32_e32 v11, v124, v13
	v_pk_mul_f32 v[66:67], v[8:9], v[46:47] op_sel_hi:[0,1]
	v_cndmask_b32_e32 v12, 0, v141, vcc
	v_fmac_f32_e32 v12, v8, v147
	v_exp_f32_e32 v12, v12
	v_cndmask_b32_e32 v13, 1.0, v142, vcc
	v_mul_f32_e32 v62, v29, v62
	v_cvt_f32_f16_sdwa v15, v15 dst_sel:DWORD dst_unused:UNUSED_PAD src0_sel:WORD_1
	v_mul_f32_e32 v13, v12, v13
	v_cndmask_b32_e64 v133, 1.0, v13, s[68:69]
	v_mul_f32_e32 v13, v8, v148
	v_cmp_gt_f32_e32 vcc, s33, v13
	v_mul_f32_e32 v12, v165, v57
	v_cndmask_b32_e64 v10, 0, v10, s[64:65]
	v_cndmask_b32_e32 v13, 0, v141, vcc
	v_fmac_f32_e32 v13, v8, v148
	v_exp_f32_e32 v13, v13
	v_cndmask_b32_e32 v54, 1.0, v142, vcc
	v_cndmask_b32_e64 v11, 0, v11, s[66:67]
	v_cndmask_b32_e64 v12, 0, v12, s[68:69]
	v_mul_f32_e32 v54, v13, v54
	v_mul_f32_e32 v13, v164, v14
	;; [unrolled: 1-line block ×3, first 2 shown]
	v_cmp_gt_f32_e32 vcc, s33, v14
	v_cndmask_b32_e64 v134, 1.0, v54, s[70:71]
	v_cndmask_b32_e64 v13, 0, v13, s[70:71]
	v_cndmask_b32_e32 v14, 0, v141, vcc
	v_fmac_f32_e32 v14, v8, v149
	v_exp_f32_e32 v14, v14
	v_cndmask_b32_e32 v54, 1.0, v142, vcc
	v_mul_f32_e32 v15, v162, v15
	v_cndmask_b32_e64 v15, 0, v15, s[74:75]
	v_mul_f32_e32 v54, v14, v54
	v_cndmask_b32_e64 v135, 1.0, v54, s[72:73]
	v_mul_f32_e32 v54, v8, v150
	v_cmp_gt_f32_e32 vcc, s33, v54
	v_mul_f32_e32 v14, v163, v58
	v_cndmask_b32_e64 v14, 0, v14, s[72:73]
	v_cndmask_b32_e32 v54, 0, v141, vcc
	v_fmac_f32_e32 v54, v8, v150
	v_exp_f32_e32 v54, v54
	v_cndmask_b32_e32 v55, 1.0, v142, vcc
	v_readlane_b32 s10, v166, 39
	v_readlane_b32 s11, v166, 40
	v_mul_f32_e32 v54, v54, v55
	v_cndmask_b32_e64 v136, 1.0, v54, s[74:75]
	v_mul_f32_e32 v54, v8, v151
	v_cmp_gt_f32_e32 vcc, s33, v54
	s_nop 1
	v_cndmask_b32_e32 v54, 0, v141, vcc
	v_fmac_f32_e32 v54, v8, v151
	v_exp_f32_e32 v54, v54
	v_cndmask_b32_e32 v55, 1.0, v142, vcc
	v_mul_f32_e32 v55, v54, v55
	v_cndmask_b32_e64 v137, 1.0, v55, s[76:77]
	v_mul_f32_e32 v55, v8, v152
	v_cmp_gt_f32_e32 vcc, s33, v55
	v_mul_f32_e32 v54, v161, v59
	v_cndmask_b32_e64 v54, 0, v54, s[76:77]
	v_cndmask_b32_e32 v55, 0, v141, vcc
	v_fmac_f32_e32 v55, v8, v152
	v_exp_f32_e32 v55, v55
	v_cndmask_b32_e32 v56, 1.0, v142, vcc
	v_mul_f32_e32 v56, v55, v56
	v_cndmask_b32_e64 v138, 1.0, v56, s[78:79]
	v_mul_f32_e32 v56, v8, v153
	v_cmp_gt_f32_e32 vcc, s33, v56
	v_mul_f32_e32 v55, v160, v60
	v_cndmask_b32_e64 v55, 0, v55, s[78:79]
	;; [unrolled: 10-line block ×4, first 2 shown]
	v_cndmask_b32_e32 v56, 0, v141, vcc
	v_fmac_f32_e32 v56, v8, v155
	v_exp_f32_e32 v56, v56
	v_cndmask_b32_e32 v57, 1.0, v142, vcc
	v_mul_f32_e32 v57, v56, v57
	v_mul_f32_e32 v56, v157, v64
	v_cndmask_b32_e64 v64, 1.0, v57, s[84:85]
	v_mul_f32_e32 v57, v8, v156
	v_cmp_gt_f32_e32 vcc, s33, v57
	v_cndmask_b32_e64 v56, 0, v56, s[84:85]
	s_nop 0
	v_cndmask_b32_e32 v57, 0, v141, vcc
	v_fmac_f32_e32 v57, v8, v156
	v_cndmask_b32_e32 v60, 1.0, v142, vcc
	v_mul_f32_e32 v8, v16, v68
	v_cmp_gt_f32_e32 vcc, s33, v66
	v_cndmask_b32_e64 v61, 0, v8, s[90:91]
	v_exp_f32_e32 v57, v57
	v_cndmask_b32_e32 v8, 0, v141, vcc
	v_add_f32_e32 v8, v66, v8
	v_exp_f32_e32 v8, v8
	v_cndmask_b32_e32 v63, 1.0, v142, vcc
	v_cmp_gt_f32_e32 vcc, s33, v67
	v_mul_f32_e32 v60, v57, v60
	v_mul_f32_e32 v8, v8, v63
	v_cndmask_b32_e32 v63, 0, v141, vcc
	v_add_f32_e32 v63, v67, v63
	v_exp_f32_e32 v63, v63
	v_mul_f32_e32 v57, v27, v65
	v_cndmask_b32_e32 v65, 1.0, v142, vcc
	v_cndmask_b32_e64 v66, 1.0, v8, s[90:91]
	v_mul_f32_e32 v65, v63, v65
	v_cndmask_b32_e64 v63, 0, v62, s[88:89]
	v_mul_f32_e32 v8, v130, v129
	v_fma_f32 v62, v130, v128, v9
	v_mul_f32_e32 v8, v8, v131
	v_fma_f32 v62, v62, v131, v10
	;; [unrolled: 2-line block ×11, first 2 shown]
	v_cndmask_b32_e64 v57, 0, v57, s[86:87]
	v_cndmask_b32_e64 v60, 1.0, v60, s[86:87]
	v_fma_f32 v8, v8, v64, v56
	v_cndmask_b32_e64 v67, 1.0, v65, s[88:89]
	v_fma_f32 v69, v8, v60, v57
	v_mov_b32_e32 v65, v66
	v_pk_mul_f32 v[76:77], v[68:69], v[64:65]
	v_pk_fma_f32 v[68:69], v[68:69], v[64:65], v[60:61]
	v_pk_mul_f32 v[76:77], v[76:77], v[60:61]
	v_mov_b32_e32 v70, v67
	v_mov_b32_e32 v77, v69
	;; [unrolled: 1-line block ×3, first 2 shown]
	v_pk_mul_f32 v[68:69], v[76:77], v[66:67]
	v_mov_b32_e32 v62, v67
	v_pk_mul_f32 v[70:71], v[68:69], v[70:71]
	v_pk_fma_f32 v[68:69], v[76:77], v[66:67], v[62:63]
	s_nop 0
	v_mov_b32_dpp v8, v70 row_shr:1 row_mask:0xf bank_mask:0xf
	v_mov_b32_dpp v62, v69 row_shr:1 row_mask:0xf bank_mask:0xf
	v_mul_f32_e32 v65, v70, v8
	v_fma_f32 v62, v70, v62, v69
	v_cndmask_b32_e64 v68, v65, v70, s[0:1]
	v_cndmask_b32_e64 v71, v62, v69, s[0:1]
	;; [unrolled: 1-line block ×4, first 2 shown]
	v_mov_b32_dpp v65, v71 row_shr:2 row_mask:0xf bank_mask:0xf
	v_mov_b32_dpp v62, v70 row_shr:2 row_mask:0xf bank_mask:0xf
	s_and_saveexec_b64 s[2:3], s[10:11]
; %bb.181:                              ;   in Loop: Header=BB120_110 Depth=2
	v_fmac_f32_e32 v71, v70, v65
	v_mul_f32_e32 v70, v70, v62
	v_mov_b32_e32 v68, v70
	v_mov_b32_e32 v8, v71
; %bb.182:                              ;   in Loop: Header=BB120_110 Depth=2
	s_or_b64 exec, exec, s[2:3]
	v_readlane_b32 s10, v166, 41
	v_mov_b32_dpp v62, v70 row_shr:4 row_mask:0xf bank_mask:0xf
	v_mov_b32_dpp v65, v71 row_shr:4 row_mask:0xf bank_mask:0xf
	v_readlane_b32 s11, v166, 42
	s_and_saveexec_b64 s[2:3], s[10:11]
; %bb.183:                              ;   in Loop: Header=BB120_110 Depth=2
	v_fmac_f32_e32 v71, v70, v65
	v_mul_f32_e32 v70, v70, v62
	v_mov_b32_e32 v68, v70
	v_mov_b32_e32 v8, v71
; %bb.184:                              ;   in Loop: Header=BB120_110 Depth=2
	s_or_b64 exec, exec, s[2:3]
	v_readlane_b32 s10, v166, 43
	v_mov_b32_dpp v62, v70 row_shr:8 row_mask:0xf bank_mask:0xf
	v_mov_b32_dpp v65, v71 row_shr:8 row_mask:0xf bank_mask:0xf
	v_readlane_b32 s11, v166, 44
	s_and_saveexec_b64 s[2:3], s[10:11]
; %bb.185:                              ;   in Loop: Header=BB120_110 Depth=2
	v_fmac_f32_e32 v71, v70, v65
	v_mul_f32_e32 v70, v70, v62
	v_mov_b32_e32 v68, v70
	v_mov_b32_e32 v8, v71
; %bb.186:                              ;   in Loop: Header=BB120_110 Depth=2
	s_or_b64 exec, exec, s[2:3]
	v_readlane_b32 s10, v166, 45
	v_mov_b32_dpp v62, v70 row_bcast:15 row_mask:0xf bank_mask:0xf
	v_mov_b32_dpp v65, v71 row_bcast:15 row_mask:0xf bank_mask:0xf
	v_readlane_b32 s11, v166, 46
	s_and_saveexec_b64 s[2:3], s[10:11]
; %bb.187:                              ;   in Loop: Header=BB120_110 Depth=2
	v_fmac_f32_e32 v71, v70, v65
	v_mul_f32_e32 v70, v70, v62
	v_mov_b32_e32 v68, v70
	v_mov_b32_e32 v8, v71
; %bb.188:                              ;   in Loop: Header=BB120_110 Depth=2
	s_or_b64 exec, exec, s[2:3]
	v_readlane_b32 s10, v166, 53
	v_mov_b32_dpp v65, v70 row_bcast:31 row_mask:0xf bank_mask:0xf
	v_mov_b32_dpp v62, v71 row_bcast:31 row_mask:0xf bank_mask:0xf
	v_readlane_b32 s11, v166, 54
	s_and_saveexec_b64 s[2:3], s[10:11]
; %bb.189:                              ;   in Loop: Header=BB120_110 Depth=2
	v_fmac_f32_e32 v71, v70, v62
	v_mul_f32_e32 v68, v70, v65
	v_mov_b32_e32 v69, v71
	v_mov_b32_e32 v8, v71
	v_mov_b64_e32 v[70:71], v[68:69]
; %bb.190:                              ;   in Loop: Header=BB120_110 Depth=2
	s_or_b64 exec, exec, s[2:3]
	v_readlane_b32 s10, v166, 47
	v_readlane_b32 s11, v166, 48
	s_and_saveexec_b64 s[2:3], s[10:11]
	s_cbranch_execz .LBB120_192
; %bb.191:                              ;   in Loop: Header=BB120_110 Depth=2
	ds_write_b64 v121, v[70:71] offset:8448
.LBB120_192:                            ;   in Loop: Header=BB120_110 Depth=2
	s_or_b64 exec, exec, s[2:3]
	v_readlane_b32 s10, v166, 55
	v_readlane_b32 s11, v166, 56
	s_waitcnt lgkmcnt(0)
	s_barrier
	s_and_saveexec_b64 s[2:3], s[10:11]
	s_cbranch_execz .LBB120_194
; %bb.193:                              ;   in Loop: Header=BB120_110 Depth=2
	ds_read_b64 v[70:71], v122 offset:8448
	v_readlane_b32 s10, v166, 49
	v_readlane_b32 s11, v166, 50
	s_waitcnt lgkmcnt(0)
	v_mov_b32_dpp v62, v70 row_shr:1 row_mask:0xf bank_mask:0xf
	v_mov_b32_dpp v65, v71 row_shr:1 row_mask:0xf bank_mask:0xf
	v_fma_f32 v65, v70, v65, v71
	v_mul_f32_e32 v62, v70, v62
	v_cndmask_b32_e64 v70, v62, v70, s[10:11]
	v_cndmask_b32_e64 v71, v65, v71, s[10:11]
	ds_write_b64 v122, v[70:71] offset:8448
.LBB120_194:                            ;   in Loop: Header=BB120_110 Depth=2
	s_or_b64 exec, exec, s[2:3]
	s_waitcnt lgkmcnt(0)
	s_barrier
	s_waitcnt lgkmcnt(0)
                                        ; implicit-def: $vgpr70
	s_and_saveexec_b64 s[2:3], s[20:21]
	s_cbranch_execz .LBB120_196
; %bb.195:                              ;   in Loop: Header=BB120_110 Depth=2
	ds_read_b64 v[70:71], v121 offset:8440
	s_waitcnt lgkmcnt(0)
	v_mul_f32_e32 v62, v68, v70
	v_fmac_f32_e32 v8, v68, v71
	v_mov_b32_e32 v68, v62
.LBB120_196:                            ;   in Loop: Header=BB120_110 Depth=2
	s_or_b64 exec, exec, s[2:3]
	ds_bpermute_b32 v62, v123, v68
	ds_bpermute_b32 v8, v123, v8
	v_readlane_b32 s10, v166, 57
	s_waitcnt vmcnt(0)
	v_mov_b32_e32 v69, v53
	v_readlane_b32 s11, v166, 58
	s_and_saveexec_b64 s[2:3], s[10:11]
	s_cbranch_execz .LBB120_200
; %bb.197:                              ;   in Loop: Header=BB120_110 Depth=2
	ds_read_b64 v[68:69], v17 offset:8456
	s_and_saveexec_b64 vcc, s[22:23]
	s_cbranch_execz .LBB120_199
; %bb.198:                              ;   in Loop: Header=BB120_110 Depth=2
	ds_write_b64 v17, v[52:53] offset:8456
.LBB120_199:                            ;   in Loop: Header=BB120_110 Depth=2
	s_or_b64 exec, exec, vcc
	s_waitcnt lgkmcnt(0)
	v_fmac_f32_e32 v69, v53, v68
	v_mul_f32_e32 v52, v52, v68
	v_mov_b32_e32 v53, v69
.LBB120_200:                            ;   in Loop: Header=BB120_110 Depth=2
	s_or_b64 exec, exec, s[2:3]
	s_waitcnt lgkmcnt(0)
	s_barrier
	ds_read_b32 v65, v17 offset:8460
	s_and_saveexec_b64 s[2:3], s[22:23]
	s_cbranch_execz .LBB120_109
; %bb.201:                              ;   in Loop: Header=BB120_110 Depth=2
	v_mov_b32_e32 v68, s9
	s_andn2_b64 vcc, exec, s[96:97]
	ds_write_b64 v68, v[52:53]
	s_cbranch_vccnz .LBB120_109
; %bb.202:                              ;   in Loop: Header=BB120_110 Depth=2
	s_mov_b32 s5, s7
	s_lshl_b64 s[10:11], s[4:5], 2
	v_readlane_b32 s5, v166, 21
	s_add_u32 s10, s5, s10
	v_readlane_b32 s5, v166, 22
	s_addc_u32 s11, s5, s11
	global_store_dword v17, v69, s[10:11]
	s_branch .LBB120_109
.LBB120_203:                            ;   in Loop: Header=BB120_13 Depth=1
	s_mov_b32 s6, 0x41a00000
	s_mov_b32 s8, 0x3fb8aa3b
	s_mov_b32 s9, 0xc2ce8ed0
	s_mov_b32 s10, 0x42b17218
	s_mov_b32 s11, 0x7f800000
	s_mov_b32 s12, 0x3f2aaaab
	s_mov_b32 s13, 0x3f317218
	s_mov_b32 s16, 0x33800000
.LBB120_204:                            ;   in Loop: Header=BB120_13 Depth=1
	v_cvt_f16_f32_e32 v0, v42
	v_cvt_f16_f32_e32 v4, v43
	;; [unrolled: 1-line block ×16, first 2 shown]
	v_pack_b32_f16 v3, v3, v7
	v_pack_b32_f16 v2, v2, v6
	;; [unrolled: 1-line block ×4, first 2 shown]
	s_barrier
	ds_write_b128 v119, v[0:3]
	v_pack_b32_f16 v3, v14, v15
	v_pack_b32_f16 v2, v12, v13
	;; [unrolled: 1-line block ×4, first 2 shown]
	ds_write_b128 v119, v[0:3] offset:16
	; wave barrier
	ds_read_u16 v16, v89 offset:128
	ds_read_u16 v15, v90 offset:256
	;; [unrolled: 1-line block ×15, first 2 shown]
	v_readlane_b32 s2, v166, 61
	v_readlane_b32 s3, v166, 62
	s_mov_b32 s3, s7
	s_mov_b64 s[18:19], s[2:3]
	v_lshl_add_u64 v[0:1], s[2:3], 1, v[20:21]
	s_and_saveexec_b64 s[2:3], s[26:27]
	s_cbranch_execnz .LBB120_271
; %bb.205:                              ;   in Loop: Header=BB120_13 Depth=1
	s_or_b64 exec, exec, s[2:3]
	s_and_saveexec_b64 s[2:3], s[28:29]
	s_cbranch_execnz .LBB120_272
.LBB120_206:                            ;   in Loop: Header=BB120_13 Depth=1
	s_or_b64 exec, exec, s[2:3]
	s_and_saveexec_b64 s[2:3], s[30:31]
	s_cbranch_execnz .LBB120_273
.LBB120_207:                            ;   in Loop: Header=BB120_13 Depth=1
	s_or_b64 exec, exec, s[2:3]
	s_and_saveexec_b64 s[2:3], s[34:35]
	s_cbranch_execnz .LBB120_274
.LBB120_208:                            ;   in Loop: Header=BB120_13 Depth=1
	s_or_b64 exec, exec, s[2:3]
	s_and_saveexec_b64 s[2:3], s[36:37]
	s_cbranch_execnz .LBB120_275
.LBB120_209:                            ;   in Loop: Header=BB120_13 Depth=1
	s_or_b64 exec, exec, s[2:3]
	s_and_saveexec_b64 s[2:3], s[38:39]
	s_cbranch_execnz .LBB120_276
.LBB120_210:                            ;   in Loop: Header=BB120_13 Depth=1
	s_or_b64 exec, exec, s[2:3]
	s_and_saveexec_b64 s[2:3], s[40:41]
	s_cbranch_execnz .LBB120_277
.LBB120_211:                            ;   in Loop: Header=BB120_13 Depth=1
	s_or_b64 exec, exec, s[2:3]
	s_and_saveexec_b64 s[2:3], s[42:43]
	s_cbranch_execnz .LBB120_278
.LBB120_212:                            ;   in Loop: Header=BB120_13 Depth=1
	s_or_b64 exec, exec, s[2:3]
	s_and_saveexec_b64 s[2:3], s[44:45]
	s_cbranch_execnz .LBB120_279
.LBB120_213:                            ;   in Loop: Header=BB120_13 Depth=1
	s_or_b64 exec, exec, s[2:3]
	s_and_saveexec_b64 s[2:3], s[46:47]
	s_cbranch_execnz .LBB120_280
.LBB120_214:                            ;   in Loop: Header=BB120_13 Depth=1
	s_or_b64 exec, exec, s[2:3]
	s_and_saveexec_b64 s[2:3], s[48:49]
	s_cbranch_execnz .LBB120_281
.LBB120_215:                            ;   in Loop: Header=BB120_13 Depth=1
	s_or_b64 exec, exec, s[2:3]
	s_and_saveexec_b64 s[2:3], s[50:51]
	s_cbranch_execnz .LBB120_282
.LBB120_216:                            ;   in Loop: Header=BB120_13 Depth=1
	s_or_b64 exec, exec, s[2:3]
	s_and_saveexec_b64 s[2:3], s[52:53]
	s_cbranch_execnz .LBB120_283
.LBB120_217:                            ;   in Loop: Header=BB120_13 Depth=1
	s_or_b64 exec, exec, s[2:3]
	s_and_saveexec_b64 s[2:3], s[54:55]
	s_cbranch_execnz .LBB120_284
.LBB120_218:                            ;   in Loop: Header=BB120_13 Depth=1
	s_or_b64 exec, exec, s[2:3]
	s_and_saveexec_b64 s[2:3], s[56:57]
	s_cbranch_execnz .LBB120_285
.LBB120_219:                            ;   in Loop: Header=BB120_13 Depth=1
	s_or_b64 exec, exec, s[2:3]
	s_and_saveexec_b64 s[2:3], s[58:59]
	s_cbranch_execz .LBB120_221
.LBB120_220:                            ;   in Loop: Header=BB120_13 Depth=1
	s_waitcnt lgkmcnt(0)
	global_store_short v[0:1], v2, off offset:1920
.LBB120_221:                            ;   in Loop: Header=BB120_13 Depth=1
	s_or_b64 exec, exec, s[2:3]
	v_lshl_add_u64 v[0:1], s[18:19], 1, v[22:23]
	s_waitcnt lgkmcnt(0)
	v_mov_b32_e32 v2, 0
	v_mov_b32_e32 v3, 0
	s_barrier
	s_and_saveexec_b64 s[2:3], s[26:27]
	s_cbranch_execz .LBB120_223
; %bb.222:                              ;   in Loop: Header=BB120_13 Depth=1
	global_load_ushort v3, v[0:1], off
.LBB120_223:                            ;   in Loop: Header=BB120_13 Depth=1
	s_or_b64 exec, exec, s[2:3]
	s_and_saveexec_b64 s[2:3], s[28:29]
	s_cbranch_execz .LBB120_225
; %bb.224:                              ;   in Loop: Header=BB120_13 Depth=1
	global_load_ushort v2, v[0:1], off offset:128
.LBB120_225:                            ;   in Loop: Header=BB120_13 Depth=1
	s_or_b64 exec, exec, s[2:3]
	v_mov_b32_e32 v4, 0
	v_mov_b32_e32 v5, 0
	s_and_saveexec_b64 s[2:3], s[30:31]
	s_cbranch_execz .LBB120_227
; %bb.226:                              ;   in Loop: Header=BB120_13 Depth=1
	global_load_ushort v5, v[0:1], off offset:256
.LBB120_227:                            ;   in Loop: Header=BB120_13 Depth=1
	s_or_b64 exec, exec, s[2:3]
	s_and_saveexec_b64 s[2:3], s[34:35]
	s_cbranch_execz .LBB120_229
; %bb.228:                              ;   in Loop: Header=BB120_13 Depth=1
	global_load_ushort v4, v[0:1], off offset:384
.LBB120_229:                            ;   in Loop: Header=BB120_13 Depth=1
	s_or_b64 exec, exec, s[2:3]
	v_mov_b32_e32 v6, 0
	v_mov_b32_e32 v7, 0
	s_and_saveexec_b64 s[2:3], s[36:37]
	s_cbranch_execz .LBB120_231
; %bb.230:                              ;   in Loop: Header=BB120_13 Depth=1
	global_load_ushort v7, v[0:1], off offset:512
.LBB120_231:                            ;   in Loop: Header=BB120_13 Depth=1
	;; [unrolled: 14-line block ×7, first 2 shown]
	s_or_b64 exec, exec, s[2:3]
	s_and_saveexec_b64 s[2:3], s[58:59]
	s_cbranch_execz .LBB120_253
; %bb.252:                              ;   in Loop: Header=BB120_13 Depth=1
	global_load_ushort v16, v[0:1], off offset:1920
.LBB120_253:                            ;   in Loop: Header=BB120_13 Depth=1
	s_or_b64 exec, exec, s[2:3]
	s_waitcnt vmcnt(0)
	ds_write_b16 v88, v3
	ds_write_b16 v89, v2 offset:128
	ds_write_b16 v90, v5 offset:256
	;; [unrolled: 1-line block ×15, first 2 shown]
	; wave barrier
	ds_read_b128 v[4:7], v119
	ds_read_b128 v[0:3], v119 offset:16
	s_mov_b32 s4, 0xbfb8aa3b
	s_mov_b32 s5, 0xb2a5705f
	;; [unrolled: 1-line block ×3, first 2 shown]
	s_waitcnt lgkmcnt(1)
	v_cvt_f32_f16_e32 v13, v4
	v_cvt_f32_f16_sdwa v11, v4 dst_sel:DWORD dst_unused:UNUSED_PAD src0_sel:WORD_1
	v_cvt_f32_f16_e32 v12, v5
	s_mov_b32 s15, 0xc2b17218
	v_mul_f32_e32 v8, 0xbfb8aa3b, v13
	v_rndne_f32_e32 v9, v8
	v_sub_f32_e32 v14, v8, v9
	v_fma_mix_f32 v8, v4, s4, -v8 op_sel_hi:[1,0,0]
	v_cvt_i32_f32_e32 v9, v9
	v_fma_mix_f32 v8, v4, s5, v8 op_sel_hi:[1,0,0]
	v_cmp_nlt_f32_e32 vcc, s14, v13
	v_add_f32_e32 v8, v14, v8
	v_exp_f32_e32 v8, v8
	v_cvt_f32_f16_sdwa v10, v5 dst_sel:DWORD dst_unused:UNUSED_PAD src0_sel:WORD_1
	s_waitcnt lgkmcnt(0)
	s_barrier
	v_ldexp_f32 v8, v8, v9
	v_mul_f32_e32 v9, 0xbfb8aa3b, v11
	v_rndne_f32_e32 v14, v9
	v_sub_f32_e32 v15, v9, v14
	v_fma_mix_f32 v9, v4, s4, -v9 op_sel:[1,0,0] op_sel_hi:[1,0,0]
	v_cndmask_b32_e32 v8, 0, v8, vcc
	v_fma_mix_f32 v4, v4, s5, v9 op_sel:[1,0,0] op_sel_hi:[1,0,0]
	v_cvt_i32_f32_e32 v9, v14
	v_add_f32_e32 v4, v15, v4
	v_exp_f32_e32 v4, v4
	v_cmp_ngt_f32_e32 vcc, s15, v13
	v_ldexp_f32 v4, v4, v9
	s_nop 0
	v_cndmask_b32_e32 v8, v140, v8, vcc
	v_cmp_nlt_f32_e32 vcc, s14, v11
	s_nop 1
	v_cndmask_b32_e32 v4, 0, v4, vcc
	v_cmp_ngt_f32_e32 vcc, s15, v11
	s_nop 1
	v_cndmask_b32_e32 v9, v140, v4, vcc
	v_mul_f32_e32 v4, 0xbfb8aa3b, v12
	v_rndne_f32_e32 v14, v4
	v_sub_f32_e32 v15, v4, v14
	v_fma_mix_f32 v4, v5, s4, -v4 op_sel_hi:[1,0,0]
	v_cvt_i32_f32_e32 v14, v14
	v_fma_mix_f32 v4, v5, s5, v4 op_sel_hi:[1,0,0]
	v_pk_add_f32 v[8:9], v[8:9], 1.0 op_sel_hi:[1,0]
	v_add_f32_e32 v4, v15, v4
	v_exp_f32_e32 v4, v4
	v_cmp_nlt_f32_e32 vcc, s14, v12
	v_ldexp_f32 v4, v4, v14
	v_mul_f32_e32 v14, 0xbfb8aa3b, v10
	v_rndne_f32_e32 v15, v14
	v_sub_f32_e32 v16, v14, v15
	v_fma_mix_f32 v14, v5, s4, -v14 op_sel:[1,0,0] op_sel_hi:[1,0,0]
	v_cndmask_b32_e32 v4, 0, v4, vcc
	v_fma_mix_f32 v5, v5, s5, v14 op_sel:[1,0,0] op_sel_hi:[1,0,0]
	v_cvt_i32_f32_e32 v14, v15
	v_add_f32_e32 v5, v16, v5
	v_exp_f32_e32 v5, v5
	v_cmp_ngt_f32_e32 vcc, s15, v12
	v_ldexp_f32 v5, v5, v14
	v_div_scale_f32 v14, s[2:3], v9, v9, v11
	v_rcp_f32_e32 v15, v14
	v_cndmask_b32_e32 v4, v140, v4, vcc
	v_cmp_nlt_f32_e32 vcc, s14, v10
	v_fma_f32 v16, -v14, v15, 1.0
	s_nop 0
	v_cndmask_b32_e32 v5, 0, v5, vcc
	v_cmp_ngt_f32_e32 vcc, s15, v10
	v_fmac_f32_e32 v15, v16, v15
	s_nop 0
	v_cndmask_b32_e32 v5, v140, v5, vcc
	v_div_scale_f32 v16, vcc, v11, v9, v11
	v_mul_f32_e32 v27, v16, v15
	v_fma_f32 v29, -v14, v27, v16
	v_fmac_f32_e32 v27, v29, v15
	v_fma_f32 v14, -v14, v27, v16
	v_div_fmas_f32 v14, v14, v15, v27
	v_div_fixup_f32 v9, v14, v9, v11
	v_div_scale_f32 v11, s[2:3], v8, v8, v13
	v_rcp_f32_e32 v14, v11
	v_pk_add_f32 v[4:5], v[4:5], 1.0 op_sel_hi:[1,0]
	v_fma_f32 v15, -v11, v14, 1.0
	v_fmac_f32_e32 v14, v15, v14
	v_div_scale_f32 v15, vcc, v13, v8, v13
	v_mul_f32_e32 v16, v15, v14
	v_fma_f32 v27, -v11, v16, v15
	v_fmac_f32_e32 v16, v27, v14
	v_fma_f32 v11, -v11, v16, v15
	v_div_fmas_f32 v11, v11, v14, v16
	v_div_fixup_f32 v8, v11, v8, v13
	v_div_scale_f32 v11, s[2:3], v5, v5, v10
	v_rcp_f32_e32 v13, v11
	v_pk_mul_f32 v[8:9], v[42:43], v[8:9]
	v_fma_f32 v14, -v11, v13, 1.0
	v_fmac_f32_e32 v13, v14, v13
	v_div_scale_f32 v14, vcc, v10, v5, v10
	v_mul_f32_e32 v15, v14, v13
	v_fma_f32 v16, -v11, v15, v14
	v_fmac_f32_e32 v15, v16, v13
	v_fma_f32 v11, -v11, v15, v14
	v_div_fmas_f32 v11, v11, v13, v15
	v_div_fixup_f32 v5, v11, v5, v10
	v_div_scale_f32 v10, s[2:3], v4, v4, v12
	v_rcp_f32_e32 v11, v10
	s_nop 0
	v_fma_f32 v13, -v10, v11, 1.0
	v_fmac_f32_e32 v11, v13, v11
	v_div_scale_f32 v13, vcc, v12, v4, v12
	v_mul_f32_e32 v14, v13, v11
	v_fma_f32 v15, -v10, v14, v13
	v_fmac_f32_e32 v14, v15, v11
	v_fma_f32 v10, -v10, v14, v13
	v_cvt_f32_f16_e32 v15, v6
	v_div_fmas_f32 v10, v10, v11, v14
	v_div_fixup_f32 v4, v10, v4, v12
	v_pk_mul_f32 v[10:11], v[44:45], v[4:5]
	v_cvt_f16_f32_e32 v4, v9
	v_cvt_f16_f32_e32 v9, v10
	v_mul_f32_e32 v10, 0xbfb8aa3b, v15
	v_cvt_f16_f32_e32 v5, v8
	v_cvt_f16_f32_e32 v8, v11
	v_rndne_f32_e32 v11, v10
	v_sub_f32_e32 v16, v10, v11
	v_fma_mix_f32 v10, v6, s4, -v10 op_sel_hi:[1,0,0]
	v_cvt_f32_f16_sdwa v13, v6 dst_sel:DWORD dst_unused:UNUSED_PAD src0_sel:WORD_1
	v_fma_mix_f32 v10, v6, s5, v10 op_sel_hi:[1,0,0]
	v_cvt_i32_f32_e32 v11, v11
	v_add_f32_e32 v10, v16, v10
	v_exp_f32_e32 v10, v10
	v_cvt_f32_f16_e32 v14, v7
	v_cmp_nlt_f32_e32 vcc, s14, v15
	v_cvt_f32_f16_sdwa v12, v7 dst_sel:DWORD dst_unused:UNUSED_PAD src0_sel:WORD_1
	v_ldexp_f32 v10, v10, v11
	v_mul_f32_e32 v11, 0xbfb8aa3b, v13
	v_rndne_f32_e32 v16, v11
	v_sub_f32_e32 v27, v11, v16
	v_fma_mix_f32 v11, v6, s4, -v11 op_sel:[1,0,0] op_sel_hi:[1,0,0]
	v_cndmask_b32_e32 v10, 0, v10, vcc
	v_fma_mix_f32 v6, v6, s5, v11 op_sel:[1,0,0] op_sel_hi:[1,0,0]
	v_cvt_i32_f32_e32 v11, v16
	v_add_f32_e32 v6, v27, v6
	v_exp_f32_e32 v6, v6
	v_cmp_ngt_f32_e32 vcc, s15, v15
	v_ldexp_f32 v6, v6, v11
	s_nop 0
	v_cndmask_b32_e32 v10, v140, v10, vcc
	v_cmp_nlt_f32_e32 vcc, s14, v13
	s_nop 1
	v_cndmask_b32_e32 v6, 0, v6, vcc
	v_cmp_ngt_f32_e32 vcc, s15, v13
	s_nop 1
	v_cndmask_b32_e32 v11, v140, v6, vcc
	v_mul_f32_e32 v6, 0xbfb8aa3b, v14
	v_rndne_f32_e32 v16, v6
	v_sub_f32_e32 v27, v6, v16
	v_fma_mix_f32 v6, v7, s4, -v6 op_sel_hi:[1,0,0]
	v_cvt_i32_f32_e32 v16, v16
	v_fma_mix_f32 v6, v7, s5, v6 op_sel_hi:[1,0,0]
	v_pk_add_f32 v[10:11], v[10:11], 1.0 op_sel_hi:[1,0]
	v_add_f32_e32 v6, v27, v6
	v_exp_f32_e32 v6, v6
	v_cmp_nlt_f32_e32 vcc, s14, v14
	v_ldexp_f32 v6, v6, v16
	v_mul_f32_e32 v16, 0xbfb8aa3b, v12
	v_rndne_f32_e32 v27, v16
	v_sub_f32_e32 v29, v16, v27
	v_fma_mix_f32 v16, v7, s4, -v16 op_sel:[1,0,0] op_sel_hi:[1,0,0]
	v_cndmask_b32_e32 v6, 0, v6, vcc
	v_fma_mix_f32 v7, v7, s5, v16 op_sel:[1,0,0] op_sel_hi:[1,0,0]
	v_cvt_i32_f32_e32 v16, v27
	v_add_f32_e32 v7, v29, v7
	v_exp_f32_e32 v7, v7
	v_cmp_ngt_f32_e32 vcc, s15, v14
	v_ldexp_f32 v7, v7, v16
	v_div_scale_f32 v16, s[2:3], v11, v11, v13
	v_rcp_f32_e32 v27, v16
	v_cndmask_b32_e32 v6, v140, v6, vcc
	v_cmp_nlt_f32_e32 vcc, s14, v12
	v_fma_f32 v29, -v16, v27, 1.0
	s_nop 0
	v_cndmask_b32_e32 v7, 0, v7, vcc
	v_cmp_ngt_f32_e32 vcc, s15, v12
	v_fmac_f32_e32 v27, v29, v27
	s_nop 0
	v_cndmask_b32_e32 v7, v140, v7, vcc
	v_div_scale_f32 v29, vcc, v13, v11, v13
	v_mul_f32_e32 v42, v29, v27
	v_fma_f32 v43, -v16, v42, v29
	v_fmac_f32_e32 v42, v43, v27
	v_fma_f32 v16, -v16, v42, v29
	v_div_fmas_f32 v16, v16, v27, v42
	v_div_fixup_f32 v11, v16, v11, v13
	v_div_scale_f32 v13, s[2:3], v10, v10, v15
	v_rcp_f32_e32 v16, v13
	v_pk_add_f32 v[6:7], v[6:7], 1.0 op_sel_hi:[1,0]
	v_fma_f32 v27, -v13, v16, 1.0
	v_fmac_f32_e32 v16, v27, v16
	v_div_scale_f32 v27, vcc, v15, v10, v15
	v_mul_f32_e32 v29, v27, v16
	v_fma_f32 v42, -v13, v29, v27
	v_fmac_f32_e32 v29, v42, v16
	v_fma_f32 v13, -v13, v29, v27
	v_div_fmas_f32 v13, v13, v16, v29
	v_div_fixup_f32 v10, v13, v10, v15
	v_div_scale_f32 v13, s[2:3], v7, v7, v12
	v_rcp_f32_e32 v15, v13
	v_pk_mul_f32 v[10:11], v[38:39], v[10:11]
	v_fma_f32 v16, -v13, v15, 1.0
	v_fmac_f32_e32 v15, v16, v15
	v_div_scale_f32 v16, vcc, v12, v7, v12
	v_mul_f32_e32 v27, v16, v15
	v_fma_f32 v29, -v13, v27, v16
	v_fmac_f32_e32 v27, v29, v15
	v_fma_f32 v13, -v13, v27, v16
	v_div_fmas_f32 v13, v13, v15, v27
	v_div_fixup_f32 v7, v13, v7, v12
	v_div_scale_f32 v12, s[2:3], v6, v6, v14
	v_rcp_f32_e32 v13, v12
	s_nop 0
	v_fma_f32 v15, -v12, v13, 1.0
	v_fmac_f32_e32 v13, v15, v13
	v_div_scale_f32 v15, vcc, v14, v6, v14
	v_mul_f32_e32 v16, v15, v13
	v_fma_f32 v27, -v12, v16, v15
	v_fmac_f32_e32 v16, v27, v13
	v_fma_f32 v12, -v12, v16, v15
	v_cvt_f32_f16_e32 v27, v0
	v_div_fmas_f32 v12, v12, v13, v16
	v_div_fixup_f32 v6, v12, v6, v14
	v_pk_mul_f32 v[12:13], v[40:41], v[6:7]
	v_cvt_f16_f32_e32 v6, v11
	v_cvt_f16_f32_e32 v11, v12
	v_mul_f32_e32 v12, 0xbfb8aa3b, v27
	v_cvt_f16_f32_e32 v7, v10
	v_cvt_f16_f32_e32 v10, v13
	v_rndne_f32_e32 v13, v12
	v_sub_f32_e32 v29, v12, v13
	v_fma_mix_f32 v12, v0, s4, -v12 op_sel_hi:[1,0,0]
	v_cvt_f32_f16_sdwa v15, v0 dst_sel:DWORD dst_unused:UNUSED_PAD src0_sel:WORD_1
	v_fma_mix_f32 v12, v0, s5, v12 op_sel_hi:[1,0,0]
	v_cvt_i32_f32_e32 v13, v13
	v_add_f32_e32 v12, v29, v12
	v_exp_f32_e32 v12, v12
	v_cvt_f32_f16_e32 v16, v1
	v_cmp_nlt_f32_e32 vcc, s14, v27
	v_cvt_f32_f16_sdwa v14, v1 dst_sel:DWORD dst_unused:UNUSED_PAD src0_sel:WORD_1
	v_ldexp_f32 v12, v12, v13
	v_mul_f32_e32 v13, 0xbfb8aa3b, v15
	v_rndne_f32_e32 v29, v13
	v_sub_f32_e32 v38, v13, v29
	v_fma_mix_f32 v13, v0, s4, -v13 op_sel:[1,0,0] op_sel_hi:[1,0,0]
	v_cndmask_b32_e32 v12, 0, v12, vcc
	v_fma_mix_f32 v0, v0, s5, v13 op_sel:[1,0,0] op_sel_hi:[1,0,0]
	v_cvt_i32_f32_e32 v13, v29
	v_add_f32_e32 v0, v38, v0
	v_exp_f32_e32 v0, v0
	v_cmp_ngt_f32_e32 vcc, s15, v27
	v_ldexp_f32 v0, v0, v13
	s_nop 0
	v_cndmask_b32_e32 v12, v140, v12, vcc
	v_cmp_nlt_f32_e32 vcc, s14, v15
	s_nop 1
	v_cndmask_b32_e32 v0, 0, v0, vcc
	v_cmp_ngt_f32_e32 vcc, s15, v15
	s_nop 1
	v_cndmask_b32_e32 v13, v140, v0, vcc
	v_mul_f32_e32 v0, 0xbfb8aa3b, v16
	v_rndne_f32_e32 v29, v0
	v_sub_f32_e32 v38, v0, v29
	v_fma_mix_f32 v0, v1, s4, -v0 op_sel_hi:[1,0,0]
	v_cvt_i32_f32_e32 v29, v29
	v_fma_mix_f32 v0, v1, s5, v0 op_sel_hi:[1,0,0]
	v_pk_add_f32 v[12:13], v[12:13], 1.0 op_sel_hi:[1,0]
	v_add_f32_e32 v0, v38, v0
	v_exp_f32_e32 v0, v0
	v_cmp_nlt_f32_e32 vcc, s14, v16
	v_ldexp_f32 v0, v0, v29
	v_mul_f32_e32 v29, 0xbfb8aa3b, v14
	v_rndne_f32_e32 v38, v29
	v_sub_f32_e32 v39, v29, v38
	v_fma_mix_f32 v29, v1, s4, -v29 op_sel:[1,0,0] op_sel_hi:[1,0,0]
	v_cndmask_b32_e32 v0, 0, v0, vcc
	v_fma_mix_f32 v1, v1, s5, v29 op_sel:[1,0,0] op_sel_hi:[1,0,0]
	v_cvt_i32_f32_e32 v29, v38
	v_add_f32_e32 v1, v39, v1
	v_exp_f32_e32 v1, v1
	v_cmp_ngt_f32_e32 vcc, s15, v16
	v_ldexp_f32 v1, v1, v29
	v_div_scale_f32 v29, s[2:3], v13, v13, v15
	v_rcp_f32_e32 v38, v29
	v_cndmask_b32_e32 v0, v140, v0, vcc
	v_cmp_nlt_f32_e32 vcc, s14, v14
	v_fma_f32 v39, -v29, v38, 1.0
	s_nop 0
	v_cndmask_b32_e32 v1, 0, v1, vcc
	v_cmp_ngt_f32_e32 vcc, s15, v14
	v_fmac_f32_e32 v38, v39, v38
	s_nop 0
	v_cndmask_b32_e32 v1, v140, v1, vcc
	v_div_scale_f32 v39, vcc, v15, v13, v15
	v_mul_f32_e32 v40, v39, v38
	v_fma_f32 v41, -v29, v40, v39
	v_fmac_f32_e32 v40, v41, v38
	v_fma_f32 v29, -v29, v40, v39
	v_div_fmas_f32 v29, v29, v38, v40
	v_div_fixup_f32 v13, v29, v13, v15
	v_div_scale_f32 v15, s[2:3], v12, v12, v27
	v_rcp_f32_e32 v29, v15
	v_pk_add_f32 v[0:1], v[0:1], 1.0 op_sel_hi:[1,0]
	v_fma_f32 v38, -v15, v29, 1.0
	v_fmac_f32_e32 v29, v38, v29
	v_div_scale_f32 v38, vcc, v27, v12, v27
	v_mul_f32_e32 v39, v38, v29
	v_fma_f32 v40, -v15, v39, v38
	v_fmac_f32_e32 v39, v40, v29
	v_fma_f32 v15, -v15, v39, v38
	v_div_fmas_f32 v15, v15, v29, v39
	v_div_fixup_f32 v12, v15, v12, v27
	v_div_scale_f32 v15, s[2:3], v1, v1, v14
	v_rcp_f32_e32 v27, v15
	v_pk_mul_f32 v[12:13], v[34:35], v[12:13]
	v_cvt_f32_f16_e32 v34, v2
	v_cvt_f16_f32_e32 v13, v13
	v_fma_f32 v29, -v15, v27, 1.0
	v_fmac_f32_e32 v27, v29, v27
	v_div_scale_f32 v29, vcc, v14, v1, v14
	v_mul_f32_e32 v38, v29, v27
	v_fma_f32 v39, -v15, v38, v29
	v_fmac_f32_e32 v38, v39, v27
	v_fma_f32 v15, -v15, v38, v29
	v_div_fmas_f32 v15, v15, v27, v38
	v_div_fixup_f32 v1, v15, v1, v14
	v_div_scale_f32 v14, s[2:3], v0, v0, v16
	v_rcp_f32_e32 v15, v14
	v_cvt_f16_f32_e32 v12, v12
	v_fma_f32 v27, -v14, v15, 1.0
	v_fmac_f32_e32 v15, v27, v15
	v_div_scale_f32 v27, vcc, v16, v0, v16
	v_mul_f32_e32 v29, v27, v15
	v_fma_f32 v38, -v14, v29, v27
	v_fmac_f32_e32 v29, v38, v15
	v_fma_f32 v14, -v14, v29, v27
	v_div_fmas_f32 v14, v14, v15, v29
	v_div_fixup_f32 v0, v14, v0, v16
	v_pk_mul_f32 v[0:1], v[36:37], v[0:1]
	v_cvt_f32_f16_sdwa v27, v2 dst_sel:DWORD dst_unused:UNUSED_PAD src0_sel:WORD_1
	v_cvt_f16_f32_e32 v15, v0
	v_mul_f32_e32 v0, 0xbfb8aa3b, v34
	v_cvt_f16_f32_e32 v14, v1
	v_rndne_f32_e32 v1, v0
	v_sub_f32_e32 v35, v0, v1
	v_fma_mix_f32 v0, v2, s4, -v0 op_sel_hi:[1,0,0]
	v_cvt_i32_f32_e32 v1, v1
	v_fma_mix_f32 v0, v2, s5, v0 op_sel_hi:[1,0,0]
	v_cvt_f32_f16_e32 v29, v3
	v_add_f32_e32 v0, v35, v0
	v_exp_f32_e32 v0, v0
	v_cvt_f32_f16_sdwa v16, v3 dst_sel:DWORD dst_unused:UNUSED_PAD src0_sel:WORD_1
	v_cmp_nlt_f32_e32 vcc, s14, v34
	v_ldexp_f32 v0, v0, v1
	v_mul_f32_e32 v1, 0xbfb8aa3b, v27
	v_rndne_f32_e32 v35, v1
	v_sub_f32_e32 v36, v1, v35
	v_fma_mix_f32 v1, v2, s4, -v1 op_sel:[1,0,0] op_sel_hi:[1,0,0]
	v_cndmask_b32_e32 v0, 0, v0, vcc
	v_fma_mix_f32 v1, v2, s5, v1 op_sel:[1,0,0] op_sel_hi:[1,0,0]
	v_cvt_i32_f32_e32 v2, v35
	v_add_f32_e32 v1, v36, v1
	v_exp_f32_e32 v1, v1
	v_cmp_ngt_f32_e32 vcc, s15, v34
	v_ldexp_f32 v1, v1, v2
	v_mul_f32_e32 v2, 0xbfb8aa3b, v29
	v_rndne_f32_e32 v35, v2
	v_sub_f32_e32 v36, v2, v35
	v_fma_mix_f32 v2, v3, s4, -v2 op_sel_hi:[1,0,0]
	v_cvt_i32_f32_e32 v35, v35
	v_fma_mix_f32 v2, v3, s5, v2 op_sel_hi:[1,0,0]
	v_cndmask_b32_e32 v0, v140, v0, vcc
	v_add_f32_e32 v2, v36, v2
	v_exp_f32_e32 v2, v2
	v_cmp_nlt_f32_e32 vcc, s14, v27
	v_ldexp_f32 v2, v2, v35
	v_mul_f32_e32 v35, 0xbfb8aa3b, v16
	v_rndne_f32_e32 v36, v35
	v_sub_f32_e32 v37, v35, v36
	v_fma_mix_f32 v35, v3, s4, -v35 op_sel:[1,0,0] op_sel_hi:[1,0,0]
	v_cndmask_b32_e32 v1, 0, v1, vcc
	v_fma_mix_f32 v3, v3, s5, v35 op_sel:[1,0,0] op_sel_hi:[1,0,0]
	v_cvt_i32_f32_e32 v35, v36
	v_add_f32_e32 v3, v37, v3
	v_exp_f32_e32 v3, v3
	v_cmp_ngt_f32_e32 vcc, s15, v27
	v_ldexp_f32 v3, v3, v35
	s_nop 0
	v_cndmask_b32_e32 v1, v140, v1, vcc
	v_pk_add_f32 v[0:1], v[0:1], 1.0 op_sel_hi:[1,0]
	v_cmp_nlt_f32_e32 vcc, s14, v29
	v_div_scale_f32 v35, s[2:3], v1, v1, v27
	v_rcp_f32_e32 v36, v35
	v_cndmask_b32_e32 v2, 0, v2, vcc
	v_cmp_ngt_f32_e32 vcc, s15, v29
	v_fma_f32 v37, -v35, v36, 1.0
	s_nop 0
	v_cndmask_b32_e32 v2, v140, v2, vcc
	v_cmp_nlt_f32_e32 vcc, s14, v16
	v_fmac_f32_e32 v36, v37, v36
	s_nop 0
	v_cndmask_b32_e32 v3, 0, v3, vcc
	v_cmp_ngt_f32_e32 vcc, s15, v16
	s_nop 1
	v_cndmask_b32_e32 v3, v140, v3, vcc
	v_div_scale_f32 v37, vcc, v27, v1, v27
	v_mul_f32_e32 v38, v37, v36
	v_fma_f32 v39, -v35, v38, v37
	v_fmac_f32_e32 v38, v39, v36
	v_fma_f32 v35, -v35, v38, v37
	v_div_fmas_f32 v35, v35, v36, v38
	v_div_fixup_f32 v1, v35, v1, v27
	v_div_scale_f32 v27, s[2:3], v0, v0, v34
	v_rcp_f32_e32 v35, v27
	v_pk_add_f32 v[2:3], v[2:3], 1.0 op_sel_hi:[1,0]
	v_fma_f32 v36, -v27, v35, 1.0
	v_fmac_f32_e32 v35, v36, v35
	v_div_scale_f32 v36, vcc, v34, v0, v34
	v_mul_f32_e32 v37, v36, v35
	v_fma_f32 v38, -v27, v37, v36
	v_fmac_f32_e32 v37, v38, v35
	v_fma_f32 v27, -v27, v37, v36
	v_div_fmas_f32 v27, v27, v35, v37
	v_div_fixup_f32 v0, v27, v0, v34
	v_div_scale_f32 v27, s[2:3], v3, v3, v16
	v_rcp_f32_e32 v34, v27
	v_pk_mul_f32 v[0:1], v[30:31], v[0:1]
	v_fma_f32 v35, -v27, v34, 1.0
	v_fmac_f32_e32 v34, v35, v34
	v_div_scale_f32 v35, vcc, v16, v3, v16
	v_mul_f32_e32 v36, v35, v34
	v_fma_f32 v37, -v27, v36, v35
	v_fmac_f32_e32 v36, v37, v34
	v_fma_f32 v27, -v27, v36, v35
	v_div_fmas_f32 v27, v27, v34, v36
	v_div_fixup_f32 v3, v27, v3, v16
	v_div_scale_f32 v16, s[2:3], v2, v2, v29
	v_rcp_f32_e32 v27, v16
	s_nop 0
	v_fma_f32 v34, -v16, v27, 1.0
	v_fmac_f32_e32 v27, v34, v27
	v_div_scale_f32 v34, vcc, v29, v2, v29
	v_mul_f32_e32 v35, v34, v27
	v_fma_f32 v36, -v16, v35, v34
	v_fmac_f32_e32 v35, v36, v27
	v_fma_f32 v16, -v16, v35, v34
	v_div_fmas_f32 v16, v16, v27, v35
	v_div_fixup_f32 v2, v16, v2, v29
	v_pk_mul_f32 v[2:3], v[32:33], v[2:3]
	v_cvt_f16_f32_e32 v16, v1
	v_cvt_f16_f32_e32 v27, v0
	;; [unrolled: 1-line block ×4, first 2 shown]
	v_pack_b32_f16 v3, v11, v10
	v_pack_b32_f16 v2, v7, v6
	v_pack_b32_f16 v1, v9, v8
	v_pack_b32_f16 v0, v5, v4
	ds_write_b128 v119, v[0:3]
	v_pack_b32_f16 v3, v30, v29
	v_pack_b32_f16 v2, v27, v16
	;; [unrolled: 1-line block ×4, first 2 shown]
	ds_write_b128 v119, v[0:3] offset:16
	; wave barrier
	ds_read_u16 v16, v89 offset:128
	ds_read_u16 v15, v90 offset:256
	;; [unrolled: 1-line block ×15, first 2 shown]
	v_lshl_add_u64 v[0:1], s[18:19], 1, v[24:25]
	s_and_saveexec_b64 s[2:3], s[26:27]
	s_cbranch_execnz .LBB120_286
; %bb.254:                              ;   in Loop: Header=BB120_13 Depth=1
	s_or_b64 exec, exec, s[2:3]
	s_and_saveexec_b64 s[2:3], s[28:29]
	s_cbranch_execnz .LBB120_287
.LBB120_255:                            ;   in Loop: Header=BB120_13 Depth=1
	s_or_b64 exec, exec, s[2:3]
	s_and_saveexec_b64 s[2:3], s[30:31]
	s_cbranch_execnz .LBB120_288
.LBB120_256:                            ;   in Loop: Header=BB120_13 Depth=1
	s_or_b64 exec, exec, s[2:3]
	s_and_saveexec_b64 s[2:3], s[34:35]
	s_cbranch_execnz .LBB120_289
.LBB120_257:                            ;   in Loop: Header=BB120_13 Depth=1
	s_or_b64 exec, exec, s[2:3]
	s_and_saveexec_b64 s[2:3], s[36:37]
	s_cbranch_execnz .LBB120_290
.LBB120_258:                            ;   in Loop: Header=BB120_13 Depth=1
	s_or_b64 exec, exec, s[2:3]
	s_and_saveexec_b64 s[2:3], s[38:39]
	s_cbranch_execnz .LBB120_291
.LBB120_259:                            ;   in Loop: Header=BB120_13 Depth=1
	s_or_b64 exec, exec, s[2:3]
	s_and_saveexec_b64 s[2:3], s[40:41]
	s_cbranch_execnz .LBB120_292
.LBB120_260:                            ;   in Loop: Header=BB120_13 Depth=1
	s_or_b64 exec, exec, s[2:3]
	s_and_saveexec_b64 s[2:3], s[42:43]
	s_cbranch_execnz .LBB120_293
.LBB120_261:                            ;   in Loop: Header=BB120_13 Depth=1
	s_or_b64 exec, exec, s[2:3]
	s_and_saveexec_b64 s[2:3], s[44:45]
	s_cbranch_execnz .LBB120_294
.LBB120_262:                            ;   in Loop: Header=BB120_13 Depth=1
	s_or_b64 exec, exec, s[2:3]
	s_and_saveexec_b64 s[2:3], s[46:47]
	s_cbranch_execnz .LBB120_295
.LBB120_263:                            ;   in Loop: Header=BB120_13 Depth=1
	s_or_b64 exec, exec, s[2:3]
	s_and_saveexec_b64 s[2:3], s[48:49]
	s_cbranch_execnz .LBB120_296
.LBB120_264:                            ;   in Loop: Header=BB120_13 Depth=1
	s_or_b64 exec, exec, s[2:3]
	s_and_saveexec_b64 s[2:3], s[50:51]
	s_cbranch_execnz .LBB120_297
.LBB120_265:                            ;   in Loop: Header=BB120_13 Depth=1
	s_or_b64 exec, exec, s[2:3]
	s_and_saveexec_b64 s[2:3], s[52:53]
	s_cbranch_execnz .LBB120_298
.LBB120_266:                            ;   in Loop: Header=BB120_13 Depth=1
	s_or_b64 exec, exec, s[2:3]
	s_and_saveexec_b64 s[2:3], s[54:55]
	s_cbranch_execnz .LBB120_299
.LBB120_267:                            ;   in Loop: Header=BB120_13 Depth=1
	s_or_b64 exec, exec, s[2:3]
	s_and_saveexec_b64 s[2:3], s[56:57]
	s_cbranch_execnz .LBB120_300
.LBB120_268:                            ;   in Loop: Header=BB120_13 Depth=1
	s_or_b64 exec, exec, s[2:3]
	s_and_saveexec_b64 s[2:3], s[58:59]
	s_cbranch_execz .LBB120_12
	s_branch .LBB120_301
.LBB120_269:                            ;   in Loop: Header=BB120_13 Depth=1
	global_load_ushort v36, v[8:9], off offset:1664
	s_or_b64 exec, exec, s[2:3]
	s_and_saveexec_b64 s[2:3], s[56:57]
	s_cbranch_execz .LBB120_73
.LBB120_270:                            ;   in Loop: Header=BB120_13 Depth=1
	global_load_ushort v35, v[8:9], off offset:1792
	s_or_b64 exec, exec, s[2:3]
	v_mov_b32_e32 v37, 0
	s_and_saveexec_b64 s[2:3], s[58:59]
	s_cbranch_execnz .LBB120_74
	s_branch .LBB120_75
.LBB120_271:                            ;   in Loop: Header=BB120_13 Depth=1
	ds_read_u16 v27, v88
	s_waitcnt lgkmcnt(0)
	global_store_short v[0:1], v27, off
	s_or_b64 exec, exec, s[2:3]
	s_and_saveexec_b64 s[2:3], s[28:29]
	s_cbranch_execz .LBB120_206
.LBB120_272:                            ;   in Loop: Header=BB120_13 Depth=1
	s_waitcnt lgkmcnt(14)
	global_store_short v[0:1], v16, off offset:128
	s_or_b64 exec, exec, s[2:3]
	s_and_saveexec_b64 s[2:3], s[30:31]
	s_cbranch_execz .LBB120_207
.LBB120_273:                            ;   in Loop: Header=BB120_13 Depth=1
	s_waitcnt lgkmcnt(13)
	global_store_short v[0:1], v15, off offset:256
	s_or_b64 exec, exec, s[2:3]
	s_and_saveexec_b64 s[2:3], s[34:35]
	s_cbranch_execz .LBB120_208
.LBB120_274:                            ;   in Loop: Header=BB120_13 Depth=1
	s_waitcnt lgkmcnt(12)
	global_store_short v[0:1], v14, off offset:384
	s_or_b64 exec, exec, s[2:3]
	s_and_saveexec_b64 s[2:3], s[36:37]
	s_cbranch_execz .LBB120_209
.LBB120_275:                            ;   in Loop: Header=BB120_13 Depth=1
	s_waitcnt lgkmcnt(11)
	global_store_short v[0:1], v13, off offset:512
	s_or_b64 exec, exec, s[2:3]
	s_and_saveexec_b64 s[2:3], s[38:39]
	s_cbranch_execz .LBB120_210
.LBB120_276:                            ;   in Loop: Header=BB120_13 Depth=1
	s_waitcnt lgkmcnt(10)
	global_store_short v[0:1], v12, off offset:640
	s_or_b64 exec, exec, s[2:3]
	s_and_saveexec_b64 s[2:3], s[40:41]
	s_cbranch_execz .LBB120_211
.LBB120_277:                            ;   in Loop: Header=BB120_13 Depth=1
	s_waitcnt lgkmcnt(9)
	global_store_short v[0:1], v11, off offset:768
	s_or_b64 exec, exec, s[2:3]
	s_and_saveexec_b64 s[2:3], s[42:43]
	s_cbranch_execz .LBB120_212
.LBB120_278:                            ;   in Loop: Header=BB120_13 Depth=1
	s_waitcnt lgkmcnt(8)
	global_store_short v[0:1], v10, off offset:896
	s_or_b64 exec, exec, s[2:3]
	s_and_saveexec_b64 s[2:3], s[44:45]
	s_cbranch_execz .LBB120_213
.LBB120_279:                            ;   in Loop: Header=BB120_13 Depth=1
	s_waitcnt lgkmcnt(7)
	global_store_short v[0:1], v9, off offset:1024
	s_or_b64 exec, exec, s[2:3]
	s_and_saveexec_b64 s[2:3], s[46:47]
	s_cbranch_execz .LBB120_214
.LBB120_280:                            ;   in Loop: Header=BB120_13 Depth=1
	s_waitcnt lgkmcnt(6)
	global_store_short v[0:1], v8, off offset:1152
	s_or_b64 exec, exec, s[2:3]
	s_and_saveexec_b64 s[2:3], s[48:49]
	s_cbranch_execz .LBB120_215
.LBB120_281:                            ;   in Loop: Header=BB120_13 Depth=1
	s_waitcnt lgkmcnt(5)
	global_store_short v[0:1], v7, off offset:1280
	s_or_b64 exec, exec, s[2:3]
	s_and_saveexec_b64 s[2:3], s[50:51]
	s_cbranch_execz .LBB120_216
.LBB120_282:                            ;   in Loop: Header=BB120_13 Depth=1
	s_waitcnt lgkmcnt(4)
	global_store_short v[0:1], v6, off offset:1408
	s_or_b64 exec, exec, s[2:3]
	s_and_saveexec_b64 s[2:3], s[52:53]
	s_cbranch_execz .LBB120_217
.LBB120_283:                            ;   in Loop: Header=BB120_13 Depth=1
	s_waitcnt lgkmcnt(3)
	global_store_short v[0:1], v5, off offset:1536
	s_or_b64 exec, exec, s[2:3]
	s_and_saveexec_b64 s[2:3], s[54:55]
	s_cbranch_execz .LBB120_218
.LBB120_284:                            ;   in Loop: Header=BB120_13 Depth=1
	s_waitcnt lgkmcnt(2)
	global_store_short v[0:1], v4, off offset:1664
	s_or_b64 exec, exec, s[2:3]
	s_and_saveexec_b64 s[2:3], s[56:57]
	s_cbranch_execz .LBB120_219
.LBB120_285:                            ;   in Loop: Header=BB120_13 Depth=1
	s_waitcnt lgkmcnt(1)
	global_store_short v[0:1], v3, off offset:1792
	s_or_b64 exec, exec, s[2:3]
	s_and_saveexec_b64 s[2:3], s[58:59]
	s_cbranch_execnz .LBB120_220
	s_branch .LBB120_221
.LBB120_286:                            ;   in Loop: Header=BB120_13 Depth=1
	ds_read_u16 v27, v88
	s_waitcnt lgkmcnt(0)
	global_store_short v[0:1], v27, off
	s_or_b64 exec, exec, s[2:3]
	s_and_saveexec_b64 s[2:3], s[28:29]
	s_cbranch_execz .LBB120_255
.LBB120_287:                            ;   in Loop: Header=BB120_13 Depth=1
	s_waitcnt lgkmcnt(14)
	global_store_short v[0:1], v16, off offset:128
	s_or_b64 exec, exec, s[2:3]
	s_and_saveexec_b64 s[2:3], s[30:31]
	s_cbranch_execz .LBB120_256
.LBB120_288:                            ;   in Loop: Header=BB120_13 Depth=1
	s_waitcnt lgkmcnt(13)
	global_store_short v[0:1], v15, off offset:256
	s_or_b64 exec, exec, s[2:3]
	s_and_saveexec_b64 s[2:3], s[34:35]
	s_cbranch_execz .LBB120_257
.LBB120_289:                            ;   in Loop: Header=BB120_13 Depth=1
	s_waitcnt lgkmcnt(12)
	global_store_short v[0:1], v14, off offset:384
	s_or_b64 exec, exec, s[2:3]
	s_and_saveexec_b64 s[2:3], s[36:37]
	s_cbranch_execz .LBB120_258
.LBB120_290:                            ;   in Loop: Header=BB120_13 Depth=1
	s_waitcnt lgkmcnt(11)
	global_store_short v[0:1], v13, off offset:512
	s_or_b64 exec, exec, s[2:3]
	s_and_saveexec_b64 s[2:3], s[38:39]
	s_cbranch_execz .LBB120_259
.LBB120_291:                            ;   in Loop: Header=BB120_13 Depth=1
	s_waitcnt lgkmcnt(10)
	global_store_short v[0:1], v12, off offset:640
	s_or_b64 exec, exec, s[2:3]
	s_and_saveexec_b64 s[2:3], s[40:41]
	s_cbranch_execz .LBB120_260
.LBB120_292:                            ;   in Loop: Header=BB120_13 Depth=1
	s_waitcnt lgkmcnt(9)
	global_store_short v[0:1], v11, off offset:768
	s_or_b64 exec, exec, s[2:3]
	s_and_saveexec_b64 s[2:3], s[42:43]
	s_cbranch_execz .LBB120_261
.LBB120_293:                            ;   in Loop: Header=BB120_13 Depth=1
	s_waitcnt lgkmcnt(8)
	global_store_short v[0:1], v10, off offset:896
	s_or_b64 exec, exec, s[2:3]
	s_and_saveexec_b64 s[2:3], s[44:45]
	s_cbranch_execz .LBB120_262
.LBB120_294:                            ;   in Loop: Header=BB120_13 Depth=1
	s_waitcnt lgkmcnt(7)
	global_store_short v[0:1], v9, off offset:1024
	s_or_b64 exec, exec, s[2:3]
	s_and_saveexec_b64 s[2:3], s[46:47]
	s_cbranch_execz .LBB120_263
.LBB120_295:                            ;   in Loop: Header=BB120_13 Depth=1
	s_waitcnt lgkmcnt(6)
	global_store_short v[0:1], v8, off offset:1152
	s_or_b64 exec, exec, s[2:3]
	s_and_saveexec_b64 s[2:3], s[48:49]
	s_cbranch_execz .LBB120_264
.LBB120_296:                            ;   in Loop: Header=BB120_13 Depth=1
	s_waitcnt lgkmcnt(5)
	global_store_short v[0:1], v7, off offset:1280
	s_or_b64 exec, exec, s[2:3]
	s_and_saveexec_b64 s[2:3], s[50:51]
	s_cbranch_execz .LBB120_265
.LBB120_297:                            ;   in Loop: Header=BB120_13 Depth=1
	s_waitcnt lgkmcnt(4)
	global_store_short v[0:1], v6, off offset:1408
	s_or_b64 exec, exec, s[2:3]
	s_and_saveexec_b64 s[2:3], s[52:53]
	s_cbranch_execz .LBB120_266
.LBB120_298:                            ;   in Loop: Header=BB120_13 Depth=1
	s_waitcnt lgkmcnt(3)
	global_store_short v[0:1], v5, off offset:1536
	s_or_b64 exec, exec, s[2:3]
	s_and_saveexec_b64 s[2:3], s[54:55]
	s_cbranch_execz .LBB120_267
.LBB120_299:                            ;   in Loop: Header=BB120_13 Depth=1
	s_waitcnt lgkmcnt(2)
	global_store_short v[0:1], v4, off offset:1664
	s_or_b64 exec, exec, s[2:3]
	s_and_saveexec_b64 s[2:3], s[56:57]
	s_cbranch_execz .LBB120_268
.LBB120_300:                            ;   in Loop: Header=BB120_13 Depth=1
	s_waitcnt lgkmcnt(1)
	global_store_short v[0:1], v3, off offset:1792
	s_or_b64 exec, exec, s[2:3]
	s_and_saveexec_b64 s[2:3], s[58:59]
	s_cbranch_execz .LBB120_12
.LBB120_301:                            ;   in Loop: Header=BB120_13 Depth=1
	s_waitcnt lgkmcnt(0)
	global_store_short v[0:1], v2, off offset:1920
	s_branch .LBB120_12
.LBB120_302:
	s_endpgm
	.section	.rodata,"a",@progbits
	.p2align	6, 0x0
	.amdhsa_kernel _Z25selective_scan_fwd_kernelI32Selective_Scan_fwd_kernel_traitsILi128ELi16ELi1ELb1ELb1ELb1ELb1ELb1EN3c104HalfEffEEv13SSMParamsBase
		.amdhsa_group_segment_fixed_size 0
		.amdhsa_private_segment_fixed_size 0
		.amdhsa_kernarg_size 248
		.amdhsa_user_sgpr_count 2
		.amdhsa_user_sgpr_dispatch_ptr 0
		.amdhsa_user_sgpr_queue_ptr 0
		.amdhsa_user_sgpr_kernarg_segment_ptr 1
		.amdhsa_user_sgpr_dispatch_id 0
		.amdhsa_user_sgpr_kernarg_preload_length 0
		.amdhsa_user_sgpr_kernarg_preload_offset 0
		.amdhsa_user_sgpr_private_segment_size 0
		.amdhsa_uses_dynamic_stack 0
		.amdhsa_enable_private_segment 0
		.amdhsa_system_sgpr_workgroup_id_x 1
		.amdhsa_system_sgpr_workgroup_id_y 1
		.amdhsa_system_sgpr_workgroup_id_z 0
		.amdhsa_system_sgpr_workgroup_info 0
		.amdhsa_system_vgpr_workitem_id 0
		.amdhsa_next_free_vgpr 168
		.amdhsa_next_free_sgpr 100
		.amdhsa_accum_offset 168
		.amdhsa_reserve_vcc 1
		.amdhsa_float_round_mode_32 0
		.amdhsa_float_round_mode_16_64 0
		.amdhsa_float_denorm_mode_32 3
		.amdhsa_float_denorm_mode_16_64 3
		.amdhsa_dx10_clamp 1
		.amdhsa_ieee_mode 1
		.amdhsa_fp16_overflow 0
		.amdhsa_tg_split 0
		.amdhsa_exception_fp_ieee_invalid_op 0
		.amdhsa_exception_fp_denorm_src 0
		.amdhsa_exception_fp_ieee_div_zero 0
		.amdhsa_exception_fp_ieee_overflow 0
		.amdhsa_exception_fp_ieee_underflow 0
		.amdhsa_exception_fp_ieee_inexact 0
		.amdhsa_exception_int_div_zero 0
	.end_amdhsa_kernel
	.section	.text._Z25selective_scan_fwd_kernelI32Selective_Scan_fwd_kernel_traitsILi128ELi16ELi1ELb1ELb1ELb1ELb1ELb1EN3c104HalfEffEEv13SSMParamsBase,"axG",@progbits,_Z25selective_scan_fwd_kernelI32Selective_Scan_fwd_kernel_traitsILi128ELi16ELi1ELb1ELb1ELb1ELb1ELb1EN3c104HalfEffEEv13SSMParamsBase,comdat
.Lfunc_end120:
	.size	_Z25selective_scan_fwd_kernelI32Selective_Scan_fwd_kernel_traitsILi128ELi16ELi1ELb1ELb1ELb1ELb1ELb1EN3c104HalfEffEEv13SSMParamsBase, .Lfunc_end120-_Z25selective_scan_fwd_kernelI32Selective_Scan_fwd_kernel_traitsILi128ELi16ELi1ELb1ELb1ELb1ELb1ELb1EN3c104HalfEffEEv13SSMParamsBase
                                        ; -- End function
	.section	.AMDGPU.csdata,"",@progbits
; Kernel info:
; codeLenInByte = 25080
; NumSgprs: 106
; NumVgprs: 168
; NumAgprs: 0
; TotalNumVgprs: 168
; ScratchSize: 0
; MemoryBound: 0
; FloatMode: 240
; IeeeMode: 1
; LDSByteSize: 0 bytes/workgroup (compile time only)
; SGPRBlocks: 13
; VGPRBlocks: 20
; NumSGPRsForWavesPerEU: 106
; NumVGPRsForWavesPerEU: 168
; AccumOffset: 168
; Occupancy: 3
; WaveLimiterHint : 1
; COMPUTE_PGM_RSRC2:SCRATCH_EN: 0
; COMPUTE_PGM_RSRC2:USER_SGPR: 2
; COMPUTE_PGM_RSRC2:TRAP_HANDLER: 0
; COMPUTE_PGM_RSRC2:TGID_X_EN: 1
; COMPUTE_PGM_RSRC2:TGID_Y_EN: 1
; COMPUTE_PGM_RSRC2:TGID_Z_EN: 0
; COMPUTE_PGM_RSRC2:TIDIG_COMP_CNT: 0
; COMPUTE_PGM_RSRC3_GFX90A:ACCUM_OFFSET: 41
; COMPUTE_PGM_RSRC3_GFX90A:TG_SPLIT: 0
	.section	.text._Z25selective_scan_fwd_kernelI32Selective_Scan_fwd_kernel_traitsILi128ELi16ELi1ELb1ELb1ELb1ELb1ELb0EN3c104HalfEffEEv13SSMParamsBase,"axG",@progbits,_Z25selective_scan_fwd_kernelI32Selective_Scan_fwd_kernel_traitsILi128ELi16ELi1ELb1ELb1ELb1ELb1ELb0EN3c104HalfEffEEv13SSMParamsBase,comdat
	.protected	_Z25selective_scan_fwd_kernelI32Selective_Scan_fwd_kernel_traitsILi128ELi16ELi1ELb1ELb1ELb1ELb1ELb0EN3c104HalfEffEEv13SSMParamsBase ; -- Begin function _Z25selective_scan_fwd_kernelI32Selective_Scan_fwd_kernel_traitsILi128ELi16ELi1ELb1ELb1ELb1ELb1ELb0EN3c104HalfEffEEv13SSMParamsBase
	.globl	_Z25selective_scan_fwd_kernelI32Selective_Scan_fwd_kernel_traitsILi128ELi16ELi1ELb1ELb1ELb1ELb1ELb0EN3c104HalfEffEEv13SSMParamsBase
	.p2align	8
	.type	_Z25selective_scan_fwd_kernelI32Selective_Scan_fwd_kernel_traitsILi128ELi16ELi1ELb1ELb1ELb1ELb1ELb0EN3c104HalfEffEEv13SSMParamsBase,@function
_Z25selective_scan_fwd_kernelI32Selective_Scan_fwd_kernel_traitsILi128ELi16ELi1ELb1ELb1ELb1ELb1ELb0EN3c104HalfEffEEv13SSMParamsBase: ; @_Z25selective_scan_fwd_kernelI32Selective_Scan_fwd_kernel_traitsILi128ELi16ELi1ELb1ELb1ELb1ELb1ELb0EN3c104HalfEffEEv13SSMParamsBase
; %bb.0:
	s_load_dword s35, s[0:1], 0x18
	s_load_dwordx4 s[4:7], s[0:1], 0xe8
	s_mov_b32 s28, s3
                                        ; implicit-def: $vgpr166 : SGPR spill to VGPR lane
	s_waitcnt lgkmcnt(0)
	s_abs_i32 s34, s35
	v_cvt_f32_u32_e32 v1, s34
	s_cmp_eq_u64 s[6:7], 0
	v_rcp_iflag_f32_e32 v1, v1
	s_nop 0
	v_mul_f32_e32 v1, 0x4f7ffffe, v1
	v_cvt_u32_f32_e32 v1, v1
	s_nop 0
	v_readfirstlane_b32 s24, v1
	s_cbranch_scc1 .LBB121_2
; %bb.1:
	s_ashr_i32 s3, s2, 31
	s_add_u32 s6, s6, s2
	s_addc_u32 s7, s7, s3
	v_mov_b32_e32 v1, 0
	global_load_ubyte v1, v1, s[6:7]
	s_waitcnt vmcnt(0)
	v_and_b32_e32 v1, 1, v1
	v_cmp_eq_u32_e64 s[6:7], 1, v1
	s_branch .LBB121_3
.LBB121_2:
	s_mov_b64 s[6:7], 0
.LBB121_3:
	s_nop 0
	v_writelane_b32 v166, s6, 0
	s_cmp_eq_u64 s[4:5], 0
	s_nop 0
	v_writelane_b32 v166, s7, 1
	s_load_dwordx2 s[6:7], s[0:1], 0x20
	s_cbranch_scc1 .LBB121_5
; %bb.4:
	s_ashr_i32 s3, s2, 31
	s_lshl_b64 s[8:9], s[2:3], 2
	s_add_u32 s4, s4, s8
	s_addc_u32 s5, s5, s9
	s_load_dword s30, s[4:5], 0x0
	s_waitcnt lgkmcnt(0)
	s_ashr_i32 s31, s30, 31
	s_cmp_eq_u64 s[6:7], s[30:31]
	s_cbranch_scc0 .LBB121_6
	s_branch .LBB121_90
.LBB121_5:
	s_mov_b32 s30, s2
	s_ashr_i32 s31, s30, 31
	s_waitcnt lgkmcnt(0)
	s_cmp_eq_u64 s[6:7], s[30:31]
	s_cbranch_scc1 .LBB121_90
.LBB121_6:
	s_load_dwordx16 s[4:19], s[0:1], 0x88
	s_load_dwordx2 s[36:37], s[0:1], 0x8
	s_mov_b32 s33, 0
	s_mov_b32 s64, 0
	s_waitcnt lgkmcnt(0)
	s_cmp_eq_u64 s[10:11], 0
	s_cbranch_scc1 .LBB121_8
; %bb.7:
	s_ashr_i32 s29, s28, 31
	s_lshl_b64 s[20:21], s[28:29], 2
	s_add_u32 s10, s10, s20
	s_addc_u32 s11, s11, s21
	s_load_dword s64, s[10:11], 0x0
.LBB121_8:
	s_cmp_eq_u64 s[16:17], 0
	s_cbranch_scc1 .LBB121_10
; %bb.9:
	s_ashr_i32 s29, s28, 31
	s_lshl_b64 s[10:11], s[28:29], 2
	s_add_u32 s10, s16, s10
	s_addc_u32 s11, s17, s11
	s_load_dword s33, s[10:11], 0x0
.LBB121_10:
	s_cmp_lt_i32 s36, 1
	s_cbranch_scc1 .LBB121_90
; %bb.11:
	s_sub_i32 s3, 0, s34
	s_mul_i32 s3, s3, s24
	s_mul_hi_u32 s3, s24, s3
	s_abs_i32 s29, s28
	s_add_i32 s3, s24, s3
	s_load_dwordx8 s[68:75], s[0:1], 0x2c
	s_load_dwordx2 s[16:17], s[0:1], 0x7c
	s_load_dwordx4 s[20:23], s[0:1], 0x6c
	s_load_dwordx8 s[76:83], s[0:1], 0x4c
	s_load_dwordx2 s[10:11], s[0:1], 0xd8
	s_load_dwordx4 s[24:27], s[0:1], 0xc8
	s_load_dword s65, s[0:1], 0x84
	s_mul_hi_u32 s3, s29, s3
	s_load_dword s31, s[0:1], 0x28
	s_ashr_i32 s0, s28, 31
	s_ashr_i32 s1, s35, 31
	s_xor_b32 s0, s0, s1
	s_mul_i32 s1, s3, s34
	s_sub_i32 s1, s29, s1
	s_add_i32 s29, s3, 1
	s_sub_i32 s35, s1, s34
	s_cmp_ge_u32 s1, s34
	s_cselect_b32 s3, s29, s3
	s_cselect_b32 s1, s35, s1
	s_add_i32 s29, s3, 1
	s_cmp_ge_u32 s1, s34
	s_cselect_b32 s1, s29, s3
	s_xor_b32 s1, s1, s0
	s_waitcnt lgkmcnt(0)
	s_mul_i32 s92, s78, s2
	s_mov_b32 s93, 0
	s_sub_i32 s3, s1, s0
	s_lshl_b64 s[0:1], s[92:93], 1
	s_add_u32 s12, s12, s0
	s_mul_i32 s92, s79, s28
	s_addc_u32 s13, s13, s1
	s_lshl_b64 s[0:1], s[92:93], 1
	s_add_u32 s78, s12, s0
	s_mul_i32 s92, s80, s2
	s_addc_u32 s79, s13, s1
	;; [unrolled: 4-line block ×10, first 2 shown]
	s_lshl_b64 s[4:5], s[92:93], 2
	s_add_u32 s1, s1, s4
	s_addc_u32 s73, s3, s5
	s_add_i32 s3, s36, 0x7ff
	s_lshr_b32 s4, s3, 11
	s_bitcmp1_b32 s31, 0
	s_cselect_b64 s[88:89], -1, 0
	s_cmp_gt_i32 s37, 0
	s_cselect_b64 s[6:7], -1, 0
	v_writelane_b32 v166, s6, 2
	v_mbcnt_lo_u32_b32 v1, -1, 0
	v_mbcnt_hi_u32_b32 v2, -1, v1
	v_writelane_b32 v166, s7, 3
	v_writelane_b32 v166, s36, 4
	v_lshlrev_b32_e32 v1, 1, v0
	s_mul_i32 s92, s20, s2
	v_writelane_b32 v166, s37, 5
	v_writelane_b32 v166, s4, 6
	s_add_i32 s4, s4, -1
	v_and_b32_e32 v4, 0x80, v1
	s_add_i32 s6, 0, 0x1080
	s_and_b32 s7, s36, 0x7ff
	v_writelane_b32 v166, s4, 7
	s_lshl_b64 s[4:5], s[92:93], 1
	v_or_b32_e32 v1, v2, v4
	s_movk_i32 s3, 0x100
	s_add_u32 s8, s18, s4
	s_addc_u32 s9, s19, s5
	v_cmp_gt_u32_e64 s[4:5], s3, v1
	v_add_u32_e32 v3, 64, v1
	v_lshrrev_b32_e32 v5, 5, v1
	v_writelane_b32 v166, s4, 8
	s_mul_i32 s92, s21, s28
	v_add_u32_e32 v5, v5, v1
	v_writelane_b32 v166, s5, 9
	v_cmp_gt_u32_e64 s[4:5], s3, v3
	v_lshrrev_b32_e32 v3, 5, v3
	v_add_lshl_u32 v1, v3, v1, 4
	v_writelane_b32 v166, s4, 10
	v_and_b32_e32 v3, 64, v0
	v_lshl_add_u32 v96, v5, 4, 0
	v_writelane_b32 v166, s5, 11
	s_lshl_b64 s[4:5], s[92:93], 1
	v_add_u32_e32 v5, v2, v3
	s_add_u32 s30, s8, s4
	s_mul_i32 s92, s82, s2
	v_lshlrev_b32_e32 v6, 1, v5
	v_bfe_u32 v5, v5, 4, 27
	s_addc_u32 s31, s9, s5
	s_lshl_b64 s[4:5], s[92:93], 1
	v_add_lshl_u32 v5, v5, v6, 4
	s_add_u32 s3, s26, s4
	s_mul_i32 s92, s83, s28
	v_add_u32_e32 v99, s6, v1
	v_add_u32_e32 v100, s6, v5
	s_addc_u32 s6, s27, s5
	s_lshl_b64 s[4:5], s[92:93], 1
	s_add_u32 s34, s3, s4
	s_mul_i32 s92, s22, s2
	s_addc_u32 s35, s6, s5
	s_lshl_b64 s[2:3], s[92:93], 1
	s_add_u32 s4, s10, s2
	s_mul_i32 s92, s23, s28
	s_addc_u32 s5, s11, s3
	s_lshl_b64 s[2:3], s[92:93], 1
	s_add_u32 s2, s4, s2
	s_addc_u32 s3, s5, s3
	s_cmp_eq_u32 s7, 0
	s_cselect_b64 s[4:5], -1, 0
	v_add_u32_e32 v97, 0, v1
	v_writelane_b32 v166, s4, 12
	v_and_b32_e32 v1, 15, v2
	v_cmp_lt_u32_e64 s[6:7], 1, v1
	v_writelane_b32 v166, s5, 13
	v_cmp_eq_u32_e64 s[4:5], 0, v1
	v_cmp_lt_u32_e64 s[8:9], 3, v1
	v_cmp_lt_u32_e64 s[10:11], 7, v1
	v_and_b32_e32 v1, 16, v2
	v_cmp_ne_u32_e64 s[12:13], 0, v1
	v_or_b32_e32 v1, 63, v3
	v_cmp_eq_u32_e64 s[16:17], v1, v0
	v_lshrrev_b32_e32 v1, 3, v0
	v_and_b32_e32 v1, 8, v1
	v_add_u32_e32 v102, 0, v1
	v_and_b32_e32 v1, 1, v2
	v_cmp_eq_u32_e64 s[20:21], 0, v1
	v_add_u32_e32 v1, -1, v2
	v_and_b32_e32 v3, 64, v2
	v_cmp_lt_i32_e32 vcc, v1, v3
	v_mov_b32_e32 v41, 0
	v_lshlrev_b32_e32 v40, 4, v2
	v_cndmask_b32_e32 v1, v1, v2, vcc
	v_lshlrev_b32_e32 v101, 4, v0
	v_cmp_gt_u32_e64 s[18:19], 2, v0
	v_lshl_add_u32 v103, v0, 3, 0
	v_cmp_gt_u32_e64 s[22:23], 64, v0
	v_cmp_lt_u32_e64 s[24:25], 63, v0
	v_lshlrev_b32_e32 v104, 2, v1
	v_cmp_eq_u32_e64 s[26:27], 0, v0
	v_lshl_add_u64 v[0:1], s[30:31], 0, v[40:41]
	v_lshlrev_b32_e32 v6, 4, v4
	v_mov_b32_e32 v7, v41
	v_lshl_add_u64 v[42:43], v[0:1], 0, v[6:7]
	v_lshl_add_u64 v[0:1], s[34:35], 0, v[40:41]
	;; [unrolled: 1-line block ×4, first 2 shown]
	v_lshlrev_b32_e32 v48, 4, v4
	v_add_u32_e32 v98, 0, v5
	v_cmp_lt_u32_e64 s[14:15], 31, v2
	v_lshl_add_u64 v[46:47], v[0:1], 0, v[6:7]
	v_or_b32_e32 v105, 1, v101
	v_or_b32_e32 v106, 2, v101
	;; [unrolled: 1-line block ×12, first 2 shown]
	s_mov_b32 s67, 0x41a00000
	s_mov_b32 s34, 0x3fb8aa3b
	s_mov_b32 s35, 0xc2ce8ed0
	s_mov_b32 s36, 0x42b17218
	s_mov_b32 s37, 0x7f800000
	s_mov_b32 s38, 0x3f2aaaab
                                        ; implicit-def: $vgpr0
	s_mov_b32 s39, 0x3f317218
	v_mov_b32_e32 v50, v48
	v_mov_b32_e32 v52, 0x3f317218
	s_mov_b32 s40, 0x33800000
	v_or_b32_e32 v117, 13, v101
	s_add_i32 s2, 0, 0x2110
	v_or_b32_e32 v118, 14, v101
	s_mov_b32 s77, 0xc2fc0000
	v_or_b32_e32 v119, 15, v101
	v_mov_b32_e32 v120, 0x3ecc95a3
	v_mov_b32_e32 v121, 0x7f800000
	;; [unrolled: 1-line block ×3, first 2 shown]
	v_lshlrev_b32_e32 v40, 4, v2
	v_mov_b32_e32 v51, v41
	v_mov_b32_e32 v123, 0x1f800000
	s_mov_b32 s41, 0
	v_cmp_eq_u32_e64 s[28:29], 0, v2
                                        ; implicit-def: $vgpr8_vgpr9
                                        ; implicit-def: $vgpr0_vgpr1
                                        ; implicit-def: $vgpr16_vgpr17
                                        ; implicit-def: $vgpr4_vgpr5
                                        ; implicit-def: $vgpr20_vgpr21
                                        ; implicit-def: $vgpr12_vgpr13
	v_writelane_b32 v166, s2, 14
	s_branch .LBB121_13
.LBB121_12:                             ;   in Loop: Header=BB121_13 Depth=1
	s_or_b64 exec, exec, s[2:3]
	s_waitcnt vmcnt(0)
	ds_write2_b64 v96, v[8:9], v[10:11] offset1:1
	ds_write_b128 v97, v[0:3] offset:1024
	; wave barrier
	ds_read_b128 v[8:11], v98
	ds_read_b128 v[0:3], v98 offset:16
	s_mov_b32 s30, 0xbfb8aa3b
	s_mov_b32 s31, 0xb2a5705f
	;; [unrolled: 1-line block ×3, first 2 shown]
	s_waitcnt lgkmcnt(1)
	v_cvt_f32_f16_e32 v28, v8
	v_cvt_f32_f16_sdwa v29, v8 dst_sel:DWORD dst_unused:UNUSED_PAD src0_sel:WORD_1
	v_cvt_f32_f16_e32 v31, v9
	v_cvt_f32_f16_sdwa v30, v9 dst_sel:DWORD dst_unused:UNUSED_PAD src0_sel:WORD_1
	v_mul_f32_e32 v24, 0xbfb8aa3b, v28
	v_rndne_f32_e32 v25, v24
	v_fma_mix_f32 v26, v8, s30, -v24 op_sel_hi:[1,0,0]
	v_sub_f32_e32 v24, v24, v25
	v_fma_mix_f32 v26, v8, s31, v26 op_sel_hi:[1,0,0]
	v_cvt_i32_f32_e32 v25, v25
	v_add_f32_e32 v24, v24, v26
	v_exp_f32_e32 v24, v24
	v_cmp_nlt_f32_e32 vcc, s41, v28
	s_mov_b32 s42, 0xc2b17218
	s_add_u32 s80, s80, 0x1000
	v_ldexp_f32 v24, v24, v25
	v_mul_f32_e32 v25, 0xbfb8aa3b, v29
	v_rndne_f32_e32 v26, v25
	v_sub_f32_e32 v27, v25, v26
	v_fma_mix_f32 v25, v8, s30, -v25 op_sel:[1,0,0] op_sel_hi:[1,0,0]
	v_cvt_i32_f32_e32 v26, v26
	v_fma_mix_f32 v25, v8, s31, v25 op_sel:[1,0,0] op_sel_hi:[1,0,0]
	v_cndmask_b32_e32 v24, 0, v24, vcc
	v_add_f32_e32 v25, v27, v25
	v_exp_f32_e32 v25, v25
	v_cmp_ngt_f32_e32 vcc, s42, v28
	s_addc_u32 s81, s81, 0
	s_waitcnt lgkmcnt(0)
	v_ldexp_f32 v25, v25, v26
	v_mul_f32_e32 v26, 0xbfb8aa3b, v31
	v_rndne_f32_e32 v27, v26
	v_sub_f32_e32 v32, v26, v27
	v_fma_mix_f32 v26, v9, s30, -v26 op_sel_hi:[1,0,0]
	v_cvt_i32_f32_e32 v27, v27
	v_fma_mix_f32 v26, v9, s31, v26 op_sel_hi:[1,0,0]
	v_cndmask_b32_e32 v24, v121, v24, vcc
	v_add_f32_e32 v26, v32, v26
	v_exp_f32_e32 v26, v26
	v_cmp_nlt_f32_e32 vcc, s41, v29
	s_barrier
	v_ldexp_f32 v26, v26, v27
	v_mul_f32_e32 v27, 0xbfb8aa3b, v30
	v_rndne_f32_e32 v32, v27
	v_sub_f32_e32 v33, v27, v32
	v_fma_mix_f32 v27, v9, s30, -v27 op_sel:[1,0,0] op_sel_hi:[1,0,0]
	v_cvt_i32_f32_e32 v32, v32
	v_fma_mix_f32 v27, v9, s31, v27 op_sel:[1,0,0] op_sel_hi:[1,0,0]
	v_cndmask_b32_e32 v25, 0, v25, vcc
	v_add_f32_e32 v27, v33, v27
	v_exp_f32_e32 v27, v27
	v_cmp_ngt_f32_e32 vcc, s42, v29
	s_add_u32 s78, s78, 0x1000
	s_addc_u32 s79, s79, 0
	v_cndmask_b32_e32 v25, v121, v25, vcc
	v_pk_add_f32 v[24:25], v[24:25], 1.0 op_sel_hi:[1,0]
	v_ldexp_f32 v27, v27, v32
	v_div_scale_f32 v32, s[2:3], v25, v25, v29
	v_rcp_f32_e32 v33, v32
	v_cmp_nlt_f32_e32 vcc, s41, v31
	s_add_u32 s70, s70, 0x1000
	s_addc_u32 s71, s71, 0
	v_cndmask_b32_e32 v26, 0, v26, vcc
	v_cmp_ngt_f32_e32 vcc, s42, v31
	v_fma_f32 v34, -v32, v33, 1.0
	v_fmac_f32_e32 v33, v34, v33
	v_cndmask_b32_e32 v26, v121, v26, vcc
	v_cmp_nlt_f32_e32 vcc, s41, v30
	s_add_u32 s74, s74, 0x1000
	s_addc_u32 s75, s75, 0
	v_cndmask_b32_e32 v27, 0, v27, vcc
	v_cmp_ngt_f32_e32 vcc, s42, v30
	s_nop 1
	v_cndmask_b32_e32 v27, v121, v27, vcc
	v_div_scale_f32 v34, vcc, v29, v25, v29
	v_mul_f32_e32 v35, v34, v33
	v_fma_f32 v36, -v32, v35, v34
	v_fmac_f32_e32 v35, v36, v33
	v_fma_f32 v32, -v32, v35, v34
	v_div_scale_f32 v34, s[2:3], v24, v24, v28
	v_rcp_f32_e32 v36, v34
	v_div_fmas_f32 v32, v32, v33, v35
	v_div_fixup_f32 v25, v32, v25, v29
	v_pk_add_f32 v[26:27], v[26:27], 1.0 op_sel_hi:[1,0]
	v_fma_f32 v29, -v34, v36, 1.0
	v_fmac_f32_e32 v36, v29, v36
	v_div_scale_f32 v29, vcc, v28, v24, v28
	v_mul_f32_e32 v32, v29, v36
	v_fma_f32 v33, -v34, v32, v29
	v_fmac_f32_e32 v32, v33, v36
	v_div_scale_f32 v33, s[2:3], v27, v27, v30
	v_fma_f32 v29, -v34, v32, v29
	v_rcp_f32_e32 v34, v33
	v_div_fmas_f32 v29, v29, v36, v32
	v_div_fixup_f32 v24, v29, v24, v28
	v_cvt_f32_f16_e32 v35, v11
	v_fma_f32 v28, -v33, v34, 1.0
	v_fmac_f32_e32 v34, v28, v34
	v_div_scale_f32 v28, vcc, v30, v27, v30
	v_mul_f32_e32 v29, v28, v34
	v_fma_f32 v32, -v33, v29, v28
	v_fmac_f32_e32 v29, v32, v34
	v_div_scale_f32 v32, s[2:3], v26, v26, v31
	v_fma_f32 v28, -v33, v29, v28
	v_rcp_f32_e32 v33, v32
	v_div_fmas_f32 v28, v28, v34, v29
	v_div_fixup_f32 v27, v28, v27, v30
	v_cvt_f32_f16_sdwa v34, v11 dst_sel:DWORD dst_unused:UNUSED_PAD src0_sel:WORD_1
	v_fma_f32 v28, -v32, v33, 1.0
	v_fmac_f32_e32 v33, v28, v33
	v_div_scale_f32 v28, vcc, v31, v26, v31
	v_mul_f32_e32 v29, v28, v33
	v_fma_f32 v30, -v32, v29, v28
	v_fmac_f32_e32 v29, v30, v33
	v_fma_f32 v28, -v32, v29, v28
	v_cvt_f32_f16_e32 v32, v10
	v_div_fmas_f32 v28, v28, v33, v29
	v_div_fixup_f32 v26, v28, v26, v31
	v_pk_mul_f32 v[28:29], v[68:69], v[26:27]
	v_pk_mul_f32 v[26:27], v[66:67], v[24:25]
	v_cvt_f32_f16_sdwa v33, v10 dst_sel:DWORD dst_unused:UNUSED_PAD src0_sel:WORD_1
	v_cvt_f16_f32_e32 v24, v27
	v_cvt_f16_f32_e32 v27, v28
	v_mul_f32_e32 v28, 0xbfb8aa3b, v32
	v_cvt_f16_f32_e32 v25, v26
	v_cvt_f16_f32_e32 v26, v29
	v_rndne_f32_e32 v29, v28
	v_sub_f32_e32 v30, v28, v29
	v_fma_mix_f32 v28, v10, s30, -v28 op_sel_hi:[1,0,0]
	v_cvt_i32_f32_e32 v29, v29
	v_fma_mix_f32 v28, v10, s31, v28 op_sel_hi:[1,0,0]
	v_cmp_nlt_f32_e32 vcc, s41, v32
	v_add_f32_e32 v28, v30, v28
	v_exp_f32_e32 v28, v28
	v_pack_b32_f16 v27, v27, v26
	v_pack_b32_f16 v26, v25, v24
	v_ldexp_f32 v28, v28, v29
	v_mul_f32_e32 v29, 0xbfb8aa3b, v33
	v_rndne_f32_e32 v30, v29
	v_sub_f32_e32 v31, v29, v30
	v_fma_mix_f32 v29, v10, s30, -v29 op_sel:[1,0,0] op_sel_hi:[1,0,0]
	v_cvt_i32_f32_e32 v30, v30
	v_fma_mix_f32 v29, v10, s31, v29 op_sel:[1,0,0] op_sel_hi:[1,0,0]
	v_cndmask_b32_e32 v28, 0, v28, vcc
	v_add_f32_e32 v29, v31, v29
	v_exp_f32_e32 v29, v29
	v_cmp_ngt_f32_e32 vcc, s42, v32
	v_ldexp_f32 v29, v29, v30
	v_mul_f32_e32 v30, 0xbfb8aa3b, v35
	v_rndne_f32_e32 v31, v30
	v_sub_f32_e32 v36, v30, v31
	v_fma_mix_f32 v30, v11, s30, -v30 op_sel_hi:[1,0,0]
	v_cvt_i32_f32_e32 v31, v31
	v_fma_mix_f32 v30, v11, s31, v30 op_sel_hi:[1,0,0]
	v_cndmask_b32_e32 v28, v121, v28, vcc
	v_add_f32_e32 v30, v36, v30
	v_exp_f32_e32 v30, v30
	v_cmp_nlt_f32_e32 vcc, s41, v33
	v_ldexp_f32 v30, v30, v31
	v_mul_f32_e32 v31, 0xbfb8aa3b, v34
	v_rndne_f32_e32 v36, v31
	v_sub_f32_e32 v37, v31, v36
	v_fma_mix_f32 v31, v11, s30, -v31 op_sel:[1,0,0] op_sel_hi:[1,0,0]
	v_cvt_i32_f32_e32 v36, v36
	v_fma_mix_f32 v31, v11, s31, v31 op_sel:[1,0,0] op_sel_hi:[1,0,0]
	v_cndmask_b32_e32 v29, 0, v29, vcc
	v_add_f32_e32 v31, v37, v31
	v_exp_f32_e32 v31, v31
	v_cmp_ngt_f32_e32 vcc, s42, v33
	v_ldexp_f32 v31, v31, v36
	s_nop 0
	v_cndmask_b32_e32 v29, v121, v29, vcc
	v_pk_add_f32 v[28:29], v[28:29], 1.0 op_sel_hi:[1,0]
	v_cmp_nlt_f32_e32 vcc, s41, v35
	v_div_scale_f32 v36, s[2:3], v29, v29, v33
	v_rcp_f32_e32 v37, v36
	v_cndmask_b32_e32 v30, 0, v30, vcc
	v_cmp_ngt_f32_e32 vcc, s42, v35
	v_fma_f32 v38, -v36, v37, 1.0
	s_nop 0
	v_cndmask_b32_e32 v30, v121, v30, vcc
	v_cmp_nlt_f32_e32 vcc, s41, v34
	v_fmac_f32_e32 v37, v38, v37
	s_nop 0
	v_cndmask_b32_e32 v31, 0, v31, vcc
	v_cmp_ngt_f32_e32 vcc, s42, v34
	s_nop 1
	v_cndmask_b32_e32 v31, v121, v31, vcc
	v_div_scale_f32 v38, vcc, v33, v29, v33
	v_mul_f32_e32 v39, v38, v37
	v_fma_f32 v49, -v36, v39, v38
	v_fmac_f32_e32 v39, v49, v37
	v_fma_f32 v36, -v36, v39, v38
	v_div_scale_f32 v38, s[2:3], v28, v28, v32
	v_rcp_f32_e32 v49, v38
	v_div_fmas_f32 v36, v36, v37, v39
	v_div_fixup_f32 v29, v36, v29, v33
	v_pk_add_f32 v[30:31], v[30:31], 1.0 op_sel_hi:[1,0]
	v_fma_f32 v33, -v38, v49, 1.0
	v_fmac_f32_e32 v49, v33, v49
	v_div_scale_f32 v33, vcc, v32, v28, v32
	v_mul_f32_e32 v36, v33, v49
	v_fma_f32 v37, -v38, v36, v33
	v_fmac_f32_e32 v36, v37, v49
	v_div_scale_f32 v37, s[2:3], v31, v31, v34
	v_fma_f32 v33, -v38, v36, v33
	v_rcp_f32_e32 v38, v37
	v_div_fmas_f32 v33, v33, v49, v36
	v_div_fixup_f32 v28, v33, v28, v32
	v_cvt_f32_f16_e32 v39, v1
	v_fma_f32 v32, -v37, v38, 1.0
	v_fmac_f32_e32 v38, v32, v38
	v_div_scale_f32 v32, vcc, v34, v31, v34
	v_mul_f32_e32 v33, v32, v38
	v_fma_f32 v36, -v37, v33, v32
	v_fmac_f32_e32 v33, v36, v38
	v_div_scale_f32 v36, s[2:3], v30, v30, v35
	v_fma_f32 v32, -v37, v33, v32
	v_rcp_f32_e32 v37, v36
	v_div_fmas_f32 v32, v32, v38, v33
	v_div_fixup_f32 v31, v32, v31, v34
	v_cvt_f32_f16_sdwa v38, v1 dst_sel:DWORD dst_unused:UNUSED_PAD src0_sel:WORD_1
	v_fma_f32 v32, -v36, v37, 1.0
	v_fmac_f32_e32 v37, v32, v37
	v_div_scale_f32 v32, vcc, v35, v30, v35
	v_mul_f32_e32 v33, v32, v37
	v_fma_f32 v34, -v36, v33, v32
	v_fmac_f32_e32 v33, v34, v37
	v_fma_f32 v32, -v36, v33, v32
	v_div_fmas_f32 v32, v32, v37, v33
	v_div_fixup_f32 v30, v32, v30, v35
	v_pk_mul_f32 v[32:33], v[62:63], v[28:29]
	v_cvt_f32_f16_e32 v29, v0
	v_pk_mul_f32 v[30:31], v[64:65], v[30:31]
	v_cvt_f16_f32_e32 v34, v32
	v_cvt_f16_f32_e32 v36, v30
	v_mul_f32_e32 v30, 0xbfb8aa3b, v29
	v_cvt_f16_f32_e32 v35, v31
	v_rndne_f32_e32 v31, v30
	v_sub_f32_e32 v32, v30, v31
	v_fma_mix_f32 v30, v0, s30, -v30 op_sel_hi:[1,0,0]
	v_cvt_i32_f32_e32 v31, v31
	v_fma_mix_f32 v30, v0, s31, v30 op_sel_hi:[1,0,0]
	v_cvt_f32_f16_sdwa v37, v0 dst_sel:DWORD dst_unused:UNUSED_PAD src0_sel:WORD_1
	v_add_f32_e32 v30, v32, v30
	v_exp_f32_e32 v30, v30
	v_cvt_f16_f32_e32 v28, v33
	v_cmp_nlt_f32_e32 vcc, s41, v29
	v_ldexp_f32 v30, v30, v31
	v_mul_f32_e32 v31, 0xbfb8aa3b, v37
	v_rndne_f32_e32 v32, v31
	v_sub_f32_e32 v33, v31, v32
	v_fma_mix_f32 v31, v0, s30, -v31 op_sel:[1,0,0] op_sel_hi:[1,0,0]
	v_cvt_i32_f32_e32 v32, v32
	v_fma_mix_f32 v31, v0, s31, v31 op_sel:[1,0,0] op_sel_hi:[1,0,0]
	v_cndmask_b32_e32 v30, 0, v30, vcc
	v_add_f32_e32 v31, v33, v31
	v_exp_f32_e32 v31, v31
	v_cmp_ngt_f32_e32 vcc, s42, v29
	v_pack_b32_f16 v28, v34, v28
	v_ldexp_f32 v31, v31, v32
	v_mul_f32_e32 v32, 0xbfb8aa3b, v39
	v_rndne_f32_e32 v33, v32
	v_sub_f32_e32 v49, v32, v33
	v_fma_mix_f32 v32, v1, s30, -v32 op_sel_hi:[1,0,0]
	v_cvt_i32_f32_e32 v33, v33
	v_fma_mix_f32 v32, v1, s31, v32 op_sel_hi:[1,0,0]
	v_cndmask_b32_e32 v30, v121, v30, vcc
	v_add_f32_e32 v32, v49, v32
	v_exp_f32_e32 v32, v32
	v_cmp_nlt_f32_e32 vcc, s41, v37
	v_ldexp_f32 v32, v32, v33
	v_mul_f32_e32 v33, 0xbfb8aa3b, v38
	v_rndne_f32_e32 v49, v33
	v_sub_f32_e32 v53, v33, v49
	v_fma_mix_f32 v33, v1, s30, -v33 op_sel:[1,0,0] op_sel_hi:[1,0,0]
	v_cvt_i32_f32_e32 v49, v49
	v_fma_mix_f32 v33, v1, s31, v33 op_sel:[1,0,0] op_sel_hi:[1,0,0]
	v_cndmask_b32_e32 v31, 0, v31, vcc
	v_add_f32_e32 v33, v53, v33
	v_exp_f32_e32 v33, v33
	v_cmp_ngt_f32_e32 vcc, s42, v37
	v_ldexp_f32 v33, v33, v49
	s_nop 0
	v_cndmask_b32_e32 v31, v121, v31, vcc
	v_pk_add_f32 v[30:31], v[30:31], 1.0 op_sel_hi:[1,0]
	v_cmp_nlt_f32_e32 vcc, s41, v39
	v_div_scale_f32 v49, s[2:3], v31, v31, v37
	v_rcp_f32_e32 v53, v49
	v_cndmask_b32_e32 v32, 0, v32, vcc
	v_cmp_ngt_f32_e32 vcc, s42, v39
	v_fma_f32 v62, -v49, v53, 1.0
	s_nop 0
	v_cndmask_b32_e32 v32, v121, v32, vcc
	v_cmp_nlt_f32_e32 vcc, s41, v38
	v_fmac_f32_e32 v53, v62, v53
	s_nop 0
	v_cndmask_b32_e32 v33, 0, v33, vcc
	v_cmp_ngt_f32_e32 vcc, s42, v38
	s_nop 1
	v_cndmask_b32_e32 v33, v121, v33, vcc
	v_div_scale_f32 v62, vcc, v37, v31, v37
	v_mul_f32_e32 v63, v62, v53
	v_fma_f32 v64, -v49, v63, v62
	v_fmac_f32_e32 v63, v64, v53
	v_fma_f32 v49, -v49, v63, v62
	v_div_scale_f32 v62, s[2:3], v30, v30, v29
	v_rcp_f32_e32 v64, v62
	v_div_fmas_f32 v49, v49, v53, v63
	v_div_fixup_f32 v31, v49, v31, v37
	v_pk_add_f32 v[32:33], v[32:33], 1.0 op_sel_hi:[1,0]
	v_fma_f32 v37, -v62, v64, 1.0
	v_fmac_f32_e32 v64, v37, v64
	v_div_scale_f32 v37, vcc, v29, v30, v29
	v_mul_f32_e32 v49, v37, v64
	v_fma_f32 v53, -v62, v49, v37
	v_fmac_f32_e32 v49, v53, v64
	v_div_scale_f32 v53, s[2:3], v33, v33, v38
	v_fma_f32 v37, -v62, v49, v37
	v_rcp_f32_e32 v62, v53
	v_div_fmas_f32 v37, v37, v64, v49
	v_div_fixup_f32 v30, v37, v30, v29
	v_pk_mul_f32 v[30:31], v[58:59], v[30:31]
	v_fma_f32 v29, -v53, v62, 1.0
	v_fmac_f32_e32 v62, v29, v62
	v_div_scale_f32 v29, vcc, v38, v33, v38
	v_mul_f32_e32 v37, v29, v62
	v_fma_f32 v49, -v53, v37, v29
	v_fmac_f32_e32 v37, v49, v62
	v_div_scale_f32 v49, s[2:3], v32, v32, v39
	v_fma_f32 v29, -v53, v37, v29
	v_rcp_f32_e32 v53, v49
	v_div_fmas_f32 v29, v29, v62, v37
	v_div_fixup_f32 v33, v29, v33, v38
	v_cvt_f32_f16_e32 v59, v3
	v_fma_f32 v29, -v49, v53, 1.0
	v_fmac_f32_e32 v53, v29, v53
	v_div_scale_f32 v29, vcc, v39, v32, v39
	v_mul_f32_e32 v37, v29, v53
	v_fma_f32 v38, -v49, v37, v29
	v_fmac_f32_e32 v37, v38, v53
	v_fma_f32 v29, -v49, v37, v29
	v_div_fmas_f32 v29, v29, v53, v37
	v_div_fixup_f32 v32, v29, v32, v39
	v_cvt_f32_f16_e32 v29, v2
	v_cvt_f16_f32_e32 v38, v30
	v_pk_mul_f32 v[32:33], v[60:61], v[32:33]
	v_cvt_f16_f32_e32 v37, v31
	v_mul_f32_e32 v30, 0xbfb8aa3b, v29
	v_rndne_f32_e32 v31, v30
	v_cvt_f16_f32_e32 v49, v32
	v_sub_f32_e32 v32, v30, v31
	v_fma_mix_f32 v30, v2, s30, -v30 op_sel_hi:[1,0,0]
	v_cvt_i32_f32_e32 v31, v31
	v_fma_mix_f32 v30, v2, s31, v30 op_sel_hi:[1,0,0]
	v_cvt_f32_f16_sdwa v53, v2 dst_sel:DWORD dst_unused:UNUSED_PAD src0_sel:WORD_1
	v_add_f32_e32 v30, v32, v30
	v_exp_f32_e32 v30, v30
	v_cvt_f16_f32_e32 v39, v33
	v_cvt_f32_f16_sdwa v58, v3 dst_sel:DWORD dst_unused:UNUSED_PAD src0_sel:WORD_1
	v_cmp_nlt_f32_e32 vcc, s41, v29
	v_ldexp_f32 v30, v30, v31
	v_mul_f32_e32 v31, 0xbfb8aa3b, v53
	v_rndne_f32_e32 v32, v31
	v_sub_f32_e32 v33, v31, v32
	v_fma_mix_f32 v31, v2, s30, -v31 op_sel:[1,0,0] op_sel_hi:[1,0,0]
	v_cvt_i32_f32_e32 v32, v32
	v_fma_mix_f32 v31, v2, s31, v31 op_sel:[1,0,0] op_sel_hi:[1,0,0]
	v_cndmask_b32_e32 v30, 0, v30, vcc
	v_add_f32_e32 v31, v33, v31
	v_exp_f32_e32 v31, v31
	v_cmp_ngt_f32_e32 vcc, s42, v29
	v_pack_b32_f16 v25, v49, v39
	v_pack_b32_f16 v24, v38, v37
	v_ldexp_f32 v31, v31, v32
	v_mul_f32_e32 v32, 0xbfb8aa3b, v59
	v_rndne_f32_e32 v33, v32
	v_sub_f32_e32 v60, v32, v33
	v_fma_mix_f32 v32, v3, s30, -v32 op_sel_hi:[1,0,0]
	v_cvt_i32_f32_e32 v33, v33
	v_fma_mix_f32 v32, v3, s31, v32 op_sel_hi:[1,0,0]
	v_cndmask_b32_e32 v30, v121, v30, vcc
	v_add_f32_e32 v32, v60, v32
	v_exp_f32_e32 v32, v32
	v_cmp_nlt_f32_e32 vcc, s41, v53
	v_ldexp_f32 v32, v32, v33
	v_mul_f32_e32 v33, 0xbfb8aa3b, v58
	v_rndne_f32_e32 v60, v33
	v_sub_f32_e32 v61, v33, v60
	v_fma_mix_f32 v33, v3, s30, -v33 op_sel:[1,0,0] op_sel_hi:[1,0,0]
	v_cvt_i32_f32_e32 v60, v60
	v_fma_mix_f32 v33, v3, s31, v33 op_sel:[1,0,0] op_sel_hi:[1,0,0]
	v_cndmask_b32_e32 v31, 0, v31, vcc
	v_add_f32_e32 v33, v61, v33
	v_exp_f32_e32 v33, v33
	v_cmp_ngt_f32_e32 vcc, s42, v53
	v_ldexp_f32 v33, v33, v60
	s_nop 0
	v_cndmask_b32_e32 v31, v121, v31, vcc
	v_pk_add_f32 v[30:31], v[30:31], 1.0 op_sel_hi:[1,0]
	v_cmp_nlt_f32_e32 vcc, s41, v59
	v_div_scale_f32 v60, s[2:3], v31, v31, v53
	v_rcp_f32_e32 v61, v60
	v_cndmask_b32_e32 v32, 0, v32, vcc
	v_cmp_ngt_f32_e32 vcc, s42, v59
	v_fma_f32 v62, -v60, v61, 1.0
	s_nop 0
	v_cndmask_b32_e32 v32, v121, v32, vcc
	v_cmp_nlt_f32_e32 vcc, s41, v58
	v_fmac_f32_e32 v61, v62, v61
	v_readlane_b32 s41, v166, 15
	v_cndmask_b32_e32 v33, 0, v33, vcc
	v_cmp_ngt_f32_e32 vcc, s42, v58
	s_add_i32 s41, s41, 1
	s_nop 0
	v_cndmask_b32_e32 v33, v121, v33, vcc
	v_div_scale_f32 v62, vcc, v53, v31, v53
	v_mul_f32_e32 v63, v62, v61
	v_fma_f32 v64, -v60, v63, v62
	v_fmac_f32_e32 v63, v64, v61
	v_fma_f32 v60, -v60, v63, v62
	v_div_scale_f32 v62, s[2:3], v30, v30, v29
	v_rcp_f32_e32 v64, v62
	v_div_fmas_f32 v60, v60, v61, v63
	v_div_fixup_f32 v31, v60, v31, v53
	v_pk_add_f32 v[32:33], v[32:33], 1.0 op_sel_hi:[1,0]
	v_fma_f32 v53, -v62, v64, 1.0
	v_fmac_f32_e32 v64, v53, v64
	v_div_scale_f32 v53, vcc, v29, v30, v29
	v_mul_f32_e32 v60, v53, v64
	v_fma_f32 v61, -v62, v60, v53
	v_fmac_f32_e32 v60, v61, v64
	v_div_scale_f32 v61, s[2:3], v33, v33, v58
	v_fma_f32 v53, -v62, v60, v53
	v_rcp_f32_e32 v62, v61
	v_div_fmas_f32 v53, v53, v64, v60
	v_div_fixup_f32 v30, v53, v30, v29
	v_pk_mul_f32 v[30:31], v[54:55], v[30:31]
	v_fma_f32 v29, -v61, v62, 1.0
	v_fmac_f32_e32 v62, v29, v62
	v_div_scale_f32 v29, vcc, v58, v33, v58
	v_mul_f32_e32 v53, v29, v62
	v_fma_f32 v60, -v61, v53, v29
	v_fmac_f32_e32 v53, v60, v62
	v_div_scale_f32 v60, s[2:3], v32, v32, v59
	v_fma_f32 v29, -v61, v53, v29
	v_rcp_f32_e32 v61, v60
	v_div_fmas_f32 v29, v29, v62, v53
	v_div_fixup_f32 v33, v29, v33, v58
	v_cvt_f16_f32_e32 v31, v31
	v_fma_f32 v29, -v60, v61, 1.0
	v_fmac_f32_e32 v61, v29, v61
	v_div_scale_f32 v29, vcc, v59, v32, v59
	v_mul_f32_e32 v53, v29, v61
	v_fma_f32 v58, -v60, v53, v29
	v_fmac_f32_e32 v53, v58, v61
	v_fma_f32 v29, -v60, v53, v29
	v_div_fmas_f32 v29, v29, v61, v53
	v_div_fixup_f32 v32, v29, v32, v59
	v_pk_mul_f32 v[32:33], v[56:57], v[32:33]
	v_cvt_f16_f32_e32 v30, v30
	v_cvt_f16_f32_e32 v33, v33
	;; [unrolled: 1-line block ×3, first 2 shown]
	v_pack_b32_f16 v29, v36, v35
	ds_write_b128 v98, v[26:29]
	v_pack_b32_f16 v26, v30, v31
	v_pack_b32_f16 v27, v32, v33
	ds_write_b128 v98, v[24:27] offset:16
	; wave barrier
	ds_read_b128 v[24:27], v96
	ds_read_b128 v[28:31], v97 offset:1024
	v_readlane_b32 s2, v166, 6
	v_lshl_add_u64 v[32:33], s[84:85], 1, v[46:47]
	s_cmp_eq_u32 s41, s2
	s_waitcnt lgkmcnt(1)
	v_lshrrev_b32_e32 v36, 16, v27
	global_store_short v[32:33], v24, off
	v_alignbit_b32 v35, v26, v25, 16
	v_alignbit_b32 v34, v25, v24, 16
	;; [unrolled: 1-line block ×3, first 2 shown]
	global_store_short v[32:33], v36, off offset:14
	global_store_dword v[32:33], v24, off offset:10
	global_store_dwordx2 v[32:33], v[34:35], off offset:2
	s_waitcnt lgkmcnt(0)
	global_store_dwordx4 v[32:33], v[28:31], off offset:1024
	s_cbranch_scc1 .LBB121_90
.LBB121_13:                             ; =>This Loop Header: Depth=1
                                        ;     Child Loop BB121_56 Depth 2
	v_lshl_add_u64 v[24:25], s[78:79], 0, v[40:41]
	v_lshl_add_u64 v[24:25], v[24:25], 0, v[50:51]
	s_barrier
	s_mov_b64 s[2:3], exec
	v_readlane_b32 s30, v166, 8
	v_readlane_b32 s31, v166, 9
	s_and_b64 s[30:31], s[2:3], s[30:31]
	s_mov_b64 exec, s[30:31]
	s_cbranch_execz .LBB121_15
; %bb.14:                               ;   in Loop: Header=BB121_13 Depth=1
	global_load_dwordx4 v[20:23], v[24:25], off
.LBB121_15:                             ;   in Loop: Header=BB121_13 Depth=1
	s_or_b64 exec, exec, s[2:3]
	s_mov_b64 s[2:3], exec
	v_readlane_b32 s30, v166, 10
	v_readlane_b32 s31, v166, 11
	s_and_b64 s[30:31], s[2:3], s[30:31]
	s_mov_b64 exec, s[30:31]
	s_cbranch_execz .LBB121_17
; %bb.16:                               ;   in Loop: Header=BB121_13 Depth=1
	global_load_dwordx4 v[12:15], v[24:25], off offset:1024
.LBB121_17:                             ;   in Loop: Header=BB121_13 Depth=1
	s_or_b64 exec, exec, s[2:3]
	s_waitcnt vmcnt(0)
	ds_write_b128 v96, v[20:23]
	ds_write_b128 v97, v[12:15] offset:1024
	; wave barrier
	ds_read_b128 v[20:23], v98
	ds_read_b128 v[12:15], v98 offset:16
	v_lshl_add_u64 v[24:25], s[80:81], 0, v[40:41]
	v_mov_b32_e32 v49, v41
	v_lshl_add_u64 v[24:25], v[24:25], 0, v[48:49]
	s_waitcnt lgkmcnt(0)
	s_barrier
	s_mov_b64 s[2:3], exec
	v_readlane_b32 s30, v166, 8
	v_readlane_b32 s31, v166, 9
	s_and_b64 s[30:31], s[2:3], s[30:31]
	s_mov_b64 exec, s[30:31]
	s_cbranch_execz .LBB121_19
; %bb.18:                               ;   in Loop: Header=BB121_13 Depth=1
	global_load_dwordx4 v[16:19], v[24:25], off
.LBB121_19:                             ;   in Loop: Header=BB121_13 Depth=1
	s_or_b64 exec, exec, s[2:3]
	s_mov_b64 s[2:3], exec
	v_readlane_b32 s30, v166, 10
	v_readlane_b32 s31, v166, 11
	s_and_b64 s[30:31], s[2:3], s[30:31]
	s_mov_b64 exec, s[30:31]
	s_cbranch_execz .LBB121_21
; %bb.20:                               ;   in Loop: Header=BB121_13 Depth=1
	global_load_dwordx4 v[4:7], v[24:25], off offset:1024
.LBB121_21:                             ;   in Loop: Header=BB121_13 Depth=1
	s_or_b64 exec, exec, s[2:3]
	s_waitcnt vmcnt(0)
	ds_write_b128 v96, v[16:19]
	ds_write_b128 v97, v[4:7] offset:1024
	; wave barrier
	ds_read_b128 v[16:19], v98
	ds_read_b128 v[4:7], v98 offset:16
	s_waitcnt lgkmcnt(1)
	v_cvt_f32_f16_e32 v24, v16
	v_add_f32_e32 v124, s33, v24
	v_cmp_ge_f32_e32 vcc, s67, v124
	s_and_b64 s[2:3], s[88:89], vcc
	s_and_saveexec_b64 s[30:31], s[2:3]
	s_cbranch_execz .LBB121_23
; %bb.22:                               ;   in Loop: Header=BB121_13 Depth=1
	v_mul_f32_e32 v24, 0x3fb8aa3b, v124
	v_rndne_f32_e32 v25, v24
	v_sub_f32_e32 v26, v24, v25
	v_fma_f32 v24, v124, s34, -v24
	v_fmac_f32_e32 v24, 0x32a5705f, v124
	v_add_f32_e32 v24, v26, v24
	v_cvt_i32_f32_e32 v25, v25
	v_exp_f32_e32 v24, v24
	v_cmp_ngt_f32_e32 vcc, s35, v124
	v_ldexp_f32 v24, v24, v25
	s_nop 0
	v_cndmask_b32_e32 v24, 0, v24, vcc
	v_cmp_nlt_f32_e32 vcc, s36, v124
	s_nop 1
	v_cndmask_b32_e32 v49, v121, v24, vcc
	v_add_f32_e32 v26, 1.0, v49
	v_add_f32_e32 v24, -1.0, v26
	v_sub_f32_e32 v25, v24, v26
	v_add_f32_e32 v25, 1.0, v25
	v_sub_f32_e32 v24, v49, v24
	v_add_f32_e32 v27, v24, v25
	v_frexp_mant_f32_e32 v28, v26
	v_cvt_f64_f32_e32 v[24:25], v26
	v_frexp_exp_i32_f64_e32 v24, v[24:25]
	v_cmp_gt_f32_e32 vcc, s38, v28
	v_cmp_gt_f32_e64 s[2:3], s40, v49
	s_nop 0
	v_subbrev_co_u32_e32 v32, vcc, 0, v24, vcc
	v_sub_u32_e32 v24, 0, v32
	v_ldexp_f32 v25, v26, v24
	v_add_f32_e32 v26, -1.0, v25
	v_add_f32_e32 v28, 1.0, v25
	v_ldexp_f32 v24, v27, v24
	v_add_f32_e32 v27, 1.0, v26
	v_add_f32_e32 v29, -1.0, v28
	v_sub_f32_e32 v27, v25, v27
	v_sub_f32_e32 v25, v25, v29
	v_add_f32_e32 v27, v24, v27
	v_add_f32_e32 v24, v24, v25
	v_add_f32_e32 v33, v28, v24
	v_rcp_f32_e32 v35, v33
	v_sub_f32_e32 v25, v28, v33
	v_add_f32_e32 v34, v24, v25
	v_add_f32_e32 v25, v26, v27
	v_mul_f32_e32 v37, v25, v35
	v_sub_f32_e32 v24, v26, v25
	v_mul_f32_e32 v26, v33, v37
	v_fma_f32 v28, v37, v33, -v26
	v_fmac_f32_e32 v28, v37, v34
	v_add_f32_e32 v36, v27, v24
	v_add_f32_e32 v24, v26, v28
	v_sub_f32_e32 v27, v25, v24
	v_pk_add_f32 v[30:31], v[24:25], v[26:27] neg_lo:[0,1] neg_hi:[0,1]
	v_mov_b32_e32 v29, v24
	v_pk_add_f32 v[24:25], v[30:31], v[28:29] neg_lo:[0,1] neg_hi:[0,1]
	v_cmp_eq_f32_e32 vcc, s37, v49
	v_add_f32_e32 v25, v36, v25
	v_add_f32_e32 v24, v24, v25
	;; [unrolled: 1-line block ×3, first 2 shown]
	v_mul_f32_e32 v36, v35, v25
	v_mul_f32_e32 v26, v33, v36
	v_fma_f32 v28, v36, v33, -v26
	v_fmac_f32_e32 v28, v36, v34
	v_sub_f32_e32 v27, v27, v25
	v_add_f32_e32 v33, v24, v27
	v_add_f32_e32 v24, v26, v28
	v_sub_f32_e32 v27, v25, v24
	v_pk_add_f32 v[30:31], v[24:25], v[26:27] neg_lo:[0,1] neg_hi:[0,1]
	v_mov_b32_e32 v29, v24
	v_pk_add_f32 v[24:25], v[30:31], v[28:29] neg_lo:[0,1] neg_hi:[0,1]
	s_or_b64 vcc, s[2:3], vcc
	v_add_f32_e32 v25, v33, v25
	v_add_f32_e32 v24, v24, v25
	;; [unrolled: 1-line block ×4, first 2 shown]
	v_sub_f32_e32 v26, v25, v37
	v_mul_f32_e32 v24, v35, v24
	v_sub_f32_e32 v26, v36, v26
	v_add_f32_e32 v26, v26, v24
	v_add_f32_e32 v28, v25, v26
	v_mul_f32_e32 v29, v28, v28
	v_fmamk_f32 v24, v29, 0x3e9b6dac, v120
	v_fmaak_f32 v53, v29, v24, 0x3f2aaada
	v_cvt_f32_i32_e32 v24, v32
	v_sub_f32_e32 v25, v28, v25
	v_sub_f32_e32 v25, v26, v25
	v_ldexp_f32 v30, v25, 1
	v_mul_f32_e32 v25, v28, v29
	v_ldexp_f32 v27, v28, 1
	v_pk_mul_f32 v[28:29], v[24:25], v[52:53]
	s_nop 0
	v_fma_f32 v26, v24, s39, -v28
	v_fmac_f32_e32 v26, 0xb102e308, v24
	v_pk_add_f32 v[24:25], v[28:29], v[26:27]
	s_nop 0
	v_sub_f32_e32 v27, v25, v27
	v_sub_f32_e32 v27, v29, v27
	v_add_f32_e32 v31, v30, v27
	v_mov_b32_e32 v30, v28
	v_pk_add_f32 v[28:29], v[24:25], v[28:29] neg_lo:[0,1] neg_hi:[0,1]
	v_pk_add_f32 v[32:33], v[24:25], v[30:31]
	v_mov_b32_e32 v27, v24
	v_mov_b32_e32 v29, v33
	v_pk_add_f32 v[34:35], v[26:27], v[28:29] neg_lo:[0,1] neg_hi:[0,1]
	v_pk_add_f32 v[26:27], v[26:27], v[28:29]
	v_mov_b32_e32 v30, v31
	v_mov_b32_e32 v28, v27
	v_pk_add_f32 v[36:37], v[28:29], v[24:25] neg_lo:[0,1] neg_hi:[0,1]
	v_mov_b32_e32 v26, v33
	v_mov_b32_e32 v29, v36
	v_pk_add_f32 v[38:39], v[32:33], v[28:29] neg_lo:[0,1] neg_hi:[0,1]
	v_mov_b32_e32 v32, v25
	v_mov_b32_e32 v33, v36
	;; [unrolled: 1-line block ×3, first 2 shown]
	v_pk_add_f32 v[26:27], v[26:27], v[32:33] neg_lo:[0,1] neg_hi:[0,1]
	v_mov_b32_e32 v31, v24
	v_pk_add_f32 v[24:25], v[30:31], v[26:27] neg_lo:[0,1] neg_hi:[0,1]
	v_mov_b32_e32 v38, v34
	v_pk_add_f32 v[26:27], v[38:39], v[24:25]
	s_nop 0
	v_mov_b32_e32 v30, v27
	v_pk_add_f32 v[30:31], v[26:27], v[30:31]
	s_nop 0
	v_pk_add_f32 v[28:29], v[28:29], v[30:31]
	v_mov_b32_e32 v25, v30
	v_mov_b32_e32 v27, v28
	v_pk_add_f32 v[32:33], v[26:27], v[34:35] neg_lo:[0,1] neg_hi:[0,1]
	s_nop 0
	v_sub_f32_e32 v26, v26, v32
	v_pk_add_f32 v[24:25], v[24:25], v[32:33] neg_lo:[0,1] neg_hi:[0,1]
	v_sub_f32_e32 v26, v34, v26
	v_add_f32_e32 v24, v24, v26
	v_add_f32_e32 v24, v24, v25
	;; [unrolled: 1-line block ×3, first 2 shown]
	v_cndmask_b32_e32 v124, v24, v49, vcc
.LBB121_23:                             ;   in Loop: Header=BB121_13 Depth=1
	s_or_b64 exec, exec, s[30:31]
	v_cvt_f32_f16_sdwa v24, v16 dst_sel:DWORD dst_unused:UNUSED_PAD src0_sel:WORD_1
	v_add_f32_e32 v125, s33, v24
	v_cmp_ge_f32_e32 vcc, s67, v125
	s_and_b64 s[2:3], s[88:89], vcc
	s_and_saveexec_b64 s[30:31], s[2:3]
	s_cbranch_execz .LBB121_25
; %bb.24:                               ;   in Loop: Header=BB121_13 Depth=1
	v_mul_f32_e32 v24, 0x3fb8aa3b, v125
	v_rndne_f32_e32 v25, v24
	v_sub_f32_e32 v26, v24, v25
	v_fma_f32 v24, v125, s34, -v24
	v_fmac_f32_e32 v24, 0x32a5705f, v125
	v_add_f32_e32 v24, v26, v24
	v_cvt_i32_f32_e32 v25, v25
	v_exp_f32_e32 v24, v24
	v_cmp_ngt_f32_e32 vcc, s35, v125
	v_ldexp_f32 v24, v24, v25
	s_nop 0
	v_cndmask_b32_e32 v24, 0, v24, vcc
	v_cmp_nlt_f32_e32 vcc, s36, v125
	s_nop 1
	v_cndmask_b32_e32 v49, v121, v24, vcc
	v_add_f32_e32 v26, 1.0, v49
	v_add_f32_e32 v24, -1.0, v26
	v_sub_f32_e32 v25, v24, v26
	v_add_f32_e32 v25, 1.0, v25
	v_sub_f32_e32 v24, v49, v24
	v_add_f32_e32 v27, v24, v25
	v_frexp_mant_f32_e32 v28, v26
	v_cvt_f64_f32_e32 v[24:25], v26
	v_frexp_exp_i32_f64_e32 v24, v[24:25]
	v_cmp_gt_f32_e32 vcc, s38, v28
	v_cmp_gt_f32_e64 s[2:3], s40, v49
	s_nop 0
	v_subbrev_co_u32_e32 v32, vcc, 0, v24, vcc
	v_sub_u32_e32 v24, 0, v32
	v_ldexp_f32 v25, v26, v24
	v_add_f32_e32 v26, -1.0, v25
	v_add_f32_e32 v28, 1.0, v25
	v_ldexp_f32 v24, v27, v24
	v_add_f32_e32 v27, 1.0, v26
	v_add_f32_e32 v29, -1.0, v28
	v_sub_f32_e32 v27, v25, v27
	v_sub_f32_e32 v25, v25, v29
	v_add_f32_e32 v27, v24, v27
	v_add_f32_e32 v24, v24, v25
	;; [unrolled: 1-line block ×3, first 2 shown]
	v_rcp_f32_e32 v35, v33
	v_sub_f32_e32 v25, v28, v33
	v_add_f32_e32 v34, v24, v25
	v_add_f32_e32 v25, v26, v27
	v_mul_f32_e32 v37, v25, v35
	v_sub_f32_e32 v24, v26, v25
	v_mul_f32_e32 v26, v33, v37
	v_fma_f32 v28, v37, v33, -v26
	v_fmac_f32_e32 v28, v37, v34
	v_add_f32_e32 v36, v27, v24
	v_add_f32_e32 v24, v26, v28
	v_sub_f32_e32 v27, v25, v24
	v_pk_add_f32 v[30:31], v[24:25], v[26:27] neg_lo:[0,1] neg_hi:[0,1]
	v_mov_b32_e32 v29, v24
	v_pk_add_f32 v[24:25], v[30:31], v[28:29] neg_lo:[0,1] neg_hi:[0,1]
	v_cmp_eq_f32_e32 vcc, s37, v49
	v_add_f32_e32 v25, v36, v25
	v_add_f32_e32 v24, v24, v25
	;; [unrolled: 1-line block ×3, first 2 shown]
	v_mul_f32_e32 v36, v35, v25
	v_mul_f32_e32 v26, v33, v36
	v_fma_f32 v28, v36, v33, -v26
	v_fmac_f32_e32 v28, v36, v34
	v_sub_f32_e32 v27, v27, v25
	v_add_f32_e32 v33, v24, v27
	v_add_f32_e32 v24, v26, v28
	v_sub_f32_e32 v27, v25, v24
	v_pk_add_f32 v[30:31], v[24:25], v[26:27] neg_lo:[0,1] neg_hi:[0,1]
	v_mov_b32_e32 v29, v24
	v_pk_add_f32 v[24:25], v[30:31], v[28:29] neg_lo:[0,1] neg_hi:[0,1]
	s_or_b64 vcc, s[2:3], vcc
	v_add_f32_e32 v25, v33, v25
	v_add_f32_e32 v24, v24, v25
	;; [unrolled: 1-line block ×4, first 2 shown]
	v_sub_f32_e32 v26, v25, v37
	v_mul_f32_e32 v24, v35, v24
	v_sub_f32_e32 v26, v36, v26
	v_add_f32_e32 v26, v26, v24
	v_add_f32_e32 v28, v25, v26
	v_mul_f32_e32 v29, v28, v28
	v_fmamk_f32 v24, v29, 0x3e9b6dac, v120
	v_fmaak_f32 v53, v29, v24, 0x3f2aaada
	v_cvt_f32_i32_e32 v24, v32
	v_sub_f32_e32 v25, v28, v25
	v_sub_f32_e32 v25, v26, v25
	v_ldexp_f32 v30, v25, 1
	v_mul_f32_e32 v25, v28, v29
	v_ldexp_f32 v27, v28, 1
	v_pk_mul_f32 v[28:29], v[24:25], v[52:53]
	s_nop 0
	v_fma_f32 v26, v24, s39, -v28
	v_fmac_f32_e32 v26, 0xb102e308, v24
	v_pk_add_f32 v[24:25], v[28:29], v[26:27]
	s_nop 0
	v_sub_f32_e32 v27, v25, v27
	v_sub_f32_e32 v27, v29, v27
	v_add_f32_e32 v31, v30, v27
	v_mov_b32_e32 v30, v28
	v_pk_add_f32 v[28:29], v[24:25], v[28:29] neg_lo:[0,1] neg_hi:[0,1]
	v_pk_add_f32 v[32:33], v[24:25], v[30:31]
	v_mov_b32_e32 v27, v24
	v_mov_b32_e32 v29, v33
	v_pk_add_f32 v[34:35], v[26:27], v[28:29] neg_lo:[0,1] neg_hi:[0,1]
	v_pk_add_f32 v[26:27], v[26:27], v[28:29]
	v_mov_b32_e32 v30, v31
	v_mov_b32_e32 v28, v27
	v_pk_add_f32 v[36:37], v[28:29], v[24:25] neg_lo:[0,1] neg_hi:[0,1]
	v_mov_b32_e32 v26, v33
	v_mov_b32_e32 v29, v36
	v_pk_add_f32 v[38:39], v[32:33], v[28:29] neg_lo:[0,1] neg_hi:[0,1]
	v_mov_b32_e32 v32, v25
	v_mov_b32_e32 v33, v36
	;; [unrolled: 1-line block ×3, first 2 shown]
	v_pk_add_f32 v[26:27], v[26:27], v[32:33] neg_lo:[0,1] neg_hi:[0,1]
	v_mov_b32_e32 v31, v24
	v_pk_add_f32 v[24:25], v[30:31], v[26:27] neg_lo:[0,1] neg_hi:[0,1]
	v_mov_b32_e32 v38, v34
	v_pk_add_f32 v[26:27], v[38:39], v[24:25]
	s_nop 0
	v_mov_b32_e32 v30, v27
	v_pk_add_f32 v[30:31], v[26:27], v[30:31]
	s_nop 0
	v_pk_add_f32 v[28:29], v[28:29], v[30:31]
	v_mov_b32_e32 v25, v30
	v_mov_b32_e32 v27, v28
	v_pk_add_f32 v[32:33], v[26:27], v[34:35] neg_lo:[0,1] neg_hi:[0,1]
	s_nop 0
	v_sub_f32_e32 v26, v26, v32
	v_pk_add_f32 v[24:25], v[24:25], v[32:33] neg_lo:[0,1] neg_hi:[0,1]
	v_sub_f32_e32 v26, v34, v26
	v_add_f32_e32 v24, v24, v26
	v_add_f32_e32 v24, v24, v25
	;; [unrolled: 1-line block ×3, first 2 shown]
	v_cndmask_b32_e32 v125, v24, v49, vcc
.LBB121_25:                             ;   in Loop: Header=BB121_13 Depth=1
	s_or_b64 exec, exec, s[30:31]
	v_cvt_f32_f16_e32 v24, v17
	v_add_f32_e32 v126, s33, v24
	v_cmp_ge_f32_e32 vcc, s67, v126
	s_and_b64 s[2:3], s[88:89], vcc
	s_and_saveexec_b64 s[30:31], s[2:3]
	s_cbranch_execz .LBB121_27
; %bb.26:                               ;   in Loop: Header=BB121_13 Depth=1
	v_mul_f32_e32 v24, 0x3fb8aa3b, v126
	v_rndne_f32_e32 v25, v24
	v_sub_f32_e32 v26, v24, v25
	v_fma_f32 v24, v126, s34, -v24
	v_fmac_f32_e32 v24, 0x32a5705f, v126
	v_add_f32_e32 v24, v26, v24
	v_cvt_i32_f32_e32 v25, v25
	v_exp_f32_e32 v24, v24
	v_cmp_ngt_f32_e32 vcc, s35, v126
	v_ldexp_f32 v24, v24, v25
	s_nop 0
	v_cndmask_b32_e32 v24, 0, v24, vcc
	v_cmp_nlt_f32_e32 vcc, s36, v126
	s_nop 1
	v_cndmask_b32_e32 v49, v121, v24, vcc
	v_add_f32_e32 v26, 1.0, v49
	v_add_f32_e32 v24, -1.0, v26
	v_sub_f32_e32 v25, v24, v26
	v_add_f32_e32 v25, 1.0, v25
	v_sub_f32_e32 v24, v49, v24
	v_add_f32_e32 v27, v24, v25
	v_frexp_mant_f32_e32 v28, v26
	v_cvt_f64_f32_e32 v[24:25], v26
	v_frexp_exp_i32_f64_e32 v24, v[24:25]
	v_cmp_gt_f32_e32 vcc, s38, v28
	v_cmp_gt_f32_e64 s[2:3], s40, v49
	s_nop 0
	v_subbrev_co_u32_e32 v32, vcc, 0, v24, vcc
	v_sub_u32_e32 v24, 0, v32
	v_ldexp_f32 v25, v26, v24
	v_add_f32_e32 v26, -1.0, v25
	v_add_f32_e32 v28, 1.0, v25
	v_ldexp_f32 v24, v27, v24
	v_add_f32_e32 v27, 1.0, v26
	v_add_f32_e32 v29, -1.0, v28
	v_sub_f32_e32 v27, v25, v27
	v_sub_f32_e32 v25, v25, v29
	v_add_f32_e32 v27, v24, v27
	v_add_f32_e32 v24, v24, v25
	;; [unrolled: 1-line block ×3, first 2 shown]
	v_rcp_f32_e32 v35, v33
	v_sub_f32_e32 v25, v28, v33
	v_add_f32_e32 v34, v24, v25
	v_add_f32_e32 v25, v26, v27
	v_mul_f32_e32 v37, v25, v35
	v_sub_f32_e32 v24, v26, v25
	v_mul_f32_e32 v26, v33, v37
	v_fma_f32 v28, v37, v33, -v26
	v_fmac_f32_e32 v28, v37, v34
	v_add_f32_e32 v36, v27, v24
	v_add_f32_e32 v24, v26, v28
	v_sub_f32_e32 v27, v25, v24
	v_pk_add_f32 v[30:31], v[24:25], v[26:27] neg_lo:[0,1] neg_hi:[0,1]
	v_mov_b32_e32 v29, v24
	v_pk_add_f32 v[24:25], v[30:31], v[28:29] neg_lo:[0,1] neg_hi:[0,1]
	v_cmp_eq_f32_e32 vcc, s37, v49
	v_add_f32_e32 v25, v36, v25
	v_add_f32_e32 v24, v24, v25
	;; [unrolled: 1-line block ×3, first 2 shown]
	v_mul_f32_e32 v36, v35, v25
	v_mul_f32_e32 v26, v33, v36
	v_fma_f32 v28, v36, v33, -v26
	v_fmac_f32_e32 v28, v36, v34
	v_sub_f32_e32 v27, v27, v25
	v_add_f32_e32 v33, v24, v27
	v_add_f32_e32 v24, v26, v28
	v_sub_f32_e32 v27, v25, v24
	v_pk_add_f32 v[30:31], v[24:25], v[26:27] neg_lo:[0,1] neg_hi:[0,1]
	v_mov_b32_e32 v29, v24
	v_pk_add_f32 v[24:25], v[30:31], v[28:29] neg_lo:[0,1] neg_hi:[0,1]
	s_or_b64 vcc, s[2:3], vcc
	v_add_f32_e32 v25, v33, v25
	v_add_f32_e32 v24, v24, v25
	;; [unrolled: 1-line block ×4, first 2 shown]
	v_sub_f32_e32 v26, v25, v37
	v_mul_f32_e32 v24, v35, v24
	v_sub_f32_e32 v26, v36, v26
	v_add_f32_e32 v26, v26, v24
	v_add_f32_e32 v28, v25, v26
	v_mul_f32_e32 v29, v28, v28
	v_fmamk_f32 v24, v29, 0x3e9b6dac, v120
	v_fmaak_f32 v53, v29, v24, 0x3f2aaada
	v_cvt_f32_i32_e32 v24, v32
	v_sub_f32_e32 v25, v28, v25
	v_sub_f32_e32 v25, v26, v25
	v_ldexp_f32 v30, v25, 1
	v_mul_f32_e32 v25, v28, v29
	v_ldexp_f32 v27, v28, 1
	v_pk_mul_f32 v[28:29], v[24:25], v[52:53]
	s_nop 0
	v_fma_f32 v26, v24, s39, -v28
	v_fmac_f32_e32 v26, 0xb102e308, v24
	v_pk_add_f32 v[24:25], v[28:29], v[26:27]
	s_nop 0
	v_sub_f32_e32 v27, v25, v27
	v_sub_f32_e32 v27, v29, v27
	v_add_f32_e32 v31, v30, v27
	v_mov_b32_e32 v30, v28
	v_pk_add_f32 v[28:29], v[24:25], v[28:29] neg_lo:[0,1] neg_hi:[0,1]
	v_pk_add_f32 v[32:33], v[24:25], v[30:31]
	v_mov_b32_e32 v27, v24
	v_mov_b32_e32 v29, v33
	v_pk_add_f32 v[34:35], v[26:27], v[28:29] neg_lo:[0,1] neg_hi:[0,1]
	v_pk_add_f32 v[26:27], v[26:27], v[28:29]
	v_mov_b32_e32 v30, v31
	v_mov_b32_e32 v28, v27
	v_pk_add_f32 v[36:37], v[28:29], v[24:25] neg_lo:[0,1] neg_hi:[0,1]
	v_mov_b32_e32 v26, v33
	v_mov_b32_e32 v29, v36
	v_pk_add_f32 v[38:39], v[32:33], v[28:29] neg_lo:[0,1] neg_hi:[0,1]
	v_mov_b32_e32 v32, v25
	v_mov_b32_e32 v33, v36
	;; [unrolled: 1-line block ×3, first 2 shown]
	v_pk_add_f32 v[26:27], v[26:27], v[32:33] neg_lo:[0,1] neg_hi:[0,1]
	v_mov_b32_e32 v31, v24
	v_pk_add_f32 v[24:25], v[30:31], v[26:27] neg_lo:[0,1] neg_hi:[0,1]
	v_mov_b32_e32 v38, v34
	v_pk_add_f32 v[26:27], v[38:39], v[24:25]
	s_nop 0
	v_mov_b32_e32 v30, v27
	v_pk_add_f32 v[30:31], v[26:27], v[30:31]
	s_nop 0
	v_pk_add_f32 v[28:29], v[28:29], v[30:31]
	v_mov_b32_e32 v25, v30
	v_mov_b32_e32 v27, v28
	v_pk_add_f32 v[32:33], v[26:27], v[34:35] neg_lo:[0,1] neg_hi:[0,1]
	s_nop 0
	v_sub_f32_e32 v26, v26, v32
	v_pk_add_f32 v[24:25], v[24:25], v[32:33] neg_lo:[0,1] neg_hi:[0,1]
	v_sub_f32_e32 v26, v34, v26
	v_add_f32_e32 v24, v24, v26
	v_add_f32_e32 v24, v24, v25
	;; [unrolled: 1-line block ×3, first 2 shown]
	v_cndmask_b32_e32 v126, v24, v49, vcc
.LBB121_27:                             ;   in Loop: Header=BB121_13 Depth=1
	s_or_b64 exec, exec, s[30:31]
	v_cvt_f32_f16_sdwa v24, v17 dst_sel:DWORD dst_unused:UNUSED_PAD src0_sel:WORD_1
	v_add_f32_e32 v127, s33, v24
	v_cmp_ge_f32_e32 vcc, s67, v127
	s_and_b64 s[2:3], s[88:89], vcc
	s_and_saveexec_b64 s[30:31], s[2:3]
	s_cbranch_execz .LBB121_29
; %bb.28:                               ;   in Loop: Header=BB121_13 Depth=1
	v_mul_f32_e32 v24, 0x3fb8aa3b, v127
	v_rndne_f32_e32 v25, v24
	v_sub_f32_e32 v26, v24, v25
	v_fma_f32 v24, v127, s34, -v24
	v_fmac_f32_e32 v24, 0x32a5705f, v127
	v_add_f32_e32 v24, v26, v24
	v_cvt_i32_f32_e32 v25, v25
	v_exp_f32_e32 v24, v24
	v_cmp_ngt_f32_e32 vcc, s35, v127
	v_ldexp_f32 v24, v24, v25
	s_nop 0
	v_cndmask_b32_e32 v24, 0, v24, vcc
	v_cmp_nlt_f32_e32 vcc, s36, v127
	s_nop 1
	v_cndmask_b32_e32 v49, v121, v24, vcc
	v_add_f32_e32 v26, 1.0, v49
	v_add_f32_e32 v24, -1.0, v26
	v_sub_f32_e32 v25, v24, v26
	v_add_f32_e32 v25, 1.0, v25
	v_sub_f32_e32 v24, v49, v24
	v_add_f32_e32 v27, v24, v25
	v_frexp_mant_f32_e32 v28, v26
	v_cvt_f64_f32_e32 v[24:25], v26
	v_frexp_exp_i32_f64_e32 v24, v[24:25]
	v_cmp_gt_f32_e32 vcc, s38, v28
	v_cmp_gt_f32_e64 s[2:3], s40, v49
	s_nop 0
	v_subbrev_co_u32_e32 v32, vcc, 0, v24, vcc
	v_sub_u32_e32 v24, 0, v32
	v_ldexp_f32 v25, v26, v24
	v_add_f32_e32 v26, -1.0, v25
	v_add_f32_e32 v28, 1.0, v25
	v_ldexp_f32 v24, v27, v24
	v_add_f32_e32 v27, 1.0, v26
	v_add_f32_e32 v29, -1.0, v28
	v_sub_f32_e32 v27, v25, v27
	v_sub_f32_e32 v25, v25, v29
	v_add_f32_e32 v27, v24, v27
	v_add_f32_e32 v24, v24, v25
	;; [unrolled: 1-line block ×3, first 2 shown]
	v_rcp_f32_e32 v35, v33
	v_sub_f32_e32 v25, v28, v33
	v_add_f32_e32 v34, v24, v25
	v_add_f32_e32 v25, v26, v27
	v_mul_f32_e32 v37, v25, v35
	v_sub_f32_e32 v24, v26, v25
	v_mul_f32_e32 v26, v33, v37
	v_fma_f32 v28, v37, v33, -v26
	v_fmac_f32_e32 v28, v37, v34
	v_add_f32_e32 v36, v27, v24
	v_add_f32_e32 v24, v26, v28
	v_sub_f32_e32 v27, v25, v24
	v_pk_add_f32 v[30:31], v[24:25], v[26:27] neg_lo:[0,1] neg_hi:[0,1]
	v_mov_b32_e32 v29, v24
	v_pk_add_f32 v[24:25], v[30:31], v[28:29] neg_lo:[0,1] neg_hi:[0,1]
	v_cmp_eq_f32_e32 vcc, s37, v49
	v_add_f32_e32 v25, v36, v25
	v_add_f32_e32 v24, v24, v25
	;; [unrolled: 1-line block ×3, first 2 shown]
	v_mul_f32_e32 v36, v35, v25
	v_mul_f32_e32 v26, v33, v36
	v_fma_f32 v28, v36, v33, -v26
	v_fmac_f32_e32 v28, v36, v34
	v_sub_f32_e32 v27, v27, v25
	v_add_f32_e32 v33, v24, v27
	v_add_f32_e32 v24, v26, v28
	v_sub_f32_e32 v27, v25, v24
	v_pk_add_f32 v[30:31], v[24:25], v[26:27] neg_lo:[0,1] neg_hi:[0,1]
	v_mov_b32_e32 v29, v24
	v_pk_add_f32 v[24:25], v[30:31], v[28:29] neg_lo:[0,1] neg_hi:[0,1]
	s_or_b64 vcc, s[2:3], vcc
	v_add_f32_e32 v25, v33, v25
	v_add_f32_e32 v24, v24, v25
	;; [unrolled: 1-line block ×4, first 2 shown]
	v_sub_f32_e32 v26, v25, v37
	v_mul_f32_e32 v24, v35, v24
	v_sub_f32_e32 v26, v36, v26
	v_add_f32_e32 v26, v26, v24
	v_add_f32_e32 v28, v25, v26
	v_mul_f32_e32 v29, v28, v28
	v_fmamk_f32 v24, v29, 0x3e9b6dac, v120
	v_fmaak_f32 v53, v29, v24, 0x3f2aaada
	v_cvt_f32_i32_e32 v24, v32
	v_sub_f32_e32 v25, v28, v25
	v_sub_f32_e32 v25, v26, v25
	v_ldexp_f32 v30, v25, 1
	v_mul_f32_e32 v25, v28, v29
	v_ldexp_f32 v27, v28, 1
	v_pk_mul_f32 v[28:29], v[24:25], v[52:53]
	s_nop 0
	v_fma_f32 v26, v24, s39, -v28
	v_fmac_f32_e32 v26, 0xb102e308, v24
	v_pk_add_f32 v[24:25], v[28:29], v[26:27]
	s_nop 0
	v_sub_f32_e32 v27, v25, v27
	v_sub_f32_e32 v27, v29, v27
	v_add_f32_e32 v31, v30, v27
	v_mov_b32_e32 v30, v28
	v_pk_add_f32 v[28:29], v[24:25], v[28:29] neg_lo:[0,1] neg_hi:[0,1]
	v_pk_add_f32 v[32:33], v[24:25], v[30:31]
	v_mov_b32_e32 v27, v24
	v_mov_b32_e32 v29, v33
	v_pk_add_f32 v[34:35], v[26:27], v[28:29] neg_lo:[0,1] neg_hi:[0,1]
	v_pk_add_f32 v[26:27], v[26:27], v[28:29]
	v_mov_b32_e32 v30, v31
	v_mov_b32_e32 v28, v27
	v_pk_add_f32 v[36:37], v[28:29], v[24:25] neg_lo:[0,1] neg_hi:[0,1]
	v_mov_b32_e32 v26, v33
	v_mov_b32_e32 v29, v36
	v_pk_add_f32 v[38:39], v[32:33], v[28:29] neg_lo:[0,1] neg_hi:[0,1]
	v_mov_b32_e32 v32, v25
	v_mov_b32_e32 v33, v36
	;; [unrolled: 1-line block ×3, first 2 shown]
	v_pk_add_f32 v[26:27], v[26:27], v[32:33] neg_lo:[0,1] neg_hi:[0,1]
	v_mov_b32_e32 v31, v24
	v_pk_add_f32 v[24:25], v[30:31], v[26:27] neg_lo:[0,1] neg_hi:[0,1]
	v_mov_b32_e32 v38, v34
	v_pk_add_f32 v[26:27], v[38:39], v[24:25]
	s_nop 0
	v_mov_b32_e32 v30, v27
	v_pk_add_f32 v[30:31], v[26:27], v[30:31]
	s_nop 0
	v_pk_add_f32 v[28:29], v[28:29], v[30:31]
	v_mov_b32_e32 v25, v30
	v_mov_b32_e32 v27, v28
	v_pk_add_f32 v[32:33], v[26:27], v[34:35] neg_lo:[0,1] neg_hi:[0,1]
	s_nop 0
	v_sub_f32_e32 v26, v26, v32
	v_pk_add_f32 v[24:25], v[24:25], v[32:33] neg_lo:[0,1] neg_hi:[0,1]
	v_sub_f32_e32 v26, v34, v26
	v_add_f32_e32 v24, v24, v26
	v_add_f32_e32 v24, v24, v25
	v_add_f32_e32 v24, v28, v24
	v_cndmask_b32_e32 v127, v24, v49, vcc
.LBB121_29:                             ;   in Loop: Header=BB121_13 Depth=1
	s_or_b64 exec, exec, s[30:31]
	v_cvt_f32_f16_e32 v24, v18
	v_add_f32_e32 v128, s33, v24
	v_cmp_ge_f32_e32 vcc, s67, v128
	s_and_b64 s[2:3], s[88:89], vcc
	s_and_saveexec_b64 s[30:31], s[2:3]
	s_cbranch_execz .LBB121_31
; %bb.30:                               ;   in Loop: Header=BB121_13 Depth=1
	v_mul_f32_e32 v24, 0x3fb8aa3b, v128
	v_rndne_f32_e32 v25, v24
	v_sub_f32_e32 v26, v24, v25
	v_fma_f32 v24, v128, s34, -v24
	v_fmac_f32_e32 v24, 0x32a5705f, v128
	v_add_f32_e32 v24, v26, v24
	v_cvt_i32_f32_e32 v25, v25
	v_exp_f32_e32 v24, v24
	v_cmp_ngt_f32_e32 vcc, s35, v128
	v_ldexp_f32 v24, v24, v25
	s_nop 0
	v_cndmask_b32_e32 v24, 0, v24, vcc
	v_cmp_nlt_f32_e32 vcc, s36, v128
	s_nop 1
	v_cndmask_b32_e32 v49, v121, v24, vcc
	v_add_f32_e32 v26, 1.0, v49
	v_add_f32_e32 v24, -1.0, v26
	v_sub_f32_e32 v25, v24, v26
	v_add_f32_e32 v25, 1.0, v25
	v_sub_f32_e32 v24, v49, v24
	v_add_f32_e32 v27, v24, v25
	v_frexp_mant_f32_e32 v28, v26
	v_cvt_f64_f32_e32 v[24:25], v26
	v_frexp_exp_i32_f64_e32 v24, v[24:25]
	v_cmp_gt_f32_e32 vcc, s38, v28
	v_cmp_gt_f32_e64 s[2:3], s40, v49
	s_nop 0
	v_subbrev_co_u32_e32 v32, vcc, 0, v24, vcc
	v_sub_u32_e32 v24, 0, v32
	v_ldexp_f32 v25, v26, v24
	v_add_f32_e32 v26, -1.0, v25
	v_add_f32_e32 v28, 1.0, v25
	v_ldexp_f32 v24, v27, v24
	v_add_f32_e32 v27, 1.0, v26
	v_add_f32_e32 v29, -1.0, v28
	v_sub_f32_e32 v27, v25, v27
	v_sub_f32_e32 v25, v25, v29
	v_add_f32_e32 v27, v24, v27
	v_add_f32_e32 v24, v24, v25
	;; [unrolled: 1-line block ×3, first 2 shown]
	v_rcp_f32_e32 v35, v33
	v_sub_f32_e32 v25, v28, v33
	v_add_f32_e32 v34, v24, v25
	v_add_f32_e32 v25, v26, v27
	v_mul_f32_e32 v37, v25, v35
	v_sub_f32_e32 v24, v26, v25
	v_mul_f32_e32 v26, v33, v37
	v_fma_f32 v28, v37, v33, -v26
	v_fmac_f32_e32 v28, v37, v34
	v_add_f32_e32 v36, v27, v24
	v_add_f32_e32 v24, v26, v28
	v_sub_f32_e32 v27, v25, v24
	v_pk_add_f32 v[30:31], v[24:25], v[26:27] neg_lo:[0,1] neg_hi:[0,1]
	v_mov_b32_e32 v29, v24
	v_pk_add_f32 v[24:25], v[30:31], v[28:29] neg_lo:[0,1] neg_hi:[0,1]
	v_cmp_eq_f32_e32 vcc, s37, v49
	v_add_f32_e32 v25, v36, v25
	v_add_f32_e32 v24, v24, v25
	;; [unrolled: 1-line block ×3, first 2 shown]
	v_mul_f32_e32 v36, v35, v25
	v_mul_f32_e32 v26, v33, v36
	v_fma_f32 v28, v36, v33, -v26
	v_fmac_f32_e32 v28, v36, v34
	v_sub_f32_e32 v27, v27, v25
	v_add_f32_e32 v33, v24, v27
	v_add_f32_e32 v24, v26, v28
	v_sub_f32_e32 v27, v25, v24
	v_pk_add_f32 v[30:31], v[24:25], v[26:27] neg_lo:[0,1] neg_hi:[0,1]
	v_mov_b32_e32 v29, v24
	v_pk_add_f32 v[24:25], v[30:31], v[28:29] neg_lo:[0,1] neg_hi:[0,1]
	s_or_b64 vcc, s[2:3], vcc
	v_add_f32_e32 v25, v33, v25
	v_add_f32_e32 v24, v24, v25
	;; [unrolled: 1-line block ×4, first 2 shown]
	v_sub_f32_e32 v26, v25, v37
	v_mul_f32_e32 v24, v35, v24
	v_sub_f32_e32 v26, v36, v26
	v_add_f32_e32 v26, v26, v24
	v_add_f32_e32 v28, v25, v26
	v_mul_f32_e32 v29, v28, v28
	v_fmamk_f32 v24, v29, 0x3e9b6dac, v120
	v_fmaak_f32 v53, v29, v24, 0x3f2aaada
	v_cvt_f32_i32_e32 v24, v32
	v_sub_f32_e32 v25, v28, v25
	v_sub_f32_e32 v25, v26, v25
	v_ldexp_f32 v30, v25, 1
	v_mul_f32_e32 v25, v28, v29
	v_ldexp_f32 v27, v28, 1
	v_pk_mul_f32 v[28:29], v[24:25], v[52:53]
	s_nop 0
	v_fma_f32 v26, v24, s39, -v28
	v_fmac_f32_e32 v26, 0xb102e308, v24
	v_pk_add_f32 v[24:25], v[28:29], v[26:27]
	s_nop 0
	v_sub_f32_e32 v27, v25, v27
	v_sub_f32_e32 v27, v29, v27
	v_add_f32_e32 v31, v30, v27
	v_mov_b32_e32 v30, v28
	v_pk_add_f32 v[28:29], v[24:25], v[28:29] neg_lo:[0,1] neg_hi:[0,1]
	v_pk_add_f32 v[32:33], v[24:25], v[30:31]
	v_mov_b32_e32 v27, v24
	v_mov_b32_e32 v29, v33
	v_pk_add_f32 v[34:35], v[26:27], v[28:29] neg_lo:[0,1] neg_hi:[0,1]
	v_pk_add_f32 v[26:27], v[26:27], v[28:29]
	v_mov_b32_e32 v30, v31
	v_mov_b32_e32 v28, v27
	v_pk_add_f32 v[36:37], v[28:29], v[24:25] neg_lo:[0,1] neg_hi:[0,1]
	v_mov_b32_e32 v26, v33
	v_mov_b32_e32 v29, v36
	v_pk_add_f32 v[38:39], v[32:33], v[28:29] neg_lo:[0,1] neg_hi:[0,1]
	v_mov_b32_e32 v32, v25
	v_mov_b32_e32 v33, v36
	;; [unrolled: 1-line block ×3, first 2 shown]
	v_pk_add_f32 v[26:27], v[26:27], v[32:33] neg_lo:[0,1] neg_hi:[0,1]
	v_mov_b32_e32 v31, v24
	v_pk_add_f32 v[24:25], v[30:31], v[26:27] neg_lo:[0,1] neg_hi:[0,1]
	v_mov_b32_e32 v38, v34
	v_pk_add_f32 v[26:27], v[38:39], v[24:25]
	s_nop 0
	v_mov_b32_e32 v30, v27
	v_pk_add_f32 v[30:31], v[26:27], v[30:31]
	s_nop 0
	v_pk_add_f32 v[28:29], v[28:29], v[30:31]
	v_mov_b32_e32 v25, v30
	v_mov_b32_e32 v27, v28
	v_pk_add_f32 v[32:33], v[26:27], v[34:35] neg_lo:[0,1] neg_hi:[0,1]
	s_nop 0
	v_sub_f32_e32 v26, v26, v32
	v_pk_add_f32 v[24:25], v[24:25], v[32:33] neg_lo:[0,1] neg_hi:[0,1]
	v_sub_f32_e32 v26, v34, v26
	v_add_f32_e32 v24, v24, v26
	v_add_f32_e32 v24, v24, v25
	v_add_f32_e32 v24, v28, v24
	v_cndmask_b32_e32 v128, v24, v49, vcc
.LBB121_31:                             ;   in Loop: Header=BB121_13 Depth=1
	s_or_b64 exec, exec, s[30:31]
	v_cvt_f32_f16_sdwa v24, v18 dst_sel:DWORD dst_unused:UNUSED_PAD src0_sel:WORD_1
	v_add_f32_e32 v129, s33, v24
	v_cmp_ge_f32_e32 vcc, s67, v129
	s_and_b64 s[2:3], s[88:89], vcc
	s_and_saveexec_b64 s[30:31], s[2:3]
	s_cbranch_execz .LBB121_33
; %bb.32:                               ;   in Loop: Header=BB121_13 Depth=1
	v_mul_f32_e32 v24, 0x3fb8aa3b, v129
	v_rndne_f32_e32 v25, v24
	v_sub_f32_e32 v26, v24, v25
	v_fma_f32 v24, v129, s34, -v24
	v_fmac_f32_e32 v24, 0x32a5705f, v129
	v_add_f32_e32 v24, v26, v24
	v_cvt_i32_f32_e32 v25, v25
	v_exp_f32_e32 v24, v24
	v_cmp_ngt_f32_e32 vcc, s35, v129
	v_ldexp_f32 v24, v24, v25
	s_nop 0
	v_cndmask_b32_e32 v24, 0, v24, vcc
	v_cmp_nlt_f32_e32 vcc, s36, v129
	s_nop 1
	v_cndmask_b32_e32 v49, v121, v24, vcc
	v_add_f32_e32 v26, 1.0, v49
	v_add_f32_e32 v24, -1.0, v26
	v_sub_f32_e32 v25, v24, v26
	v_add_f32_e32 v25, 1.0, v25
	v_sub_f32_e32 v24, v49, v24
	v_add_f32_e32 v27, v24, v25
	v_frexp_mant_f32_e32 v28, v26
	v_cvt_f64_f32_e32 v[24:25], v26
	v_frexp_exp_i32_f64_e32 v24, v[24:25]
	v_cmp_gt_f32_e32 vcc, s38, v28
	v_cmp_gt_f32_e64 s[2:3], s40, v49
	s_nop 0
	v_subbrev_co_u32_e32 v32, vcc, 0, v24, vcc
	v_sub_u32_e32 v24, 0, v32
	v_ldexp_f32 v25, v26, v24
	v_add_f32_e32 v26, -1.0, v25
	v_add_f32_e32 v28, 1.0, v25
	v_ldexp_f32 v24, v27, v24
	v_add_f32_e32 v27, 1.0, v26
	v_add_f32_e32 v29, -1.0, v28
	v_sub_f32_e32 v27, v25, v27
	v_sub_f32_e32 v25, v25, v29
	v_add_f32_e32 v27, v24, v27
	v_add_f32_e32 v24, v24, v25
	;; [unrolled: 1-line block ×3, first 2 shown]
	v_rcp_f32_e32 v35, v33
	v_sub_f32_e32 v25, v28, v33
	v_add_f32_e32 v34, v24, v25
	v_add_f32_e32 v25, v26, v27
	v_mul_f32_e32 v37, v25, v35
	v_sub_f32_e32 v24, v26, v25
	v_mul_f32_e32 v26, v33, v37
	v_fma_f32 v28, v37, v33, -v26
	v_fmac_f32_e32 v28, v37, v34
	v_add_f32_e32 v36, v27, v24
	v_add_f32_e32 v24, v26, v28
	v_sub_f32_e32 v27, v25, v24
	v_pk_add_f32 v[30:31], v[24:25], v[26:27] neg_lo:[0,1] neg_hi:[0,1]
	v_mov_b32_e32 v29, v24
	v_pk_add_f32 v[24:25], v[30:31], v[28:29] neg_lo:[0,1] neg_hi:[0,1]
	v_cmp_eq_f32_e32 vcc, s37, v49
	v_add_f32_e32 v25, v36, v25
	v_add_f32_e32 v24, v24, v25
	;; [unrolled: 1-line block ×3, first 2 shown]
	v_mul_f32_e32 v36, v35, v25
	v_mul_f32_e32 v26, v33, v36
	v_fma_f32 v28, v36, v33, -v26
	v_fmac_f32_e32 v28, v36, v34
	v_sub_f32_e32 v27, v27, v25
	v_add_f32_e32 v33, v24, v27
	v_add_f32_e32 v24, v26, v28
	v_sub_f32_e32 v27, v25, v24
	v_pk_add_f32 v[30:31], v[24:25], v[26:27] neg_lo:[0,1] neg_hi:[0,1]
	v_mov_b32_e32 v29, v24
	v_pk_add_f32 v[24:25], v[30:31], v[28:29] neg_lo:[0,1] neg_hi:[0,1]
	s_or_b64 vcc, s[2:3], vcc
	v_add_f32_e32 v25, v33, v25
	v_add_f32_e32 v24, v24, v25
	;; [unrolled: 1-line block ×4, first 2 shown]
	v_sub_f32_e32 v26, v25, v37
	v_mul_f32_e32 v24, v35, v24
	v_sub_f32_e32 v26, v36, v26
	v_add_f32_e32 v26, v26, v24
	v_add_f32_e32 v28, v25, v26
	v_mul_f32_e32 v29, v28, v28
	v_fmamk_f32 v24, v29, 0x3e9b6dac, v120
	v_fmaak_f32 v53, v29, v24, 0x3f2aaada
	v_cvt_f32_i32_e32 v24, v32
	v_sub_f32_e32 v25, v28, v25
	v_sub_f32_e32 v25, v26, v25
	v_ldexp_f32 v30, v25, 1
	v_mul_f32_e32 v25, v28, v29
	v_ldexp_f32 v27, v28, 1
	v_pk_mul_f32 v[28:29], v[24:25], v[52:53]
	s_nop 0
	v_fma_f32 v26, v24, s39, -v28
	v_fmac_f32_e32 v26, 0xb102e308, v24
	v_pk_add_f32 v[24:25], v[28:29], v[26:27]
	s_nop 0
	v_sub_f32_e32 v27, v25, v27
	v_sub_f32_e32 v27, v29, v27
	v_add_f32_e32 v31, v30, v27
	v_mov_b32_e32 v30, v28
	v_pk_add_f32 v[28:29], v[24:25], v[28:29] neg_lo:[0,1] neg_hi:[0,1]
	v_pk_add_f32 v[32:33], v[24:25], v[30:31]
	v_mov_b32_e32 v27, v24
	v_mov_b32_e32 v29, v33
	v_pk_add_f32 v[34:35], v[26:27], v[28:29] neg_lo:[0,1] neg_hi:[0,1]
	v_pk_add_f32 v[26:27], v[26:27], v[28:29]
	v_mov_b32_e32 v30, v31
	v_mov_b32_e32 v28, v27
	v_pk_add_f32 v[36:37], v[28:29], v[24:25] neg_lo:[0,1] neg_hi:[0,1]
	v_mov_b32_e32 v26, v33
	v_mov_b32_e32 v29, v36
	v_pk_add_f32 v[38:39], v[32:33], v[28:29] neg_lo:[0,1] neg_hi:[0,1]
	v_mov_b32_e32 v32, v25
	v_mov_b32_e32 v33, v36
	;; [unrolled: 1-line block ×3, first 2 shown]
	v_pk_add_f32 v[26:27], v[26:27], v[32:33] neg_lo:[0,1] neg_hi:[0,1]
	v_mov_b32_e32 v31, v24
	v_pk_add_f32 v[24:25], v[30:31], v[26:27] neg_lo:[0,1] neg_hi:[0,1]
	v_mov_b32_e32 v38, v34
	v_pk_add_f32 v[26:27], v[38:39], v[24:25]
	s_nop 0
	v_mov_b32_e32 v30, v27
	v_pk_add_f32 v[30:31], v[26:27], v[30:31]
	s_nop 0
	v_pk_add_f32 v[28:29], v[28:29], v[30:31]
	v_mov_b32_e32 v25, v30
	v_mov_b32_e32 v27, v28
	v_pk_add_f32 v[32:33], v[26:27], v[34:35] neg_lo:[0,1] neg_hi:[0,1]
	s_nop 0
	v_sub_f32_e32 v26, v26, v32
	v_pk_add_f32 v[24:25], v[24:25], v[32:33] neg_lo:[0,1] neg_hi:[0,1]
	v_sub_f32_e32 v26, v34, v26
	v_add_f32_e32 v24, v24, v26
	v_add_f32_e32 v24, v24, v25
	;; [unrolled: 1-line block ×3, first 2 shown]
	v_cndmask_b32_e32 v129, v24, v49, vcc
.LBB121_33:                             ;   in Loop: Header=BB121_13 Depth=1
	s_or_b64 exec, exec, s[30:31]
	v_cvt_f32_f16_e32 v24, v19
	v_add_f32_e32 v130, s33, v24
	v_cmp_ge_f32_e32 vcc, s67, v130
	s_and_b64 s[2:3], s[88:89], vcc
	s_and_saveexec_b64 s[30:31], s[2:3]
	s_cbranch_execz .LBB121_35
; %bb.34:                               ;   in Loop: Header=BB121_13 Depth=1
	v_mul_f32_e32 v24, 0x3fb8aa3b, v130
	v_rndne_f32_e32 v25, v24
	v_sub_f32_e32 v26, v24, v25
	v_fma_f32 v24, v130, s34, -v24
	v_fmac_f32_e32 v24, 0x32a5705f, v130
	v_add_f32_e32 v24, v26, v24
	v_cvt_i32_f32_e32 v25, v25
	v_exp_f32_e32 v24, v24
	v_cmp_ngt_f32_e32 vcc, s35, v130
	v_ldexp_f32 v24, v24, v25
	s_nop 0
	v_cndmask_b32_e32 v24, 0, v24, vcc
	v_cmp_nlt_f32_e32 vcc, s36, v130
	s_nop 1
	v_cndmask_b32_e32 v49, v121, v24, vcc
	v_add_f32_e32 v26, 1.0, v49
	v_add_f32_e32 v24, -1.0, v26
	v_sub_f32_e32 v25, v24, v26
	v_add_f32_e32 v25, 1.0, v25
	v_sub_f32_e32 v24, v49, v24
	v_add_f32_e32 v27, v24, v25
	v_frexp_mant_f32_e32 v28, v26
	v_cvt_f64_f32_e32 v[24:25], v26
	v_frexp_exp_i32_f64_e32 v24, v[24:25]
	v_cmp_gt_f32_e32 vcc, s38, v28
	v_cmp_gt_f32_e64 s[2:3], s40, v49
	s_nop 0
	v_subbrev_co_u32_e32 v32, vcc, 0, v24, vcc
	v_sub_u32_e32 v24, 0, v32
	v_ldexp_f32 v25, v26, v24
	v_add_f32_e32 v26, -1.0, v25
	v_add_f32_e32 v28, 1.0, v25
	v_ldexp_f32 v24, v27, v24
	v_add_f32_e32 v27, 1.0, v26
	v_add_f32_e32 v29, -1.0, v28
	v_sub_f32_e32 v27, v25, v27
	v_sub_f32_e32 v25, v25, v29
	v_add_f32_e32 v27, v24, v27
	v_add_f32_e32 v24, v24, v25
	;; [unrolled: 1-line block ×3, first 2 shown]
	v_rcp_f32_e32 v35, v33
	v_sub_f32_e32 v25, v28, v33
	v_add_f32_e32 v34, v24, v25
	v_add_f32_e32 v25, v26, v27
	v_mul_f32_e32 v37, v25, v35
	v_sub_f32_e32 v24, v26, v25
	v_mul_f32_e32 v26, v33, v37
	v_fma_f32 v28, v37, v33, -v26
	v_fmac_f32_e32 v28, v37, v34
	v_add_f32_e32 v36, v27, v24
	v_add_f32_e32 v24, v26, v28
	v_sub_f32_e32 v27, v25, v24
	v_pk_add_f32 v[30:31], v[24:25], v[26:27] neg_lo:[0,1] neg_hi:[0,1]
	v_mov_b32_e32 v29, v24
	v_pk_add_f32 v[24:25], v[30:31], v[28:29] neg_lo:[0,1] neg_hi:[0,1]
	v_cmp_eq_f32_e32 vcc, s37, v49
	v_add_f32_e32 v25, v36, v25
	v_add_f32_e32 v24, v24, v25
	;; [unrolled: 1-line block ×3, first 2 shown]
	v_mul_f32_e32 v36, v35, v25
	v_mul_f32_e32 v26, v33, v36
	v_fma_f32 v28, v36, v33, -v26
	v_fmac_f32_e32 v28, v36, v34
	v_sub_f32_e32 v27, v27, v25
	v_add_f32_e32 v33, v24, v27
	v_add_f32_e32 v24, v26, v28
	v_sub_f32_e32 v27, v25, v24
	v_pk_add_f32 v[30:31], v[24:25], v[26:27] neg_lo:[0,1] neg_hi:[0,1]
	v_mov_b32_e32 v29, v24
	v_pk_add_f32 v[24:25], v[30:31], v[28:29] neg_lo:[0,1] neg_hi:[0,1]
	s_or_b64 vcc, s[2:3], vcc
	v_add_f32_e32 v25, v33, v25
	v_add_f32_e32 v24, v24, v25
	;; [unrolled: 1-line block ×4, first 2 shown]
	v_sub_f32_e32 v26, v25, v37
	v_mul_f32_e32 v24, v35, v24
	v_sub_f32_e32 v26, v36, v26
	v_add_f32_e32 v26, v26, v24
	v_add_f32_e32 v28, v25, v26
	v_mul_f32_e32 v29, v28, v28
	v_fmamk_f32 v24, v29, 0x3e9b6dac, v120
	v_fmaak_f32 v53, v29, v24, 0x3f2aaada
	v_cvt_f32_i32_e32 v24, v32
	v_sub_f32_e32 v25, v28, v25
	v_sub_f32_e32 v25, v26, v25
	v_ldexp_f32 v30, v25, 1
	v_mul_f32_e32 v25, v28, v29
	v_ldexp_f32 v27, v28, 1
	v_pk_mul_f32 v[28:29], v[24:25], v[52:53]
	s_nop 0
	v_fma_f32 v26, v24, s39, -v28
	v_fmac_f32_e32 v26, 0xb102e308, v24
	v_pk_add_f32 v[24:25], v[28:29], v[26:27]
	s_nop 0
	v_sub_f32_e32 v27, v25, v27
	v_sub_f32_e32 v27, v29, v27
	v_add_f32_e32 v31, v30, v27
	v_mov_b32_e32 v30, v28
	v_pk_add_f32 v[28:29], v[24:25], v[28:29] neg_lo:[0,1] neg_hi:[0,1]
	v_pk_add_f32 v[32:33], v[24:25], v[30:31]
	v_mov_b32_e32 v27, v24
	v_mov_b32_e32 v29, v33
	v_pk_add_f32 v[34:35], v[26:27], v[28:29] neg_lo:[0,1] neg_hi:[0,1]
	v_pk_add_f32 v[26:27], v[26:27], v[28:29]
	v_mov_b32_e32 v30, v31
	v_mov_b32_e32 v28, v27
	v_pk_add_f32 v[36:37], v[28:29], v[24:25] neg_lo:[0,1] neg_hi:[0,1]
	v_mov_b32_e32 v26, v33
	v_mov_b32_e32 v29, v36
	v_pk_add_f32 v[38:39], v[32:33], v[28:29] neg_lo:[0,1] neg_hi:[0,1]
	v_mov_b32_e32 v32, v25
	v_mov_b32_e32 v33, v36
	;; [unrolled: 1-line block ×3, first 2 shown]
	v_pk_add_f32 v[26:27], v[26:27], v[32:33] neg_lo:[0,1] neg_hi:[0,1]
	v_mov_b32_e32 v31, v24
	v_pk_add_f32 v[24:25], v[30:31], v[26:27] neg_lo:[0,1] neg_hi:[0,1]
	v_mov_b32_e32 v38, v34
	v_pk_add_f32 v[26:27], v[38:39], v[24:25]
	s_nop 0
	v_mov_b32_e32 v30, v27
	v_pk_add_f32 v[30:31], v[26:27], v[30:31]
	s_nop 0
	v_pk_add_f32 v[28:29], v[28:29], v[30:31]
	v_mov_b32_e32 v25, v30
	v_mov_b32_e32 v27, v28
	v_pk_add_f32 v[32:33], v[26:27], v[34:35] neg_lo:[0,1] neg_hi:[0,1]
	s_nop 0
	v_sub_f32_e32 v26, v26, v32
	v_pk_add_f32 v[24:25], v[24:25], v[32:33] neg_lo:[0,1] neg_hi:[0,1]
	v_sub_f32_e32 v26, v34, v26
	v_add_f32_e32 v24, v24, v26
	v_add_f32_e32 v24, v24, v25
	;; [unrolled: 1-line block ×3, first 2 shown]
	v_cndmask_b32_e32 v130, v24, v49, vcc
.LBB121_35:                             ;   in Loop: Header=BB121_13 Depth=1
	s_or_b64 exec, exec, s[30:31]
	v_cvt_f32_f16_sdwa v24, v19 dst_sel:DWORD dst_unused:UNUSED_PAD src0_sel:WORD_1
	v_add_f32_e32 v131, s33, v24
	v_cmp_ge_f32_e32 vcc, s67, v131
	s_and_b64 s[2:3], s[88:89], vcc
	s_and_saveexec_b64 s[30:31], s[2:3]
	s_cbranch_execz .LBB121_37
; %bb.36:                               ;   in Loop: Header=BB121_13 Depth=1
	v_mul_f32_e32 v24, 0x3fb8aa3b, v131
	v_rndne_f32_e32 v25, v24
	v_sub_f32_e32 v26, v24, v25
	v_fma_f32 v24, v131, s34, -v24
	v_fmac_f32_e32 v24, 0x32a5705f, v131
	v_add_f32_e32 v24, v26, v24
	v_cvt_i32_f32_e32 v25, v25
	v_exp_f32_e32 v24, v24
	v_cmp_ngt_f32_e32 vcc, s35, v131
	v_ldexp_f32 v24, v24, v25
	s_nop 0
	v_cndmask_b32_e32 v24, 0, v24, vcc
	v_cmp_nlt_f32_e32 vcc, s36, v131
	s_nop 1
	v_cndmask_b32_e32 v49, v121, v24, vcc
	v_add_f32_e32 v26, 1.0, v49
	v_add_f32_e32 v24, -1.0, v26
	v_sub_f32_e32 v25, v24, v26
	v_add_f32_e32 v25, 1.0, v25
	v_sub_f32_e32 v24, v49, v24
	v_add_f32_e32 v27, v24, v25
	v_frexp_mant_f32_e32 v28, v26
	v_cvt_f64_f32_e32 v[24:25], v26
	v_frexp_exp_i32_f64_e32 v24, v[24:25]
	v_cmp_gt_f32_e32 vcc, s38, v28
	v_cmp_gt_f32_e64 s[2:3], s40, v49
	s_nop 0
	v_subbrev_co_u32_e32 v32, vcc, 0, v24, vcc
	v_sub_u32_e32 v24, 0, v32
	v_ldexp_f32 v25, v26, v24
	v_add_f32_e32 v26, -1.0, v25
	v_add_f32_e32 v28, 1.0, v25
	v_ldexp_f32 v24, v27, v24
	v_add_f32_e32 v27, 1.0, v26
	v_add_f32_e32 v29, -1.0, v28
	v_sub_f32_e32 v27, v25, v27
	v_sub_f32_e32 v25, v25, v29
	v_add_f32_e32 v27, v24, v27
	v_add_f32_e32 v24, v24, v25
	;; [unrolled: 1-line block ×3, first 2 shown]
	v_rcp_f32_e32 v35, v33
	v_sub_f32_e32 v25, v28, v33
	v_add_f32_e32 v34, v24, v25
	v_add_f32_e32 v25, v26, v27
	v_mul_f32_e32 v37, v25, v35
	v_sub_f32_e32 v24, v26, v25
	v_mul_f32_e32 v26, v33, v37
	v_fma_f32 v28, v37, v33, -v26
	v_fmac_f32_e32 v28, v37, v34
	v_add_f32_e32 v36, v27, v24
	v_add_f32_e32 v24, v26, v28
	v_sub_f32_e32 v27, v25, v24
	v_pk_add_f32 v[30:31], v[24:25], v[26:27] neg_lo:[0,1] neg_hi:[0,1]
	v_mov_b32_e32 v29, v24
	v_pk_add_f32 v[24:25], v[30:31], v[28:29] neg_lo:[0,1] neg_hi:[0,1]
	v_cmp_eq_f32_e32 vcc, s37, v49
	v_add_f32_e32 v25, v36, v25
	v_add_f32_e32 v24, v24, v25
	;; [unrolled: 1-line block ×3, first 2 shown]
	v_mul_f32_e32 v36, v35, v25
	v_mul_f32_e32 v26, v33, v36
	v_fma_f32 v28, v36, v33, -v26
	v_fmac_f32_e32 v28, v36, v34
	v_sub_f32_e32 v27, v27, v25
	v_add_f32_e32 v33, v24, v27
	v_add_f32_e32 v24, v26, v28
	v_sub_f32_e32 v27, v25, v24
	v_pk_add_f32 v[30:31], v[24:25], v[26:27] neg_lo:[0,1] neg_hi:[0,1]
	v_mov_b32_e32 v29, v24
	v_pk_add_f32 v[24:25], v[30:31], v[28:29] neg_lo:[0,1] neg_hi:[0,1]
	s_or_b64 vcc, s[2:3], vcc
	v_add_f32_e32 v25, v33, v25
	v_add_f32_e32 v24, v24, v25
	;; [unrolled: 1-line block ×4, first 2 shown]
	v_sub_f32_e32 v26, v25, v37
	v_mul_f32_e32 v24, v35, v24
	v_sub_f32_e32 v26, v36, v26
	v_add_f32_e32 v26, v26, v24
	v_add_f32_e32 v28, v25, v26
	v_mul_f32_e32 v29, v28, v28
	v_fmamk_f32 v24, v29, 0x3e9b6dac, v120
	v_fmaak_f32 v53, v29, v24, 0x3f2aaada
	v_cvt_f32_i32_e32 v24, v32
	v_sub_f32_e32 v25, v28, v25
	v_sub_f32_e32 v25, v26, v25
	v_ldexp_f32 v30, v25, 1
	v_mul_f32_e32 v25, v28, v29
	v_ldexp_f32 v27, v28, 1
	v_pk_mul_f32 v[28:29], v[24:25], v[52:53]
	s_nop 0
	v_fma_f32 v26, v24, s39, -v28
	v_fmac_f32_e32 v26, 0xb102e308, v24
	v_pk_add_f32 v[24:25], v[28:29], v[26:27]
	s_nop 0
	v_sub_f32_e32 v27, v25, v27
	v_sub_f32_e32 v27, v29, v27
	v_add_f32_e32 v31, v30, v27
	v_mov_b32_e32 v30, v28
	v_pk_add_f32 v[28:29], v[24:25], v[28:29] neg_lo:[0,1] neg_hi:[0,1]
	v_pk_add_f32 v[32:33], v[24:25], v[30:31]
	v_mov_b32_e32 v27, v24
	v_mov_b32_e32 v29, v33
	v_pk_add_f32 v[34:35], v[26:27], v[28:29] neg_lo:[0,1] neg_hi:[0,1]
	v_pk_add_f32 v[26:27], v[26:27], v[28:29]
	v_mov_b32_e32 v30, v31
	v_mov_b32_e32 v28, v27
	v_pk_add_f32 v[36:37], v[28:29], v[24:25] neg_lo:[0,1] neg_hi:[0,1]
	v_mov_b32_e32 v26, v33
	v_mov_b32_e32 v29, v36
	v_pk_add_f32 v[38:39], v[32:33], v[28:29] neg_lo:[0,1] neg_hi:[0,1]
	v_mov_b32_e32 v32, v25
	v_mov_b32_e32 v33, v36
	;; [unrolled: 1-line block ×3, first 2 shown]
	v_pk_add_f32 v[26:27], v[26:27], v[32:33] neg_lo:[0,1] neg_hi:[0,1]
	v_mov_b32_e32 v31, v24
	v_pk_add_f32 v[24:25], v[30:31], v[26:27] neg_lo:[0,1] neg_hi:[0,1]
	v_mov_b32_e32 v38, v34
	v_pk_add_f32 v[26:27], v[38:39], v[24:25]
	s_nop 0
	v_mov_b32_e32 v30, v27
	v_pk_add_f32 v[30:31], v[26:27], v[30:31]
	s_nop 0
	v_pk_add_f32 v[28:29], v[28:29], v[30:31]
	v_mov_b32_e32 v25, v30
	v_mov_b32_e32 v27, v28
	v_pk_add_f32 v[32:33], v[26:27], v[34:35] neg_lo:[0,1] neg_hi:[0,1]
	s_nop 0
	v_sub_f32_e32 v26, v26, v32
	v_pk_add_f32 v[24:25], v[24:25], v[32:33] neg_lo:[0,1] neg_hi:[0,1]
	v_sub_f32_e32 v26, v34, v26
	v_add_f32_e32 v24, v24, v26
	v_add_f32_e32 v24, v24, v25
	;; [unrolled: 1-line block ×3, first 2 shown]
	v_cndmask_b32_e32 v131, v24, v49, vcc
.LBB121_37:                             ;   in Loop: Header=BB121_13 Depth=1
	s_or_b64 exec, exec, s[30:31]
	s_waitcnt lgkmcnt(0)
	v_cvt_f32_f16_e32 v24, v4
	v_add_f32_e32 v132, s33, v24
	v_cmp_ge_f32_e32 vcc, s67, v132
	s_and_b64 s[2:3], s[88:89], vcc
	s_and_saveexec_b64 s[30:31], s[2:3]
	s_cbranch_execz .LBB121_39
; %bb.38:                               ;   in Loop: Header=BB121_13 Depth=1
	v_mul_f32_e32 v24, 0x3fb8aa3b, v132
	v_rndne_f32_e32 v25, v24
	v_sub_f32_e32 v26, v24, v25
	v_fma_f32 v24, v132, s34, -v24
	v_fmac_f32_e32 v24, 0x32a5705f, v132
	v_add_f32_e32 v24, v26, v24
	v_cvt_i32_f32_e32 v25, v25
	v_exp_f32_e32 v24, v24
	v_cmp_ngt_f32_e32 vcc, s35, v132
	v_ldexp_f32 v24, v24, v25
	s_nop 0
	v_cndmask_b32_e32 v24, 0, v24, vcc
	v_cmp_nlt_f32_e32 vcc, s36, v132
	s_nop 1
	v_cndmask_b32_e32 v49, v121, v24, vcc
	v_add_f32_e32 v26, 1.0, v49
	v_add_f32_e32 v24, -1.0, v26
	v_sub_f32_e32 v25, v24, v26
	v_add_f32_e32 v25, 1.0, v25
	v_sub_f32_e32 v24, v49, v24
	v_add_f32_e32 v27, v24, v25
	v_frexp_mant_f32_e32 v28, v26
	v_cvt_f64_f32_e32 v[24:25], v26
	v_frexp_exp_i32_f64_e32 v24, v[24:25]
	v_cmp_gt_f32_e32 vcc, s38, v28
	v_cmp_gt_f32_e64 s[2:3], s40, v49
	s_nop 0
	v_subbrev_co_u32_e32 v32, vcc, 0, v24, vcc
	v_sub_u32_e32 v24, 0, v32
	v_ldexp_f32 v25, v26, v24
	v_add_f32_e32 v26, -1.0, v25
	v_add_f32_e32 v28, 1.0, v25
	v_ldexp_f32 v24, v27, v24
	v_add_f32_e32 v27, 1.0, v26
	v_add_f32_e32 v29, -1.0, v28
	v_sub_f32_e32 v27, v25, v27
	v_sub_f32_e32 v25, v25, v29
	v_add_f32_e32 v27, v24, v27
	v_add_f32_e32 v24, v24, v25
	;; [unrolled: 1-line block ×3, first 2 shown]
	v_rcp_f32_e32 v35, v33
	v_sub_f32_e32 v25, v28, v33
	v_add_f32_e32 v34, v24, v25
	v_add_f32_e32 v25, v26, v27
	v_mul_f32_e32 v37, v25, v35
	v_sub_f32_e32 v24, v26, v25
	v_mul_f32_e32 v26, v33, v37
	v_fma_f32 v28, v37, v33, -v26
	v_fmac_f32_e32 v28, v37, v34
	v_add_f32_e32 v36, v27, v24
	v_add_f32_e32 v24, v26, v28
	v_sub_f32_e32 v27, v25, v24
	v_pk_add_f32 v[30:31], v[24:25], v[26:27] neg_lo:[0,1] neg_hi:[0,1]
	v_mov_b32_e32 v29, v24
	v_pk_add_f32 v[24:25], v[30:31], v[28:29] neg_lo:[0,1] neg_hi:[0,1]
	v_cmp_eq_f32_e32 vcc, s37, v49
	v_add_f32_e32 v25, v36, v25
	v_add_f32_e32 v24, v24, v25
	;; [unrolled: 1-line block ×3, first 2 shown]
	v_mul_f32_e32 v36, v35, v25
	v_mul_f32_e32 v26, v33, v36
	v_fma_f32 v28, v36, v33, -v26
	v_fmac_f32_e32 v28, v36, v34
	v_sub_f32_e32 v27, v27, v25
	v_add_f32_e32 v33, v24, v27
	v_add_f32_e32 v24, v26, v28
	v_sub_f32_e32 v27, v25, v24
	v_pk_add_f32 v[30:31], v[24:25], v[26:27] neg_lo:[0,1] neg_hi:[0,1]
	v_mov_b32_e32 v29, v24
	v_pk_add_f32 v[24:25], v[30:31], v[28:29] neg_lo:[0,1] neg_hi:[0,1]
	s_or_b64 vcc, s[2:3], vcc
	v_add_f32_e32 v25, v33, v25
	v_add_f32_e32 v24, v24, v25
	v_add_f32_e32 v25, v37, v36
	v_add_f32_e32 v24, v27, v24
	v_sub_f32_e32 v26, v25, v37
	v_mul_f32_e32 v24, v35, v24
	v_sub_f32_e32 v26, v36, v26
	v_add_f32_e32 v26, v26, v24
	v_add_f32_e32 v28, v25, v26
	v_mul_f32_e32 v29, v28, v28
	v_fmamk_f32 v24, v29, 0x3e9b6dac, v120
	v_fmaak_f32 v53, v29, v24, 0x3f2aaada
	v_cvt_f32_i32_e32 v24, v32
	v_sub_f32_e32 v25, v28, v25
	v_sub_f32_e32 v25, v26, v25
	v_ldexp_f32 v30, v25, 1
	v_mul_f32_e32 v25, v28, v29
	v_ldexp_f32 v27, v28, 1
	v_pk_mul_f32 v[28:29], v[24:25], v[52:53]
	s_nop 0
	v_fma_f32 v26, v24, s39, -v28
	v_fmac_f32_e32 v26, 0xb102e308, v24
	v_pk_add_f32 v[24:25], v[28:29], v[26:27]
	s_nop 0
	v_sub_f32_e32 v27, v25, v27
	v_sub_f32_e32 v27, v29, v27
	v_add_f32_e32 v31, v30, v27
	v_mov_b32_e32 v30, v28
	v_pk_add_f32 v[28:29], v[24:25], v[28:29] neg_lo:[0,1] neg_hi:[0,1]
	v_pk_add_f32 v[32:33], v[24:25], v[30:31]
	v_mov_b32_e32 v27, v24
	v_mov_b32_e32 v29, v33
	v_pk_add_f32 v[34:35], v[26:27], v[28:29] neg_lo:[0,1] neg_hi:[0,1]
	v_pk_add_f32 v[26:27], v[26:27], v[28:29]
	v_mov_b32_e32 v30, v31
	v_mov_b32_e32 v28, v27
	v_pk_add_f32 v[36:37], v[28:29], v[24:25] neg_lo:[0,1] neg_hi:[0,1]
	v_mov_b32_e32 v26, v33
	v_mov_b32_e32 v29, v36
	v_pk_add_f32 v[38:39], v[32:33], v[28:29] neg_lo:[0,1] neg_hi:[0,1]
	v_mov_b32_e32 v32, v25
	v_mov_b32_e32 v33, v36
	;; [unrolled: 1-line block ×3, first 2 shown]
	v_pk_add_f32 v[26:27], v[26:27], v[32:33] neg_lo:[0,1] neg_hi:[0,1]
	v_mov_b32_e32 v31, v24
	v_pk_add_f32 v[24:25], v[30:31], v[26:27] neg_lo:[0,1] neg_hi:[0,1]
	v_mov_b32_e32 v38, v34
	v_pk_add_f32 v[26:27], v[38:39], v[24:25]
	s_nop 0
	v_mov_b32_e32 v30, v27
	v_pk_add_f32 v[30:31], v[26:27], v[30:31]
	s_nop 0
	v_pk_add_f32 v[28:29], v[28:29], v[30:31]
	v_mov_b32_e32 v25, v30
	v_mov_b32_e32 v27, v28
	v_pk_add_f32 v[32:33], v[26:27], v[34:35] neg_lo:[0,1] neg_hi:[0,1]
	s_nop 0
	v_sub_f32_e32 v26, v26, v32
	v_pk_add_f32 v[24:25], v[24:25], v[32:33] neg_lo:[0,1] neg_hi:[0,1]
	v_sub_f32_e32 v26, v34, v26
	v_add_f32_e32 v24, v24, v26
	v_add_f32_e32 v24, v24, v25
	;; [unrolled: 1-line block ×3, first 2 shown]
	v_cndmask_b32_e32 v132, v24, v49, vcc
.LBB121_39:                             ;   in Loop: Header=BB121_13 Depth=1
	s_or_b64 exec, exec, s[30:31]
	v_cvt_f32_f16_sdwa v24, v4 dst_sel:DWORD dst_unused:UNUSED_PAD src0_sel:WORD_1
	v_add_f32_e32 v133, s33, v24
	v_cmp_ge_f32_e32 vcc, s67, v133
	s_and_b64 s[2:3], s[88:89], vcc
	s_and_saveexec_b64 s[30:31], s[2:3]
	s_cbranch_execz .LBB121_41
; %bb.40:                               ;   in Loop: Header=BB121_13 Depth=1
	v_mul_f32_e32 v24, 0x3fb8aa3b, v133
	v_rndne_f32_e32 v25, v24
	v_sub_f32_e32 v26, v24, v25
	v_fma_f32 v24, v133, s34, -v24
	v_fmac_f32_e32 v24, 0x32a5705f, v133
	v_add_f32_e32 v24, v26, v24
	v_cvt_i32_f32_e32 v25, v25
	v_exp_f32_e32 v24, v24
	v_cmp_ngt_f32_e32 vcc, s35, v133
	v_ldexp_f32 v24, v24, v25
	s_nop 0
	v_cndmask_b32_e32 v24, 0, v24, vcc
	v_cmp_nlt_f32_e32 vcc, s36, v133
	s_nop 1
	v_cndmask_b32_e32 v49, v121, v24, vcc
	v_add_f32_e32 v26, 1.0, v49
	v_add_f32_e32 v24, -1.0, v26
	v_sub_f32_e32 v25, v24, v26
	v_add_f32_e32 v25, 1.0, v25
	v_sub_f32_e32 v24, v49, v24
	v_add_f32_e32 v27, v24, v25
	v_frexp_mant_f32_e32 v28, v26
	v_cvt_f64_f32_e32 v[24:25], v26
	v_frexp_exp_i32_f64_e32 v24, v[24:25]
	v_cmp_gt_f32_e32 vcc, s38, v28
	v_cmp_gt_f32_e64 s[2:3], s40, v49
	s_nop 0
	v_subbrev_co_u32_e32 v32, vcc, 0, v24, vcc
	v_sub_u32_e32 v24, 0, v32
	v_ldexp_f32 v25, v26, v24
	v_add_f32_e32 v26, -1.0, v25
	v_add_f32_e32 v28, 1.0, v25
	v_ldexp_f32 v24, v27, v24
	v_add_f32_e32 v27, 1.0, v26
	v_add_f32_e32 v29, -1.0, v28
	v_sub_f32_e32 v27, v25, v27
	v_sub_f32_e32 v25, v25, v29
	v_add_f32_e32 v27, v24, v27
	v_add_f32_e32 v24, v24, v25
	;; [unrolled: 1-line block ×3, first 2 shown]
	v_rcp_f32_e32 v35, v33
	v_sub_f32_e32 v25, v28, v33
	v_add_f32_e32 v34, v24, v25
	v_add_f32_e32 v25, v26, v27
	v_mul_f32_e32 v37, v25, v35
	v_sub_f32_e32 v24, v26, v25
	v_mul_f32_e32 v26, v33, v37
	v_fma_f32 v28, v37, v33, -v26
	v_fmac_f32_e32 v28, v37, v34
	v_add_f32_e32 v36, v27, v24
	v_add_f32_e32 v24, v26, v28
	v_sub_f32_e32 v27, v25, v24
	v_pk_add_f32 v[30:31], v[24:25], v[26:27] neg_lo:[0,1] neg_hi:[0,1]
	v_mov_b32_e32 v29, v24
	v_pk_add_f32 v[24:25], v[30:31], v[28:29] neg_lo:[0,1] neg_hi:[0,1]
	v_cmp_eq_f32_e32 vcc, s37, v49
	v_add_f32_e32 v25, v36, v25
	v_add_f32_e32 v24, v24, v25
	;; [unrolled: 1-line block ×3, first 2 shown]
	v_mul_f32_e32 v36, v35, v25
	v_mul_f32_e32 v26, v33, v36
	v_fma_f32 v28, v36, v33, -v26
	v_fmac_f32_e32 v28, v36, v34
	v_sub_f32_e32 v27, v27, v25
	v_add_f32_e32 v33, v24, v27
	v_add_f32_e32 v24, v26, v28
	v_sub_f32_e32 v27, v25, v24
	v_pk_add_f32 v[30:31], v[24:25], v[26:27] neg_lo:[0,1] neg_hi:[0,1]
	v_mov_b32_e32 v29, v24
	v_pk_add_f32 v[24:25], v[30:31], v[28:29] neg_lo:[0,1] neg_hi:[0,1]
	s_or_b64 vcc, s[2:3], vcc
	v_add_f32_e32 v25, v33, v25
	v_add_f32_e32 v24, v24, v25
	;; [unrolled: 1-line block ×4, first 2 shown]
	v_sub_f32_e32 v26, v25, v37
	v_mul_f32_e32 v24, v35, v24
	v_sub_f32_e32 v26, v36, v26
	v_add_f32_e32 v26, v26, v24
	v_add_f32_e32 v28, v25, v26
	v_mul_f32_e32 v29, v28, v28
	v_fmamk_f32 v24, v29, 0x3e9b6dac, v120
	v_fmaak_f32 v53, v29, v24, 0x3f2aaada
	v_cvt_f32_i32_e32 v24, v32
	v_sub_f32_e32 v25, v28, v25
	v_sub_f32_e32 v25, v26, v25
	v_ldexp_f32 v30, v25, 1
	v_mul_f32_e32 v25, v28, v29
	v_ldexp_f32 v27, v28, 1
	v_pk_mul_f32 v[28:29], v[24:25], v[52:53]
	s_nop 0
	v_fma_f32 v26, v24, s39, -v28
	v_fmac_f32_e32 v26, 0xb102e308, v24
	v_pk_add_f32 v[24:25], v[28:29], v[26:27]
	s_nop 0
	v_sub_f32_e32 v27, v25, v27
	v_sub_f32_e32 v27, v29, v27
	v_add_f32_e32 v31, v30, v27
	v_mov_b32_e32 v30, v28
	v_pk_add_f32 v[28:29], v[24:25], v[28:29] neg_lo:[0,1] neg_hi:[0,1]
	v_pk_add_f32 v[32:33], v[24:25], v[30:31]
	v_mov_b32_e32 v27, v24
	v_mov_b32_e32 v29, v33
	v_pk_add_f32 v[34:35], v[26:27], v[28:29] neg_lo:[0,1] neg_hi:[0,1]
	v_pk_add_f32 v[26:27], v[26:27], v[28:29]
	v_mov_b32_e32 v30, v31
	v_mov_b32_e32 v28, v27
	v_pk_add_f32 v[36:37], v[28:29], v[24:25] neg_lo:[0,1] neg_hi:[0,1]
	v_mov_b32_e32 v26, v33
	v_mov_b32_e32 v29, v36
	v_pk_add_f32 v[38:39], v[32:33], v[28:29] neg_lo:[0,1] neg_hi:[0,1]
	v_mov_b32_e32 v32, v25
	v_mov_b32_e32 v33, v36
	;; [unrolled: 1-line block ×3, first 2 shown]
	v_pk_add_f32 v[26:27], v[26:27], v[32:33] neg_lo:[0,1] neg_hi:[0,1]
	v_mov_b32_e32 v31, v24
	v_pk_add_f32 v[24:25], v[30:31], v[26:27] neg_lo:[0,1] neg_hi:[0,1]
	v_mov_b32_e32 v38, v34
	v_pk_add_f32 v[26:27], v[38:39], v[24:25]
	s_nop 0
	v_mov_b32_e32 v30, v27
	v_pk_add_f32 v[30:31], v[26:27], v[30:31]
	s_nop 0
	v_pk_add_f32 v[28:29], v[28:29], v[30:31]
	v_mov_b32_e32 v25, v30
	v_mov_b32_e32 v27, v28
	v_pk_add_f32 v[32:33], v[26:27], v[34:35] neg_lo:[0,1] neg_hi:[0,1]
	s_nop 0
	v_sub_f32_e32 v26, v26, v32
	v_pk_add_f32 v[24:25], v[24:25], v[32:33] neg_lo:[0,1] neg_hi:[0,1]
	v_sub_f32_e32 v26, v34, v26
	v_add_f32_e32 v24, v24, v26
	v_add_f32_e32 v24, v24, v25
	;; [unrolled: 1-line block ×3, first 2 shown]
	v_cndmask_b32_e32 v133, v24, v49, vcc
.LBB121_41:                             ;   in Loop: Header=BB121_13 Depth=1
	s_or_b64 exec, exec, s[30:31]
	v_cvt_f32_f16_e32 v24, v5
	v_add_f32_e32 v134, s33, v24
	v_cmp_ge_f32_e32 vcc, s67, v134
	s_and_b64 s[2:3], s[88:89], vcc
	s_and_saveexec_b64 s[30:31], s[2:3]
	s_cbranch_execz .LBB121_43
; %bb.42:                               ;   in Loop: Header=BB121_13 Depth=1
	v_mul_f32_e32 v24, 0x3fb8aa3b, v134
	v_rndne_f32_e32 v25, v24
	v_sub_f32_e32 v26, v24, v25
	v_fma_f32 v24, v134, s34, -v24
	v_fmac_f32_e32 v24, 0x32a5705f, v134
	v_add_f32_e32 v24, v26, v24
	v_cvt_i32_f32_e32 v25, v25
	v_exp_f32_e32 v24, v24
	v_cmp_ngt_f32_e32 vcc, s35, v134
	v_ldexp_f32 v24, v24, v25
	s_nop 0
	v_cndmask_b32_e32 v24, 0, v24, vcc
	v_cmp_nlt_f32_e32 vcc, s36, v134
	s_nop 1
	v_cndmask_b32_e32 v49, v121, v24, vcc
	v_add_f32_e32 v26, 1.0, v49
	v_add_f32_e32 v24, -1.0, v26
	v_sub_f32_e32 v25, v24, v26
	v_add_f32_e32 v25, 1.0, v25
	v_sub_f32_e32 v24, v49, v24
	v_add_f32_e32 v27, v24, v25
	v_frexp_mant_f32_e32 v28, v26
	v_cvt_f64_f32_e32 v[24:25], v26
	v_frexp_exp_i32_f64_e32 v24, v[24:25]
	v_cmp_gt_f32_e32 vcc, s38, v28
	v_cmp_gt_f32_e64 s[2:3], s40, v49
	s_nop 0
	v_subbrev_co_u32_e32 v32, vcc, 0, v24, vcc
	v_sub_u32_e32 v24, 0, v32
	v_ldexp_f32 v25, v26, v24
	v_add_f32_e32 v26, -1.0, v25
	v_add_f32_e32 v28, 1.0, v25
	v_ldexp_f32 v24, v27, v24
	v_add_f32_e32 v27, 1.0, v26
	v_add_f32_e32 v29, -1.0, v28
	v_sub_f32_e32 v27, v25, v27
	v_sub_f32_e32 v25, v25, v29
	v_add_f32_e32 v27, v24, v27
	v_add_f32_e32 v24, v24, v25
	;; [unrolled: 1-line block ×3, first 2 shown]
	v_rcp_f32_e32 v35, v33
	v_sub_f32_e32 v25, v28, v33
	v_add_f32_e32 v34, v24, v25
	v_add_f32_e32 v25, v26, v27
	v_mul_f32_e32 v37, v25, v35
	v_sub_f32_e32 v24, v26, v25
	v_mul_f32_e32 v26, v33, v37
	v_fma_f32 v28, v37, v33, -v26
	v_fmac_f32_e32 v28, v37, v34
	v_add_f32_e32 v36, v27, v24
	v_add_f32_e32 v24, v26, v28
	v_sub_f32_e32 v27, v25, v24
	v_pk_add_f32 v[30:31], v[24:25], v[26:27] neg_lo:[0,1] neg_hi:[0,1]
	v_mov_b32_e32 v29, v24
	v_pk_add_f32 v[24:25], v[30:31], v[28:29] neg_lo:[0,1] neg_hi:[0,1]
	v_cmp_eq_f32_e32 vcc, s37, v49
	v_add_f32_e32 v25, v36, v25
	v_add_f32_e32 v24, v24, v25
	;; [unrolled: 1-line block ×3, first 2 shown]
	v_mul_f32_e32 v36, v35, v25
	v_mul_f32_e32 v26, v33, v36
	v_fma_f32 v28, v36, v33, -v26
	v_fmac_f32_e32 v28, v36, v34
	v_sub_f32_e32 v27, v27, v25
	v_add_f32_e32 v33, v24, v27
	v_add_f32_e32 v24, v26, v28
	v_sub_f32_e32 v27, v25, v24
	v_pk_add_f32 v[30:31], v[24:25], v[26:27] neg_lo:[0,1] neg_hi:[0,1]
	v_mov_b32_e32 v29, v24
	v_pk_add_f32 v[24:25], v[30:31], v[28:29] neg_lo:[0,1] neg_hi:[0,1]
	s_or_b64 vcc, s[2:3], vcc
	v_add_f32_e32 v25, v33, v25
	v_add_f32_e32 v24, v24, v25
	;; [unrolled: 1-line block ×4, first 2 shown]
	v_sub_f32_e32 v26, v25, v37
	v_mul_f32_e32 v24, v35, v24
	v_sub_f32_e32 v26, v36, v26
	v_add_f32_e32 v26, v26, v24
	v_add_f32_e32 v28, v25, v26
	v_mul_f32_e32 v29, v28, v28
	v_fmamk_f32 v24, v29, 0x3e9b6dac, v120
	v_fmaak_f32 v53, v29, v24, 0x3f2aaada
	v_cvt_f32_i32_e32 v24, v32
	v_sub_f32_e32 v25, v28, v25
	v_sub_f32_e32 v25, v26, v25
	v_ldexp_f32 v30, v25, 1
	v_mul_f32_e32 v25, v28, v29
	v_ldexp_f32 v27, v28, 1
	v_pk_mul_f32 v[28:29], v[24:25], v[52:53]
	s_nop 0
	v_fma_f32 v26, v24, s39, -v28
	v_fmac_f32_e32 v26, 0xb102e308, v24
	v_pk_add_f32 v[24:25], v[28:29], v[26:27]
	s_nop 0
	v_sub_f32_e32 v27, v25, v27
	v_sub_f32_e32 v27, v29, v27
	v_add_f32_e32 v31, v30, v27
	v_mov_b32_e32 v30, v28
	v_pk_add_f32 v[28:29], v[24:25], v[28:29] neg_lo:[0,1] neg_hi:[0,1]
	v_pk_add_f32 v[32:33], v[24:25], v[30:31]
	v_mov_b32_e32 v27, v24
	v_mov_b32_e32 v29, v33
	v_pk_add_f32 v[34:35], v[26:27], v[28:29] neg_lo:[0,1] neg_hi:[0,1]
	v_pk_add_f32 v[26:27], v[26:27], v[28:29]
	v_mov_b32_e32 v30, v31
	v_mov_b32_e32 v28, v27
	v_pk_add_f32 v[36:37], v[28:29], v[24:25] neg_lo:[0,1] neg_hi:[0,1]
	v_mov_b32_e32 v26, v33
	v_mov_b32_e32 v29, v36
	v_pk_add_f32 v[38:39], v[32:33], v[28:29] neg_lo:[0,1] neg_hi:[0,1]
	v_mov_b32_e32 v32, v25
	v_mov_b32_e32 v33, v36
	;; [unrolled: 1-line block ×3, first 2 shown]
	v_pk_add_f32 v[26:27], v[26:27], v[32:33] neg_lo:[0,1] neg_hi:[0,1]
	v_mov_b32_e32 v31, v24
	v_pk_add_f32 v[24:25], v[30:31], v[26:27] neg_lo:[0,1] neg_hi:[0,1]
	v_mov_b32_e32 v38, v34
	v_pk_add_f32 v[26:27], v[38:39], v[24:25]
	s_nop 0
	v_mov_b32_e32 v30, v27
	v_pk_add_f32 v[30:31], v[26:27], v[30:31]
	s_nop 0
	v_pk_add_f32 v[28:29], v[28:29], v[30:31]
	v_mov_b32_e32 v25, v30
	v_mov_b32_e32 v27, v28
	v_pk_add_f32 v[32:33], v[26:27], v[34:35] neg_lo:[0,1] neg_hi:[0,1]
	s_nop 0
	v_sub_f32_e32 v26, v26, v32
	v_pk_add_f32 v[24:25], v[24:25], v[32:33] neg_lo:[0,1] neg_hi:[0,1]
	v_sub_f32_e32 v26, v34, v26
	v_add_f32_e32 v24, v24, v26
	v_add_f32_e32 v24, v24, v25
	v_add_f32_e32 v24, v28, v24
	v_cndmask_b32_e32 v134, v24, v49, vcc
.LBB121_43:                             ;   in Loop: Header=BB121_13 Depth=1
	s_or_b64 exec, exec, s[30:31]
	v_cvt_f32_f16_sdwa v24, v5 dst_sel:DWORD dst_unused:UNUSED_PAD src0_sel:WORD_1
	v_add_f32_e32 v135, s33, v24
	v_cmp_ge_f32_e32 vcc, s67, v135
	s_and_b64 s[2:3], s[88:89], vcc
	s_and_saveexec_b64 s[30:31], s[2:3]
	s_cbranch_execz .LBB121_45
; %bb.44:                               ;   in Loop: Header=BB121_13 Depth=1
	v_mul_f32_e32 v24, 0x3fb8aa3b, v135
	v_rndne_f32_e32 v25, v24
	v_sub_f32_e32 v26, v24, v25
	v_fma_f32 v24, v135, s34, -v24
	v_fmac_f32_e32 v24, 0x32a5705f, v135
	v_add_f32_e32 v24, v26, v24
	v_cvt_i32_f32_e32 v25, v25
	v_exp_f32_e32 v24, v24
	v_cmp_ngt_f32_e32 vcc, s35, v135
	v_ldexp_f32 v24, v24, v25
	s_nop 0
	v_cndmask_b32_e32 v24, 0, v24, vcc
	v_cmp_nlt_f32_e32 vcc, s36, v135
	s_nop 1
	v_cndmask_b32_e32 v49, v121, v24, vcc
	v_add_f32_e32 v26, 1.0, v49
	v_add_f32_e32 v24, -1.0, v26
	v_sub_f32_e32 v25, v24, v26
	v_add_f32_e32 v25, 1.0, v25
	v_sub_f32_e32 v24, v49, v24
	v_add_f32_e32 v27, v24, v25
	v_frexp_mant_f32_e32 v28, v26
	v_cvt_f64_f32_e32 v[24:25], v26
	v_frexp_exp_i32_f64_e32 v24, v[24:25]
	v_cmp_gt_f32_e32 vcc, s38, v28
	v_cmp_gt_f32_e64 s[2:3], s40, v49
	s_nop 0
	v_subbrev_co_u32_e32 v32, vcc, 0, v24, vcc
	v_sub_u32_e32 v24, 0, v32
	v_ldexp_f32 v25, v26, v24
	v_add_f32_e32 v26, -1.0, v25
	v_add_f32_e32 v28, 1.0, v25
	v_ldexp_f32 v24, v27, v24
	v_add_f32_e32 v27, 1.0, v26
	v_add_f32_e32 v29, -1.0, v28
	v_sub_f32_e32 v27, v25, v27
	v_sub_f32_e32 v25, v25, v29
	v_add_f32_e32 v27, v24, v27
	v_add_f32_e32 v24, v24, v25
	;; [unrolled: 1-line block ×3, first 2 shown]
	v_rcp_f32_e32 v35, v33
	v_sub_f32_e32 v25, v28, v33
	v_add_f32_e32 v34, v24, v25
	v_add_f32_e32 v25, v26, v27
	v_mul_f32_e32 v37, v25, v35
	v_sub_f32_e32 v24, v26, v25
	v_mul_f32_e32 v26, v33, v37
	v_fma_f32 v28, v37, v33, -v26
	v_fmac_f32_e32 v28, v37, v34
	v_add_f32_e32 v36, v27, v24
	v_add_f32_e32 v24, v26, v28
	v_sub_f32_e32 v27, v25, v24
	v_pk_add_f32 v[30:31], v[24:25], v[26:27] neg_lo:[0,1] neg_hi:[0,1]
	v_mov_b32_e32 v29, v24
	v_pk_add_f32 v[24:25], v[30:31], v[28:29] neg_lo:[0,1] neg_hi:[0,1]
	v_cmp_eq_f32_e32 vcc, s37, v49
	v_add_f32_e32 v25, v36, v25
	v_add_f32_e32 v24, v24, v25
	;; [unrolled: 1-line block ×3, first 2 shown]
	v_mul_f32_e32 v36, v35, v25
	v_mul_f32_e32 v26, v33, v36
	v_fma_f32 v28, v36, v33, -v26
	v_fmac_f32_e32 v28, v36, v34
	v_sub_f32_e32 v27, v27, v25
	v_add_f32_e32 v33, v24, v27
	v_add_f32_e32 v24, v26, v28
	v_sub_f32_e32 v27, v25, v24
	v_pk_add_f32 v[30:31], v[24:25], v[26:27] neg_lo:[0,1] neg_hi:[0,1]
	v_mov_b32_e32 v29, v24
	v_pk_add_f32 v[24:25], v[30:31], v[28:29] neg_lo:[0,1] neg_hi:[0,1]
	s_or_b64 vcc, s[2:3], vcc
	v_add_f32_e32 v25, v33, v25
	v_add_f32_e32 v24, v24, v25
	;; [unrolled: 1-line block ×4, first 2 shown]
	v_sub_f32_e32 v26, v25, v37
	v_mul_f32_e32 v24, v35, v24
	v_sub_f32_e32 v26, v36, v26
	v_add_f32_e32 v26, v26, v24
	v_add_f32_e32 v28, v25, v26
	v_mul_f32_e32 v29, v28, v28
	v_fmamk_f32 v24, v29, 0x3e9b6dac, v120
	v_fmaak_f32 v53, v29, v24, 0x3f2aaada
	v_cvt_f32_i32_e32 v24, v32
	v_sub_f32_e32 v25, v28, v25
	v_sub_f32_e32 v25, v26, v25
	v_ldexp_f32 v30, v25, 1
	v_mul_f32_e32 v25, v28, v29
	v_ldexp_f32 v27, v28, 1
	v_pk_mul_f32 v[28:29], v[24:25], v[52:53]
	s_nop 0
	v_fma_f32 v26, v24, s39, -v28
	v_fmac_f32_e32 v26, 0xb102e308, v24
	v_pk_add_f32 v[24:25], v[28:29], v[26:27]
	s_nop 0
	v_sub_f32_e32 v27, v25, v27
	v_sub_f32_e32 v27, v29, v27
	v_add_f32_e32 v31, v30, v27
	v_mov_b32_e32 v30, v28
	v_pk_add_f32 v[28:29], v[24:25], v[28:29] neg_lo:[0,1] neg_hi:[0,1]
	v_pk_add_f32 v[32:33], v[24:25], v[30:31]
	v_mov_b32_e32 v27, v24
	v_mov_b32_e32 v29, v33
	v_pk_add_f32 v[34:35], v[26:27], v[28:29] neg_lo:[0,1] neg_hi:[0,1]
	v_pk_add_f32 v[26:27], v[26:27], v[28:29]
	v_mov_b32_e32 v30, v31
	v_mov_b32_e32 v28, v27
	v_pk_add_f32 v[36:37], v[28:29], v[24:25] neg_lo:[0,1] neg_hi:[0,1]
	v_mov_b32_e32 v26, v33
	v_mov_b32_e32 v29, v36
	v_pk_add_f32 v[38:39], v[32:33], v[28:29] neg_lo:[0,1] neg_hi:[0,1]
	v_mov_b32_e32 v32, v25
	v_mov_b32_e32 v33, v36
	;; [unrolled: 1-line block ×3, first 2 shown]
	v_pk_add_f32 v[26:27], v[26:27], v[32:33] neg_lo:[0,1] neg_hi:[0,1]
	v_mov_b32_e32 v31, v24
	v_pk_add_f32 v[24:25], v[30:31], v[26:27] neg_lo:[0,1] neg_hi:[0,1]
	v_mov_b32_e32 v38, v34
	v_pk_add_f32 v[26:27], v[38:39], v[24:25]
	s_nop 0
	v_mov_b32_e32 v30, v27
	v_pk_add_f32 v[30:31], v[26:27], v[30:31]
	s_nop 0
	v_pk_add_f32 v[28:29], v[28:29], v[30:31]
	v_mov_b32_e32 v25, v30
	v_mov_b32_e32 v27, v28
	v_pk_add_f32 v[32:33], v[26:27], v[34:35] neg_lo:[0,1] neg_hi:[0,1]
	s_nop 0
	v_sub_f32_e32 v26, v26, v32
	v_pk_add_f32 v[24:25], v[24:25], v[32:33] neg_lo:[0,1] neg_hi:[0,1]
	v_sub_f32_e32 v26, v34, v26
	v_add_f32_e32 v24, v24, v26
	v_add_f32_e32 v24, v24, v25
	v_add_f32_e32 v24, v28, v24
	v_cndmask_b32_e32 v135, v24, v49, vcc
.LBB121_45:                             ;   in Loop: Header=BB121_13 Depth=1
	s_or_b64 exec, exec, s[30:31]
	v_cvt_f32_f16_e32 v24, v6
	v_add_f32_e32 v136, s33, v24
	v_cmp_ge_f32_e32 vcc, s67, v136
	s_and_b64 s[2:3], s[88:89], vcc
	s_and_saveexec_b64 s[30:31], s[2:3]
	s_cbranch_execz .LBB121_47
; %bb.46:                               ;   in Loop: Header=BB121_13 Depth=1
	v_mul_f32_e32 v24, 0x3fb8aa3b, v136
	v_rndne_f32_e32 v25, v24
	v_sub_f32_e32 v26, v24, v25
	v_fma_f32 v24, v136, s34, -v24
	v_fmac_f32_e32 v24, 0x32a5705f, v136
	v_add_f32_e32 v24, v26, v24
	v_cvt_i32_f32_e32 v25, v25
	v_exp_f32_e32 v24, v24
	v_cmp_ngt_f32_e32 vcc, s35, v136
	v_ldexp_f32 v24, v24, v25
	s_nop 0
	v_cndmask_b32_e32 v24, 0, v24, vcc
	v_cmp_nlt_f32_e32 vcc, s36, v136
	s_nop 1
	v_cndmask_b32_e32 v49, v121, v24, vcc
	v_add_f32_e32 v26, 1.0, v49
	v_add_f32_e32 v24, -1.0, v26
	v_sub_f32_e32 v25, v24, v26
	v_add_f32_e32 v25, 1.0, v25
	v_sub_f32_e32 v24, v49, v24
	v_add_f32_e32 v27, v24, v25
	v_frexp_mant_f32_e32 v28, v26
	v_cvt_f64_f32_e32 v[24:25], v26
	v_frexp_exp_i32_f64_e32 v24, v[24:25]
	v_cmp_gt_f32_e32 vcc, s38, v28
	v_cmp_gt_f32_e64 s[2:3], s40, v49
	s_nop 0
	v_subbrev_co_u32_e32 v32, vcc, 0, v24, vcc
	v_sub_u32_e32 v24, 0, v32
	v_ldexp_f32 v25, v26, v24
	v_add_f32_e32 v26, -1.0, v25
	v_add_f32_e32 v28, 1.0, v25
	v_ldexp_f32 v24, v27, v24
	v_add_f32_e32 v27, 1.0, v26
	v_add_f32_e32 v29, -1.0, v28
	v_sub_f32_e32 v27, v25, v27
	v_sub_f32_e32 v25, v25, v29
	v_add_f32_e32 v27, v24, v27
	v_add_f32_e32 v24, v24, v25
	;; [unrolled: 1-line block ×3, first 2 shown]
	v_rcp_f32_e32 v35, v33
	v_sub_f32_e32 v25, v28, v33
	v_add_f32_e32 v34, v24, v25
	v_add_f32_e32 v25, v26, v27
	v_mul_f32_e32 v37, v25, v35
	v_sub_f32_e32 v24, v26, v25
	v_mul_f32_e32 v26, v33, v37
	v_fma_f32 v28, v37, v33, -v26
	v_fmac_f32_e32 v28, v37, v34
	v_add_f32_e32 v36, v27, v24
	v_add_f32_e32 v24, v26, v28
	v_sub_f32_e32 v27, v25, v24
	v_pk_add_f32 v[30:31], v[24:25], v[26:27] neg_lo:[0,1] neg_hi:[0,1]
	v_mov_b32_e32 v29, v24
	v_pk_add_f32 v[24:25], v[30:31], v[28:29] neg_lo:[0,1] neg_hi:[0,1]
	v_cmp_eq_f32_e32 vcc, s37, v49
	v_add_f32_e32 v25, v36, v25
	v_add_f32_e32 v24, v24, v25
	;; [unrolled: 1-line block ×3, first 2 shown]
	v_mul_f32_e32 v36, v35, v25
	v_mul_f32_e32 v26, v33, v36
	v_fma_f32 v28, v36, v33, -v26
	v_fmac_f32_e32 v28, v36, v34
	v_sub_f32_e32 v27, v27, v25
	v_add_f32_e32 v33, v24, v27
	v_add_f32_e32 v24, v26, v28
	v_sub_f32_e32 v27, v25, v24
	v_pk_add_f32 v[30:31], v[24:25], v[26:27] neg_lo:[0,1] neg_hi:[0,1]
	v_mov_b32_e32 v29, v24
	v_pk_add_f32 v[24:25], v[30:31], v[28:29] neg_lo:[0,1] neg_hi:[0,1]
	s_or_b64 vcc, s[2:3], vcc
	v_add_f32_e32 v25, v33, v25
	v_add_f32_e32 v24, v24, v25
	;; [unrolled: 1-line block ×4, first 2 shown]
	v_sub_f32_e32 v26, v25, v37
	v_mul_f32_e32 v24, v35, v24
	v_sub_f32_e32 v26, v36, v26
	v_add_f32_e32 v26, v26, v24
	v_add_f32_e32 v28, v25, v26
	v_mul_f32_e32 v29, v28, v28
	v_fmamk_f32 v24, v29, 0x3e9b6dac, v120
	v_fmaak_f32 v53, v29, v24, 0x3f2aaada
	v_cvt_f32_i32_e32 v24, v32
	v_sub_f32_e32 v25, v28, v25
	v_sub_f32_e32 v25, v26, v25
	v_ldexp_f32 v30, v25, 1
	v_mul_f32_e32 v25, v28, v29
	v_ldexp_f32 v27, v28, 1
	v_pk_mul_f32 v[28:29], v[24:25], v[52:53]
	s_nop 0
	v_fma_f32 v26, v24, s39, -v28
	v_fmac_f32_e32 v26, 0xb102e308, v24
	v_pk_add_f32 v[24:25], v[28:29], v[26:27]
	s_nop 0
	v_sub_f32_e32 v27, v25, v27
	v_sub_f32_e32 v27, v29, v27
	v_add_f32_e32 v31, v30, v27
	v_mov_b32_e32 v30, v28
	v_pk_add_f32 v[28:29], v[24:25], v[28:29] neg_lo:[0,1] neg_hi:[0,1]
	v_pk_add_f32 v[32:33], v[24:25], v[30:31]
	v_mov_b32_e32 v27, v24
	v_mov_b32_e32 v29, v33
	v_pk_add_f32 v[34:35], v[26:27], v[28:29] neg_lo:[0,1] neg_hi:[0,1]
	v_pk_add_f32 v[26:27], v[26:27], v[28:29]
	v_mov_b32_e32 v30, v31
	v_mov_b32_e32 v28, v27
	v_pk_add_f32 v[36:37], v[28:29], v[24:25] neg_lo:[0,1] neg_hi:[0,1]
	v_mov_b32_e32 v26, v33
	v_mov_b32_e32 v29, v36
	v_pk_add_f32 v[38:39], v[32:33], v[28:29] neg_lo:[0,1] neg_hi:[0,1]
	v_mov_b32_e32 v32, v25
	v_mov_b32_e32 v33, v36
	;; [unrolled: 1-line block ×3, first 2 shown]
	v_pk_add_f32 v[26:27], v[26:27], v[32:33] neg_lo:[0,1] neg_hi:[0,1]
	v_mov_b32_e32 v31, v24
	v_pk_add_f32 v[24:25], v[30:31], v[26:27] neg_lo:[0,1] neg_hi:[0,1]
	v_mov_b32_e32 v38, v34
	v_pk_add_f32 v[26:27], v[38:39], v[24:25]
	s_nop 0
	v_mov_b32_e32 v30, v27
	v_pk_add_f32 v[30:31], v[26:27], v[30:31]
	s_nop 0
	v_pk_add_f32 v[28:29], v[28:29], v[30:31]
	v_mov_b32_e32 v25, v30
	v_mov_b32_e32 v27, v28
	v_pk_add_f32 v[32:33], v[26:27], v[34:35] neg_lo:[0,1] neg_hi:[0,1]
	s_nop 0
	v_sub_f32_e32 v26, v26, v32
	v_pk_add_f32 v[24:25], v[24:25], v[32:33] neg_lo:[0,1] neg_hi:[0,1]
	v_sub_f32_e32 v26, v34, v26
	v_add_f32_e32 v24, v24, v26
	v_add_f32_e32 v24, v24, v25
	;; [unrolled: 1-line block ×3, first 2 shown]
	v_cndmask_b32_e32 v136, v24, v49, vcc
.LBB121_47:                             ;   in Loop: Header=BB121_13 Depth=1
	s_or_b64 exec, exec, s[30:31]
	v_cvt_f32_f16_sdwa v24, v6 dst_sel:DWORD dst_unused:UNUSED_PAD src0_sel:WORD_1
	v_add_f32_e32 v137, s33, v24
	v_cmp_ge_f32_e32 vcc, s67, v137
	s_and_b64 s[2:3], s[88:89], vcc
	s_and_saveexec_b64 s[30:31], s[2:3]
	s_cbranch_execz .LBB121_49
; %bb.48:                               ;   in Loop: Header=BB121_13 Depth=1
	v_mul_f32_e32 v24, 0x3fb8aa3b, v137
	v_rndne_f32_e32 v25, v24
	v_sub_f32_e32 v26, v24, v25
	v_fma_f32 v24, v137, s34, -v24
	v_fmac_f32_e32 v24, 0x32a5705f, v137
	v_add_f32_e32 v24, v26, v24
	v_cvt_i32_f32_e32 v25, v25
	v_exp_f32_e32 v24, v24
	v_cmp_ngt_f32_e32 vcc, s35, v137
	v_ldexp_f32 v24, v24, v25
	s_nop 0
	v_cndmask_b32_e32 v24, 0, v24, vcc
	v_cmp_nlt_f32_e32 vcc, s36, v137
	s_nop 1
	v_cndmask_b32_e32 v49, v121, v24, vcc
	v_add_f32_e32 v26, 1.0, v49
	v_add_f32_e32 v24, -1.0, v26
	v_sub_f32_e32 v25, v24, v26
	v_add_f32_e32 v25, 1.0, v25
	v_sub_f32_e32 v24, v49, v24
	v_add_f32_e32 v27, v24, v25
	v_frexp_mant_f32_e32 v28, v26
	v_cvt_f64_f32_e32 v[24:25], v26
	v_frexp_exp_i32_f64_e32 v24, v[24:25]
	v_cmp_gt_f32_e32 vcc, s38, v28
	v_cmp_gt_f32_e64 s[2:3], s40, v49
	s_nop 0
	v_subbrev_co_u32_e32 v32, vcc, 0, v24, vcc
	v_sub_u32_e32 v24, 0, v32
	v_ldexp_f32 v25, v26, v24
	v_add_f32_e32 v26, -1.0, v25
	v_add_f32_e32 v28, 1.0, v25
	v_ldexp_f32 v24, v27, v24
	v_add_f32_e32 v27, 1.0, v26
	v_add_f32_e32 v29, -1.0, v28
	v_sub_f32_e32 v27, v25, v27
	v_sub_f32_e32 v25, v25, v29
	v_add_f32_e32 v27, v24, v27
	v_add_f32_e32 v24, v24, v25
	;; [unrolled: 1-line block ×3, first 2 shown]
	v_rcp_f32_e32 v35, v33
	v_sub_f32_e32 v25, v28, v33
	v_add_f32_e32 v34, v24, v25
	v_add_f32_e32 v25, v26, v27
	v_mul_f32_e32 v37, v25, v35
	v_sub_f32_e32 v24, v26, v25
	v_mul_f32_e32 v26, v33, v37
	v_fma_f32 v28, v37, v33, -v26
	v_fmac_f32_e32 v28, v37, v34
	v_add_f32_e32 v36, v27, v24
	v_add_f32_e32 v24, v26, v28
	v_sub_f32_e32 v27, v25, v24
	v_pk_add_f32 v[30:31], v[24:25], v[26:27] neg_lo:[0,1] neg_hi:[0,1]
	v_mov_b32_e32 v29, v24
	v_pk_add_f32 v[24:25], v[30:31], v[28:29] neg_lo:[0,1] neg_hi:[0,1]
	v_cmp_eq_f32_e32 vcc, s37, v49
	v_add_f32_e32 v25, v36, v25
	v_add_f32_e32 v24, v24, v25
	;; [unrolled: 1-line block ×3, first 2 shown]
	v_mul_f32_e32 v36, v35, v25
	v_mul_f32_e32 v26, v33, v36
	v_fma_f32 v28, v36, v33, -v26
	v_fmac_f32_e32 v28, v36, v34
	v_sub_f32_e32 v27, v27, v25
	v_add_f32_e32 v33, v24, v27
	v_add_f32_e32 v24, v26, v28
	v_sub_f32_e32 v27, v25, v24
	v_pk_add_f32 v[30:31], v[24:25], v[26:27] neg_lo:[0,1] neg_hi:[0,1]
	v_mov_b32_e32 v29, v24
	v_pk_add_f32 v[24:25], v[30:31], v[28:29] neg_lo:[0,1] neg_hi:[0,1]
	s_or_b64 vcc, s[2:3], vcc
	v_add_f32_e32 v25, v33, v25
	v_add_f32_e32 v24, v24, v25
	v_add_f32_e32 v25, v37, v36
	v_add_f32_e32 v24, v27, v24
	v_sub_f32_e32 v26, v25, v37
	v_mul_f32_e32 v24, v35, v24
	v_sub_f32_e32 v26, v36, v26
	v_add_f32_e32 v26, v26, v24
	v_add_f32_e32 v28, v25, v26
	v_mul_f32_e32 v29, v28, v28
	v_fmamk_f32 v24, v29, 0x3e9b6dac, v120
	v_fmaak_f32 v53, v29, v24, 0x3f2aaada
	v_cvt_f32_i32_e32 v24, v32
	v_sub_f32_e32 v25, v28, v25
	v_sub_f32_e32 v25, v26, v25
	v_ldexp_f32 v30, v25, 1
	v_mul_f32_e32 v25, v28, v29
	v_ldexp_f32 v27, v28, 1
	v_pk_mul_f32 v[28:29], v[24:25], v[52:53]
	s_nop 0
	v_fma_f32 v26, v24, s39, -v28
	v_fmac_f32_e32 v26, 0xb102e308, v24
	v_pk_add_f32 v[24:25], v[28:29], v[26:27]
	s_nop 0
	v_sub_f32_e32 v27, v25, v27
	v_sub_f32_e32 v27, v29, v27
	v_add_f32_e32 v31, v30, v27
	v_mov_b32_e32 v30, v28
	v_pk_add_f32 v[28:29], v[24:25], v[28:29] neg_lo:[0,1] neg_hi:[0,1]
	v_pk_add_f32 v[32:33], v[24:25], v[30:31]
	v_mov_b32_e32 v27, v24
	v_mov_b32_e32 v29, v33
	v_pk_add_f32 v[34:35], v[26:27], v[28:29] neg_lo:[0,1] neg_hi:[0,1]
	v_pk_add_f32 v[26:27], v[26:27], v[28:29]
	v_mov_b32_e32 v30, v31
	v_mov_b32_e32 v28, v27
	v_pk_add_f32 v[36:37], v[28:29], v[24:25] neg_lo:[0,1] neg_hi:[0,1]
	v_mov_b32_e32 v26, v33
	v_mov_b32_e32 v29, v36
	v_pk_add_f32 v[38:39], v[32:33], v[28:29] neg_lo:[0,1] neg_hi:[0,1]
	v_mov_b32_e32 v32, v25
	v_mov_b32_e32 v33, v36
	;; [unrolled: 1-line block ×3, first 2 shown]
	v_pk_add_f32 v[26:27], v[26:27], v[32:33] neg_lo:[0,1] neg_hi:[0,1]
	v_mov_b32_e32 v31, v24
	v_pk_add_f32 v[24:25], v[30:31], v[26:27] neg_lo:[0,1] neg_hi:[0,1]
	v_mov_b32_e32 v38, v34
	v_pk_add_f32 v[26:27], v[38:39], v[24:25]
	s_nop 0
	v_mov_b32_e32 v30, v27
	v_pk_add_f32 v[30:31], v[26:27], v[30:31]
	s_nop 0
	v_pk_add_f32 v[28:29], v[28:29], v[30:31]
	v_mov_b32_e32 v25, v30
	v_mov_b32_e32 v27, v28
	v_pk_add_f32 v[32:33], v[26:27], v[34:35] neg_lo:[0,1] neg_hi:[0,1]
	s_nop 0
	v_sub_f32_e32 v26, v26, v32
	v_pk_add_f32 v[24:25], v[24:25], v[32:33] neg_lo:[0,1] neg_hi:[0,1]
	v_sub_f32_e32 v26, v34, v26
	v_add_f32_e32 v24, v24, v26
	v_add_f32_e32 v24, v24, v25
	;; [unrolled: 1-line block ×3, first 2 shown]
	v_cndmask_b32_e32 v137, v24, v49, vcc
.LBB121_49:                             ;   in Loop: Header=BB121_13 Depth=1
	s_or_b64 exec, exec, s[30:31]
	v_cvt_f32_f16_e32 v24, v7
	v_add_f32_e32 v70, s33, v24
	v_cmp_ge_f32_e32 vcc, s67, v70
	s_and_b64 s[2:3], s[88:89], vcc
	s_and_saveexec_b64 s[30:31], s[2:3]
	s_cbranch_execz .LBB121_51
; %bb.50:                               ;   in Loop: Header=BB121_13 Depth=1
	v_mul_f32_e32 v24, 0x3fb8aa3b, v70
	v_rndne_f32_e32 v25, v24
	v_sub_f32_e32 v26, v24, v25
	v_fma_f32 v24, v70, s34, -v24
	v_fmac_f32_e32 v24, 0x32a5705f, v70
	v_add_f32_e32 v24, v26, v24
	v_cvt_i32_f32_e32 v25, v25
	v_exp_f32_e32 v24, v24
	v_cmp_ngt_f32_e32 vcc, s35, v70
	v_ldexp_f32 v24, v24, v25
	s_nop 0
	v_cndmask_b32_e32 v24, 0, v24, vcc
	v_cmp_nlt_f32_e32 vcc, s36, v70
	s_nop 1
	v_cndmask_b32_e32 v49, v121, v24, vcc
	v_add_f32_e32 v26, 1.0, v49
	v_add_f32_e32 v24, -1.0, v26
	v_sub_f32_e32 v25, v24, v26
	v_add_f32_e32 v25, 1.0, v25
	v_sub_f32_e32 v24, v49, v24
	v_add_f32_e32 v27, v24, v25
	v_frexp_mant_f32_e32 v28, v26
	v_cvt_f64_f32_e32 v[24:25], v26
	v_frexp_exp_i32_f64_e32 v24, v[24:25]
	v_cmp_gt_f32_e32 vcc, s38, v28
	v_cmp_gt_f32_e64 s[2:3], s40, v49
	s_nop 0
	v_subbrev_co_u32_e32 v32, vcc, 0, v24, vcc
	v_sub_u32_e32 v24, 0, v32
	v_ldexp_f32 v25, v26, v24
	v_add_f32_e32 v26, -1.0, v25
	v_add_f32_e32 v28, 1.0, v25
	v_ldexp_f32 v24, v27, v24
	v_add_f32_e32 v27, 1.0, v26
	v_add_f32_e32 v29, -1.0, v28
	v_sub_f32_e32 v27, v25, v27
	v_sub_f32_e32 v25, v25, v29
	v_add_f32_e32 v27, v24, v27
	v_add_f32_e32 v24, v24, v25
	;; [unrolled: 1-line block ×3, first 2 shown]
	v_rcp_f32_e32 v35, v33
	v_sub_f32_e32 v25, v28, v33
	v_add_f32_e32 v34, v24, v25
	v_add_f32_e32 v25, v26, v27
	v_mul_f32_e32 v37, v25, v35
	v_sub_f32_e32 v24, v26, v25
	v_mul_f32_e32 v26, v33, v37
	v_fma_f32 v28, v37, v33, -v26
	v_fmac_f32_e32 v28, v37, v34
	v_add_f32_e32 v36, v27, v24
	v_add_f32_e32 v24, v26, v28
	v_sub_f32_e32 v27, v25, v24
	v_pk_add_f32 v[30:31], v[24:25], v[26:27] neg_lo:[0,1] neg_hi:[0,1]
	v_mov_b32_e32 v29, v24
	v_pk_add_f32 v[24:25], v[30:31], v[28:29] neg_lo:[0,1] neg_hi:[0,1]
	v_cmp_eq_f32_e32 vcc, s37, v49
	v_add_f32_e32 v25, v36, v25
	v_add_f32_e32 v24, v24, v25
	;; [unrolled: 1-line block ×3, first 2 shown]
	v_mul_f32_e32 v36, v35, v25
	v_mul_f32_e32 v26, v33, v36
	v_fma_f32 v28, v36, v33, -v26
	v_fmac_f32_e32 v28, v36, v34
	v_sub_f32_e32 v27, v27, v25
	v_add_f32_e32 v33, v24, v27
	v_add_f32_e32 v24, v26, v28
	v_sub_f32_e32 v27, v25, v24
	v_pk_add_f32 v[30:31], v[24:25], v[26:27] neg_lo:[0,1] neg_hi:[0,1]
	v_mov_b32_e32 v29, v24
	v_pk_add_f32 v[24:25], v[30:31], v[28:29] neg_lo:[0,1] neg_hi:[0,1]
	s_or_b64 vcc, s[2:3], vcc
	v_add_f32_e32 v25, v33, v25
	v_add_f32_e32 v24, v24, v25
	;; [unrolled: 1-line block ×4, first 2 shown]
	v_sub_f32_e32 v26, v25, v37
	v_mul_f32_e32 v24, v35, v24
	v_sub_f32_e32 v26, v36, v26
	v_add_f32_e32 v26, v26, v24
	v_add_f32_e32 v28, v25, v26
	v_mul_f32_e32 v29, v28, v28
	v_fmamk_f32 v24, v29, 0x3e9b6dac, v120
	v_fmaak_f32 v53, v29, v24, 0x3f2aaada
	v_cvt_f32_i32_e32 v24, v32
	v_sub_f32_e32 v25, v28, v25
	v_sub_f32_e32 v25, v26, v25
	v_ldexp_f32 v30, v25, 1
	v_mul_f32_e32 v25, v28, v29
	v_ldexp_f32 v27, v28, 1
	v_pk_mul_f32 v[28:29], v[24:25], v[52:53]
	s_nop 0
	v_fma_f32 v26, v24, s39, -v28
	v_fmac_f32_e32 v26, 0xb102e308, v24
	v_pk_add_f32 v[24:25], v[28:29], v[26:27]
	s_nop 0
	v_sub_f32_e32 v27, v25, v27
	v_sub_f32_e32 v27, v29, v27
	v_add_f32_e32 v31, v30, v27
	v_mov_b32_e32 v30, v28
	v_pk_add_f32 v[28:29], v[24:25], v[28:29] neg_lo:[0,1] neg_hi:[0,1]
	v_pk_add_f32 v[32:33], v[24:25], v[30:31]
	v_mov_b32_e32 v27, v24
	v_mov_b32_e32 v29, v33
	v_pk_add_f32 v[34:35], v[26:27], v[28:29] neg_lo:[0,1] neg_hi:[0,1]
	v_pk_add_f32 v[26:27], v[26:27], v[28:29]
	v_mov_b32_e32 v30, v31
	v_mov_b32_e32 v28, v27
	v_pk_add_f32 v[36:37], v[28:29], v[24:25] neg_lo:[0,1] neg_hi:[0,1]
	v_mov_b32_e32 v26, v33
	v_mov_b32_e32 v29, v36
	v_pk_add_f32 v[38:39], v[32:33], v[28:29] neg_lo:[0,1] neg_hi:[0,1]
	v_mov_b32_e32 v32, v25
	v_mov_b32_e32 v33, v36
	;; [unrolled: 1-line block ×3, first 2 shown]
	v_pk_add_f32 v[26:27], v[26:27], v[32:33] neg_lo:[0,1] neg_hi:[0,1]
	v_mov_b32_e32 v31, v24
	v_pk_add_f32 v[24:25], v[30:31], v[26:27] neg_lo:[0,1] neg_hi:[0,1]
	v_mov_b32_e32 v38, v34
	v_pk_add_f32 v[26:27], v[38:39], v[24:25]
	s_nop 0
	v_mov_b32_e32 v30, v27
	v_pk_add_f32 v[30:31], v[26:27], v[30:31]
	s_nop 0
	v_pk_add_f32 v[28:29], v[28:29], v[30:31]
	v_mov_b32_e32 v25, v30
	v_mov_b32_e32 v27, v28
	v_pk_add_f32 v[32:33], v[26:27], v[34:35] neg_lo:[0,1] neg_hi:[0,1]
	s_nop 0
	v_sub_f32_e32 v26, v26, v32
	v_pk_add_f32 v[24:25], v[24:25], v[32:33] neg_lo:[0,1] neg_hi:[0,1]
	v_sub_f32_e32 v26, v34, v26
	v_add_f32_e32 v24, v24, v26
	v_add_f32_e32 v24, v24, v25
	;; [unrolled: 1-line block ×3, first 2 shown]
	v_cndmask_b32_e32 v70, v24, v49, vcc
.LBB121_51:                             ;   in Loop: Header=BB121_13 Depth=1
	s_or_b64 exec, exec, s[30:31]
	v_cvt_f32_f16_sdwa v24, v7 dst_sel:DWORD dst_unused:UNUSED_PAD src0_sel:WORD_1
	v_add_f32_e32 v71, s33, v24
	v_cmp_ge_f32_e32 vcc, s67, v71
	s_and_b64 s[2:3], s[88:89], vcc
	s_and_saveexec_b64 s[30:31], s[2:3]
	s_cbranch_execz .LBB121_53
; %bb.52:                               ;   in Loop: Header=BB121_13 Depth=1
	v_mul_f32_e32 v24, 0x3fb8aa3b, v71
	v_rndne_f32_e32 v25, v24
	v_sub_f32_e32 v26, v24, v25
	v_fma_f32 v24, v71, s34, -v24
	v_fmac_f32_e32 v24, 0x32a5705f, v71
	v_add_f32_e32 v24, v26, v24
	v_cvt_i32_f32_e32 v25, v25
	v_exp_f32_e32 v24, v24
	v_cmp_ngt_f32_e32 vcc, s35, v71
	v_ldexp_f32 v24, v24, v25
	s_nop 0
	v_cndmask_b32_e32 v24, 0, v24, vcc
	v_cmp_nlt_f32_e32 vcc, s36, v71
	s_nop 1
	v_cndmask_b32_e32 v49, v121, v24, vcc
	v_add_f32_e32 v26, 1.0, v49
	v_add_f32_e32 v24, -1.0, v26
	v_sub_f32_e32 v25, v24, v26
	v_add_f32_e32 v25, 1.0, v25
	v_sub_f32_e32 v24, v49, v24
	v_add_f32_e32 v27, v24, v25
	v_frexp_mant_f32_e32 v28, v26
	v_cvt_f64_f32_e32 v[24:25], v26
	v_frexp_exp_i32_f64_e32 v24, v[24:25]
	v_cmp_gt_f32_e32 vcc, s38, v28
	v_cmp_gt_f32_e64 s[2:3], s40, v49
	s_nop 0
	v_subbrev_co_u32_e32 v32, vcc, 0, v24, vcc
	v_sub_u32_e32 v24, 0, v32
	v_ldexp_f32 v25, v26, v24
	v_add_f32_e32 v26, -1.0, v25
	v_add_f32_e32 v28, 1.0, v25
	v_ldexp_f32 v24, v27, v24
	v_add_f32_e32 v27, 1.0, v26
	v_add_f32_e32 v29, -1.0, v28
	v_sub_f32_e32 v27, v25, v27
	v_sub_f32_e32 v25, v25, v29
	v_add_f32_e32 v27, v24, v27
	v_add_f32_e32 v24, v24, v25
	v_add_f32_e32 v33, v28, v24
	v_rcp_f32_e32 v35, v33
	v_sub_f32_e32 v25, v28, v33
	v_add_f32_e32 v34, v24, v25
	v_add_f32_e32 v25, v26, v27
	v_mul_f32_e32 v37, v25, v35
	v_sub_f32_e32 v24, v26, v25
	v_mul_f32_e32 v26, v33, v37
	v_fma_f32 v28, v37, v33, -v26
	v_fmac_f32_e32 v28, v37, v34
	v_add_f32_e32 v36, v27, v24
	v_add_f32_e32 v24, v26, v28
	v_sub_f32_e32 v27, v25, v24
	v_pk_add_f32 v[30:31], v[24:25], v[26:27] neg_lo:[0,1] neg_hi:[0,1]
	v_mov_b32_e32 v29, v24
	v_pk_add_f32 v[24:25], v[30:31], v[28:29] neg_lo:[0,1] neg_hi:[0,1]
	v_cmp_eq_f32_e32 vcc, s37, v49
	v_add_f32_e32 v25, v36, v25
	v_add_f32_e32 v24, v24, v25
	;; [unrolled: 1-line block ×3, first 2 shown]
	v_mul_f32_e32 v36, v35, v25
	v_mul_f32_e32 v26, v33, v36
	v_fma_f32 v28, v36, v33, -v26
	v_fmac_f32_e32 v28, v36, v34
	v_sub_f32_e32 v27, v27, v25
	v_add_f32_e32 v33, v24, v27
	v_add_f32_e32 v24, v26, v28
	v_sub_f32_e32 v27, v25, v24
	v_pk_add_f32 v[30:31], v[24:25], v[26:27] neg_lo:[0,1] neg_hi:[0,1]
	v_mov_b32_e32 v29, v24
	v_pk_add_f32 v[24:25], v[30:31], v[28:29] neg_lo:[0,1] neg_hi:[0,1]
	s_or_b64 vcc, s[2:3], vcc
	v_add_f32_e32 v25, v33, v25
	v_add_f32_e32 v24, v24, v25
	;; [unrolled: 1-line block ×4, first 2 shown]
	v_sub_f32_e32 v26, v25, v37
	v_mul_f32_e32 v24, v35, v24
	v_sub_f32_e32 v26, v36, v26
	v_add_f32_e32 v26, v26, v24
	v_add_f32_e32 v28, v25, v26
	v_mul_f32_e32 v29, v28, v28
	v_fmamk_f32 v24, v29, 0x3e9b6dac, v120
	v_fmaak_f32 v53, v29, v24, 0x3f2aaada
	v_cvt_f32_i32_e32 v24, v32
	v_sub_f32_e32 v25, v28, v25
	v_sub_f32_e32 v25, v26, v25
	v_ldexp_f32 v30, v25, 1
	v_mul_f32_e32 v25, v28, v29
	v_ldexp_f32 v27, v28, 1
	v_pk_mul_f32 v[28:29], v[24:25], v[52:53]
	s_nop 0
	v_fma_f32 v26, v24, s39, -v28
	v_fmac_f32_e32 v26, 0xb102e308, v24
	v_pk_add_f32 v[24:25], v[28:29], v[26:27]
	s_nop 0
	v_sub_f32_e32 v27, v25, v27
	v_sub_f32_e32 v27, v29, v27
	v_add_f32_e32 v31, v30, v27
	v_mov_b32_e32 v30, v28
	v_pk_add_f32 v[28:29], v[24:25], v[28:29] neg_lo:[0,1] neg_hi:[0,1]
	v_pk_add_f32 v[32:33], v[24:25], v[30:31]
	v_mov_b32_e32 v27, v24
	v_mov_b32_e32 v29, v33
	v_pk_add_f32 v[34:35], v[26:27], v[28:29] neg_lo:[0,1] neg_hi:[0,1]
	v_pk_add_f32 v[26:27], v[26:27], v[28:29]
	v_mov_b32_e32 v30, v31
	v_mov_b32_e32 v28, v27
	v_pk_add_f32 v[36:37], v[28:29], v[24:25] neg_lo:[0,1] neg_hi:[0,1]
	v_mov_b32_e32 v26, v33
	v_mov_b32_e32 v29, v36
	v_pk_add_f32 v[38:39], v[32:33], v[28:29] neg_lo:[0,1] neg_hi:[0,1]
	v_mov_b32_e32 v32, v25
	v_mov_b32_e32 v33, v36
	;; [unrolled: 1-line block ×3, first 2 shown]
	v_pk_add_f32 v[26:27], v[26:27], v[32:33] neg_lo:[0,1] neg_hi:[0,1]
	v_mov_b32_e32 v31, v24
	v_pk_add_f32 v[24:25], v[30:31], v[26:27] neg_lo:[0,1] neg_hi:[0,1]
	v_mov_b32_e32 v38, v34
	v_pk_add_f32 v[26:27], v[38:39], v[24:25]
	s_nop 0
	v_mov_b32_e32 v30, v27
	v_pk_add_f32 v[30:31], v[26:27], v[30:31]
	s_nop 0
	v_pk_add_f32 v[28:29], v[28:29], v[30:31]
	v_mov_b32_e32 v25, v30
	v_mov_b32_e32 v27, v28
	v_pk_add_f32 v[32:33], v[26:27], v[34:35] neg_lo:[0,1] neg_hi:[0,1]
	s_nop 0
	v_sub_f32_e32 v26, v26, v32
	v_pk_add_f32 v[24:25], v[24:25], v[32:33] neg_lo:[0,1] neg_hi:[0,1]
	v_sub_f32_e32 v26, v34, v26
	v_add_f32_e32 v24, v24, v26
	v_add_f32_e32 v24, v24, v25
	;; [unrolled: 1-line block ×3, first 2 shown]
	v_cndmask_b32_e32 v71, v24, v49, vcc
.LBB121_53:                             ;   in Loop: Header=BB121_13 Depth=1
	s_or_b64 exec, exec, s[30:31]
	v_cvt_f32_f16_e32 v24, v15
	v_cvt_f32_f16_sdwa v25, v14 dst_sel:DWORD dst_unused:UNUSED_PAD src0_sel:WORD_1
	v_cvt_f32_f16_e32 v26, v14
	v_cvt_f32_f16_sdwa v31, v15 dst_sel:DWORD dst_unused:UNUSED_PAD src0_sel:WORD_1
	v_cvt_f32_f16_sdwa v27, v13 dst_sel:DWORD dst_unused:UNUSED_PAD src0_sel:WORD_1
	v_cvt_f32_f16_e32 v28, v13
	v_cvt_f32_f16_sdwa v29, v12 dst_sel:DWORD dst_unused:UNUSED_PAD src0_sel:WORD_1
	v_cvt_f32_f16_e32 v30, v12
	;; [unrolled: 2-line block ×6, first 2 shown]
	v_readlane_b32 s2, v166, 2
	v_readlane_b32 s3, v166, 3
	v_mul_f32_e32 v56, s64, v24
	v_mul_f32_e32 v55, s64, v25
	;; [unrolled: 1-line block ×15, first 2 shown]
	s_lshl_b32 s84, s41, 11
	v_mul_f32_e32 v57, s64, v31
	s_and_b64 vcc, exec, s[2:3]
	s_barrier
	v_writelane_b32 v166, s41, 15
	s_cbranch_vccz .LBB121_86
; %bb.54:                               ;   in Loop: Header=BB121_13 Depth=1
	v_readlane_b32 s66, v166, 4
	s_sub_i32 s2, s66, s84
	s_cmp_lg_u32 s41, 0
	v_readlane_b32 s3, v166, 7
	v_readlane_b32 s62, v166, 12
	s_cselect_b64 s[94:95], -1, 0
	s_cmp_eq_u32 s41, s3
	v_cmp_gt_u32_e32 vcc, s2, v101
	v_readlane_b32 s63, v166, 13
	s_cselect_b64 s[96:97], -1, 0
	s_or_b64 s[30:31], s[62:63], vcc
	v_cmp_gt_u32_e32 vcc, s2, v105
	s_or_b64 s[34:35], s[62:63], vcc
	v_cmp_gt_u32_e32 vcc, s2, v106
	;; [unrolled: 2-line block ×13, first 2 shown]
	v_lshl_add_u64 v[72:73], s[70:71], 0, v[40:41]
	v_mov_b32_e32 v49, v41
	v_lshl_add_u64 v[74:75], s[74:75], 0, v[40:41]
	v_readlane_b32 s67, v166, 5
	s_mov_b32 s92, 0
	s_or_b64 s[58:59], s[62:63], vcc
	v_cmp_gt_u32_e32 vcc, s2, v118
	v_cmp_gt_u32_e64 s[2:3], s2, v119
	v_mul_f32_e32 v53, v71, v31
	v_lshl_add_u64 v[72:73], v[72:73], 0, v[48:49]
	v_lshl_add_u64 v[74:75], v[74:75], 0, v[48:49]
	v_mul_f32_e32 v49, v70, v24
	v_mul_f32_e32 v138, v137, v25
	;; [unrolled: 1-line block ×15, first 2 shown]
	s_or_b64 s[60:61], s[62:63], s[2:3]
	s_or_b64 s[62:63], s[62:63], vcc
	s_mov_b32 s2, s92
	s_mov_b32 s98, s92
	;; [unrolled: 1-line block ×5, first 2 shown]
	v_readlane_b32 s66, v166, 14
	s_branch .LBB121_56
.LBB121_55:                             ;   in Loop: Header=BB121_56 Depth=2
	s_or_b64 exec, exec, s[90:91]
	v_cndmask_b32_e64 v76, v86, v95, s[28:29]
	v_cndmask_b32_e64 v77, v89, v94, s[28:29]
	v_mul_f32_e32 v77, v77, v152
	v_fma_f32 v76, v76, v152, v32
	v_cndmask_b32_e64 v32, v76, v32, s[26:27]
	v_cndmask_b32_e64 v76, v77, v152, s[26:27]
	s_waitcnt lgkmcnt(0)
	v_fmac_f32_e32 v32, v92, v76
	v_fmac_f32_e32 v33, v32, v153
	;; [unrolled: 1-line block ×16, first 2 shown]
	v_cvt_f32_f16_sdwa v77, v28 dst_sel:DWORD dst_unused:UNUSED_PAD src0_sel:WORD_1
	v_cvt_f32_f16_sdwa v89, v29 dst_sel:DWORD dst_unused:UNUSED_PAD src0_sel:WORD_1
	v_cvt_f32_f16_e32 v76, v28
	v_cvt_f32_f16_e32 v88, v29
	v_cvt_f32_f16_sdwa v29, v30 dst_sel:DWORD dst_unused:UNUSED_PAD src0_sel:WORD_1
	v_cvt_f32_f16_sdwa v91, v31 dst_sel:DWORD dst_unused:UNUSED_PAD src0_sel:WORD_1
	v_cvt_f32_f16_e32 v28, v30
	v_cvt_f32_f16_e32 v90, v31
	;; [unrolled: 4-line block ×4, first 2 shown]
	v_mov_b32_e32 v86, v85
	s_add_i32 s66, s66, 8
	s_add_i32 s85, s85, -1
	s_add_i32 s86, s86, s65
	s_add_i32 s98, s98, s76
	;; [unrolled: 1-line block ×4, first 2 shown]
	v_pk_fma_f32 v[68:69], v[34:35], v[88:89], v[68:69]
	v_pk_fma_f32 v[66:67], v[32:33], v[76:77], v[66:67]
	;; [unrolled: 1-line block ×7, first 2 shown]
	s_cmp_eq_u32 s85, 0
	v_pk_fma_f32 v[54:55], v[82:83], v[24:25], v[54:55]
	s_cbranch_scc1 .LBB121_85
.LBB121_56:                             ;   Parent Loop BB121_13 Depth=1
                                        ; =>  This Inner Loop Header: Depth=2
	s_mov_b32 s3, s93
	v_lshl_add_u64 v[28:29], s[2:3], 1, v[72:73]
	global_load_dwordx4 v[24:27], v[28:29], off
	s_lshl_b64 s[90:91], s[92:93], 2
	s_add_u32 s90, s68, s90
	s_mov_b32 s99, s93
	s_addc_u32 s91, s0, s91
	global_load_dword v78, v41, s[90:91]
	s_andn2_b64 vcc, exec, s[94:95]
	s_waitcnt vmcnt(1)
	ds_write_b128 v96, v[24:27]
	global_load_dwordx4 v[24:27], v[28:29], off offset:1024
	v_lshl_add_u64 v[28:29], s[98:99], 1, v[74:75]
	s_waitcnt vmcnt(0)
	ds_write_b128 v97, v[24:27] offset:1024
	; wave barrier
	ds_read_b128 v[36:39], v98
	ds_read_b128 v[32:35], v98 offset:16
	global_load_dwordx4 v[24:27], v[28:29], off
	s_waitcnt vmcnt(0)
	ds_write_b128 v96, v[24:27] offset:4224
	global_load_dwordx4 v[24:27], v[28:29], off offset:1024
	s_waitcnt vmcnt(0)
	ds_write_b128 v99, v[24:27] offset:1024
	; wave barrier
	ds_read_b128 v[28:31], v98 offset:4224
	ds_read_b128 v[24:27], v100 offset:16
	s_cbranch_vccnz .LBB121_58
; %bb.57:                               ;   in Loop: Header=BB121_56 Depth=2
	v_mov_b32_e32 v76, s66
	ds_read_b64 v[76:77], v76
	s_cbranch_execz .LBB121_59
	s_branch .LBB121_62
.LBB121_58:                             ;   in Loop: Header=BB121_56 Depth=2
                                        ; implicit-def: $vgpr77
.LBB121_59:                             ;   in Loop: Header=BB121_56 Depth=2
	v_readlane_b32 s82, v166, 0
	v_readlane_b32 s83, v166, 1
	s_andn2_b64 vcc, exec, s[82:83]
	s_waitcnt lgkmcnt(0)
	v_mov_b32_e32 v77, 0
	s_cbranch_vccnz .LBB121_61
; %bb.60:                               ;   in Loop: Header=BB121_56 Depth=2
	s_mov_b32 s87, s93
	s_lshl_b64 s[90:91], s[86:87], 2
	s_add_u32 s90, s1, s90
	s_addc_u32 s91, s73, s91
	global_load_dword v77, v41, s[90:91]
.LBB121_61:                             ;   in Loop: Header=BB121_56 Depth=2
	v_mov_b32_e32 v76, 1.0
.LBB121_62:                             ;   in Loop: Header=BB121_56 Depth=2
	v_mul_f32_e32 v86, 0x3fb8aa3b, v78
	s_waitcnt lgkmcnt(4)
	v_cvt_f32_f16_e32 v82, v32
	v_cvt_f32_f16_sdwa v83, v32 dst_sel:DWORD dst_unused:UNUSED_PAD src0_sel:WORD_1
	v_mul_f32_e32 v32, v86, v124
	v_cmp_gt_f32_e32 vcc, s77, v32
	v_cvt_f32_f16_e32 v84, v33
	v_cvt_f32_f16_sdwa v85, v33 dst_sel:DWORD dst_unused:UNUSED_PAD src0_sel:WORD_1
	v_cndmask_b32_e32 v32, 0, v122, vcc
	v_fmac_f32_e32 v32, v86, v124
	v_exp_f32_e32 v32, v32
	v_cndmask_b32_e32 v33, 1.0, v123, vcc
	v_cvt_f32_f16_e32 v88, v34
	v_cvt_f32_f16_sdwa v89, v34 dst_sel:DWORD dst_unused:UNUSED_PAD src0_sel:WORD_1
	v_mul_f32_e32 v33, v32, v33
	v_cndmask_b32_e64 v152, 1.0, v33, s[30:31]
	v_mul_f32_e32 v33, v86, v125
	v_cmp_gt_f32_e32 vcc, s77, v33
	v_cvt_f32_f16_e32 v90, v35
	v_cvt_f32_f16_sdwa v87, v35 dst_sel:DWORD dst_unused:UNUSED_PAD src0_sel:WORD_1
	v_cndmask_b32_e32 v33, 0, v122, vcc
	v_fmac_f32_e32 v33, v86, v125
	v_exp_f32_e32 v33, v33
	v_cndmask_b32_e32 v34, 1.0, v123, vcc
	v_cvt_f32_f16_e32 v78, v36
	v_cvt_f32_f16_sdwa v36, v36 dst_sel:DWORD dst_unused:UNUSED_PAD src0_sel:WORD_1
	v_mul_f32_e32 v34, v33, v34
	v_cndmask_b32_e64 v153, 1.0, v34, s[34:35]
	v_mul_f32_e32 v34, v86, v126
	v_cmp_gt_f32_e32 vcc, s77, v34
	v_mul_f32_e32 v33, v150, v36
	v_cvt_f32_f16_e32 v79, v37
	v_cndmask_b32_e32 v34, 0, v122, vcc
	v_fmac_f32_e32 v34, v86, v126
	v_exp_f32_e32 v34, v34
	v_cndmask_b32_e32 v35, 1.0, v123, vcc
	v_cvt_f32_f16_sdwa v37, v37 dst_sel:DWORD dst_unused:UNUSED_PAD src0_sel:WORD_1
	v_cvt_f32_f16_e32 v80, v38
	v_mul_f32_e32 v35, v34, v35
	v_cndmask_b32_e64 v154, 1.0, v35, s[36:37]
	v_mul_f32_e32 v35, v86, v127
	v_cmp_gt_f32_e32 vcc, s77, v35
	v_cvt_f32_f16_sdwa v38, v38 dst_sel:DWORD dst_unused:UNUSED_PAD src0_sel:WORD_1
	v_mul_f32_e32 v32, v151, v78
	v_cndmask_b32_e32 v35, 0, v122, vcc
	v_fmac_f32_e32 v35, v86, v127
	v_exp_f32_e32 v35, v35
	v_cndmask_b32_e32 v36, 1.0, v123, vcc
	v_mul_f32_e32 v34, v149, v79
	v_cvt_f32_f16_e32 v81, v39
	v_mul_f32_e32 v36, v35, v36
	v_cndmask_b32_e64 v155, 1.0, v36, s[38:39]
	v_mul_f32_e32 v36, v86, v128
	v_cmp_gt_f32_e32 vcc, s77, v36
	v_mul_f32_e32 v35, v148, v37
	v_cndmask_b32_e64 v32, 0, v32, s[30:31]
	v_cndmask_b32_e32 v36, 0, v122, vcc
	v_fmac_f32_e32 v36, v86, v128
	v_exp_f32_e32 v36, v36
	v_cndmask_b32_e32 v37, 1.0, v123, vcc
	v_cndmask_b32_e64 v33, 0, v33, s[34:35]
	v_cvt_f32_f16_sdwa v39, v39 dst_sel:DWORD dst_unused:UNUSED_PAD src0_sel:WORD_1
	v_mul_f32_e32 v37, v36, v37
	v_cndmask_b32_e64 v156, 1.0, v37, s[40:41]
	v_mul_f32_e32 v37, v86, v129
	v_cmp_gt_f32_e32 vcc, s77, v37
	v_mul_f32_e32 v36, v147, v80
	v_cndmask_b32_e64 v34, 0, v34, s[36:37]
	v_cndmask_b32_e32 v37, 0, v122, vcc
	v_fmac_f32_e32 v37, v86, v129
	v_exp_f32_e32 v37, v37
	v_cndmask_b32_e32 v78, 1.0, v123, vcc
	v_cndmask_b32_e64 v35, 0, v35, s[38:39]
	v_cndmask_b32_e64 v36, 0, v36, s[40:41]
	v_mul_f32_e32 v78, v37, v78
	v_mul_f32_e32 v37, v146, v38
	;; [unrolled: 1-line block ×3, first 2 shown]
	v_cmp_gt_f32_e32 vcc, s77, v38
	v_cndmask_b32_e64 v157, 1.0, v78, s[42:43]
	v_cndmask_b32_e64 v37, 0, v37, s[42:43]
	v_cndmask_b32_e32 v38, 0, v122, vcc
	v_fmac_f32_e32 v38, v86, v130
	v_exp_f32_e32 v38, v38
	v_cndmask_b32_e32 v78, 1.0, v123, vcc
	v_mul_f32_e32 v39, v144, v39
	v_cndmask_b32_e64 v39, 0, v39, s[46:47]
	v_mul_f32_e32 v78, v38, v78
	v_cndmask_b32_e64 v158, 1.0, v78, s[44:45]
	v_mul_f32_e32 v78, v86, v131
	v_cmp_gt_f32_e32 vcc, s77, v78
	v_mul_f32_e32 v38, v145, v81
	v_cndmask_b32_e64 v38, 0, v38, s[44:45]
	v_cndmask_b32_e32 v78, 0, v122, vcc
	v_fmac_f32_e32 v78, v86, v131
	v_exp_f32_e32 v78, v78
	v_cndmask_b32_e32 v79, 1.0, v123, vcc
	v_mul_f32_e32 v78, v78, v79
	v_cndmask_b32_e64 v159, 1.0, v78, s[46:47]
	v_mul_f32_e32 v78, v86, v132
	v_cmp_gt_f32_e32 vcc, s77, v78
	s_nop 1
	v_cndmask_b32_e32 v78, 0, v122, vcc
	v_fmac_f32_e32 v78, v86, v132
	v_exp_f32_e32 v78, v78
	v_cndmask_b32_e32 v79, 1.0, v123, vcc
	v_mul_f32_e32 v79, v78, v79
	v_cndmask_b32_e64 v160, 1.0, v79, s[48:49]
	v_mul_f32_e32 v79, v86, v133
	v_cmp_gt_f32_e32 vcc, s77, v79
	v_mul_f32_e32 v78, v143, v82
	v_cndmask_b32_e64 v78, 0, v78, s[48:49]
	v_cndmask_b32_e32 v79, 0, v122, vcc
	v_fmac_f32_e32 v79, v86, v133
	v_exp_f32_e32 v79, v79
	v_cndmask_b32_e32 v80, 1.0, v123, vcc
	v_mul_f32_e32 v80, v79, v80
	v_cndmask_b32_e64 v161, 1.0, v80, s[50:51]
	v_mul_f32_e32 v80, v86, v134
	v_cmp_gt_f32_e32 vcc, s77, v80
	v_mul_f32_e32 v79, v142, v83
	v_cndmask_b32_e64 v79, 0, v79, s[50:51]
	;; [unrolled: 10-line block ×3, first 2 shown]
	v_cndmask_b32_e32 v81, 0, v122, vcc
	v_fmac_f32_e32 v81, v86, v135
	v_exp_f32_e32 v81, v81
	v_cndmask_b32_e32 v82, 1.0, v123, vcc
	v_mul_f32_e32 v82, v81, v82
	v_cndmask_b32_e64 v163, 1.0, v82, s[54:55]
	v_mul_f32_e32 v82, v86, v136
	v_cmp_gt_f32_e32 vcc, s77, v82
	v_mul_f32_e32 v81, v140, v85
	v_mul_f32_e32 v85, v49, v90
	v_cndmask_b32_e32 v82, 0, v122, vcc
	v_fmac_f32_e32 v82, v86, v136
	v_exp_f32_e32 v82, v82
	v_cndmask_b32_e32 v83, 1.0, v123, vcc
	v_pk_mul_f32 v[90:91], v[86:87], v[70:71] op_sel_hi:[0,1]
	v_cndmask_b32_e64 v81, 0, v81, s[54:55]
	v_mul_f32_e32 v83, v82, v83
	v_mul_f32_e32 v82, v139, v88
	v_cndmask_b32_e64 v88, 1.0, v83, s[56:57]
	v_mul_f32_e32 v83, v86, v137
	v_cmp_gt_f32_e32 vcc, s77, v83
	v_cndmask_b32_e64 v82, 0, v82, s[56:57]
	v_cndmask_b32_e64 v85, 0, v85, s[62:63]
	v_cndmask_b32_e32 v83, 0, v122, vcc
	v_cndmask_b32_e32 v84, 1.0, v123, vcc
	v_cmp_gt_f32_e32 vcc, s77, v90
	v_fmac_f32_e32 v83, v86, v137
	v_exp_f32_e32 v83, v83
	v_cndmask_b32_e32 v86, 0, v122, vcc
	v_add_f32_e32 v86, v90, v86
	v_exp_f32_e32 v86, v86
	v_mul_f32_e32 v84, v83, v84
	v_mul_f32_e32 v83, v138, v89
	v_cndmask_b32_e32 v89, 1.0, v123, vcc
	v_cmp_gt_f32_e32 vcc, s77, v91
	v_mul_f32_e32 v86, v86, v89
	v_cndmask_b32_e64 v83, 0, v83, s[58:59]
	v_cndmask_b32_e32 v89, 0, v122, vcc
	v_add_f32_e32 v89, v91, v89
	v_exp_f32_e32 v89, v89
	v_cndmask_b32_e32 v90, 1.0, v123, vcc
	v_cndmask_b32_e64 v84, 1.0, v84, s[58:59]
	v_mul_f32_e32 v87, v53, v87
	v_mul_f32_e32 v89, v89, v90
	v_cndmask_b32_e64 v91, 1.0, v89, s[60:61]
	v_cndmask_b32_e64 v90, 1.0, v86, s[62:63]
	v_mul_f32_e32 v86, v153, v152
	v_fma_f32 v89, v153, v32, v33
	v_mul_f32_e32 v86, v86, v154
	v_fma_f32 v89, v89, v154, v34
	;; [unrolled: 2-line block ×11, first 2 shown]
	v_fma_f32 v86, v86, v88, v82
	v_fma_f32 v93, v86, v84, v83
	v_mov_b32_e32 v89, v90
	v_pk_mul_f32 v[164:165], v[92:93], v[88:89]
	v_pk_fma_f32 v[92:93], v[92:93], v[88:89], v[84:85]
	v_pk_mul_f32 v[164:165], v[164:165], v[84:85]
	v_cndmask_b32_e64 v87, 0, v87, s[60:61]
	v_mov_b32_e32 v165, v93
	v_mov_b32_e32 v94, v91
	;; [unrolled: 1-line block ×3, first 2 shown]
	v_pk_mul_f32 v[92:93], v[164:165], v[90:91]
	v_mov_b32_e32 v86, v91
	v_pk_mul_f32 v[94:95], v[92:93], v[94:95]
	v_pk_fma_f32 v[92:93], v[164:165], v[90:91], v[86:87]
	s_nop 0
	v_mov_b32_dpp v86, v94 row_shr:1 row_mask:0xf bank_mask:0xf
	v_mov_b32_dpp v89, v93 row_shr:1 row_mask:0xf bank_mask:0xf
	v_mul_f32_e32 v164, v94, v86
	v_fma_f32 v89, v94, v89, v93
	v_cndmask_b32_e64 v92, v164, v94, s[4:5]
	v_cndmask_b32_e64 v95, v89, v93, s[4:5]
	;; [unrolled: 1-line block ×4, first 2 shown]
	v_mov_b32_dpp v93, v95 row_shr:2 row_mask:0xf bank_mask:0xf
	v_mov_b32_dpp v89, v94 row_shr:2 row_mask:0xf bank_mask:0xf
	s_and_saveexec_b64 s[90:91], s[6:7]
; %bb.63:                               ;   in Loop: Header=BB121_56 Depth=2
	v_fmac_f32_e32 v95, v94, v93
	v_mul_f32_e32 v94, v94, v89
	v_mov_b32_e32 v92, v94
	v_mov_b32_e32 v86, v95
; %bb.64:                               ;   in Loop: Header=BB121_56 Depth=2
	s_or_b64 exec, exec, s[90:91]
	v_mov_b32_dpp v89, v94 row_shr:4 row_mask:0xf bank_mask:0xf
	v_mov_b32_dpp v93, v95 row_shr:4 row_mask:0xf bank_mask:0xf
	s_and_saveexec_b64 s[90:91], s[8:9]
; %bb.65:                               ;   in Loop: Header=BB121_56 Depth=2
	v_fmac_f32_e32 v95, v94, v93
	v_mul_f32_e32 v94, v94, v89
	v_mov_b32_e32 v92, v94
	v_mov_b32_e32 v86, v95
; %bb.66:                               ;   in Loop: Header=BB121_56 Depth=2
	s_or_b64 exec, exec, s[90:91]
	;; [unrolled: 10-line block ×3, first 2 shown]
	v_mov_b32_dpp v89, v94 row_bcast:15 row_mask:0xf bank_mask:0xf
	v_mov_b32_dpp v93, v95 row_bcast:15 row_mask:0xf bank_mask:0xf
	s_and_saveexec_b64 s[90:91], s[12:13]
; %bb.69:                               ;   in Loop: Header=BB121_56 Depth=2
	v_fmac_f32_e32 v95, v94, v93
	v_mul_f32_e32 v94, v94, v89
	v_mov_b32_e32 v92, v94
	v_mov_b32_e32 v86, v95
; %bb.70:                               ;   in Loop: Header=BB121_56 Depth=2
	s_or_b64 exec, exec, s[90:91]
	v_mov_b32_dpp v93, v94 row_bcast:31 row_mask:0xf bank_mask:0xf
	v_mov_b32_dpp v89, v95 row_bcast:31 row_mask:0xf bank_mask:0xf
	s_and_saveexec_b64 s[90:91], s[14:15]
; %bb.71:                               ;   in Loop: Header=BB121_56 Depth=2
	v_fmac_f32_e32 v95, v94, v89
	v_mul_f32_e32 v92, v94, v93
	v_mov_b32_e32 v93, v95
	v_mov_b32_e32 v86, v95
	v_mov_b64_e32 v[94:95], v[92:93]
; %bb.72:                               ;   in Loop: Header=BB121_56 Depth=2
	s_or_b64 exec, exec, s[90:91]
	s_and_saveexec_b64 s[90:91], s[16:17]
	s_cbranch_execz .LBB121_74
; %bb.73:                               ;   in Loop: Header=BB121_56 Depth=2
	ds_write_b64 v102, v[94:95] offset:8448
.LBB121_74:                             ;   in Loop: Header=BB121_56 Depth=2
	s_or_b64 exec, exec, s[90:91]
	s_waitcnt lgkmcnt(0)
	s_barrier
	s_and_saveexec_b64 s[90:91], s[18:19]
	s_cbranch_execz .LBB121_76
; %bb.75:                               ;   in Loop: Header=BB121_56 Depth=2
	ds_read_b64 v[94:95], v103 offset:8448
	s_waitcnt lgkmcnt(0)
	s_nop 0
	v_mov_b32_dpp v89, v94 row_shr:1 row_mask:0xf bank_mask:0xf
	v_mov_b32_dpp v93, v95 row_shr:1 row_mask:0xf bank_mask:0xf
	v_fma_f32 v93, v94, v93, v95
	v_mul_f32_e32 v89, v94, v89
	v_cndmask_b32_e64 v94, v89, v94, s[20:21]
	v_cndmask_b32_e64 v95, v93, v95, s[20:21]
	ds_write_b64 v103, v[94:95] offset:8448
.LBB121_76:                             ;   in Loop: Header=BB121_56 Depth=2
	s_or_b64 exec, exec, s[90:91]
	s_waitcnt lgkmcnt(0)
	s_barrier
	s_waitcnt lgkmcnt(0)
                                        ; implicit-def: $vgpr94
	s_and_saveexec_b64 s[90:91], s[24:25]
	s_cbranch_execz .LBB121_78
; %bb.77:                               ;   in Loop: Header=BB121_56 Depth=2
	ds_read_b64 v[94:95], v102 offset:8440
	s_waitcnt lgkmcnt(0)
	v_mul_f32_e32 v89, v92, v94
	v_fmac_f32_e32 v86, v92, v95
	v_mov_b32_e32 v92, v89
.LBB121_78:                             ;   in Loop: Header=BB121_56 Depth=2
	s_or_b64 exec, exec, s[90:91]
	ds_bpermute_b32 v89, v104, v92
	ds_bpermute_b32 v86, v104, v86
	s_waitcnt vmcnt(0)
	v_mov_b32_e32 v93, v77
	s_and_saveexec_b64 s[90:91], s[22:23]
	s_cbranch_execz .LBB121_82
; %bb.79:                               ;   in Loop: Header=BB121_56 Depth=2
	ds_read_b64 v[92:93], v41 offset:8456
	s_and_saveexec_b64 vcc, s[26:27]
	s_cbranch_execz .LBB121_81
; %bb.80:                               ;   in Loop: Header=BB121_56 Depth=2
	ds_write_b64 v41, v[76:77] offset:8456
.LBB121_81:                             ;   in Loop: Header=BB121_56 Depth=2
	s_or_b64 exec, exec, vcc
	s_waitcnt lgkmcnt(0)
	v_fmac_f32_e32 v93, v77, v92
	v_mul_f32_e32 v76, v76, v92
	v_mov_b32_e32 v77, v93
.LBB121_82:                             ;   in Loop: Header=BB121_56 Depth=2
	s_or_b64 exec, exec, s[90:91]
	s_waitcnt lgkmcnt(0)
	s_barrier
	ds_read_b32 v92, v41 offset:8460
	s_and_saveexec_b64 s[90:91], s[26:27]
	s_cbranch_execz .LBB121_55
; %bb.83:                               ;   in Loop: Header=BB121_56 Depth=2
	v_mov_b32_e32 v164, s66
	s_andn2_b64 vcc, exec, s[96:97]
	ds_write_b64 v164, v[76:77]
	s_cbranch_vccnz .LBB121_55
; %bb.84:                               ;   in Loop: Header=BB121_56 Depth=2
	s_mov_b32 s87, s93
	s_lshl_b64 s[82:83], s[86:87], 2
	s_add_u32 s82, s1, s82
	s_addc_u32 s83, s73, s83
	global_store_dword v41, v93, s[82:83]
	s_branch .LBB121_55
.LBB121_85:                             ;   in Loop: Header=BB121_13 Depth=1
	s_mov_b32 s34, 0x3fb8aa3b
	s_mov_b32 s35, 0xc2ce8ed0
	;; [unrolled: 1-line block ×7, first 2 shown]
.LBB121_86:                             ;   in Loop: Header=BB121_13 Depth=1
	v_cvt_f16_f32_e32 v24, v66
	v_cvt_f16_f32_e32 v28, v67
	;; [unrolled: 1-line block ×16, first 2 shown]
	v_pack_b32_f16 v27, v27, v31
	v_pack_b32_f16 v26, v26, v30
	;; [unrolled: 1-line block ×4, first 2 shown]
	s_barrier
	ds_write_b128 v98, v[24:27]
	v_pack_b32_f16 v27, v38, v39
	v_pack_b32_f16 v26, v36, v37
	;; [unrolled: 1-line block ×4, first 2 shown]
	ds_write_b128 v98, v[24:27] offset:16
	; wave barrier
	ds_read_b128 v[24:27], v96
	ds_read_b128 v[28:31], v97 offset:1024
	s_mov_b32 s85, s93
	s_lshl_b64 s[2:3], s[84:85], 1
	v_lshl_add_u64 v[32:33], v[42:43], 0, s[2:3]
	s_waitcnt lgkmcnt(1)
	v_lshrrev_b32_e32 v36, 16, v27
	global_store_short v[32:33], v24, off
	v_alignbit_b32 v34, v25, v24, 16
	v_alignbit_b32 v24, v27, v26, 16
	;; [unrolled: 1-line block ×3, first 2 shown]
	global_store_short v[32:33], v36, off offset:14
	global_store_dword v[32:33], v24, off offset:10
	global_store_dwordx2 v[32:33], v[34:35], off offset:2
	s_waitcnt lgkmcnt(0)
	global_store_dwordx4 v[32:33], v[28:31], off offset:1024
	v_lshl_add_u64 v[24:25], v[44:45], 0, s[2:3]
	s_barrier
	s_mov_b64 s[2:3], exec
	v_readlane_b32 s30, v166, 8
	v_readlane_b32 s31, v166, 9
	s_and_b64 s[30:31], s[2:3], s[30:31]
	s_mov_b64 exec, s[30:31]
	s_cbranch_execz .LBB121_88
; %bb.87:                               ;   in Loop: Header=BB121_13 Depth=1
	global_load_dwordx4 v[8:11], v[24:25], off
.LBB121_88:                             ;   in Loop: Header=BB121_13 Depth=1
	s_or_b64 exec, exec, s[2:3]
	s_mov_b64 s[2:3], exec
	v_readlane_b32 s30, v166, 10
	v_readlane_b32 s31, v166, 11
	s_and_b64 s[30:31], s[2:3], s[30:31]
	s_mov_b64 exec, s[30:31]
	s_cbranch_execz .LBB121_12
; %bb.89:                               ;   in Loop: Header=BB121_13 Depth=1
	global_load_dwordx4 v[0:3], v[24:25], off offset:1024
	s_branch .LBB121_12
.LBB121_90:
	s_endpgm
	.section	.rodata,"a",@progbits
	.p2align	6, 0x0
	.amdhsa_kernel _Z25selective_scan_fwd_kernelI32Selective_Scan_fwd_kernel_traitsILi128ELi16ELi1ELb1ELb1ELb1ELb1ELb0EN3c104HalfEffEEv13SSMParamsBase
		.amdhsa_group_segment_fixed_size 0
		.amdhsa_private_segment_fixed_size 0
		.amdhsa_kernarg_size 248
		.amdhsa_user_sgpr_count 2
		.amdhsa_user_sgpr_dispatch_ptr 0
		.amdhsa_user_sgpr_queue_ptr 0
		.amdhsa_user_sgpr_kernarg_segment_ptr 1
		.amdhsa_user_sgpr_dispatch_id 0
		.amdhsa_user_sgpr_kernarg_preload_length 0
		.amdhsa_user_sgpr_kernarg_preload_offset 0
		.amdhsa_user_sgpr_private_segment_size 0
		.amdhsa_uses_dynamic_stack 0
		.amdhsa_enable_private_segment 0
		.amdhsa_system_sgpr_workgroup_id_x 1
		.amdhsa_system_sgpr_workgroup_id_y 1
		.amdhsa_system_sgpr_workgroup_id_z 0
		.amdhsa_system_sgpr_workgroup_info 0
		.amdhsa_system_vgpr_workitem_id 0
		.amdhsa_next_free_vgpr 167
		.amdhsa_next_free_sgpr 100
		.amdhsa_accum_offset 168
		.amdhsa_reserve_vcc 1
		.amdhsa_float_round_mode_32 0
		.amdhsa_float_round_mode_16_64 0
		.amdhsa_float_denorm_mode_32 3
		.amdhsa_float_denorm_mode_16_64 3
		.amdhsa_dx10_clamp 1
		.amdhsa_ieee_mode 1
		.amdhsa_fp16_overflow 0
		.amdhsa_tg_split 0
		.amdhsa_exception_fp_ieee_invalid_op 0
		.amdhsa_exception_fp_denorm_src 0
		.amdhsa_exception_fp_ieee_div_zero 0
		.amdhsa_exception_fp_ieee_overflow 0
		.amdhsa_exception_fp_ieee_underflow 0
		.amdhsa_exception_fp_ieee_inexact 0
		.amdhsa_exception_int_div_zero 0
	.end_amdhsa_kernel
	.section	.text._Z25selective_scan_fwd_kernelI32Selective_Scan_fwd_kernel_traitsILi128ELi16ELi1ELb1ELb1ELb1ELb1ELb0EN3c104HalfEffEEv13SSMParamsBase,"axG",@progbits,_Z25selective_scan_fwd_kernelI32Selective_Scan_fwd_kernel_traitsILi128ELi16ELi1ELb1ELb1ELb1ELb1ELb0EN3c104HalfEffEEv13SSMParamsBase,comdat
.Lfunc_end121:
	.size	_Z25selective_scan_fwd_kernelI32Selective_Scan_fwd_kernel_traitsILi128ELi16ELi1ELb1ELb1ELb1ELb1ELb0EN3c104HalfEffEEv13SSMParamsBase, .Lfunc_end121-_Z25selective_scan_fwd_kernelI32Selective_Scan_fwd_kernel_traitsILi128ELi16ELi1ELb1ELb1ELb1ELb1ELb0EN3c104HalfEffEEv13SSMParamsBase
                                        ; -- End function
	.section	.AMDGPU.csdata,"",@progbits
; Kernel info:
; codeLenInByte = 19160
; NumSgprs: 106
; NumVgprs: 167
; NumAgprs: 0
; TotalNumVgprs: 167
; ScratchSize: 0
; MemoryBound: 1
; FloatMode: 240
; IeeeMode: 1
; LDSByteSize: 0 bytes/workgroup (compile time only)
; SGPRBlocks: 13
; VGPRBlocks: 20
; NumSGPRsForWavesPerEU: 106
; NumVGPRsForWavesPerEU: 167
; AccumOffset: 168
; Occupancy: 3
; WaveLimiterHint : 1
; COMPUTE_PGM_RSRC2:SCRATCH_EN: 0
; COMPUTE_PGM_RSRC2:USER_SGPR: 2
; COMPUTE_PGM_RSRC2:TRAP_HANDLER: 0
; COMPUTE_PGM_RSRC2:TGID_X_EN: 1
; COMPUTE_PGM_RSRC2:TGID_Y_EN: 1
; COMPUTE_PGM_RSRC2:TGID_Z_EN: 0
; COMPUTE_PGM_RSRC2:TIDIG_COMP_CNT: 0
; COMPUTE_PGM_RSRC3_GFX90A:ACCUM_OFFSET: 41
; COMPUTE_PGM_RSRC3_GFX90A:TG_SPLIT: 0
	.section	.text._Z25selective_scan_fwd_kernelI32Selective_Scan_fwd_kernel_traitsILi128ELi16ELi1ELb1ELb1ELb1ELb0ELb1EN3c104HalfEffEEv13SSMParamsBase,"axG",@progbits,_Z25selective_scan_fwd_kernelI32Selective_Scan_fwd_kernel_traitsILi128ELi16ELi1ELb1ELb1ELb1ELb0ELb1EN3c104HalfEffEEv13SSMParamsBase,comdat
	.protected	_Z25selective_scan_fwd_kernelI32Selective_Scan_fwd_kernel_traitsILi128ELi16ELi1ELb1ELb1ELb1ELb0ELb1EN3c104HalfEffEEv13SSMParamsBase ; -- Begin function _Z25selective_scan_fwd_kernelI32Selective_Scan_fwd_kernel_traitsILi128ELi16ELi1ELb1ELb1ELb1ELb0ELb1EN3c104HalfEffEEv13SSMParamsBase
	.globl	_Z25selective_scan_fwd_kernelI32Selective_Scan_fwd_kernel_traitsILi128ELi16ELi1ELb1ELb1ELb1ELb0ELb1EN3c104HalfEffEEv13SSMParamsBase
	.p2align	8
	.type	_Z25selective_scan_fwd_kernelI32Selective_Scan_fwd_kernel_traitsILi128ELi16ELi1ELb1ELb1ELb1ELb0ELb1EN3c104HalfEffEEv13SSMParamsBase,@function
_Z25selective_scan_fwd_kernelI32Selective_Scan_fwd_kernel_traitsILi128ELi16ELi1ELb1ELb1ELb1ELb0ELb1EN3c104HalfEffEEv13SSMParamsBase: ; @_Z25selective_scan_fwd_kernelI32Selective_Scan_fwd_kernel_traitsILi128ELi16ELi1ELb1ELb1ELb1ELb0ELb1EN3c104HalfEffEEv13SSMParamsBase
; %bb.0:
	s_load_dword s29, s[0:1], 0x18
	s_load_dwordx4 s[4:7], s[0:1], 0xe0
	s_load_dwordx2 s[10:11], s[0:1], 0xf0
	s_mov_b32 s24, s3
	s_ashr_i32 s3, s2, 31
	s_waitcnt lgkmcnt(0)
	s_abs_i32 s28, s29
	v_cvt_f32_u32_e32 v1, s28
	s_lshl_b64 s[8:9], s[2:3], 2
	s_add_u32 s26, s4, s8
	s_addc_u32 s27, s5, s9
	v_rcp_iflag_f32_e32 v1, v1
	s_cmp_eq_u64 s[10:11], 0
                                        ; implicit-def: $vgpr167 : SGPR spill to VGPR lane
	v_mul_f32_e32 v1, 0x4f7ffffe, v1
	v_cvt_u32_f32_e32 v1, v1
	s_nop 0
	v_readfirstlane_b32 s30, v1
	s_cbranch_scc1 .LBB122_2
; %bb.1:
	s_add_u32 s4, s10, s2
	s_addc_u32 s5, s11, s3
	v_mov_b32_e32 v1, 0
	global_load_ubyte v1, v1, s[4:5]
	s_waitcnt vmcnt(0)
	v_and_b32_e32 v1, 1, v1
	v_cmp_eq_u32_e64 s[4:5], 1, v1
	s_branch .LBB122_3
.LBB122_2:
	s_mov_b64 s[4:5], 0
.LBB122_3:
	s_nop 0
	v_writelane_b32 v167, s4, 0
	s_cmp_eq_u64 s[6:7], 0
	s_nop 0
	v_writelane_b32 v167, s5, 1
	s_load_dwordx2 s[4:5], s[0:1], 0x20
	s_cbranch_scc1 .LBB122_5
; %bb.4:
	s_add_u32 s2, s6, s8
	s_addc_u32 s3, s7, s9
	s_load_dword s2, s[2:3], 0x0
	s_waitcnt lgkmcnt(0)
	s_ashr_i32 s3, s2, 31
.LBB122_5:
	s_waitcnt lgkmcnt(0)
	s_cmp_eq_u64 s[4:5], s[2:3]
	s_cbranch_scc1 .LBB122_238
; %bb.6:
	s_load_dwordx16 s[36:51], s[0:1], 0x88
	s_load_dwordx2 s[4:5], s[26:27], 0x0
	s_mov_b32 s3, 0
	v_writelane_b32 v167, s3, 2
	v_writelane_b32 v167, s3, 3
	s_waitcnt lgkmcnt(0)
	s_cmp_eq_u64 s[42:43], 0
	s_cbranch_scc1 .LBB122_8
; %bb.7:
	s_ashr_i32 s25, s24, 31
	s_lshl_b64 s[6:7], s[24:25], 2
	s_add_u32 s6, s42, s6
	s_addc_u32 s7, s43, s7
	s_load_dword s3, s[6:7], 0x0
	s_waitcnt lgkmcnt(0)
	v_writelane_b32 v167, s3, 3
.LBB122_8:
	s_cmp_eq_u64 s[48:49], 0
	s_cbranch_scc1 .LBB122_10
; %bb.9:
	s_ashr_i32 s25, s24, 31
	s_lshl_b64 s[6:7], s[24:25], 2
	s_add_u32 s6, s48, s6
	s_addc_u32 s7, s49, s7
	s_load_dword s3, s[6:7], 0x0
	s_waitcnt lgkmcnt(0)
	v_writelane_b32 v167, s3, 2
.LBB122_10:
	s_sub_i32 s31, s5, s4
	s_cmp_lt_i32 s31, 1
	s_cbranch_scc1 .LBB122_238
; %bb.11:
	s_sub_i32 s3, 0, s28
	s_mul_i32 s3, s3, s30
	s_mul_hi_u32 s3, s30, s3
	s_load_dwordx8 s[8:15], s[0:1], 0x2c
	s_load_dwordx2 s[20:21], s[0:1], 0x5c
	s_load_dwordx4 s[52:55], s[0:1], 0x4c
	s_abs_i32 s5, s24
	s_add_i32 s30, s30, s3
	s_load_dwordx4 s[56:59], s[0:1], 0x7c
	s_load_dwordx2 s[18:19], s[0:1], 0x6c
	s_load_dwordx2 s[26:27], s[0:1], 0xc8
	s_mul_hi_u32 s3, s5, s30
	s_waitcnt lgkmcnt(0)
	s_load_dword s11, s[0:1], 0xc
	s_load_dword s25, s[0:1], 0x28
	s_ashr_i32 s0, s24, 31
	s_ashr_i32 s1, s29, 31
	s_xor_b32 s0, s0, s1
	s_mul_i32 s1, s3, s28
	s_sub_i32 s1, s5, s1
	s_add_i32 s5, s3, 1
	s_sub_i32 s6, s1, s28
	s_cmp_ge_u32 s1, s28
	s_cselect_b32 s3, s5, s3
	s_cselect_b32 s1, s6, s1
	s_add_i32 s5, s3, 1
	s_cmp_ge_u32 s1, s28
	s_cselect_b32 s1, s5, s3
	s_xor_b32 s1, s1, s0
	s_mul_i32 s6, s4, s54
	s_mov_b32 s7, 0
	s_sub_i32 s3, s1, s0
	s_lshl_b64 s[0:1], s[6:7], 1
	s_add_u32 s5, s44, s0
	s_mul_i32 s6, s55, s24
	s_addc_u32 s16, s45, s1
	s_lshl_b64 s[0:1], s[6:7], 1
	s_add_u32 s22, s5, s0
	s_mul_i32 s6, s4, s20
	s_addc_u32 s23, s16, s1
	;; [unrolled: 4-line block ×3, first 2 shown]
	s_lshl_b64 s[0:1], s[6:7], 1
	s_add_u32 s0, s5, s0
	s_addc_u32 s1, s16, s1
	v_writelane_b32 v167, s0, 4
	s_mul_i32 s6, s8, s24
	v_mbcnt_lo_u32_b32 v1, -1, 0
	v_writelane_b32 v167, s1, 5
	s_lshl_b64 s[0:1], s[6:7], 2
	s_add_u32 s0, s36, s0
	v_writelane_b32 v167, s0, 6
	s_addc_u32 s0, s37, s1
	s_mul_i32 s6, s4, s10
	v_writelane_b32 v167, s0, 7
	s_lshl_b64 s[0:1], s[6:7], 1
	s_add_u32 s5, s38, s0
	s_mul_i32 s6, s3, s13
	s_addc_u32 s8, s39, s1
	s_lshl_b64 s[0:1], s[6:7], 1
	s_add_u32 s0, s5, s0
	s_addc_u32 s1, s8, s1
	v_writelane_b32 v167, s0, 8
	v_lshlrev_b32_e32 v19, 4, v0
	v_mbcnt_hi_u32_b32 v18, -1, v1
	v_writelane_b32 v167, s1, 9
	s_waitcnt lgkmcnt(0)
	v_writelane_b32 v167, s8, 10
	s_mul_i32 s6, s4, s14
	s_lshl_b64 s[0:1], s[6:7], 1
	v_writelane_b32 v167, s9, 11
	v_writelane_b32 v167, s10, 12
	;; [unrolled: 1-line block ×7, first 2 shown]
	s_add_u32 s5, s40, s0
	v_writelane_b32 v167, s52, 18
	s_mul_i32 s6, s3, s53
	s_addc_u32 s8, s41, s1
	v_writelane_b32 v167, s53, 19
	s_lshl_b64 s[0:1], s[6:7], 1
	v_writelane_b32 v167, s54, 20
	s_add_u32 s0, s5, s0
	v_writelane_b32 v167, s55, 21
	s_addc_u32 s1, s8, s1
	v_writelane_b32 v167, s0, 22
	s_mul_i32 s6, s2, s56
	v_and_b32_e32 v2, 0x400, v19
	v_writelane_b32 v167, s1, 23
	s_lshl_b64 s[0:1], s[6:7], 2
	v_writelane_b32 v167, s56, 24
	s_add_u32 s2, s26, s0
	s_mul_i32 s6, s57, s24
	v_writelane_b32 v167, s57, 25
	s_addc_u32 s3, s27, s1
	v_writelane_b32 v167, s58, 26
	s_lshl_b64 s[0:1], s[6:7], 2
	v_writelane_b32 v167, s59, 27
	s_add_u32 s0, s2, s0
	v_writelane_b32 v167, s0, 28
	s_addc_u32 s0, s3, s1
	v_writelane_b32 v167, s0, 29
	s_add_i32 s0, s31, 0x7ff
	s_lshr_b32 s1, s0, 11
	s_bitcmp1_b32 s25, 0
	v_or_b32_e32 v68, v18, v2
	s_cselect_b64 s[2:3], -1, 0
	v_lshrrev_b32_e32 v1, 5, v68
	v_writelane_b32 v167, s2, 30
	v_and_b32_e32 v1, 34, v1
	v_and_b32_e32 v20, 64, v0
	v_writelane_b32 v167, s3, 31
	s_cmp_gt_i32 s11, 0
	v_add_u32_e32 v69, 64, v68
	v_or_b32_e32 v70, 0x80, v68
	v_add_u32_e32 v71, 0xc0, v68
	v_or_b32_e32 v72, 0x100, v68
	;; [unrolled: 2-line block ×7, first 2 shown]
	v_add_u32_e32 v83, 0x3c0, v68
	v_add_u32_e32 v1, v1, v68
	v_add_u16_e32 v22, v18, v20
	v_writelane_b32 v167, s11, 32
	s_cselect_b64 s[2:3], -1, 0
	v_lshl_add_u32 v84, v1, 1, 0
	v_lshrrev_b32_e32 v1, 5, v69
	v_lshrrev_b32_e32 v3, 5, v70
	;; [unrolled: 1-line block ×15, first 2 shown]
	v_lshrrev_b16_e32 v22, 1, v22
	v_writelane_b32 v167, s2, 33
	v_and_b32_e32 v1, 38, v1
	v_and_b32_e32 v3, 38, v3
	;; [unrolled: 1-line block ×15, first 2 shown]
	v_add_lshl_u32 v21, v18, v20, 4
	v_and_b32_e32 v22, 0x7e, v22
	v_writelane_b32 v167, s3, 34
	v_add_lshl_u32 v1, v1, v68, 1
	v_add_lshl_u32 v3, v3, v68, 1
	;; [unrolled: 1-line block ×16, first 2 shown]
	s_add_i32 s0, 0, 0x1080
	v_writelane_b32 v167, s31, 35
	v_add_u32_e32 v101, s0, v1
	v_add_u32_e32 v102, s0, v3
	v_add_u32_e32 v103, s0, v4
	v_add_u32_e32 v104, s0, v5
	v_add_u32_e32 v105, s0, v6
	v_add_u32_e32 v106, s0, v7
	v_add_u32_e32 v107, s0, v8
	v_add_u32_e32 v108, s0, v9
	v_add_u32_e32 v109, s0, v10
	v_add_u32_e32 v110, s0, v11
	v_add_u32_e32 v111, s0, v12
	v_add_u32_e32 v112, s0, v13
	v_add_u32_e32 v113, s0, v14
	v_add_u32_e32 v114, s0, v15
	v_add_u32_e32 v115, s0, v16
	v_add_u32_e32 v116, s0, v21
	v_writelane_b32 v167, s1, 36
	s_add_i32 s0, s1, -1
	s_mul_i32 s6, s4, s18
	s_and_b32 s5, s31, 0x7ff
	v_writelane_b32 v167, s0, 37
	s_lshl_b64 s[0:1], s[6:7], 1
	s_add_u32 s2, s50, s0
	s_mul_i32 s6, s19, s24
	s_addc_u32 s3, s51, s1
	s_lshl_b64 s[0:1], s[6:7], 1
	s_add_u32 s2, s2, s0
	s_addc_u32 s3, s3, s1
	s_cmp_eq_u32 s5, 0
	s_cselect_b64 s[0:1], -1, 0
	v_add_u32_e32 v85, 0, v1
	v_writelane_b32 v167, s0, 38
	v_and_b32_e32 v1, 15, v18
	v_cmp_lt_u32_e64 s[4:5], 1, v1
	v_writelane_b32 v167, s1, 39
	v_cmp_eq_u32_e64 s[0:1], 0, v1
	v_writelane_b32 v167, s4, 40
	v_add_u32_e32 v86, 0, v3
	v_and_b32_e32 v3, 64, v18
	v_writelane_b32 v167, s5, 41
	v_cmp_lt_u32_e64 s[4:5], 3, v1
	v_mov_b32_e32 v17, 0
	v_add_u32_e32 v99, 0, v16
	v_writelane_b32 v167, s4, 42
	v_lshlrev_b32_e32 v16, 1, v18
	s_mov_b64 s[8:9], s[22:23]
	v_writelane_b32 v167, s5, 43
	v_cmp_lt_u32_e64 s[4:5], 7, v1
	v_and_b32_e32 v1, 16, v18
	v_lshl_add_u32 v118, v0, 3, 0
	v_writelane_b32 v167, s4, 44
	v_cmp_lt_u32_e64 s[20:21], 63, v0
	v_cmp_eq_u32_e64 s[22:23], 0, v0
	v_writelane_b32 v167, s5, 45
	v_cmp_ne_u32_e64 s[4:5], 0, v1
	v_or_b32_e32 v1, 63, v20
	v_add_u32_e32 v87, 0, v4
	v_writelane_b32 v167, s4, 46
	v_add_u32_e32 v88, 0, v5
	v_add_u32_e32 v89, 0, v6
	v_writelane_b32 v167, s5, 47
	v_cmp_lt_u32_e64 s[4:5], 31, v18
	v_add_u32_e32 v90, 0, v7
	v_add_u32_e32 v91, 0, v8
	v_writelane_b32 v167, s4, 48
	v_add_u32_e32 v92, 0, v9
	v_add_u32_e32 v93, 0, v10
	v_writelane_b32 v167, s5, 49
	v_cmp_eq_u32_e64 s[4:5], v1, v0
	v_lshrrev_b32_e32 v1, 3, v0
	v_and_b32_e32 v1, 8, v1
	v_writelane_b32 v167, s4, 50
	v_add_u32_e32 v117, 0, v1
	v_and_b32_e32 v1, 1, v18
	v_writelane_b32 v167, s5, 51
	v_cmp_gt_u32_e64 s[4:5], 2, v0
	v_add_u32_e32 v94, 0, v11
	v_add_u32_e32 v95, 0, v12
	v_writelane_b32 v167, s4, 52
	v_add_u32_e32 v96, 0, v13
	v_add_u32_e32 v97, 0, v14
	v_writelane_b32 v167, s5, 53
	v_cmp_eq_u32_e64 s[4:5], 0, v1
	v_add_u32_e32 v1, -1, v18
	v_cmp_lt_i32_e32 vcc, v1, v3
	v_writelane_b32 v167, s4, 54
	v_add_u32_e32 v98, 0, v15
	v_cndmask_b32_e32 v1, v1, v18, vcc
	v_writelane_b32 v167, s5, 55
	v_cmp_gt_u32_e64 s[4:5], 64, v0
	v_lshlrev_b32_e32 v119, 2, v1
	v_lshl_add_u64 v[0:1], s[2:3], 0, v[16:17]
	v_writelane_b32 v167, s4, 56
	v_lshlrev_b32_e32 v16, 1, v2
	s_add_i32 s2, 0, 0x2110
	v_writelane_b32 v167, s5, 57
	v_add_u32_e32 v100, 0, v21
	v_cmp_eq_u32_e64 s[24:25], 0, v18
	v_lshl_add_u64 v[20:21], v[0:1], 0, v[16:17]
	v_lshlrev_b32_e32 v22, 1, v2
	s_mov_b32 s6, 0x41a00000
	s_mov_b32 s10, 0x3fb8aa3b
	;; [unrolled: 1-line block ×8, first 2 shown]
	v_writelane_b32 v167, s2, 58
	s_mov_b32 s33, 0xc2fc0000
	s_mov_b32 s3, 0
	v_or_b32_e32 v134, 15, v19
	v_mov_b32_e32 v135, 0x3ecc95a3
	v_mov_b32_e32 v136, 0x7f800000
	;; [unrolled: 1-line block ×5, first 2 shown]
                                        ; implicit-def: $vgpr0
	s_branch .LBB122_13
.LBB122_12:                             ;   in Loop: Header=BB122_13 Depth=1
	s_or_b64 exec, exec, s[2:3]
	v_readlane_b32 s2, v167, 4
	v_readlane_b32 s3, v167, 5
	s_add_u32 s2, s2, 0x1000
	s_addc_u32 s3, s3, 0
	v_writelane_b32 v167, s2, 4
	s_add_u32 s8, s8, 0x1000
	s_addc_u32 s9, s9, 0
	v_writelane_b32 v167, s3, 5
	s_nop 0
	v_readlane_b32 s2, v167, 8
	v_readlane_b32 s3, v167, 9
	s_add_u32 s2, s2, 0x1000
	s_addc_u32 s3, s3, 0
	v_writelane_b32 v167, s2, 8
	s_nop 1
	v_writelane_b32 v167, s3, 9
	s_nop 0
	v_readlane_b32 s2, v167, 22
	v_readlane_b32 s3, v167, 23
	s_add_u32 s2, s2, 0x1000
	s_addc_u32 s3, s3, 0
	v_writelane_b32 v167, s2, 22
	s_nop 1
	v_writelane_b32 v167, s3, 23
	s_nop 0
	v_readlane_b32 s3, v167, 59
	s_add_i32 s3, s3, 1
	v_readlane_b32 s2, v167, 36
	s_cmp_eq_u32 s3, s2
	s_cbranch_scc1 .LBB122_238
.LBB122_13:                             ; =>This Loop Header: Depth=1
                                        ;     Child Loop BB122_110 Depth 2
	s_lshl_b32 s18, s3, 11
	v_writelane_b32 v167, s3, 59
	s_mov_b32 s4, s18
	v_readlane_b32 s2, v167, 35
	v_writelane_b32 v167, s4, 60
	s_waitcnt lgkmcnt(14)
	v_lshlrev_b32_e32 v16, 1, v18
	s_sub_i32 s88, s2, s18
	v_writelane_b32 v167, s5, 61
	v_writelane_b32 v167, s8, 62
	v_mov_b32_e32 v23, v17
	v_cmp_gt_u32_e64 s[26:27], s88, v68
	v_lshl_add_u64 v[0:1], s[8:9], 0, v[16:17]
	v_writelane_b32 v167, s9, 63
	v_lshl_add_u64 v[0:1], v[0:1], 0, v[22:23]
	s_waitcnt lgkmcnt(0)
	v_mov_b32_e32 v2, 0
	s_barrier
	s_and_saveexec_b64 s[2:3], s[26:27]
	s_cbranch_execz .LBB122_15
; %bb.14:                               ;   in Loop: Header=BB122_13 Depth=1
	global_load_ushort v2, v[0:1], off
.LBB122_15:                             ;   in Loop: Header=BB122_13 Depth=1
	s_or_b64 exec, exec, s[2:3]
	v_cmp_gt_u32_e64 s[28:29], s88, v69
	v_mov_b32_e32 v3, 0
	v_mov_b32_e32 v4, 0
	s_and_saveexec_b64 s[2:3], s[28:29]
	s_cbranch_execz .LBB122_17
; %bb.16:                               ;   in Loop: Header=BB122_13 Depth=1
	global_load_ushort v4, v[0:1], off offset:128
.LBB122_17:                             ;   in Loop: Header=BB122_13 Depth=1
	s_or_b64 exec, exec, s[2:3]
	v_cmp_gt_u32_e64 s[30:31], s88, v70
	s_and_saveexec_b64 s[2:3], s[30:31]
	s_cbranch_execz .LBB122_19
; %bb.18:                               ;   in Loop: Header=BB122_13 Depth=1
	global_load_ushort v3, v[0:1], off offset:256
.LBB122_19:                             ;   in Loop: Header=BB122_13 Depth=1
	s_or_b64 exec, exec, s[2:3]
	v_cmp_gt_u32_e64 s[34:35], s88, v71
	v_mov_b32_e32 v5, 0
	v_mov_b32_e32 v6, 0
	s_and_saveexec_b64 s[2:3], s[34:35]
	s_cbranch_execz .LBB122_21
; %bb.20:                               ;   in Loop: Header=BB122_13 Depth=1
	global_load_ushort v6, v[0:1], off offset:384
.LBB122_21:                             ;   in Loop: Header=BB122_13 Depth=1
	s_or_b64 exec, exec, s[2:3]
	v_cmp_gt_u32_e64 s[36:37], s88, v72
	s_and_saveexec_b64 s[2:3], s[36:37]
	s_cbranch_execz .LBB122_23
; %bb.22:                               ;   in Loop: Header=BB122_13 Depth=1
	global_load_ushort v5, v[0:1], off offset:512
.LBB122_23:                             ;   in Loop: Header=BB122_13 Depth=1
	;; [unrolled: 16-line block ×7, first 2 shown]
	s_or_b64 exec, exec, s[2:3]
	v_cmp_gt_u32_e64 s[58:59], s88, v83
	v_mov_b32_e32 v10, 0
	v_mov_b32_e32 v26, 0
	s_and_saveexec_b64 s[2:3], s[58:59]
	s_cbranch_execz .LBB122_45
; %bb.44:                               ;   in Loop: Header=BB122_13 Depth=1
	global_load_ushort v26, v[0:1], off offset:1920
.LBB122_45:                             ;   in Loop: Header=BB122_13 Depth=1
	s_or_b64 exec, exec, s[2:3]
	s_waitcnt vmcnt(0)
	ds_write_b16 v84, v2
	ds_write_b16 v85, v4 offset:128
	ds_write_b16 v86, v3 offset:256
	ds_write_b16 v87, v6 offset:384
	ds_write_b16 v88, v5 offset:512
	ds_write_b16 v89, v8 offset:640
	ds_write_b16 v90, v7 offset:768
	ds_write_b16 v91, v11 offset:896
	ds_write_b16 v92, v9 offset:1024
	ds_write_b16 v93, v13 offset:1152
	ds_write_b16 v94, v12 offset:1280
	ds_write_b16 v95, v15 offset:1408
	ds_write_b16 v96, v14 offset:1536
	ds_write_b16 v97, v25 offset:1664
	ds_write_b16 v98, v23 offset:1792
	ds_write_b16 v99, v26 offset:1920
	; wave barrier
	ds_read_b128 v[0:3], v100
	ds_read_b128 v[4:7], v100 offset:16
	v_readlane_b32 s2, v167, 4
	v_readlane_b32 s3, v167, 5
	v_mov_b32_e32 v23, v17
	s_waitcnt lgkmcnt(0)
	v_lshl_add_u64 v[8:9], s[2:3], 0, v[16:17]
	v_lshl_add_u64 v[8:9], v[8:9], 0, v[22:23]
	s_barrier
	s_and_saveexec_b64 s[2:3], s[26:27]
	s_cbranch_execz .LBB122_47
; %bb.46:                               ;   in Loop: Header=BB122_13 Depth=1
	global_load_ushort v10, v[8:9], off
.LBB122_47:                             ;   in Loop: Header=BB122_13 Depth=1
	s_or_b64 exec, exec, s[2:3]
	v_mov_b32_e32 v11, 0
	v_mov_b32_e32 v12, 0
	s_and_saveexec_b64 s[2:3], s[28:29]
	s_cbranch_execz .LBB122_49
; %bb.48:                               ;   in Loop: Header=BB122_13 Depth=1
	global_load_ushort v12, v[8:9], off offset:128
.LBB122_49:                             ;   in Loop: Header=BB122_13 Depth=1
	s_or_b64 exec, exec, s[2:3]
	s_and_saveexec_b64 s[2:3], s[30:31]
	s_cbranch_execz .LBB122_51
; %bb.50:                               ;   in Loop: Header=BB122_13 Depth=1
	global_load_ushort v11, v[8:9], off offset:256
.LBB122_51:                             ;   in Loop: Header=BB122_13 Depth=1
	s_or_b64 exec, exec, s[2:3]
	v_mov_b32_e32 v13, 0
	v_mov_b32_e32 v14, 0
	s_and_saveexec_b64 s[2:3], s[34:35]
	s_cbranch_execz .LBB122_53
; %bb.52:                               ;   in Loop: Header=BB122_13 Depth=1
	global_load_ushort v14, v[8:9], off offset:384
.LBB122_53:                             ;   in Loop: Header=BB122_13 Depth=1
	s_or_b64 exec, exec, s[2:3]
	s_and_saveexec_b64 s[2:3], s[36:37]
	s_cbranch_execz .LBB122_55
; %bb.54:                               ;   in Loop: Header=BB122_13 Depth=1
	global_load_ushort v13, v[8:9], off offset:512
.LBB122_55:                             ;   in Loop: Header=BB122_13 Depth=1
	;; [unrolled: 14-line block ×6, first 2 shown]
	s_or_b64 exec, exec, s[2:3]
	v_mov_b32_e32 v31, 0
	v_mov_b32_e32 v32, 0
	s_and_saveexec_b64 s[2:3], s[54:55]
	s_cbranch_execnz .LBB122_221
; %bb.72:                               ;   in Loop: Header=BB122_13 Depth=1
	s_or_b64 exec, exec, s[2:3]
	s_and_saveexec_b64 s[2:3], s[56:57]
	s_cbranch_execnz .LBB122_222
.LBB122_73:                             ;   in Loop: Header=BB122_13 Depth=1
	s_or_b64 exec, exec, s[2:3]
	v_mov_b32_e32 v33, 0
	s_and_saveexec_b64 s[2:3], s[58:59]
	s_cbranch_execz .LBB122_75
.LBB122_74:                             ;   in Loop: Header=BB122_13 Depth=1
	global_load_ushort v33, v[8:9], off offset:1920
.LBB122_75:                             ;   in Loop: Header=BB122_13 Depth=1
	s_or_b64 exec, exec, s[2:3]
	s_waitcnt vmcnt(0)
	ds_write_b16 v84, v10
	ds_write_b16 v85, v12 offset:128
	ds_write_b16 v86, v11 offset:256
	;; [unrolled: 1-line block ×15, first 2 shown]
	; wave barrier
	ds_read_b128 v[12:15], v100
	ds_read_b128 v[8:11], v100 offset:16
	v_readlane_b32 s2, v167, 2
	s_waitcnt lgkmcnt(1)
	v_cvt_f32_f16_e32 v23, v12
	v_add_f32_e32 v139, s2, v23
	v_readlane_b32 s2, v167, 30
	v_cmp_ge_f32_e32 vcc, s6, v139
	v_readlane_b32 s3, v167, 31
	s_and_b64 s[2:3], s[2:3], vcc
	s_and_saveexec_b64 s[4:5], s[2:3]
	s_cbranch_execz .LBB122_77
; %bb.76:                               ;   in Loop: Header=BB122_13 Depth=1
	v_mul_f32_e32 v23, 0x3fb8aa3b, v139
	v_rndne_f32_e32 v25, v23
	v_sub_f32_e32 v26, v23, v25
	v_fma_f32 v23, v139, s10, -v23
	v_fmac_f32_e32 v23, 0x32a5705f, v139
	v_add_f32_e32 v23, v26, v23
	v_cvt_i32_f32_e32 v25, v25
	v_exp_f32_e32 v23, v23
	v_cmp_ngt_f32_e32 vcc, s11, v139
	v_ldexp_f32 v23, v23, v25
	s_nop 0
	v_cndmask_b32_e32 v23, 0, v23, vcc
	v_cmp_nlt_f32_e32 vcc, s12, v139
	s_nop 1
	v_cndmask_b32_e32 v42, v136, v23, vcc
	v_add_f32_e32 v23, 1.0, v42
	v_add_f32_e32 v25, -1.0, v23
	v_sub_f32_e32 v26, v25, v23
	v_add_f32_e32 v26, 1.0, v26
	v_sub_f32_e32 v25, v42, v25
	v_add_f32_e32 v25, v25, v26
	v_frexp_mant_f32_e32 v28, v23
	v_cvt_f64_f32_e32 v[26:27], v23
	v_frexp_exp_i32_f64_e32 v26, v[26:27]
	v_cmp_gt_f32_e32 vcc, s14, v28
	v_cmp_gt_f32_e64 s[60:61], s16, v42
	s_nop 0
	v_subbrev_co_u32_e32 v34, vcc, 0, v26, vcc
	v_sub_u32_e32 v26, 0, v34
	v_ldexp_f32 v23, v23, v26
	v_ldexp_f32 v25, v25, v26
	v_add_f32_e32 v26, -1.0, v23
	v_add_f32_e32 v27, 1.0, v26
	v_sub_f32_e32 v27, v23, v27
	v_add_f32_e32 v28, v25, v27
	v_add_f32_e32 v27, 1.0, v23
	v_add_f32_e32 v29, -1.0, v27
	v_sub_f32_e32 v23, v23, v29
	v_add_f32_e32 v23, v25, v23
	v_add_f32_e32 v25, v27, v23
	v_rcp_f32_e32 v35, v25
	v_sub_f32_e32 v27, v27, v25
	v_add_f32_e32 v23, v23, v27
	v_add_f32_e32 v27, v26, v28
	v_sub_f32_e32 v26, v26, v27
	v_mul_f32_e32 v37, v27, v35
	v_add_f32_e32 v36, v28, v26
	v_mul_f32_e32 v28, v25, v37
	v_fma_f32 v30, v37, v25, -v28
	v_fmac_f32_e32 v30, v37, v23
	v_add_f32_e32 v26, v28, v30
	v_sub_f32_e32 v29, v27, v26
	v_pk_add_f32 v[32:33], v[26:27], v[28:29] neg_lo:[0,1] neg_hi:[0,1]
	v_mov_b32_e32 v31, v26
	v_pk_add_f32 v[26:27], v[32:33], v[30:31] neg_lo:[0,1] neg_hi:[0,1]
	v_cmp_eq_f32_e32 vcc, s13, v42
	v_add_f32_e32 v27, v36, v27
	v_add_f32_e32 v26, v26, v27
	;; [unrolled: 1-line block ×3, first 2 shown]
	v_mul_f32_e32 v36, v35, v27
	v_mul_f32_e32 v28, v25, v36
	v_fma_f32 v30, v36, v25, -v28
	v_fmac_f32_e32 v30, v36, v23
	v_sub_f32_e32 v23, v29, v27
	v_add_f32_e32 v23, v26, v23
	v_add_f32_e32 v26, v28, v30
	v_sub_f32_e32 v29, v27, v26
	v_pk_add_f32 v[32:33], v[26:27], v[28:29] neg_lo:[0,1] neg_hi:[0,1]
	v_mov_b32_e32 v31, v26
	v_pk_add_f32 v[26:27], v[32:33], v[30:31] neg_lo:[0,1] neg_hi:[0,1]
	s_or_b64 vcc, s[60:61], vcc
	v_add_f32_e32 v23, v23, v27
	v_add_f32_e32 v23, v26, v23
	;; [unrolled: 1-line block ×4, first 2 shown]
	v_sub_f32_e32 v25, v27, v37
	v_mul_f32_e32 v23, v35, v23
	v_sub_f32_e32 v25, v36, v25
	v_add_f32_e32 v23, v25, v23
	v_add_f32_e32 v28, v27, v23
	v_cvt_f32_i32_e32 v26, v34
	v_mul_f32_e32 v30, v28, v28
	v_fmamk_f32 v25, v30, 0x3e9b6dac, v135
	v_sub_f32_e32 v27, v28, v27
	v_fmaak_f32 v25, v30, v25, 0x3f2aaada
	v_sub_f32_e32 v23, v23, v27
	v_mul_f32_e32 v27, v28, v30
	v_pk_mul_f32 v[30:31], v[26:27], v[24:25]
	v_ldexp_f32 v29, v28, 1
	v_fma_f32 v28, v26, s15, -v30
	v_fmac_f32_e32 v28, 0xb102e308, v26
	v_pk_add_f32 v[26:27], v[30:31], v[28:29]
	v_ldexp_f32 v23, v23, 1
	v_sub_f32_e32 v25, v27, v29
	v_sub_f32_e32 v25, v31, v25
	v_add_f32_e32 v33, v23, v25
	v_mov_b32_e32 v32, v30
	v_pk_add_f32 v[30:31], v[26:27], v[30:31] neg_lo:[0,1] neg_hi:[0,1]
	v_pk_add_f32 v[34:35], v[26:27], v[32:33]
	v_mov_b32_e32 v29, v26
	v_mov_b32_e32 v31, v35
	v_pk_add_f32 v[36:37], v[28:29], v[30:31] neg_lo:[0,1] neg_hi:[0,1]
	v_pk_add_f32 v[28:29], v[28:29], v[30:31]
	v_mov_b32_e32 v32, v33
	v_mov_b32_e32 v30, v29
	v_pk_add_f32 v[38:39], v[30:31], v[26:27] neg_lo:[0,1] neg_hi:[0,1]
	v_mov_b32_e32 v28, v35
	v_mov_b32_e32 v23, v38
	v_pk_add_f32 v[40:41], v[34:35], v[22:23] neg_lo:[0,1] neg_hi:[0,1]
	v_mov_b32_e32 v34, v27
	v_mov_b32_e32 v35, v38
	v_mov_b32_e32 v37, v29
	v_pk_add_f32 v[28:29], v[28:29], v[34:35] neg_lo:[0,1] neg_hi:[0,1]
	v_mov_b32_e32 v33, v26
	v_pk_add_f32 v[26:27], v[32:33], v[28:29] neg_lo:[0,1] neg_hi:[0,1]
	v_mov_b32_e32 v40, v36
	v_pk_add_f32 v[28:29], v[40:41], v[26:27]
	s_nop 0
	v_mov_b32_e32 v32, v29
	v_pk_add_f32 v[32:33], v[28:29], v[32:33]
	s_nop 0
	v_pk_add_f32 v[30:31], v[30:31], v[32:33]
	v_mov_b32_e32 v27, v32
	v_mov_b32_e32 v29, v30
	v_pk_add_f32 v[34:35], v[28:29], v[36:37] neg_lo:[0,1] neg_hi:[0,1]
	s_nop 0
	v_sub_f32_e32 v23, v28, v34
	v_pk_add_f32 v[26:27], v[26:27], v[34:35] neg_lo:[0,1] neg_hi:[0,1]
	v_sub_f32_e32 v23, v36, v23
	v_add_f32_e32 v23, v26, v23
	v_add_f32_e32 v23, v23, v27
	;; [unrolled: 1-line block ×3, first 2 shown]
	v_cndmask_b32_e32 v139, v23, v42, vcc
.LBB122_77:                             ;   in Loop: Header=BB122_13 Depth=1
	s_or_b64 exec, exec, s[4:5]
	v_cvt_f32_f16_sdwa v12, v12 dst_sel:DWORD dst_unused:UNUSED_PAD src0_sel:WORD_1
	v_readlane_b32 s2, v167, 2
	s_nop 1
	v_add_f32_e32 v140, s2, v12
	v_readlane_b32 s2, v167, 30
	v_cmp_ge_f32_e32 vcc, s6, v140
	v_readlane_b32 s3, v167, 31
	s_and_b64 s[2:3], s[2:3], vcc
	s_and_saveexec_b64 s[4:5], s[2:3]
	s_cbranch_execz .LBB122_79
; %bb.78:                               ;   in Loop: Header=BB122_13 Depth=1
	v_mul_f32_e32 v12, 0x3fb8aa3b, v140
	v_rndne_f32_e32 v23, v12
	v_sub_f32_e32 v25, v12, v23
	v_fma_f32 v12, v140, s10, -v12
	v_fmac_f32_e32 v12, 0x32a5705f, v140
	v_add_f32_e32 v12, v25, v12
	v_cvt_i32_f32_e32 v23, v23
	v_exp_f32_e32 v12, v12
	v_cmp_ngt_f32_e32 vcc, s11, v140
	v_ldexp_f32 v12, v12, v23
	s_nop 0
	v_cndmask_b32_e32 v12, 0, v12, vcc
	v_cmp_nlt_f32_e32 vcc, s12, v140
	s_nop 1
	v_cndmask_b32_e32 v40, v136, v12, vcc
	v_add_f32_e32 v12, 1.0, v40
	v_add_f32_e32 v23, -1.0, v12
	v_sub_f32_e32 v25, v23, v12
	v_add_f32_e32 v25, 1.0, v25
	v_sub_f32_e32 v23, v40, v23
	v_add_f32_e32 v23, v23, v25
	v_frexp_mant_f32_e32 v25, v12
	v_cvt_f64_f32_e32 v[26:27], v12
	v_frexp_exp_i32_f64_e32 v26, v[26:27]
	v_cmp_gt_f32_e32 vcc, s14, v25
	v_cmp_gt_f32_e64 s[60:61], s16, v40
	s_nop 0
	v_subbrev_co_u32_e32 v34, vcc, 0, v26, vcc
	v_sub_u32_e32 v25, 0, v34
	v_ldexp_f32 v12, v12, v25
	v_ldexp_f32 v23, v23, v25
	v_add_f32_e32 v25, -1.0, v12
	v_add_f32_e32 v27, 1.0, v12
	v_add_f32_e32 v26, 1.0, v25
	v_add_f32_e32 v28, -1.0, v27
	v_sub_f32_e32 v26, v12, v26
	v_sub_f32_e32 v12, v12, v28
	v_add_f32_e32 v12, v23, v12
	v_add_f32_e32 v26, v23, v26
	;; [unrolled: 1-line block ×3, first 2 shown]
	v_rcp_f32_e32 v35, v23
	v_sub_f32_e32 v27, v27, v23
	v_add_f32_e32 v12, v12, v27
	v_add_f32_e32 v27, v25, v26
	v_mul_f32_e32 v36, v27, v35
	v_mul_f32_e32 v28, v23, v36
	v_fma_f32 v30, v36, v23, -v28
	v_sub_f32_e32 v25, v25, v27
	v_fmac_f32_e32 v30, v36, v12
	v_add_f32_e32 v25, v26, v25
	v_add_f32_e32 v26, v28, v30
	v_sub_f32_e32 v29, v27, v26
	v_pk_add_f32 v[32:33], v[26:27], v[28:29] neg_lo:[0,1] neg_hi:[0,1]
	v_mov_b32_e32 v31, v26
	v_pk_add_f32 v[26:27], v[32:33], v[30:31] neg_lo:[0,1] neg_hi:[0,1]
	v_cmp_eq_f32_e32 vcc, s13, v40
	v_add_f32_e32 v25, v25, v27
	v_add_f32_e32 v25, v26, v25
	v_add_f32_e32 v27, v29, v25
	v_mul_f32_e32 v37, v35, v27
	v_mul_f32_e32 v28, v23, v37
	v_fma_f32 v30, v37, v23, -v28
	v_fmac_f32_e32 v30, v37, v12
	v_add_f32_e32 v26, v28, v30
	v_sub_f32_e32 v12, v29, v27
	v_sub_f32_e32 v29, v27, v26
	v_pk_add_f32 v[32:33], v[26:27], v[28:29] neg_lo:[0,1] neg_hi:[0,1]
	v_mov_b32_e32 v31, v26
	v_add_f32_e32 v12, v25, v12
	v_pk_add_f32 v[26:27], v[32:33], v[30:31] neg_lo:[0,1] neg_hi:[0,1]
	v_add_f32_e32 v23, v36, v37
	v_add_f32_e32 v12, v12, v27
	;; [unrolled: 1-line block ×4, first 2 shown]
	v_sub_f32_e32 v25, v23, v36
	v_mul_f32_e32 v12, v35, v12
	v_sub_f32_e32 v25, v37, v25
	v_add_f32_e32 v12, v25, v12
	v_add_f32_e32 v27, v23, v12
	v_cvt_f32_i32_e32 v26, v34
	v_mul_f32_e32 v28, v27, v27
	v_fmamk_f32 v25, v28, 0x3e9b6dac, v135
	v_fmaak_f32 v25, v28, v25, 0x3f2aaada
	v_sub_f32_e32 v23, v27, v23
	v_ldexp_f32 v29, v27, 1
	v_mul_f32_e32 v27, v27, v28
	v_pk_mul_f32 v[30:31], v[26:27], v[24:25]
	v_sub_f32_e32 v12, v12, v23
	v_fma_f32 v28, v26, s15, -v30
	v_fmac_f32_e32 v28, 0xb102e308, v26
	v_pk_add_f32 v[26:27], v[30:31], v[28:29]
	v_ldexp_f32 v12, v12, 1
	v_sub_f32_e32 v23, v27, v29
	v_sub_f32_e32 v23, v31, v23
	v_add_f32_e32 v33, v12, v23
	v_mov_b32_e32 v32, v30
	v_pk_add_f32 v[30:31], v[26:27], v[30:31] neg_lo:[0,1] neg_hi:[0,1]
	v_pk_add_f32 v[34:35], v[26:27], v[32:33]
	v_mov_b32_e32 v29, v26
	v_mov_b32_e32 v31, v35
	v_pk_add_f32 v[36:37], v[28:29], v[30:31] neg_lo:[0,1] neg_hi:[0,1]
	v_pk_add_f32 v[28:29], v[28:29], v[30:31]
	s_or_b64 vcc, s[60:61], vcc
	v_mov_b32_e32 v12, v29
	v_pk_add_f32 v[30:31], v[12:13], v[26:27] neg_lo:[0,1] neg_hi:[0,1]
	v_mov_b32_e32 v28, v35
	v_mov_b32_e32 v23, v30
	v_pk_add_f32 v[38:39], v[34:35], v[22:23] neg_lo:[0,1] neg_hi:[0,1]
	v_mov_b32_e32 v34, v27
	v_mov_b32_e32 v35, v30
	;; [unrolled: 1-line block ×3, first 2 shown]
	v_pk_add_f32 v[28:29], v[28:29], v[34:35] neg_lo:[0,1] neg_hi:[0,1]
	v_mov_b32_e32 v30, v33
	v_mov_b32_e32 v31, v26
	v_pk_add_f32 v[26:27], v[30:31], v[28:29] neg_lo:[0,1] neg_hi:[0,1]
	v_mov_b32_e32 v38, v36
	v_pk_add_f32 v[28:29], v[38:39], v[26:27]
	s_nop 0
	v_mov_b32_e32 v30, v29
	v_pk_add_f32 v[30:31], v[28:29], v[30:31]
	s_nop 0
	v_pk_add_f32 v[32:33], v[12:13], v[30:31]
	v_mov_b32_e32 v27, v30
	v_mov_b32_e32 v29, v32
	v_pk_add_f32 v[34:35], v[28:29], v[36:37] neg_lo:[0,1] neg_hi:[0,1]
	s_nop 0
	v_sub_f32_e32 v12, v28, v34
	v_pk_add_f32 v[26:27], v[26:27], v[34:35] neg_lo:[0,1] neg_hi:[0,1]
	v_sub_f32_e32 v12, v36, v12
	v_add_f32_e32 v12, v26, v12
	v_add_f32_e32 v12, v12, v27
	;; [unrolled: 1-line block ×3, first 2 shown]
	v_cndmask_b32_e32 v140, v12, v40, vcc
.LBB122_79:                             ;   in Loop: Header=BB122_13 Depth=1
	s_or_b64 exec, exec, s[4:5]
	v_cvt_f32_f16_e32 v12, v13
	v_readlane_b32 s2, v167, 2
	s_nop 1
	v_add_f32_e32 v141, s2, v12
	v_readlane_b32 s2, v167, 30
	v_cmp_ge_f32_e32 vcc, s6, v141
	v_readlane_b32 s3, v167, 31
	s_and_b64 s[2:3], s[2:3], vcc
	s_and_saveexec_b64 s[4:5], s[2:3]
	s_cbranch_execz .LBB122_81
; %bb.80:                               ;   in Loop: Header=BB122_13 Depth=1
	v_mul_f32_e32 v12, 0x3fb8aa3b, v141
	v_rndne_f32_e32 v23, v12
	v_sub_f32_e32 v25, v12, v23
	v_fma_f32 v12, v141, s10, -v12
	v_fmac_f32_e32 v12, 0x32a5705f, v141
	v_add_f32_e32 v12, v25, v12
	v_cvt_i32_f32_e32 v23, v23
	v_exp_f32_e32 v12, v12
	v_cmp_ngt_f32_e32 vcc, s11, v141
	v_ldexp_f32 v12, v12, v23
	s_nop 0
	v_cndmask_b32_e32 v12, 0, v12, vcc
	v_cmp_nlt_f32_e32 vcc, s12, v141
	s_nop 1
	v_cndmask_b32_e32 v40, v136, v12, vcc
	v_add_f32_e32 v12, 1.0, v40
	v_add_f32_e32 v23, -1.0, v12
	v_sub_f32_e32 v25, v23, v12
	v_add_f32_e32 v25, 1.0, v25
	v_sub_f32_e32 v23, v40, v23
	v_add_f32_e32 v23, v23, v25
	v_frexp_mant_f32_e32 v25, v12
	v_cvt_f64_f32_e32 v[26:27], v12
	v_frexp_exp_i32_f64_e32 v26, v[26:27]
	v_cmp_gt_f32_e32 vcc, s14, v25
	v_cmp_gt_f32_e64 s[60:61], s16, v40
	s_nop 0
	v_subbrev_co_u32_e32 v34, vcc, 0, v26, vcc
	v_sub_u32_e32 v25, 0, v34
	v_ldexp_f32 v12, v12, v25
	v_ldexp_f32 v23, v23, v25
	v_add_f32_e32 v25, -1.0, v12
	v_add_f32_e32 v27, 1.0, v12
	v_add_f32_e32 v26, 1.0, v25
	v_add_f32_e32 v28, -1.0, v27
	v_sub_f32_e32 v26, v12, v26
	v_sub_f32_e32 v12, v12, v28
	v_add_f32_e32 v12, v23, v12
	v_add_f32_e32 v26, v23, v26
	;; [unrolled: 1-line block ×3, first 2 shown]
	v_rcp_f32_e32 v35, v23
	v_sub_f32_e32 v27, v27, v23
	v_add_f32_e32 v12, v12, v27
	v_add_f32_e32 v27, v25, v26
	v_mul_f32_e32 v36, v27, v35
	v_mul_f32_e32 v28, v23, v36
	v_fma_f32 v30, v36, v23, -v28
	v_sub_f32_e32 v25, v25, v27
	v_fmac_f32_e32 v30, v36, v12
	v_add_f32_e32 v25, v26, v25
	v_add_f32_e32 v26, v28, v30
	v_sub_f32_e32 v29, v27, v26
	v_pk_add_f32 v[32:33], v[26:27], v[28:29] neg_lo:[0,1] neg_hi:[0,1]
	v_mov_b32_e32 v31, v26
	v_pk_add_f32 v[26:27], v[32:33], v[30:31] neg_lo:[0,1] neg_hi:[0,1]
	v_cmp_eq_f32_e32 vcc, s13, v40
	v_add_f32_e32 v25, v25, v27
	v_add_f32_e32 v25, v26, v25
	v_add_f32_e32 v27, v29, v25
	v_mul_f32_e32 v37, v35, v27
	v_mul_f32_e32 v28, v23, v37
	v_fma_f32 v30, v37, v23, -v28
	v_fmac_f32_e32 v30, v37, v12
	v_add_f32_e32 v26, v28, v30
	v_sub_f32_e32 v12, v29, v27
	v_sub_f32_e32 v29, v27, v26
	v_pk_add_f32 v[32:33], v[26:27], v[28:29] neg_lo:[0,1] neg_hi:[0,1]
	v_mov_b32_e32 v31, v26
	v_add_f32_e32 v12, v25, v12
	v_pk_add_f32 v[26:27], v[32:33], v[30:31] neg_lo:[0,1] neg_hi:[0,1]
	v_add_f32_e32 v23, v36, v37
	v_add_f32_e32 v12, v12, v27
	;; [unrolled: 1-line block ×4, first 2 shown]
	v_sub_f32_e32 v25, v23, v36
	v_mul_f32_e32 v12, v35, v12
	v_sub_f32_e32 v25, v37, v25
	v_add_f32_e32 v12, v25, v12
	v_add_f32_e32 v27, v23, v12
	v_cvt_f32_i32_e32 v26, v34
	v_mul_f32_e32 v28, v27, v27
	v_fmamk_f32 v25, v28, 0x3e9b6dac, v135
	v_fmaak_f32 v25, v28, v25, 0x3f2aaada
	v_sub_f32_e32 v23, v27, v23
	v_ldexp_f32 v29, v27, 1
	v_mul_f32_e32 v27, v27, v28
	v_pk_mul_f32 v[30:31], v[26:27], v[24:25]
	v_sub_f32_e32 v12, v12, v23
	v_fma_f32 v28, v26, s15, -v30
	v_fmac_f32_e32 v28, 0xb102e308, v26
	v_pk_add_f32 v[26:27], v[30:31], v[28:29]
	v_ldexp_f32 v12, v12, 1
	v_sub_f32_e32 v23, v27, v29
	v_sub_f32_e32 v23, v31, v23
	v_add_f32_e32 v33, v12, v23
	v_mov_b32_e32 v32, v30
	v_pk_add_f32 v[30:31], v[26:27], v[30:31] neg_lo:[0,1] neg_hi:[0,1]
	v_pk_add_f32 v[34:35], v[26:27], v[32:33]
	v_mov_b32_e32 v29, v26
	v_mov_b32_e32 v31, v35
	v_pk_add_f32 v[36:37], v[28:29], v[30:31] neg_lo:[0,1] neg_hi:[0,1]
	v_pk_add_f32 v[28:29], v[28:29], v[30:31]
	s_or_b64 vcc, s[60:61], vcc
	v_mov_b32_e32 v12, v29
	v_pk_add_f32 v[30:31], v[12:13], v[26:27] neg_lo:[0,1] neg_hi:[0,1]
	v_mov_b32_e32 v28, v35
	v_mov_b32_e32 v23, v30
	v_pk_add_f32 v[38:39], v[34:35], v[22:23] neg_lo:[0,1] neg_hi:[0,1]
	v_mov_b32_e32 v34, v27
	v_mov_b32_e32 v35, v30
	v_mov_b32_e32 v37, v29
	v_pk_add_f32 v[28:29], v[28:29], v[34:35] neg_lo:[0,1] neg_hi:[0,1]
	v_mov_b32_e32 v30, v33
	v_mov_b32_e32 v31, v26
	v_pk_add_f32 v[26:27], v[30:31], v[28:29] neg_lo:[0,1] neg_hi:[0,1]
	v_mov_b32_e32 v38, v36
	v_pk_add_f32 v[28:29], v[38:39], v[26:27]
	s_nop 0
	v_mov_b32_e32 v30, v29
	v_pk_add_f32 v[30:31], v[28:29], v[30:31]
	s_nop 0
	v_pk_add_f32 v[32:33], v[12:13], v[30:31]
	v_mov_b32_e32 v27, v30
	v_mov_b32_e32 v29, v32
	v_pk_add_f32 v[34:35], v[28:29], v[36:37] neg_lo:[0,1] neg_hi:[0,1]
	s_nop 0
	v_sub_f32_e32 v12, v28, v34
	v_pk_add_f32 v[26:27], v[26:27], v[34:35] neg_lo:[0,1] neg_hi:[0,1]
	v_sub_f32_e32 v12, v36, v12
	v_add_f32_e32 v12, v26, v12
	v_add_f32_e32 v12, v12, v27
	;; [unrolled: 1-line block ×3, first 2 shown]
	v_cndmask_b32_e32 v141, v12, v40, vcc
.LBB122_81:                             ;   in Loop: Header=BB122_13 Depth=1
	s_or_b64 exec, exec, s[4:5]
	v_cvt_f32_f16_sdwa v12, v13 dst_sel:DWORD dst_unused:UNUSED_PAD src0_sel:WORD_1
	v_readlane_b32 s2, v167, 2
	s_nop 1
	v_add_f32_e32 v142, s2, v12
	v_readlane_b32 s2, v167, 30
	v_cmp_ge_f32_e32 vcc, s6, v142
	v_readlane_b32 s3, v167, 31
	s_and_b64 s[2:3], s[2:3], vcc
	s_and_saveexec_b64 s[4:5], s[2:3]
	s_cbranch_execz .LBB122_83
; %bb.82:                               ;   in Loop: Header=BB122_13 Depth=1
	v_mul_f32_e32 v12, 0x3fb8aa3b, v142
	v_rndne_f32_e32 v13, v12
	v_sub_f32_e32 v23, v12, v13
	v_fma_f32 v12, v142, s10, -v12
	v_fmac_f32_e32 v12, 0x32a5705f, v142
	v_add_f32_e32 v12, v23, v12
	v_cvt_i32_f32_e32 v13, v13
	v_exp_f32_e32 v12, v12
	v_cmp_ngt_f32_e32 vcc, s11, v142
	v_ldexp_f32 v12, v12, v13
	s_nop 0
	v_cndmask_b32_e32 v12, 0, v12, vcc
	v_cmp_nlt_f32_e32 vcc, s12, v142
	s_nop 1
	v_cndmask_b32_e32 v40, v136, v12, vcc
	v_add_f32_e32 v23, 1.0, v40
	v_add_f32_e32 v12, -1.0, v23
	v_sub_f32_e32 v13, v12, v23
	v_add_f32_e32 v13, 1.0, v13
	v_sub_f32_e32 v12, v40, v12
	v_add_f32_e32 v25, v12, v13
	v_frexp_mant_f32_e32 v26, v23
	v_cvt_f64_f32_e32 v[12:13], v23
	v_frexp_exp_i32_f64_e32 v12, v[12:13]
	v_cmp_gt_f32_e32 vcc, s14, v26
	v_cmp_gt_f32_e64 s[60:61], s16, v40
	s_nop 0
	v_subbrev_co_u32_e32 v32, vcc, 0, v12, vcc
	v_sub_u32_e32 v12, 0, v32
	v_ldexp_f32 v13, v23, v12
	v_add_f32_e32 v23, -1.0, v13
	v_add_f32_e32 v26, 1.0, v13
	v_ldexp_f32 v12, v25, v12
	v_add_f32_e32 v25, 1.0, v23
	v_add_f32_e32 v27, -1.0, v26
	v_sub_f32_e32 v25, v13, v25
	v_sub_f32_e32 v13, v13, v27
	v_add_f32_e32 v25, v12, v25
	v_add_f32_e32 v12, v12, v13
	;; [unrolled: 1-line block ×3, first 2 shown]
	v_rcp_f32_e32 v35, v33
	v_sub_f32_e32 v13, v26, v33
	v_add_f32_e32 v34, v12, v13
	v_add_f32_e32 v13, v23, v25
	v_sub_f32_e32 v12, v23, v13
	v_add_f32_e32 v23, v25, v12
	v_mul_f32_e32 v25, v13, v35
	v_mul_f32_e32 v26, v33, v25
	v_fma_f32 v28, v25, v33, -v26
	v_fmac_f32_e32 v28, v25, v34
	v_add_f32_e32 v12, v26, v28
	v_sub_f32_e32 v27, v13, v12
	v_pk_add_f32 v[30:31], v[12:13], v[26:27] neg_lo:[0,1] neg_hi:[0,1]
	v_mov_b32_e32 v29, v12
	v_pk_add_f32 v[12:13], v[30:31], v[28:29] neg_lo:[0,1] neg_hi:[0,1]
	v_cmp_eq_f32_e32 vcc, s13, v40
	v_add_f32_e32 v13, v23, v13
	v_add_f32_e32 v12, v12, v13
	v_add_f32_e32 v13, v27, v12
	v_mul_f32_e32 v23, v35, v13
	v_mul_f32_e32 v26, v33, v23
	v_fma_f32 v28, v23, v33, -v26
	v_fmac_f32_e32 v28, v23, v34
	v_sub_f32_e32 v27, v27, v13
	v_add_f32_e32 v33, v12, v27
	v_add_f32_e32 v12, v26, v28
	v_sub_f32_e32 v27, v13, v12
	v_pk_add_f32 v[30:31], v[12:13], v[26:27] neg_lo:[0,1] neg_hi:[0,1]
	v_mov_b32_e32 v29, v12
	v_pk_add_f32 v[12:13], v[30:31], v[28:29] neg_lo:[0,1] neg_hi:[0,1]
	s_or_b64 vcc, s[60:61], vcc
	v_add_f32_e32 v13, v33, v13
	v_add_f32_e32 v12, v12, v13
	;; [unrolled: 1-line block ×4, first 2 shown]
	v_sub_f32_e32 v25, v13, v25
	v_mul_f32_e32 v12, v35, v12
	v_sub_f32_e32 v23, v23, v25
	v_add_f32_e32 v23, v23, v12
	v_add_f32_e32 v26, v13, v23
	v_mul_f32_e32 v28, v26, v26
	v_fmamk_f32 v12, v28, 0x3e9b6dac, v135
	v_fmaak_f32 v25, v28, v12, 0x3f2aaada
	v_cvt_f32_i32_e32 v12, v32
	v_sub_f32_e32 v13, v26, v13
	v_sub_f32_e32 v13, v23, v13
	v_ldexp_f32 v23, v13, 1
	v_mul_f32_e32 v13, v26, v28
	v_pk_mul_f32 v[28:29], v[12:13], v[24:25]
	v_ldexp_f32 v27, v26, 1
	v_fma_f32 v26, v12, s15, -v28
	v_fmac_f32_e32 v26, 0xb102e308, v12
	v_pk_add_f32 v[12:13], v[28:29], v[26:27]
	v_mov_b32_e32 v30, v28
	v_sub_f32_e32 v25, v13, v27
	v_sub_f32_e32 v25, v29, v25
	v_add_f32_e32 v31, v23, v25
	v_pk_add_f32 v[28:29], v[12:13], v[28:29] neg_lo:[0,1] neg_hi:[0,1]
	v_pk_add_f32 v[32:33], v[12:13], v[30:31]
	v_mov_b32_e32 v27, v12
	v_mov_b32_e32 v29, v33
	v_pk_add_f32 v[34:35], v[26:27], v[28:29] neg_lo:[0,1] neg_hi:[0,1]
	v_pk_add_f32 v[26:27], v[26:27], v[28:29]
	v_mov_b32_e32 v30, v31
	v_mov_b32_e32 v28, v27
	v_pk_add_f32 v[36:37], v[28:29], v[12:13] neg_lo:[0,1] neg_hi:[0,1]
	v_mov_b32_e32 v26, v33
	v_mov_b32_e32 v23, v36
	v_pk_add_f32 v[38:39], v[32:33], v[22:23] neg_lo:[0,1] neg_hi:[0,1]
	v_mov_b32_e32 v32, v13
	v_mov_b32_e32 v33, v36
	;; [unrolled: 1-line block ×3, first 2 shown]
	v_pk_add_f32 v[26:27], v[26:27], v[32:33] neg_lo:[0,1] neg_hi:[0,1]
	v_mov_b32_e32 v31, v12
	v_pk_add_f32 v[12:13], v[30:31], v[26:27] neg_lo:[0,1] neg_hi:[0,1]
	v_mov_b32_e32 v38, v34
	v_pk_add_f32 v[26:27], v[38:39], v[12:13]
	s_nop 0
	v_mov_b32_e32 v30, v27
	v_pk_add_f32 v[30:31], v[26:27], v[30:31]
	s_nop 0
	v_pk_add_f32 v[28:29], v[28:29], v[30:31]
	v_mov_b32_e32 v13, v30
	v_mov_b32_e32 v27, v28
	v_pk_add_f32 v[32:33], v[26:27], v[34:35] neg_lo:[0,1] neg_hi:[0,1]
	s_nop 0
	v_sub_f32_e32 v23, v26, v32
	v_pk_add_f32 v[12:13], v[12:13], v[32:33] neg_lo:[0,1] neg_hi:[0,1]
	v_sub_f32_e32 v23, v34, v23
	v_add_f32_e32 v12, v12, v23
	v_add_f32_e32 v12, v12, v13
	;; [unrolled: 1-line block ×3, first 2 shown]
	v_cndmask_b32_e32 v142, v12, v40, vcc
.LBB122_83:                             ;   in Loop: Header=BB122_13 Depth=1
	s_or_b64 exec, exec, s[4:5]
	v_cvt_f32_f16_e32 v12, v14
	v_readlane_b32 s2, v167, 2
	s_nop 1
	v_add_f32_e32 v143, s2, v12
	v_readlane_b32 s2, v167, 30
	v_cmp_ge_f32_e32 vcc, s6, v143
	v_readlane_b32 s3, v167, 31
	s_and_b64 s[2:3], s[2:3], vcc
	s_and_saveexec_b64 s[4:5], s[2:3]
	s_cbranch_execz .LBB122_85
; %bb.84:                               ;   in Loop: Header=BB122_13 Depth=1
	v_mul_f32_e32 v12, 0x3fb8aa3b, v143
	v_rndne_f32_e32 v13, v12
	v_sub_f32_e32 v23, v12, v13
	v_fma_f32 v12, v143, s10, -v12
	v_fmac_f32_e32 v12, 0x32a5705f, v143
	v_add_f32_e32 v12, v23, v12
	v_cvt_i32_f32_e32 v13, v13
	v_exp_f32_e32 v12, v12
	v_cmp_ngt_f32_e32 vcc, s11, v143
	v_ldexp_f32 v12, v12, v13
	s_nop 0
	v_cndmask_b32_e32 v12, 0, v12, vcc
	v_cmp_nlt_f32_e32 vcc, s12, v143
	s_nop 1
	v_cndmask_b32_e32 v40, v136, v12, vcc
	v_add_f32_e32 v23, 1.0, v40
	v_add_f32_e32 v12, -1.0, v23
	v_sub_f32_e32 v13, v12, v23
	v_add_f32_e32 v13, 1.0, v13
	v_sub_f32_e32 v12, v40, v12
	v_add_f32_e32 v25, v12, v13
	v_frexp_mant_f32_e32 v26, v23
	v_cvt_f64_f32_e32 v[12:13], v23
	v_frexp_exp_i32_f64_e32 v12, v[12:13]
	v_cmp_gt_f32_e32 vcc, s14, v26
	v_cmp_gt_f32_e64 s[60:61], s16, v40
	s_nop 0
	v_subbrev_co_u32_e32 v32, vcc, 0, v12, vcc
	v_sub_u32_e32 v12, 0, v32
	v_ldexp_f32 v13, v23, v12
	v_add_f32_e32 v23, -1.0, v13
	v_add_f32_e32 v26, 1.0, v13
	v_ldexp_f32 v12, v25, v12
	v_add_f32_e32 v25, 1.0, v23
	v_add_f32_e32 v27, -1.0, v26
	v_sub_f32_e32 v25, v13, v25
	v_sub_f32_e32 v13, v13, v27
	v_add_f32_e32 v25, v12, v25
	v_add_f32_e32 v12, v12, v13
	;; [unrolled: 1-line block ×3, first 2 shown]
	v_rcp_f32_e32 v35, v33
	v_sub_f32_e32 v13, v26, v33
	v_add_f32_e32 v34, v12, v13
	v_add_f32_e32 v13, v23, v25
	v_sub_f32_e32 v12, v23, v13
	v_add_f32_e32 v23, v25, v12
	v_mul_f32_e32 v25, v13, v35
	v_mul_f32_e32 v26, v33, v25
	v_fma_f32 v28, v25, v33, -v26
	v_fmac_f32_e32 v28, v25, v34
	v_add_f32_e32 v12, v26, v28
	v_sub_f32_e32 v27, v13, v12
	v_pk_add_f32 v[30:31], v[12:13], v[26:27] neg_lo:[0,1] neg_hi:[0,1]
	v_mov_b32_e32 v29, v12
	v_pk_add_f32 v[12:13], v[30:31], v[28:29] neg_lo:[0,1] neg_hi:[0,1]
	v_cmp_eq_f32_e32 vcc, s13, v40
	v_add_f32_e32 v13, v23, v13
	v_add_f32_e32 v12, v12, v13
	;; [unrolled: 1-line block ×3, first 2 shown]
	v_mul_f32_e32 v23, v35, v13
	v_mul_f32_e32 v26, v33, v23
	v_fma_f32 v28, v23, v33, -v26
	v_fmac_f32_e32 v28, v23, v34
	v_sub_f32_e32 v27, v27, v13
	v_add_f32_e32 v33, v12, v27
	v_add_f32_e32 v12, v26, v28
	v_sub_f32_e32 v27, v13, v12
	v_pk_add_f32 v[30:31], v[12:13], v[26:27] neg_lo:[0,1] neg_hi:[0,1]
	v_mov_b32_e32 v29, v12
	v_pk_add_f32 v[12:13], v[30:31], v[28:29] neg_lo:[0,1] neg_hi:[0,1]
	s_or_b64 vcc, s[60:61], vcc
	v_add_f32_e32 v13, v33, v13
	v_add_f32_e32 v12, v12, v13
	;; [unrolled: 1-line block ×4, first 2 shown]
	v_sub_f32_e32 v25, v13, v25
	v_mul_f32_e32 v12, v35, v12
	v_sub_f32_e32 v23, v23, v25
	v_add_f32_e32 v23, v23, v12
	v_add_f32_e32 v26, v13, v23
	v_mul_f32_e32 v28, v26, v26
	v_fmamk_f32 v12, v28, 0x3e9b6dac, v135
	v_fmaak_f32 v25, v28, v12, 0x3f2aaada
	v_cvt_f32_i32_e32 v12, v32
	v_sub_f32_e32 v13, v26, v13
	v_sub_f32_e32 v13, v23, v13
	v_ldexp_f32 v23, v13, 1
	v_mul_f32_e32 v13, v26, v28
	v_pk_mul_f32 v[28:29], v[12:13], v[24:25]
	v_ldexp_f32 v27, v26, 1
	v_fma_f32 v26, v12, s15, -v28
	v_fmac_f32_e32 v26, 0xb102e308, v12
	v_pk_add_f32 v[12:13], v[28:29], v[26:27]
	v_mov_b32_e32 v30, v28
	v_sub_f32_e32 v25, v13, v27
	v_sub_f32_e32 v25, v29, v25
	v_add_f32_e32 v31, v23, v25
	v_pk_add_f32 v[28:29], v[12:13], v[28:29] neg_lo:[0,1] neg_hi:[0,1]
	v_pk_add_f32 v[32:33], v[12:13], v[30:31]
	v_mov_b32_e32 v27, v12
	v_mov_b32_e32 v29, v33
	v_pk_add_f32 v[34:35], v[26:27], v[28:29] neg_lo:[0,1] neg_hi:[0,1]
	v_pk_add_f32 v[26:27], v[26:27], v[28:29]
	v_mov_b32_e32 v30, v31
	v_mov_b32_e32 v28, v27
	v_pk_add_f32 v[36:37], v[28:29], v[12:13] neg_lo:[0,1] neg_hi:[0,1]
	v_mov_b32_e32 v26, v33
	v_mov_b32_e32 v23, v36
	v_pk_add_f32 v[38:39], v[32:33], v[22:23] neg_lo:[0,1] neg_hi:[0,1]
	v_mov_b32_e32 v32, v13
	v_mov_b32_e32 v33, v36
	;; [unrolled: 1-line block ×3, first 2 shown]
	v_pk_add_f32 v[26:27], v[26:27], v[32:33] neg_lo:[0,1] neg_hi:[0,1]
	v_mov_b32_e32 v31, v12
	v_pk_add_f32 v[12:13], v[30:31], v[26:27] neg_lo:[0,1] neg_hi:[0,1]
	v_mov_b32_e32 v38, v34
	v_pk_add_f32 v[26:27], v[38:39], v[12:13]
	s_nop 0
	v_mov_b32_e32 v30, v27
	v_pk_add_f32 v[30:31], v[26:27], v[30:31]
	s_nop 0
	v_pk_add_f32 v[28:29], v[28:29], v[30:31]
	v_mov_b32_e32 v13, v30
	v_mov_b32_e32 v27, v28
	v_pk_add_f32 v[32:33], v[26:27], v[34:35] neg_lo:[0,1] neg_hi:[0,1]
	s_nop 0
	v_sub_f32_e32 v23, v26, v32
	v_pk_add_f32 v[12:13], v[12:13], v[32:33] neg_lo:[0,1] neg_hi:[0,1]
	v_sub_f32_e32 v23, v34, v23
	v_add_f32_e32 v12, v12, v23
	v_add_f32_e32 v12, v12, v13
	;; [unrolled: 1-line block ×3, first 2 shown]
	v_cndmask_b32_e32 v143, v12, v40, vcc
.LBB122_85:                             ;   in Loop: Header=BB122_13 Depth=1
	s_or_b64 exec, exec, s[4:5]
	v_cvt_f32_f16_sdwa v12, v14 dst_sel:DWORD dst_unused:UNUSED_PAD src0_sel:WORD_1
	v_readlane_b32 s2, v167, 2
	s_nop 1
	v_add_f32_e32 v144, s2, v12
	v_readlane_b32 s2, v167, 30
	v_cmp_ge_f32_e32 vcc, s6, v144
	v_readlane_b32 s3, v167, 31
	s_and_b64 s[2:3], s[2:3], vcc
	s_and_saveexec_b64 s[4:5], s[2:3]
	s_cbranch_execz .LBB122_87
; %bb.86:                               ;   in Loop: Header=BB122_13 Depth=1
	v_mul_f32_e32 v12, 0x3fb8aa3b, v144
	v_rndne_f32_e32 v13, v12
	v_sub_f32_e32 v14, v12, v13
	v_fma_f32 v12, v144, s10, -v12
	v_fmac_f32_e32 v12, 0x32a5705f, v144
	v_add_f32_e32 v12, v14, v12
	v_cvt_i32_f32_e32 v13, v13
	v_exp_f32_e32 v12, v12
	v_cmp_ngt_f32_e32 vcc, s11, v144
	v_ldexp_f32 v12, v12, v13
	s_nop 0
	v_cndmask_b32_e32 v12, 0, v12, vcc
	v_cmp_nlt_f32_e32 vcc, s12, v144
	s_nop 1
	v_cndmask_b32_e32 v38, v136, v12, vcc
	v_add_f32_e32 v14, 1.0, v38
	v_add_f32_e32 v12, -1.0, v14
	v_sub_f32_e32 v13, v12, v14
	v_add_f32_e32 v13, 1.0, v13
	v_sub_f32_e32 v12, v38, v12
	v_add_f32_e32 v23, v12, v13
	v_frexp_mant_f32_e32 v25, v14
	v_cvt_f64_f32_e32 v[12:13], v14
	v_frexp_exp_i32_f64_e32 v12, v[12:13]
	v_cmp_gt_f32_e32 vcc, s14, v25
	v_cmp_gt_f32_e64 s[60:61], s16, v38
	s_nop 0
	v_subbrev_co_u32_e32 v32, vcc, 0, v12, vcc
	v_sub_u32_e32 v12, 0, v32
	v_ldexp_f32 v13, v14, v12
	v_add_f32_e32 v14, -1.0, v13
	v_add_f32_e32 v25, 1.0, v13
	v_ldexp_f32 v12, v23, v12
	v_add_f32_e32 v23, 1.0, v14
	v_add_f32_e32 v26, -1.0, v25
	v_sub_f32_e32 v23, v13, v23
	v_sub_f32_e32 v13, v13, v26
	v_add_f32_e32 v23, v12, v23
	v_add_f32_e32 v12, v12, v13
	;; [unrolled: 1-line block ×3, first 2 shown]
	v_rcp_f32_e32 v34, v33
	v_sub_f32_e32 v13, v25, v33
	v_add_f32_e32 v25, v12, v13
	v_add_f32_e32 v13, v14, v23
	v_sub_f32_e32 v12, v14, v13
	v_add_f32_e32 v14, v23, v12
	v_mul_f32_e32 v23, v13, v34
	v_mul_f32_e32 v26, v33, v23
	v_fma_f32 v28, v23, v33, -v26
	v_fmac_f32_e32 v28, v23, v25
	v_add_f32_e32 v12, v26, v28
	v_sub_f32_e32 v27, v13, v12
	v_pk_add_f32 v[30:31], v[12:13], v[26:27] neg_lo:[0,1] neg_hi:[0,1]
	v_mov_b32_e32 v29, v12
	v_pk_add_f32 v[12:13], v[30:31], v[28:29] neg_lo:[0,1] neg_hi:[0,1]
	v_cmp_eq_f32_e32 vcc, s13, v38
	v_add_f32_e32 v13, v14, v13
	v_add_f32_e32 v12, v12, v13
	;; [unrolled: 1-line block ×3, first 2 shown]
	v_mul_f32_e32 v14, v34, v13
	v_mul_f32_e32 v26, v33, v14
	v_fma_f32 v28, v14, v33, -v26
	v_fmac_f32_e32 v28, v14, v25
	v_sub_f32_e32 v25, v27, v13
	v_add_f32_e32 v25, v12, v25
	v_add_f32_e32 v12, v26, v28
	v_sub_f32_e32 v27, v13, v12
	v_pk_add_f32 v[30:31], v[12:13], v[26:27] neg_lo:[0,1] neg_hi:[0,1]
	v_mov_b32_e32 v29, v12
	v_pk_add_f32 v[12:13], v[30:31], v[28:29] neg_lo:[0,1] neg_hi:[0,1]
	s_or_b64 vcc, s[60:61], vcc
	v_add_f32_e32 v13, v25, v13
	v_add_f32_e32 v12, v12, v13
	;; [unrolled: 1-line block ×4, first 2 shown]
	v_sub_f32_e32 v23, v13, v23
	v_mul_f32_e32 v12, v34, v12
	v_sub_f32_e32 v14, v14, v23
	v_add_f32_e32 v14, v14, v12
	v_add_f32_e32 v23, v13, v14
	v_mul_f32_e32 v26, v23, v23
	v_fmamk_f32 v12, v26, 0x3e9b6dac, v135
	v_fmaak_f32 v25, v26, v12, 0x3f2aaada
	v_cvt_f32_i32_e32 v12, v32
	v_sub_f32_e32 v13, v23, v13
	v_sub_f32_e32 v13, v14, v13
	v_ldexp_f32 v14, v13, 1
	v_mul_f32_e32 v13, v23, v26
	v_pk_mul_f32 v[28:29], v[12:13], v[24:25]
	v_ldexp_f32 v27, v23, 1
	v_fma_f32 v26, v12, s15, -v28
	v_fmac_f32_e32 v26, 0xb102e308, v12
	v_pk_add_f32 v[12:13], v[28:29], v[26:27]
	v_mov_b32_e32 v30, v28
	v_sub_f32_e32 v23, v13, v27
	v_sub_f32_e32 v23, v29, v23
	v_add_f32_e32 v31, v14, v23
	v_pk_add_f32 v[28:29], v[12:13], v[28:29] neg_lo:[0,1] neg_hi:[0,1]
	v_pk_add_f32 v[32:33], v[12:13], v[30:31]
	v_mov_b32_e32 v27, v12
	v_mov_b32_e32 v29, v33
	v_pk_add_f32 v[34:35], v[26:27], v[28:29] neg_lo:[0,1] neg_hi:[0,1]
	v_pk_add_f32 v[26:27], v[26:27], v[28:29]
	s_nop 0
	v_mov_b32_e32 v14, v27
	v_pk_add_f32 v[28:29], v[14:15], v[12:13] neg_lo:[0,1] neg_hi:[0,1]
	v_mov_b32_e32 v26, v33
	v_mov_b32_e32 v23, v28
	v_pk_add_f32 v[36:37], v[32:33], v[22:23] neg_lo:[0,1] neg_hi:[0,1]
	v_mov_b32_e32 v32, v13
	v_mov_b32_e32 v33, v28
	;; [unrolled: 1-line block ×3, first 2 shown]
	v_pk_add_f32 v[26:27], v[26:27], v[32:33] neg_lo:[0,1] neg_hi:[0,1]
	v_mov_b32_e32 v28, v31
	v_mov_b32_e32 v29, v12
	v_pk_add_f32 v[12:13], v[28:29], v[26:27] neg_lo:[0,1] neg_hi:[0,1]
	v_mov_b32_e32 v36, v34
	v_pk_add_f32 v[26:27], v[36:37], v[12:13]
	s_nop 0
	v_mov_b32_e32 v28, v27
	v_pk_add_f32 v[28:29], v[26:27], v[28:29]
	s_nop 0
	v_pk_add_f32 v[30:31], v[14:15], v[28:29]
	v_mov_b32_e32 v13, v28
	v_mov_b32_e32 v27, v30
	v_pk_add_f32 v[32:33], v[26:27], v[34:35] neg_lo:[0,1] neg_hi:[0,1]
	s_nop 0
	v_sub_f32_e32 v14, v26, v32
	v_pk_add_f32 v[12:13], v[12:13], v[32:33] neg_lo:[0,1] neg_hi:[0,1]
	v_sub_f32_e32 v14, v34, v14
	v_add_f32_e32 v12, v12, v14
	v_add_f32_e32 v12, v12, v13
	;; [unrolled: 1-line block ×3, first 2 shown]
	v_cndmask_b32_e32 v144, v12, v38, vcc
.LBB122_87:                             ;   in Loop: Header=BB122_13 Depth=1
	s_or_b64 exec, exec, s[4:5]
	v_cvt_f32_f16_e32 v12, v15
	v_readlane_b32 s2, v167, 2
	s_nop 1
	v_add_f32_e32 v145, s2, v12
	v_readlane_b32 s2, v167, 30
	v_cmp_ge_f32_e32 vcc, s6, v145
	v_readlane_b32 s3, v167, 31
	s_and_b64 s[2:3], s[2:3], vcc
	s_and_saveexec_b64 s[4:5], s[2:3]
	s_cbranch_execz .LBB122_89
; %bb.88:                               ;   in Loop: Header=BB122_13 Depth=1
	v_mul_f32_e32 v12, 0x3fb8aa3b, v145
	v_rndne_f32_e32 v13, v12
	v_sub_f32_e32 v14, v12, v13
	v_fma_f32 v12, v145, s10, -v12
	v_fmac_f32_e32 v12, 0x32a5705f, v145
	v_add_f32_e32 v12, v14, v12
	v_cvt_i32_f32_e32 v13, v13
	v_exp_f32_e32 v12, v12
	v_cmp_ngt_f32_e32 vcc, s11, v145
	v_ldexp_f32 v12, v12, v13
	s_nop 0
	v_cndmask_b32_e32 v12, 0, v12, vcc
	v_cmp_nlt_f32_e32 vcc, s12, v145
	s_nop 1
	v_cndmask_b32_e32 v38, v136, v12, vcc
	v_add_f32_e32 v14, 1.0, v38
	v_add_f32_e32 v12, -1.0, v14
	v_sub_f32_e32 v13, v12, v14
	v_add_f32_e32 v13, 1.0, v13
	v_sub_f32_e32 v12, v38, v12
	v_add_f32_e32 v23, v12, v13
	v_frexp_mant_f32_e32 v25, v14
	v_cvt_f64_f32_e32 v[12:13], v14
	v_frexp_exp_i32_f64_e32 v12, v[12:13]
	v_cmp_gt_f32_e32 vcc, s14, v25
	v_cmp_gt_f32_e64 s[60:61], s16, v38
	s_nop 0
	v_subbrev_co_u32_e32 v32, vcc, 0, v12, vcc
	v_sub_u32_e32 v12, 0, v32
	v_ldexp_f32 v13, v14, v12
	v_add_f32_e32 v14, -1.0, v13
	v_add_f32_e32 v25, 1.0, v13
	v_ldexp_f32 v12, v23, v12
	v_add_f32_e32 v23, 1.0, v14
	v_add_f32_e32 v26, -1.0, v25
	v_sub_f32_e32 v23, v13, v23
	v_sub_f32_e32 v13, v13, v26
	v_add_f32_e32 v23, v12, v23
	v_add_f32_e32 v12, v12, v13
	;; [unrolled: 1-line block ×3, first 2 shown]
	v_rcp_f32_e32 v34, v33
	v_sub_f32_e32 v13, v25, v33
	v_add_f32_e32 v25, v12, v13
	v_add_f32_e32 v13, v14, v23
	v_sub_f32_e32 v12, v14, v13
	v_add_f32_e32 v14, v23, v12
	v_mul_f32_e32 v23, v13, v34
	v_mul_f32_e32 v26, v33, v23
	v_fma_f32 v28, v23, v33, -v26
	v_fmac_f32_e32 v28, v23, v25
	v_add_f32_e32 v12, v26, v28
	v_sub_f32_e32 v27, v13, v12
	v_pk_add_f32 v[30:31], v[12:13], v[26:27] neg_lo:[0,1] neg_hi:[0,1]
	v_mov_b32_e32 v29, v12
	v_pk_add_f32 v[12:13], v[30:31], v[28:29] neg_lo:[0,1] neg_hi:[0,1]
	v_cmp_eq_f32_e32 vcc, s13, v38
	v_add_f32_e32 v13, v14, v13
	v_add_f32_e32 v12, v12, v13
	;; [unrolled: 1-line block ×3, first 2 shown]
	v_mul_f32_e32 v14, v34, v13
	v_mul_f32_e32 v26, v33, v14
	v_fma_f32 v28, v14, v33, -v26
	v_fmac_f32_e32 v28, v14, v25
	v_sub_f32_e32 v25, v27, v13
	v_add_f32_e32 v25, v12, v25
	v_add_f32_e32 v12, v26, v28
	v_sub_f32_e32 v27, v13, v12
	v_pk_add_f32 v[30:31], v[12:13], v[26:27] neg_lo:[0,1] neg_hi:[0,1]
	v_mov_b32_e32 v29, v12
	v_pk_add_f32 v[12:13], v[30:31], v[28:29] neg_lo:[0,1] neg_hi:[0,1]
	s_or_b64 vcc, s[60:61], vcc
	v_add_f32_e32 v13, v25, v13
	v_add_f32_e32 v12, v12, v13
	;; [unrolled: 1-line block ×4, first 2 shown]
	v_sub_f32_e32 v23, v13, v23
	v_mul_f32_e32 v12, v34, v12
	v_sub_f32_e32 v14, v14, v23
	v_add_f32_e32 v14, v14, v12
	v_add_f32_e32 v23, v13, v14
	v_mul_f32_e32 v26, v23, v23
	v_fmamk_f32 v12, v26, 0x3e9b6dac, v135
	v_fmaak_f32 v25, v26, v12, 0x3f2aaada
	v_cvt_f32_i32_e32 v12, v32
	v_sub_f32_e32 v13, v23, v13
	v_sub_f32_e32 v13, v14, v13
	v_ldexp_f32 v14, v13, 1
	v_mul_f32_e32 v13, v23, v26
	v_pk_mul_f32 v[28:29], v[12:13], v[24:25]
	v_ldexp_f32 v27, v23, 1
	v_fma_f32 v26, v12, s15, -v28
	v_fmac_f32_e32 v26, 0xb102e308, v12
	v_pk_add_f32 v[12:13], v[28:29], v[26:27]
	v_mov_b32_e32 v30, v28
	v_sub_f32_e32 v23, v13, v27
	v_sub_f32_e32 v23, v29, v23
	v_add_f32_e32 v31, v14, v23
	v_pk_add_f32 v[28:29], v[12:13], v[28:29] neg_lo:[0,1] neg_hi:[0,1]
	v_pk_add_f32 v[32:33], v[12:13], v[30:31]
	v_mov_b32_e32 v27, v12
	v_mov_b32_e32 v29, v33
	v_pk_add_f32 v[34:35], v[26:27], v[28:29] neg_lo:[0,1] neg_hi:[0,1]
	v_pk_add_f32 v[26:27], v[26:27], v[28:29]
	s_nop 0
	v_mov_b32_e32 v14, v27
	v_pk_add_f32 v[28:29], v[14:15], v[12:13] neg_lo:[0,1] neg_hi:[0,1]
	v_mov_b32_e32 v26, v33
	v_mov_b32_e32 v23, v28
	v_pk_add_f32 v[36:37], v[32:33], v[22:23] neg_lo:[0,1] neg_hi:[0,1]
	v_mov_b32_e32 v32, v13
	v_mov_b32_e32 v33, v28
	;; [unrolled: 1-line block ×3, first 2 shown]
	v_pk_add_f32 v[26:27], v[26:27], v[32:33] neg_lo:[0,1] neg_hi:[0,1]
	v_mov_b32_e32 v28, v31
	v_mov_b32_e32 v29, v12
	v_pk_add_f32 v[12:13], v[28:29], v[26:27] neg_lo:[0,1] neg_hi:[0,1]
	v_mov_b32_e32 v36, v34
	v_pk_add_f32 v[26:27], v[36:37], v[12:13]
	s_nop 0
	v_mov_b32_e32 v28, v27
	v_pk_add_f32 v[28:29], v[26:27], v[28:29]
	s_nop 0
	v_pk_add_f32 v[30:31], v[14:15], v[28:29]
	v_mov_b32_e32 v13, v28
	v_mov_b32_e32 v27, v30
	v_pk_add_f32 v[32:33], v[26:27], v[34:35] neg_lo:[0,1] neg_hi:[0,1]
	s_nop 0
	v_sub_f32_e32 v14, v26, v32
	v_pk_add_f32 v[12:13], v[12:13], v[32:33] neg_lo:[0,1] neg_hi:[0,1]
	v_sub_f32_e32 v14, v34, v14
	v_add_f32_e32 v12, v12, v14
	v_add_f32_e32 v12, v12, v13
	;; [unrolled: 1-line block ×3, first 2 shown]
	v_cndmask_b32_e32 v145, v12, v38, vcc
.LBB122_89:                             ;   in Loop: Header=BB122_13 Depth=1
	s_or_b64 exec, exec, s[4:5]
	v_cvt_f32_f16_sdwa v12, v15 dst_sel:DWORD dst_unused:UNUSED_PAD src0_sel:WORD_1
	v_readlane_b32 s2, v167, 2
	s_nop 1
	v_add_f32_e32 v146, s2, v12
	v_readlane_b32 s2, v167, 30
	v_cmp_ge_f32_e32 vcc, s6, v146
	v_readlane_b32 s3, v167, 31
	s_and_b64 s[2:3], s[2:3], vcc
	s_and_saveexec_b64 s[4:5], s[2:3]
	s_cbranch_execz .LBB122_91
; %bb.90:                               ;   in Loop: Header=BB122_13 Depth=1
	v_mul_f32_e32 v12, 0x3fb8aa3b, v146
	v_rndne_f32_e32 v13, v12
	v_sub_f32_e32 v14, v12, v13
	v_fma_f32 v12, v146, s10, -v12
	v_fmac_f32_e32 v12, 0x32a5705f, v146
	v_add_f32_e32 v12, v14, v12
	v_cvt_i32_f32_e32 v13, v13
	v_exp_f32_e32 v12, v12
	v_cmp_ngt_f32_e32 vcc, s11, v146
	v_ldexp_f32 v12, v12, v13
	s_nop 0
	v_cndmask_b32_e32 v12, 0, v12, vcc
	v_cmp_nlt_f32_e32 vcc, s12, v146
	s_nop 1
	v_cndmask_b32_e32 v38, v136, v12, vcc
	v_add_f32_e32 v14, 1.0, v38
	v_add_f32_e32 v12, -1.0, v14
	v_sub_f32_e32 v13, v12, v14
	v_add_f32_e32 v13, 1.0, v13
	v_sub_f32_e32 v12, v38, v12
	v_add_f32_e32 v15, v12, v13
	v_frexp_mant_f32_e32 v23, v14
	v_cvt_f64_f32_e32 v[12:13], v14
	v_frexp_exp_i32_f64_e32 v12, v[12:13]
	v_cmp_gt_f32_e32 vcc, s14, v23
	v_cmp_gt_f32_e64 s[60:61], s16, v38
	s_nop 0
	v_subbrev_co_u32_e32 v23, vcc, 0, v12, vcc
	v_sub_u32_e32 v12, 0, v23
	v_ldexp_f32 v13, v14, v12
	v_add_f32_e32 v14, -1.0, v13
	v_add_f32_e32 v25, 1.0, v13
	v_ldexp_f32 v12, v15, v12
	v_add_f32_e32 v15, 1.0, v14
	v_add_f32_e32 v26, -1.0, v25
	v_sub_f32_e32 v15, v13, v15
	v_sub_f32_e32 v13, v13, v26
	v_add_f32_e32 v15, v12, v15
	v_add_f32_e32 v12, v12, v13
	;; [unrolled: 1-line block ×3, first 2 shown]
	v_rcp_f32_e32 v31, v30
	v_sub_f32_e32 v13, v25, v30
	v_add_f32_e32 v25, v12, v13
	v_add_f32_e32 v13, v14, v15
	v_mul_f32_e32 v33, v13, v31
	v_sub_f32_e32 v12, v14, v13
	v_mul_f32_e32 v14, v30, v33
	v_fma_f32 v26, v33, v30, -v14
	v_fmac_f32_e32 v26, v33, v25
	v_add_f32_e32 v32, v15, v12
	v_add_f32_e32 v12, v14, v26
	v_sub_f32_e32 v15, v13, v12
	v_pk_add_f32 v[28:29], v[12:13], v[14:15] neg_lo:[0,1] neg_hi:[0,1]
	v_mov_b32_e32 v27, v12
	v_pk_add_f32 v[12:13], v[28:29], v[26:27] neg_lo:[0,1] neg_hi:[0,1]
	v_cmp_eq_f32_e32 vcc, s13, v38
	v_add_f32_e32 v13, v32, v13
	v_add_f32_e32 v12, v12, v13
	v_add_f32_e32 v13, v15, v12
	v_mul_f32_e32 v32, v31, v13
	v_mul_f32_e32 v14, v30, v32
	v_fma_f32 v26, v32, v30, -v14
	v_fmac_f32_e32 v26, v32, v25
	v_sub_f32_e32 v15, v15, v13
	v_add_f32_e32 v25, v12, v15
	v_add_f32_e32 v12, v14, v26
	v_sub_f32_e32 v15, v13, v12
	v_pk_add_f32 v[28:29], v[12:13], v[14:15] neg_lo:[0,1] neg_hi:[0,1]
	v_mov_b32_e32 v27, v12
	v_pk_add_f32 v[12:13], v[28:29], v[26:27] neg_lo:[0,1] neg_hi:[0,1]
	s_or_b64 vcc, s[60:61], vcc
	v_add_f32_e32 v13, v25, v13
	v_add_f32_e32 v12, v12, v13
	;; [unrolled: 1-line block ×4, first 2 shown]
	v_sub_f32_e32 v14, v13, v33
	v_mul_f32_e32 v12, v31, v12
	v_sub_f32_e32 v14, v32, v14
	v_add_f32_e32 v14, v14, v12
	v_add_f32_e32 v26, v13, v14
	v_mul_f32_e32 v27, v26, v26
	v_fmamk_f32 v12, v27, 0x3e9b6dac, v135
	v_fmaak_f32 v25, v27, v12, 0x3f2aaada
	v_cvt_f32_i32_e32 v12, v23
	v_sub_f32_e32 v13, v26, v13
	v_sub_f32_e32 v13, v14, v13
	v_ldexp_f32 v23, v13, 1
	v_mul_f32_e32 v13, v26, v27
	v_ldexp_f32 v15, v26, 1
	v_pk_mul_f32 v[26:27], v[12:13], v[24:25]
	s_nop 0
	v_fma_f32 v14, v12, s15, -v26
	v_fmac_f32_e32 v14, 0xb102e308, v12
	v_pk_add_f32 v[12:13], v[26:27], v[14:15]
	v_mov_b32_e32 v28, v26
	v_sub_f32_e32 v15, v13, v15
	v_sub_f32_e32 v15, v27, v15
	v_add_f32_e32 v29, v23, v15
	v_pk_add_f32 v[26:27], v[12:13], v[26:27] neg_lo:[0,1] neg_hi:[0,1]
	v_pk_add_f32 v[30:31], v[12:13], v[28:29]
	v_mov_b32_e32 v15, v12
	v_mov_b32_e32 v27, v31
	v_pk_add_f32 v[32:33], v[14:15], v[26:27] neg_lo:[0,1] neg_hi:[0,1]
	v_pk_add_f32 v[14:15], v[14:15], v[26:27]
	v_mov_b32_e32 v28, v29
	v_mov_b32_e32 v26, v15
	v_pk_add_f32 v[34:35], v[26:27], v[12:13] neg_lo:[0,1] neg_hi:[0,1]
	v_mov_b32_e32 v14, v31
	v_mov_b32_e32 v23, v34
	v_pk_add_f32 v[36:37], v[30:31], v[22:23] neg_lo:[0,1] neg_hi:[0,1]
	v_mov_b32_e32 v30, v13
	v_mov_b32_e32 v31, v34
	;; [unrolled: 1-line block ×3, first 2 shown]
	v_pk_add_f32 v[14:15], v[14:15], v[30:31] neg_lo:[0,1] neg_hi:[0,1]
	v_mov_b32_e32 v29, v12
	v_pk_add_f32 v[12:13], v[28:29], v[14:15] neg_lo:[0,1] neg_hi:[0,1]
	v_mov_b32_e32 v36, v32
	v_pk_add_f32 v[14:15], v[36:37], v[12:13]
	s_nop 0
	v_mov_b32_e32 v28, v15
	v_pk_add_f32 v[28:29], v[14:15], v[28:29]
	s_nop 0
	v_pk_add_f32 v[26:27], v[26:27], v[28:29]
	v_mov_b32_e32 v13, v28
	v_mov_b32_e32 v15, v26
	v_pk_add_f32 v[30:31], v[14:15], v[32:33] neg_lo:[0,1] neg_hi:[0,1]
	s_nop 0
	v_sub_f32_e32 v14, v14, v30
	v_pk_add_f32 v[12:13], v[12:13], v[30:31] neg_lo:[0,1] neg_hi:[0,1]
	v_sub_f32_e32 v14, v32, v14
	v_add_f32_e32 v12, v12, v14
	v_add_f32_e32 v12, v12, v13
	;; [unrolled: 1-line block ×3, first 2 shown]
	v_cndmask_b32_e32 v146, v12, v38, vcc
.LBB122_91:                             ;   in Loop: Header=BB122_13 Depth=1
	s_or_b64 exec, exec, s[4:5]
	s_waitcnt lgkmcnt(0)
	v_cvt_f32_f16_e32 v12, v8
	v_readlane_b32 s2, v167, 2
	s_nop 1
	v_add_f32_e32 v147, s2, v12
	v_readlane_b32 s2, v167, 30
	v_cmp_ge_f32_e32 vcc, s6, v147
	v_readlane_b32 s3, v167, 31
	s_and_b64 s[2:3], s[2:3], vcc
	s_and_saveexec_b64 s[4:5], s[2:3]
	s_cbranch_execz .LBB122_93
; %bb.92:                               ;   in Loop: Header=BB122_13 Depth=1
	v_mul_f32_e32 v12, 0x3fb8aa3b, v147
	v_rndne_f32_e32 v13, v12
	v_sub_f32_e32 v14, v12, v13
	v_fma_f32 v12, v147, s10, -v12
	v_fmac_f32_e32 v12, 0x32a5705f, v147
	v_add_f32_e32 v12, v14, v12
	v_cvt_i32_f32_e32 v13, v13
	v_exp_f32_e32 v12, v12
	v_cmp_ngt_f32_e32 vcc, s11, v147
	v_ldexp_f32 v12, v12, v13
	s_nop 0
	v_cndmask_b32_e32 v12, 0, v12, vcc
	v_cmp_nlt_f32_e32 vcc, s12, v147
	s_nop 1
	v_cndmask_b32_e32 v38, v136, v12, vcc
	v_add_f32_e32 v14, 1.0, v38
	v_add_f32_e32 v12, -1.0, v14
	v_sub_f32_e32 v13, v12, v14
	v_add_f32_e32 v13, 1.0, v13
	v_sub_f32_e32 v12, v38, v12
	v_add_f32_e32 v15, v12, v13
	v_frexp_mant_f32_e32 v23, v14
	v_cvt_f64_f32_e32 v[12:13], v14
	v_frexp_exp_i32_f64_e32 v12, v[12:13]
	v_cmp_gt_f32_e32 vcc, s14, v23
	v_cmp_gt_f32_e64 s[60:61], s16, v38
	s_nop 0
	v_subbrev_co_u32_e32 v23, vcc, 0, v12, vcc
	v_sub_u32_e32 v12, 0, v23
	v_ldexp_f32 v13, v14, v12
	v_add_f32_e32 v14, -1.0, v13
	v_add_f32_e32 v25, 1.0, v13
	v_ldexp_f32 v12, v15, v12
	v_add_f32_e32 v15, 1.0, v14
	v_add_f32_e32 v26, -1.0, v25
	v_sub_f32_e32 v15, v13, v15
	v_sub_f32_e32 v13, v13, v26
	v_add_f32_e32 v15, v12, v15
	v_add_f32_e32 v12, v12, v13
	;; [unrolled: 1-line block ×3, first 2 shown]
	v_rcp_f32_e32 v31, v30
	v_sub_f32_e32 v13, v25, v30
	v_add_f32_e32 v25, v12, v13
	v_add_f32_e32 v13, v14, v15
	v_mul_f32_e32 v33, v13, v31
	v_sub_f32_e32 v12, v14, v13
	v_mul_f32_e32 v14, v30, v33
	v_fma_f32 v26, v33, v30, -v14
	v_fmac_f32_e32 v26, v33, v25
	v_add_f32_e32 v32, v15, v12
	v_add_f32_e32 v12, v14, v26
	v_sub_f32_e32 v15, v13, v12
	v_pk_add_f32 v[28:29], v[12:13], v[14:15] neg_lo:[0,1] neg_hi:[0,1]
	v_mov_b32_e32 v27, v12
	v_pk_add_f32 v[12:13], v[28:29], v[26:27] neg_lo:[0,1] neg_hi:[0,1]
	v_cmp_eq_f32_e32 vcc, s13, v38
	v_add_f32_e32 v13, v32, v13
	v_add_f32_e32 v12, v12, v13
	;; [unrolled: 1-line block ×3, first 2 shown]
	v_mul_f32_e32 v32, v31, v13
	v_mul_f32_e32 v14, v30, v32
	v_fma_f32 v26, v32, v30, -v14
	v_fmac_f32_e32 v26, v32, v25
	v_sub_f32_e32 v15, v15, v13
	v_add_f32_e32 v25, v12, v15
	v_add_f32_e32 v12, v14, v26
	v_sub_f32_e32 v15, v13, v12
	v_pk_add_f32 v[28:29], v[12:13], v[14:15] neg_lo:[0,1] neg_hi:[0,1]
	v_mov_b32_e32 v27, v12
	v_pk_add_f32 v[12:13], v[28:29], v[26:27] neg_lo:[0,1] neg_hi:[0,1]
	s_or_b64 vcc, s[60:61], vcc
	v_add_f32_e32 v13, v25, v13
	v_add_f32_e32 v12, v12, v13
	;; [unrolled: 1-line block ×4, first 2 shown]
	v_sub_f32_e32 v14, v13, v33
	v_mul_f32_e32 v12, v31, v12
	v_sub_f32_e32 v14, v32, v14
	v_add_f32_e32 v14, v14, v12
	v_add_f32_e32 v26, v13, v14
	v_mul_f32_e32 v27, v26, v26
	v_fmamk_f32 v12, v27, 0x3e9b6dac, v135
	v_fmaak_f32 v25, v27, v12, 0x3f2aaada
	v_cvt_f32_i32_e32 v12, v23
	v_sub_f32_e32 v13, v26, v13
	v_sub_f32_e32 v13, v14, v13
	v_ldexp_f32 v23, v13, 1
	v_mul_f32_e32 v13, v26, v27
	v_ldexp_f32 v15, v26, 1
	v_pk_mul_f32 v[26:27], v[12:13], v[24:25]
	s_nop 0
	v_fma_f32 v14, v12, s15, -v26
	v_fmac_f32_e32 v14, 0xb102e308, v12
	v_pk_add_f32 v[12:13], v[26:27], v[14:15]
	v_mov_b32_e32 v28, v26
	v_sub_f32_e32 v15, v13, v15
	v_sub_f32_e32 v15, v27, v15
	v_add_f32_e32 v29, v23, v15
	v_pk_add_f32 v[26:27], v[12:13], v[26:27] neg_lo:[0,1] neg_hi:[0,1]
	v_pk_add_f32 v[30:31], v[12:13], v[28:29]
	v_mov_b32_e32 v15, v12
	v_mov_b32_e32 v27, v31
	v_pk_add_f32 v[32:33], v[14:15], v[26:27] neg_lo:[0,1] neg_hi:[0,1]
	v_pk_add_f32 v[14:15], v[14:15], v[26:27]
	v_mov_b32_e32 v28, v29
	v_mov_b32_e32 v26, v15
	v_pk_add_f32 v[34:35], v[26:27], v[12:13] neg_lo:[0,1] neg_hi:[0,1]
	v_mov_b32_e32 v14, v31
	v_mov_b32_e32 v23, v34
	v_pk_add_f32 v[36:37], v[30:31], v[22:23] neg_lo:[0,1] neg_hi:[0,1]
	v_mov_b32_e32 v30, v13
	v_mov_b32_e32 v31, v34
	;; [unrolled: 1-line block ×3, first 2 shown]
	v_pk_add_f32 v[14:15], v[14:15], v[30:31] neg_lo:[0,1] neg_hi:[0,1]
	v_mov_b32_e32 v29, v12
	v_pk_add_f32 v[12:13], v[28:29], v[14:15] neg_lo:[0,1] neg_hi:[0,1]
	v_mov_b32_e32 v36, v32
	v_pk_add_f32 v[14:15], v[36:37], v[12:13]
	s_nop 0
	v_mov_b32_e32 v28, v15
	v_pk_add_f32 v[28:29], v[14:15], v[28:29]
	s_nop 0
	v_pk_add_f32 v[26:27], v[26:27], v[28:29]
	v_mov_b32_e32 v13, v28
	v_mov_b32_e32 v15, v26
	v_pk_add_f32 v[30:31], v[14:15], v[32:33] neg_lo:[0,1] neg_hi:[0,1]
	s_nop 0
	v_sub_f32_e32 v14, v14, v30
	v_pk_add_f32 v[12:13], v[12:13], v[30:31] neg_lo:[0,1] neg_hi:[0,1]
	v_sub_f32_e32 v14, v32, v14
	v_add_f32_e32 v12, v12, v14
	v_add_f32_e32 v12, v12, v13
	;; [unrolled: 1-line block ×3, first 2 shown]
	v_cndmask_b32_e32 v147, v12, v38, vcc
.LBB122_93:                             ;   in Loop: Header=BB122_13 Depth=1
	s_or_b64 exec, exec, s[4:5]
	v_cvt_f32_f16_sdwa v8, v8 dst_sel:DWORD dst_unused:UNUSED_PAD src0_sel:WORD_1
	v_readlane_b32 s2, v167, 2
	s_nop 1
	v_add_f32_e32 v148, s2, v8
	v_readlane_b32 s2, v167, 30
	v_cmp_ge_f32_e32 vcc, s6, v148
	v_readlane_b32 s3, v167, 31
	s_and_b64 s[2:3], s[2:3], vcc
	s_and_saveexec_b64 s[4:5], s[2:3]
	s_cbranch_execz .LBB122_95
; %bb.94:                               ;   in Loop: Header=BB122_13 Depth=1
	v_mul_f32_e32 v8, 0x3fb8aa3b, v148
	v_rndne_f32_e32 v12, v8
	v_sub_f32_e32 v13, v8, v12
	v_fma_f32 v8, v148, s10, -v8
	v_fmac_f32_e32 v8, 0x32a5705f, v148
	v_add_f32_e32 v8, v13, v8
	v_cvt_i32_f32_e32 v12, v12
	v_exp_f32_e32 v8, v8
	v_cmp_ngt_f32_e32 vcc, s11, v148
	v_ldexp_f32 v8, v8, v12
	s_nop 0
	v_cndmask_b32_e32 v8, 0, v8, vcc
	v_cmp_nlt_f32_e32 vcc, s12, v148
	s_nop 1
	v_cndmask_b32_e32 v36, v136, v8, vcc
	v_add_f32_e32 v8, 1.0, v36
	v_add_f32_e32 v12, -1.0, v8
	v_sub_f32_e32 v13, v12, v8
	v_add_f32_e32 v13, 1.0, v13
	v_sub_f32_e32 v12, v36, v12
	v_add_f32_e32 v14, v12, v13
	v_frexp_mant_f32_e32 v15, v8
	v_cvt_f64_f32_e32 v[12:13], v8
	v_frexp_exp_i32_f64_e32 v12, v[12:13]
	v_cmp_gt_f32_e32 vcc, s14, v15
	v_cmp_gt_f32_e64 s[60:61], s16, v36
	s_nop 0
	v_subbrev_co_u32_e32 v23, vcc, 0, v12, vcc
	v_sub_u32_e32 v12, 0, v23
	v_ldexp_f32 v8, v8, v12
	v_ldexp_f32 v12, v14, v12
	v_add_f32_e32 v14, -1.0, v8
	v_add_f32_e32 v13, 1.0, v14
	v_sub_f32_e32 v13, v8, v13
	v_add_f32_e32 v15, v12, v13
	v_add_f32_e32 v13, 1.0, v8
	v_add_f32_e32 v25, -1.0, v13
	v_sub_f32_e32 v8, v8, v25
	v_add_f32_e32 v8, v12, v8
	v_add_f32_e32 v25, v13, v8
	v_rcp_f32_e32 v30, v25
	v_sub_f32_e32 v12, v13, v25
	v_add_f32_e32 v13, v14, v15
	v_add_f32_e32 v8, v8, v12
	v_mul_f32_e32 v32, v13, v30
	v_sub_f32_e32 v12, v14, v13
	v_mul_f32_e32 v14, v25, v32
	v_fma_f32 v26, v32, v25, -v14
	v_fmac_f32_e32 v26, v32, v8
	v_add_f32_e32 v31, v15, v12
	v_add_f32_e32 v12, v14, v26
	v_sub_f32_e32 v15, v13, v12
	v_pk_add_f32 v[28:29], v[12:13], v[14:15] neg_lo:[0,1] neg_hi:[0,1]
	v_mov_b32_e32 v27, v12
	v_pk_add_f32 v[12:13], v[28:29], v[26:27] neg_lo:[0,1] neg_hi:[0,1]
	v_cmp_eq_f32_e32 vcc, s13, v36
	v_add_f32_e32 v13, v31, v13
	v_add_f32_e32 v12, v12, v13
	;; [unrolled: 1-line block ×3, first 2 shown]
	v_mul_f32_e32 v31, v30, v13
	v_mul_f32_e32 v14, v25, v31
	v_fma_f32 v26, v31, v25, -v14
	v_fmac_f32_e32 v26, v31, v8
	v_sub_f32_e32 v8, v15, v13
	v_add_f32_e32 v8, v12, v8
	v_add_f32_e32 v12, v14, v26
	v_sub_f32_e32 v15, v13, v12
	v_pk_add_f32 v[28:29], v[12:13], v[14:15] neg_lo:[0,1] neg_hi:[0,1]
	v_mov_b32_e32 v27, v12
	v_pk_add_f32 v[12:13], v[28:29], v[26:27] neg_lo:[0,1] neg_hi:[0,1]
	s_or_b64 vcc, s[60:61], vcc
	v_add_f32_e32 v8, v8, v13
	v_add_f32_e32 v8, v12, v8
	;; [unrolled: 1-line block ×4, first 2 shown]
	v_sub_f32_e32 v12, v13, v32
	v_mul_f32_e32 v8, v30, v8
	v_sub_f32_e32 v12, v31, v12
	v_add_f32_e32 v8, v12, v8
	v_add_f32_e32 v14, v13, v8
	v_mul_f32_e32 v26, v14, v14
	v_fmamk_f32 v12, v26, 0x3e9b6dac, v135
	v_fmaak_f32 v25, v26, v12, 0x3f2aaada
	v_cvt_f32_i32_e32 v12, v23
	v_sub_f32_e32 v13, v14, v13
	v_sub_f32_e32 v8, v8, v13
	v_mul_f32_e32 v13, v14, v26
	v_pk_mul_f32 v[26:27], v[12:13], v[24:25]
	v_ldexp_f32 v15, v14, 1
	v_fma_f32 v14, v12, s15, -v26
	v_fmac_f32_e32 v14, 0xb102e308, v12
	v_pk_add_f32 v[12:13], v[26:27], v[14:15]
	v_ldexp_f32 v8, v8, 1
	v_sub_f32_e32 v15, v13, v15
	v_sub_f32_e32 v15, v27, v15
	v_add_f32_e32 v29, v8, v15
	v_mov_b32_e32 v28, v26
	v_pk_add_f32 v[26:27], v[12:13], v[26:27] neg_lo:[0,1] neg_hi:[0,1]
	v_pk_add_f32 v[30:31], v[12:13], v[28:29]
	v_mov_b32_e32 v15, v12
	v_mov_b32_e32 v27, v31
	v_pk_add_f32 v[32:33], v[14:15], v[26:27] neg_lo:[0,1] neg_hi:[0,1]
	v_pk_add_f32 v[14:15], v[14:15], v[26:27]
	s_nop 0
	v_mov_b32_e32 v8, v15
	v_pk_add_f32 v[26:27], v[8:9], v[12:13] neg_lo:[0,1] neg_hi:[0,1]
	v_mov_b32_e32 v14, v31
	v_mov_b32_e32 v23, v26
	v_pk_add_f32 v[34:35], v[30:31], v[22:23] neg_lo:[0,1] neg_hi:[0,1]
	v_mov_b32_e32 v30, v13
	v_mov_b32_e32 v31, v26
	;; [unrolled: 1-line block ×3, first 2 shown]
	v_pk_add_f32 v[14:15], v[14:15], v[30:31] neg_lo:[0,1] neg_hi:[0,1]
	v_mov_b32_e32 v26, v29
	v_mov_b32_e32 v27, v12
	v_pk_add_f32 v[12:13], v[26:27], v[14:15] neg_lo:[0,1] neg_hi:[0,1]
	v_mov_b32_e32 v34, v32
	v_pk_add_f32 v[14:15], v[34:35], v[12:13]
	s_nop 0
	v_mov_b32_e32 v26, v15
	v_pk_add_f32 v[26:27], v[14:15], v[26:27]
	s_nop 0
	v_pk_add_f32 v[28:29], v[8:9], v[26:27]
	v_mov_b32_e32 v13, v26
	v_mov_b32_e32 v15, v28
	v_pk_add_f32 v[30:31], v[14:15], v[32:33] neg_lo:[0,1] neg_hi:[0,1]
	s_nop 0
	v_sub_f32_e32 v8, v14, v30
	v_pk_add_f32 v[12:13], v[12:13], v[30:31] neg_lo:[0,1] neg_hi:[0,1]
	v_sub_f32_e32 v8, v32, v8
	v_add_f32_e32 v8, v12, v8
	v_add_f32_e32 v8, v8, v13
	;; [unrolled: 1-line block ×3, first 2 shown]
	v_cndmask_b32_e32 v148, v8, v36, vcc
.LBB122_95:                             ;   in Loop: Header=BB122_13 Depth=1
	s_or_b64 exec, exec, s[4:5]
	v_cvt_f32_f16_e32 v8, v9
	v_readlane_b32 s2, v167, 2
	s_nop 1
	v_add_f32_e32 v149, s2, v8
	v_readlane_b32 s2, v167, 30
	v_cmp_ge_f32_e32 vcc, s6, v149
	v_readlane_b32 s3, v167, 31
	s_and_b64 s[2:3], s[2:3], vcc
	s_and_saveexec_b64 s[4:5], s[2:3]
	s_cbranch_execz .LBB122_97
; %bb.96:                               ;   in Loop: Header=BB122_13 Depth=1
	v_mul_f32_e32 v8, 0x3fb8aa3b, v149
	v_rndne_f32_e32 v12, v8
	v_sub_f32_e32 v13, v8, v12
	v_fma_f32 v8, v149, s10, -v8
	v_fmac_f32_e32 v8, 0x32a5705f, v149
	v_add_f32_e32 v8, v13, v8
	v_cvt_i32_f32_e32 v12, v12
	v_exp_f32_e32 v8, v8
	v_cmp_ngt_f32_e32 vcc, s11, v149
	v_ldexp_f32 v8, v8, v12
	s_nop 0
	v_cndmask_b32_e32 v8, 0, v8, vcc
	v_cmp_nlt_f32_e32 vcc, s12, v149
	s_nop 1
	v_cndmask_b32_e32 v36, v136, v8, vcc
	v_add_f32_e32 v8, 1.0, v36
	v_add_f32_e32 v12, -1.0, v8
	v_sub_f32_e32 v13, v12, v8
	v_add_f32_e32 v13, 1.0, v13
	v_sub_f32_e32 v12, v36, v12
	v_add_f32_e32 v14, v12, v13
	v_frexp_mant_f32_e32 v15, v8
	v_cvt_f64_f32_e32 v[12:13], v8
	v_frexp_exp_i32_f64_e32 v12, v[12:13]
	v_cmp_gt_f32_e32 vcc, s14, v15
	v_cmp_gt_f32_e64 s[60:61], s16, v36
	s_nop 0
	v_subbrev_co_u32_e32 v23, vcc, 0, v12, vcc
	v_sub_u32_e32 v12, 0, v23
	v_ldexp_f32 v8, v8, v12
	v_ldexp_f32 v12, v14, v12
	v_add_f32_e32 v14, -1.0, v8
	v_add_f32_e32 v13, 1.0, v14
	v_sub_f32_e32 v13, v8, v13
	v_add_f32_e32 v15, v12, v13
	v_add_f32_e32 v13, 1.0, v8
	v_add_f32_e32 v25, -1.0, v13
	v_sub_f32_e32 v8, v8, v25
	v_add_f32_e32 v8, v12, v8
	v_add_f32_e32 v25, v13, v8
	v_rcp_f32_e32 v30, v25
	v_sub_f32_e32 v12, v13, v25
	v_add_f32_e32 v13, v14, v15
	v_add_f32_e32 v8, v8, v12
	v_mul_f32_e32 v32, v13, v30
	v_sub_f32_e32 v12, v14, v13
	v_mul_f32_e32 v14, v25, v32
	v_fma_f32 v26, v32, v25, -v14
	v_fmac_f32_e32 v26, v32, v8
	v_add_f32_e32 v31, v15, v12
	v_add_f32_e32 v12, v14, v26
	v_sub_f32_e32 v15, v13, v12
	v_pk_add_f32 v[28:29], v[12:13], v[14:15] neg_lo:[0,1] neg_hi:[0,1]
	v_mov_b32_e32 v27, v12
	v_pk_add_f32 v[12:13], v[28:29], v[26:27] neg_lo:[0,1] neg_hi:[0,1]
	v_cmp_eq_f32_e32 vcc, s13, v36
	v_add_f32_e32 v13, v31, v13
	v_add_f32_e32 v12, v12, v13
	;; [unrolled: 1-line block ×3, first 2 shown]
	v_mul_f32_e32 v31, v30, v13
	v_mul_f32_e32 v14, v25, v31
	v_fma_f32 v26, v31, v25, -v14
	v_fmac_f32_e32 v26, v31, v8
	v_sub_f32_e32 v8, v15, v13
	v_add_f32_e32 v8, v12, v8
	v_add_f32_e32 v12, v14, v26
	v_sub_f32_e32 v15, v13, v12
	v_pk_add_f32 v[28:29], v[12:13], v[14:15] neg_lo:[0,1] neg_hi:[0,1]
	v_mov_b32_e32 v27, v12
	v_pk_add_f32 v[12:13], v[28:29], v[26:27] neg_lo:[0,1] neg_hi:[0,1]
	s_or_b64 vcc, s[60:61], vcc
	v_add_f32_e32 v8, v8, v13
	v_add_f32_e32 v8, v12, v8
	;; [unrolled: 1-line block ×4, first 2 shown]
	v_sub_f32_e32 v12, v13, v32
	v_mul_f32_e32 v8, v30, v8
	v_sub_f32_e32 v12, v31, v12
	v_add_f32_e32 v8, v12, v8
	v_add_f32_e32 v14, v13, v8
	v_mul_f32_e32 v26, v14, v14
	v_fmamk_f32 v12, v26, 0x3e9b6dac, v135
	v_fmaak_f32 v25, v26, v12, 0x3f2aaada
	v_cvt_f32_i32_e32 v12, v23
	v_sub_f32_e32 v13, v14, v13
	v_sub_f32_e32 v8, v8, v13
	v_mul_f32_e32 v13, v14, v26
	v_pk_mul_f32 v[26:27], v[12:13], v[24:25]
	v_ldexp_f32 v15, v14, 1
	v_fma_f32 v14, v12, s15, -v26
	v_fmac_f32_e32 v14, 0xb102e308, v12
	v_pk_add_f32 v[12:13], v[26:27], v[14:15]
	v_ldexp_f32 v8, v8, 1
	v_sub_f32_e32 v15, v13, v15
	v_sub_f32_e32 v15, v27, v15
	v_add_f32_e32 v29, v8, v15
	v_mov_b32_e32 v28, v26
	v_pk_add_f32 v[26:27], v[12:13], v[26:27] neg_lo:[0,1] neg_hi:[0,1]
	v_pk_add_f32 v[30:31], v[12:13], v[28:29]
	v_mov_b32_e32 v15, v12
	v_mov_b32_e32 v27, v31
	v_pk_add_f32 v[32:33], v[14:15], v[26:27] neg_lo:[0,1] neg_hi:[0,1]
	v_pk_add_f32 v[14:15], v[14:15], v[26:27]
	s_nop 0
	v_mov_b32_e32 v8, v15
	v_pk_add_f32 v[26:27], v[8:9], v[12:13] neg_lo:[0,1] neg_hi:[0,1]
	v_mov_b32_e32 v14, v31
	v_mov_b32_e32 v23, v26
	v_pk_add_f32 v[34:35], v[30:31], v[22:23] neg_lo:[0,1] neg_hi:[0,1]
	v_mov_b32_e32 v30, v13
	v_mov_b32_e32 v31, v26
	;; [unrolled: 1-line block ×3, first 2 shown]
	v_pk_add_f32 v[14:15], v[14:15], v[30:31] neg_lo:[0,1] neg_hi:[0,1]
	v_mov_b32_e32 v26, v29
	v_mov_b32_e32 v27, v12
	v_pk_add_f32 v[12:13], v[26:27], v[14:15] neg_lo:[0,1] neg_hi:[0,1]
	v_mov_b32_e32 v34, v32
	v_pk_add_f32 v[14:15], v[34:35], v[12:13]
	s_nop 0
	v_mov_b32_e32 v26, v15
	v_pk_add_f32 v[26:27], v[14:15], v[26:27]
	s_nop 0
	v_pk_add_f32 v[28:29], v[8:9], v[26:27]
	v_mov_b32_e32 v13, v26
	v_mov_b32_e32 v15, v28
	v_pk_add_f32 v[30:31], v[14:15], v[32:33] neg_lo:[0,1] neg_hi:[0,1]
	s_nop 0
	v_sub_f32_e32 v8, v14, v30
	v_pk_add_f32 v[12:13], v[12:13], v[30:31] neg_lo:[0,1] neg_hi:[0,1]
	v_sub_f32_e32 v8, v32, v8
	v_add_f32_e32 v8, v12, v8
	v_add_f32_e32 v8, v8, v13
	;; [unrolled: 1-line block ×3, first 2 shown]
	v_cndmask_b32_e32 v149, v8, v36, vcc
.LBB122_97:                             ;   in Loop: Header=BB122_13 Depth=1
	s_or_b64 exec, exec, s[4:5]
	v_cvt_f32_f16_sdwa v8, v9 dst_sel:DWORD dst_unused:UNUSED_PAD src0_sel:WORD_1
	v_readlane_b32 s2, v167, 2
	s_nop 1
	v_add_f32_e32 v150, s2, v8
	v_readlane_b32 s2, v167, 30
	v_cmp_ge_f32_e32 vcc, s6, v150
	v_readlane_b32 s3, v167, 31
	s_and_b64 s[2:3], s[2:3], vcc
	s_and_saveexec_b64 s[4:5], s[2:3]
	s_cbranch_execz .LBB122_99
; %bb.98:                               ;   in Loop: Header=BB122_13 Depth=1
	v_mul_f32_e32 v8, 0x3fb8aa3b, v150
	v_rndne_f32_e32 v9, v8
	v_sub_f32_e32 v12, v8, v9
	v_fma_f32 v8, v150, s10, -v8
	v_fmac_f32_e32 v8, 0x32a5705f, v150
	v_add_f32_e32 v8, v12, v8
	v_cvt_i32_f32_e32 v9, v9
	v_exp_f32_e32 v8, v8
	v_cmp_ngt_f32_e32 vcc, s11, v150
	v_ldexp_f32 v8, v8, v9
	s_nop 0
	v_cndmask_b32_e32 v8, 0, v8, vcc
	v_cmp_nlt_f32_e32 vcc, s12, v150
	s_nop 1
	v_cndmask_b32_e32 v23, v136, v8, vcc
	v_add_f32_e32 v12, 1.0, v23
	v_add_f32_e32 v8, -1.0, v12
	v_sub_f32_e32 v9, v8, v12
	v_add_f32_e32 v9, 1.0, v9
	v_sub_f32_e32 v8, v23, v8
	v_add_f32_e32 v13, v8, v9
	v_frexp_mant_f32_e32 v14, v12
	v_cvt_f64_f32_e32 v[8:9], v12
	v_frexp_exp_i32_f64_e32 v8, v[8:9]
	v_cmp_gt_f32_e32 vcc, s14, v14
	v_cmp_gt_f32_e64 s[60:61], s16, v23
	s_nop 0
	v_subbrev_co_u32_e32 v28, vcc, 0, v8, vcc
	v_sub_u32_e32 v8, 0, v28
	v_ldexp_f32 v9, v12, v8
	v_add_f32_e32 v12, -1.0, v9
	v_add_f32_e32 v14, 1.0, v9
	v_ldexp_f32 v8, v13, v8
	v_add_f32_e32 v13, 1.0, v12
	v_add_f32_e32 v15, -1.0, v14
	v_sub_f32_e32 v13, v9, v13
	v_sub_f32_e32 v9, v9, v15
	v_add_f32_e32 v13, v8, v13
	v_add_f32_e32 v8, v8, v9
	;; [unrolled: 1-line block ×3, first 2 shown]
	v_rcp_f32_e32 v30, v25
	v_sub_f32_e32 v9, v14, v25
	v_add_f32_e32 v29, v8, v9
	v_add_f32_e32 v9, v12, v13
	v_mul_f32_e32 v32, v9, v30
	v_sub_f32_e32 v8, v12, v9
	v_mul_f32_e32 v12, v25, v32
	v_fma_f32 v14, v32, v25, -v12
	v_fmac_f32_e32 v14, v32, v29
	v_add_f32_e32 v31, v13, v8
	v_add_f32_e32 v8, v12, v14
	v_sub_f32_e32 v13, v9, v8
	v_pk_add_f32 v[26:27], v[8:9], v[12:13] neg_lo:[0,1] neg_hi:[0,1]
	v_mov_b32_e32 v15, v8
	v_pk_add_f32 v[8:9], v[26:27], v[14:15] neg_lo:[0,1] neg_hi:[0,1]
	v_cmp_eq_f32_e32 vcc, s13, v23
	v_add_f32_e32 v9, v31, v9
	v_add_f32_e32 v8, v8, v9
	;; [unrolled: 1-line block ×3, first 2 shown]
	v_mul_f32_e32 v31, v30, v9
	v_mul_f32_e32 v12, v25, v31
	v_fma_f32 v14, v31, v25, -v12
	v_fmac_f32_e32 v14, v31, v29
	v_sub_f32_e32 v13, v13, v9
	v_add_f32_e32 v25, v8, v13
	v_add_f32_e32 v8, v12, v14
	v_sub_f32_e32 v13, v9, v8
	v_pk_add_f32 v[26:27], v[8:9], v[12:13] neg_lo:[0,1] neg_hi:[0,1]
	v_mov_b32_e32 v15, v8
	v_pk_add_f32 v[8:9], v[26:27], v[14:15] neg_lo:[0,1] neg_hi:[0,1]
	s_or_b64 vcc, s[60:61], vcc
	v_add_f32_e32 v9, v25, v9
	v_add_f32_e32 v8, v8, v9
	;; [unrolled: 1-line block ×4, first 2 shown]
	v_sub_f32_e32 v12, v9, v32
	v_mul_f32_e32 v8, v30, v8
	v_sub_f32_e32 v12, v31, v12
	v_add_f32_e32 v12, v12, v8
	v_add_f32_e32 v14, v9, v12
	v_mul_f32_e32 v15, v14, v14
	v_fmamk_f32 v8, v15, 0x3e9b6dac, v135
	v_fmaak_f32 v25, v15, v8, 0x3f2aaada
	v_cvt_f32_i32_e32 v8, v28
	v_sub_f32_e32 v9, v14, v9
	v_sub_f32_e32 v9, v12, v9
	v_ldexp_f32 v26, v9, 1
	v_mul_f32_e32 v9, v14, v15
	v_ldexp_f32 v13, v14, 1
	v_pk_mul_f32 v[14:15], v[8:9], v[24:25]
	s_nop 0
	v_fma_f32 v12, v8, s15, -v14
	v_fmac_f32_e32 v12, 0xb102e308, v8
	v_pk_add_f32 v[8:9], v[14:15], v[12:13]
	s_nop 0
	v_sub_f32_e32 v13, v9, v13
	v_sub_f32_e32 v13, v15, v13
	v_add_f32_e32 v27, v26, v13
	v_mov_b32_e32 v26, v14
	v_pk_add_f32 v[14:15], v[8:9], v[14:15] neg_lo:[0,1] neg_hi:[0,1]
	v_pk_add_f32 v[28:29], v[8:9], v[26:27]
	v_mov_b32_e32 v13, v8
	v_mov_b32_e32 v15, v29
	v_pk_add_f32 v[30:31], v[12:13], v[14:15] neg_lo:[0,1] neg_hi:[0,1]
	v_pk_add_f32 v[12:13], v[12:13], v[14:15]
	v_mov_b32_e32 v26, v27
	v_mov_b32_e32 v14, v13
	v_pk_add_f32 v[32:33], v[14:15], v[8:9] neg_lo:[0,1] neg_hi:[0,1]
	v_mov_b32_e32 v12, v29
	v_mov_b32_e32 v15, v32
	v_pk_add_f32 v[34:35], v[28:29], v[14:15] neg_lo:[0,1] neg_hi:[0,1]
	v_mov_b32_e32 v28, v9
	v_mov_b32_e32 v29, v32
	v_mov_b32_e32 v31, v13
	v_pk_add_f32 v[12:13], v[12:13], v[28:29] neg_lo:[0,1] neg_hi:[0,1]
	v_mov_b32_e32 v27, v8
	v_pk_add_f32 v[8:9], v[26:27], v[12:13] neg_lo:[0,1] neg_hi:[0,1]
	v_mov_b32_e32 v34, v30
	v_pk_add_f32 v[12:13], v[34:35], v[8:9]
	s_nop 0
	v_mov_b32_e32 v26, v13
	v_pk_add_f32 v[26:27], v[12:13], v[26:27]
	s_nop 0
	v_pk_add_f32 v[14:15], v[14:15], v[26:27]
	v_mov_b32_e32 v9, v26
	v_mov_b32_e32 v13, v14
	v_pk_add_f32 v[28:29], v[12:13], v[30:31] neg_lo:[0,1] neg_hi:[0,1]
	s_nop 0
	v_sub_f32_e32 v12, v12, v28
	v_pk_add_f32 v[8:9], v[8:9], v[28:29] neg_lo:[0,1] neg_hi:[0,1]
	v_sub_f32_e32 v12, v30, v12
	v_add_f32_e32 v8, v8, v12
	v_add_f32_e32 v8, v8, v9
	;; [unrolled: 1-line block ×3, first 2 shown]
	v_cndmask_b32_e32 v150, v8, v23, vcc
.LBB122_99:                             ;   in Loop: Header=BB122_13 Depth=1
	s_or_b64 exec, exec, s[4:5]
	v_cvt_f32_f16_e32 v8, v10
	v_readlane_b32 s2, v167, 2
	s_nop 1
	v_add_f32_e32 v151, s2, v8
	v_readlane_b32 s2, v167, 30
	v_cmp_ge_f32_e32 vcc, s6, v151
	v_readlane_b32 s3, v167, 31
	s_and_b64 s[2:3], s[2:3], vcc
	s_and_saveexec_b64 s[4:5], s[2:3]
	s_cbranch_execz .LBB122_101
; %bb.100:                              ;   in Loop: Header=BB122_13 Depth=1
	v_mul_f32_e32 v8, 0x3fb8aa3b, v151
	v_rndne_f32_e32 v9, v8
	v_sub_f32_e32 v12, v8, v9
	v_fma_f32 v8, v151, s10, -v8
	v_fmac_f32_e32 v8, 0x32a5705f, v151
	v_add_f32_e32 v8, v12, v8
	v_cvt_i32_f32_e32 v9, v9
	v_exp_f32_e32 v8, v8
	v_cmp_ngt_f32_e32 vcc, s11, v151
	v_ldexp_f32 v8, v8, v9
	s_nop 0
	v_cndmask_b32_e32 v8, 0, v8, vcc
	v_cmp_nlt_f32_e32 vcc, s12, v151
	s_nop 1
	v_cndmask_b32_e32 v23, v136, v8, vcc
	v_add_f32_e32 v12, 1.0, v23
	v_add_f32_e32 v8, -1.0, v12
	v_sub_f32_e32 v9, v8, v12
	v_add_f32_e32 v9, 1.0, v9
	v_sub_f32_e32 v8, v23, v8
	v_add_f32_e32 v13, v8, v9
	v_frexp_mant_f32_e32 v14, v12
	v_cvt_f64_f32_e32 v[8:9], v12
	v_frexp_exp_i32_f64_e32 v8, v[8:9]
	v_cmp_gt_f32_e32 vcc, s14, v14
	v_cmp_gt_f32_e64 s[60:61], s16, v23
	s_nop 0
	v_subbrev_co_u32_e32 v28, vcc, 0, v8, vcc
	v_sub_u32_e32 v8, 0, v28
	v_ldexp_f32 v9, v12, v8
	v_add_f32_e32 v12, -1.0, v9
	v_add_f32_e32 v14, 1.0, v9
	v_ldexp_f32 v8, v13, v8
	v_add_f32_e32 v13, 1.0, v12
	v_add_f32_e32 v15, -1.0, v14
	v_sub_f32_e32 v13, v9, v13
	v_sub_f32_e32 v9, v9, v15
	v_add_f32_e32 v13, v8, v13
	v_add_f32_e32 v8, v8, v9
	;; [unrolled: 1-line block ×3, first 2 shown]
	v_rcp_f32_e32 v30, v25
	v_sub_f32_e32 v9, v14, v25
	v_add_f32_e32 v29, v8, v9
	v_add_f32_e32 v9, v12, v13
	v_mul_f32_e32 v32, v9, v30
	v_sub_f32_e32 v8, v12, v9
	v_mul_f32_e32 v12, v25, v32
	v_fma_f32 v14, v32, v25, -v12
	v_fmac_f32_e32 v14, v32, v29
	v_add_f32_e32 v31, v13, v8
	v_add_f32_e32 v8, v12, v14
	v_sub_f32_e32 v13, v9, v8
	v_pk_add_f32 v[26:27], v[8:9], v[12:13] neg_lo:[0,1] neg_hi:[0,1]
	v_mov_b32_e32 v15, v8
	v_pk_add_f32 v[8:9], v[26:27], v[14:15] neg_lo:[0,1] neg_hi:[0,1]
	v_cmp_eq_f32_e32 vcc, s13, v23
	v_add_f32_e32 v9, v31, v9
	v_add_f32_e32 v8, v8, v9
	v_add_f32_e32 v9, v13, v8
	v_mul_f32_e32 v31, v30, v9
	v_mul_f32_e32 v12, v25, v31
	v_fma_f32 v14, v31, v25, -v12
	v_fmac_f32_e32 v14, v31, v29
	v_sub_f32_e32 v13, v13, v9
	v_add_f32_e32 v25, v8, v13
	v_add_f32_e32 v8, v12, v14
	v_sub_f32_e32 v13, v9, v8
	v_pk_add_f32 v[26:27], v[8:9], v[12:13] neg_lo:[0,1] neg_hi:[0,1]
	v_mov_b32_e32 v15, v8
	v_pk_add_f32 v[8:9], v[26:27], v[14:15] neg_lo:[0,1] neg_hi:[0,1]
	s_or_b64 vcc, s[60:61], vcc
	v_add_f32_e32 v9, v25, v9
	v_add_f32_e32 v8, v8, v9
	;; [unrolled: 1-line block ×4, first 2 shown]
	v_sub_f32_e32 v12, v9, v32
	v_mul_f32_e32 v8, v30, v8
	v_sub_f32_e32 v12, v31, v12
	v_add_f32_e32 v12, v12, v8
	v_add_f32_e32 v14, v9, v12
	v_mul_f32_e32 v15, v14, v14
	v_fmamk_f32 v8, v15, 0x3e9b6dac, v135
	v_fmaak_f32 v25, v15, v8, 0x3f2aaada
	v_cvt_f32_i32_e32 v8, v28
	v_sub_f32_e32 v9, v14, v9
	v_sub_f32_e32 v9, v12, v9
	v_ldexp_f32 v26, v9, 1
	v_mul_f32_e32 v9, v14, v15
	v_ldexp_f32 v13, v14, 1
	v_pk_mul_f32 v[14:15], v[8:9], v[24:25]
	s_nop 0
	v_fma_f32 v12, v8, s15, -v14
	v_fmac_f32_e32 v12, 0xb102e308, v8
	v_pk_add_f32 v[8:9], v[14:15], v[12:13]
	s_nop 0
	v_sub_f32_e32 v13, v9, v13
	v_sub_f32_e32 v13, v15, v13
	v_add_f32_e32 v27, v26, v13
	v_mov_b32_e32 v26, v14
	v_pk_add_f32 v[14:15], v[8:9], v[14:15] neg_lo:[0,1] neg_hi:[0,1]
	v_pk_add_f32 v[28:29], v[8:9], v[26:27]
	v_mov_b32_e32 v13, v8
	v_mov_b32_e32 v15, v29
	v_pk_add_f32 v[30:31], v[12:13], v[14:15] neg_lo:[0,1] neg_hi:[0,1]
	v_pk_add_f32 v[12:13], v[12:13], v[14:15]
	v_mov_b32_e32 v26, v27
	v_mov_b32_e32 v14, v13
	v_pk_add_f32 v[32:33], v[14:15], v[8:9] neg_lo:[0,1] neg_hi:[0,1]
	v_mov_b32_e32 v12, v29
	v_mov_b32_e32 v15, v32
	v_pk_add_f32 v[34:35], v[28:29], v[14:15] neg_lo:[0,1] neg_hi:[0,1]
	v_mov_b32_e32 v28, v9
	v_mov_b32_e32 v29, v32
	;; [unrolled: 1-line block ×3, first 2 shown]
	v_pk_add_f32 v[12:13], v[12:13], v[28:29] neg_lo:[0,1] neg_hi:[0,1]
	v_mov_b32_e32 v27, v8
	v_pk_add_f32 v[8:9], v[26:27], v[12:13] neg_lo:[0,1] neg_hi:[0,1]
	v_mov_b32_e32 v34, v30
	v_pk_add_f32 v[12:13], v[34:35], v[8:9]
	s_nop 0
	v_mov_b32_e32 v26, v13
	v_pk_add_f32 v[26:27], v[12:13], v[26:27]
	s_nop 0
	v_pk_add_f32 v[14:15], v[14:15], v[26:27]
	v_mov_b32_e32 v9, v26
	v_mov_b32_e32 v13, v14
	v_pk_add_f32 v[28:29], v[12:13], v[30:31] neg_lo:[0,1] neg_hi:[0,1]
	s_nop 0
	v_sub_f32_e32 v12, v12, v28
	v_pk_add_f32 v[8:9], v[8:9], v[28:29] neg_lo:[0,1] neg_hi:[0,1]
	v_sub_f32_e32 v12, v30, v12
	v_add_f32_e32 v8, v8, v12
	v_add_f32_e32 v8, v8, v9
	;; [unrolled: 1-line block ×3, first 2 shown]
	v_cndmask_b32_e32 v151, v8, v23, vcc
.LBB122_101:                            ;   in Loop: Header=BB122_13 Depth=1
	s_or_b64 exec, exec, s[4:5]
	v_cvt_f32_f16_sdwa v8, v10 dst_sel:DWORD dst_unused:UNUSED_PAD src0_sel:WORD_1
	v_readlane_b32 s2, v167, 2
	s_nop 1
	v_add_f32_e32 v152, s2, v8
	v_readlane_b32 s2, v167, 30
	v_cmp_ge_f32_e32 vcc, s6, v152
	v_readlane_b32 s3, v167, 31
	s_and_b64 s[2:3], s[2:3], vcc
	s_and_saveexec_b64 s[4:5], s[2:3]
	s_cbranch_execz .LBB122_103
; %bb.102:                              ;   in Loop: Header=BB122_13 Depth=1
	v_mul_f32_e32 v8, 0x3fb8aa3b, v152
	v_rndne_f32_e32 v9, v8
	v_sub_f32_e32 v10, v8, v9
	v_fma_f32 v8, v152, s10, -v8
	v_fmac_f32_e32 v8, 0x32a5705f, v152
	v_add_f32_e32 v8, v10, v8
	v_cvt_i32_f32_e32 v9, v9
	v_exp_f32_e32 v8, v8
	v_cmp_ngt_f32_e32 vcc, s11, v152
	v_ldexp_f32 v8, v8, v9
	s_nop 0
	v_cndmask_b32_e32 v8, 0, v8, vcc
	v_cmp_nlt_f32_e32 vcc, s12, v152
	s_nop 1
	v_cndmask_b32_e32 v23, v136, v8, vcc
	v_add_f32_e32 v10, 1.0, v23
	v_add_f32_e32 v8, -1.0, v10
	v_sub_f32_e32 v9, v8, v10
	v_add_f32_e32 v9, 1.0, v9
	v_sub_f32_e32 v8, v23, v8
	v_add_f32_e32 v12, v8, v9
	v_frexp_mant_f32_e32 v13, v10
	v_cvt_f64_f32_e32 v[8:9], v10
	v_frexp_exp_i32_f64_e32 v8, v[8:9]
	v_cmp_gt_f32_e32 vcc, s14, v13
	v_cmp_gt_f32_e64 s[60:61], s16, v23
	s_nop 0
	v_subbrev_co_u32_e32 v28, vcc, 0, v8, vcc
	v_sub_u32_e32 v8, 0, v28
	v_ldexp_f32 v9, v10, v8
	v_add_f32_e32 v10, -1.0, v9
	v_add_f32_e32 v13, 1.0, v9
	v_ldexp_f32 v8, v12, v8
	v_add_f32_e32 v12, 1.0, v10
	v_add_f32_e32 v14, -1.0, v13
	v_sub_f32_e32 v12, v9, v12
	v_sub_f32_e32 v9, v9, v14
	v_add_f32_e32 v12, v8, v12
	v_add_f32_e32 v8, v8, v9
	;; [unrolled: 1-line block ×3, first 2 shown]
	v_rcp_f32_e32 v30, v25
	v_sub_f32_e32 v9, v13, v25
	v_add_f32_e32 v29, v8, v9
	v_add_f32_e32 v9, v10, v12
	v_sub_f32_e32 v8, v10, v9
	v_mul_f32_e32 v31, v9, v30
	v_add_f32_e32 v10, v12, v8
	v_mul_f32_e32 v12, v25, v31
	v_fma_f32 v14, v31, v25, -v12
	v_fmac_f32_e32 v14, v31, v29
	v_add_f32_e32 v8, v12, v14
	v_sub_f32_e32 v13, v9, v8
	v_pk_add_f32 v[26:27], v[8:9], v[12:13] neg_lo:[0,1] neg_hi:[0,1]
	v_mov_b32_e32 v15, v8
	v_pk_add_f32 v[8:9], v[26:27], v[14:15] neg_lo:[0,1] neg_hi:[0,1]
	v_cmp_eq_f32_e32 vcc, s13, v23
	v_add_f32_e32 v9, v10, v9
	v_add_f32_e32 v8, v8, v9
	;; [unrolled: 1-line block ×3, first 2 shown]
	v_mul_f32_e32 v10, v30, v9
	v_mul_f32_e32 v12, v25, v10
	v_fma_f32 v14, v10, v25, -v12
	v_fmac_f32_e32 v14, v10, v29
	v_sub_f32_e32 v13, v13, v9
	v_add_f32_e32 v25, v8, v13
	v_add_f32_e32 v8, v12, v14
	v_sub_f32_e32 v13, v9, v8
	v_pk_add_f32 v[26:27], v[8:9], v[12:13] neg_lo:[0,1] neg_hi:[0,1]
	v_mov_b32_e32 v15, v8
	v_pk_add_f32 v[8:9], v[26:27], v[14:15] neg_lo:[0,1] neg_hi:[0,1]
	s_or_b64 vcc, s[60:61], vcc
	v_add_f32_e32 v9, v25, v9
	v_add_f32_e32 v8, v8, v9
	;; [unrolled: 1-line block ×4, first 2 shown]
	v_sub_f32_e32 v12, v9, v31
	v_mul_f32_e32 v8, v30, v8
	v_sub_f32_e32 v10, v10, v12
	v_add_f32_e32 v10, v10, v8
	v_add_f32_e32 v12, v9, v10
	v_mul_f32_e32 v14, v12, v12
	v_fmamk_f32 v8, v14, 0x3e9b6dac, v135
	v_fmaak_f32 v25, v14, v8, 0x3f2aaada
	v_cvt_f32_i32_e32 v8, v28
	v_sub_f32_e32 v9, v12, v9
	v_sub_f32_e32 v9, v10, v9
	v_ldexp_f32 v10, v9, 1
	v_mul_f32_e32 v9, v12, v14
	v_pk_mul_f32 v[14:15], v[8:9], v[24:25]
	v_ldexp_f32 v13, v12, 1
	v_fma_f32 v12, v8, s15, -v14
	v_fmac_f32_e32 v12, 0xb102e308, v8
	v_pk_add_f32 v[8:9], v[14:15], v[12:13]
	v_mov_b32_e32 v26, v14
	v_sub_f32_e32 v13, v9, v13
	v_sub_f32_e32 v13, v15, v13
	v_add_f32_e32 v27, v10, v13
	v_pk_add_f32 v[14:15], v[8:9], v[14:15] neg_lo:[0,1] neg_hi:[0,1]
	v_pk_add_f32 v[28:29], v[8:9], v[26:27]
	v_mov_b32_e32 v13, v8
	v_mov_b32_e32 v15, v29
	v_pk_add_f32 v[30:31], v[12:13], v[14:15] neg_lo:[0,1] neg_hi:[0,1]
	v_pk_add_f32 v[12:13], v[12:13], v[14:15]
	s_nop 0
	v_mov_b32_e32 v10, v13
	v_pk_add_f32 v[14:15], v[10:11], v[8:9] neg_lo:[0,1] neg_hi:[0,1]
	v_mov_b32_e32 v12, v29
	v_mov_b32_e32 v15, v14
	v_pk_add_f32 v[32:33], v[28:29], v[14:15] neg_lo:[0,1] neg_hi:[0,1]
	v_mov_b32_e32 v28, v9
	v_mov_b32_e32 v29, v14
	;; [unrolled: 1-line block ×3, first 2 shown]
	v_pk_add_f32 v[12:13], v[12:13], v[28:29] neg_lo:[0,1] neg_hi:[0,1]
	v_mov_b32_e32 v14, v27
	v_mov_b32_e32 v15, v8
	v_pk_add_f32 v[8:9], v[14:15], v[12:13] neg_lo:[0,1] neg_hi:[0,1]
	v_mov_b32_e32 v32, v30
	v_pk_add_f32 v[12:13], v[32:33], v[8:9]
	s_nop 0
	v_mov_b32_e32 v14, v13
	v_pk_add_f32 v[14:15], v[12:13], v[14:15]
	s_nop 0
	v_pk_add_f32 v[26:27], v[10:11], v[14:15]
	v_mov_b32_e32 v9, v14
	v_mov_b32_e32 v13, v26
	v_pk_add_f32 v[28:29], v[12:13], v[30:31] neg_lo:[0,1] neg_hi:[0,1]
	s_nop 0
	v_sub_f32_e32 v10, v12, v28
	v_pk_add_f32 v[8:9], v[8:9], v[28:29] neg_lo:[0,1] neg_hi:[0,1]
	v_sub_f32_e32 v10, v30, v10
	v_add_f32_e32 v8, v8, v10
	v_add_f32_e32 v8, v8, v9
	;; [unrolled: 1-line block ×3, first 2 shown]
	v_cndmask_b32_e32 v152, v8, v23, vcc
.LBB122_103:                            ;   in Loop: Header=BB122_13 Depth=1
	s_or_b64 exec, exec, s[4:5]
	v_cvt_f32_f16_e32 v8, v11
	v_readlane_b32 s2, v167, 2
	s_nop 1
	v_add_f32_e32 v26, s2, v8
	v_readlane_b32 s2, v167, 30
	v_cmp_ge_f32_e32 vcc, s6, v26
	v_readlane_b32 s3, v167, 31
	s_and_b64 s[2:3], s[2:3], vcc
	s_and_saveexec_b64 s[4:5], s[2:3]
	s_cbranch_execz .LBB122_105
; %bb.104:                              ;   in Loop: Header=BB122_13 Depth=1
	v_mul_f32_e32 v8, 0x3fb8aa3b, v26
	v_rndne_f32_e32 v9, v8
	v_sub_f32_e32 v10, v8, v9
	v_fma_f32 v8, v26, s10, -v8
	v_fmac_f32_e32 v8, 0x32a5705f, v26
	v_add_f32_e32 v8, v10, v8
	v_cvt_i32_f32_e32 v9, v9
	v_exp_f32_e32 v8, v8
	v_cmp_ngt_f32_e32 vcc, s11, v26
	v_ldexp_f32 v8, v8, v9
	s_nop 0
	v_cndmask_b32_e32 v8, 0, v8, vcc
	v_cmp_nlt_f32_e32 vcc, s12, v26
	s_nop 1
	v_cndmask_b32_e32 v23, v136, v8, vcc
	v_add_f32_e32 v10, 1.0, v23
	v_add_f32_e32 v8, -1.0, v10
	v_sub_f32_e32 v9, v8, v10
	v_add_f32_e32 v9, 1.0, v9
	v_sub_f32_e32 v8, v23, v8
	v_add_f32_e32 v12, v8, v9
	v_frexp_mant_f32_e32 v13, v10
	v_cvt_f64_f32_e32 v[8:9], v10
	v_frexp_exp_i32_f64_e32 v8, v[8:9]
	v_cmp_gt_f32_e32 vcc, s14, v13
	v_cmp_gt_f32_e64 s[60:61], s16, v23
	s_nop 0
	v_subbrev_co_u32_e32 v28, vcc, 0, v8, vcc
	v_sub_u32_e32 v8, 0, v28
	v_ldexp_f32 v9, v10, v8
	v_add_f32_e32 v10, -1.0, v9
	v_add_f32_e32 v13, 1.0, v9
	v_ldexp_f32 v8, v12, v8
	v_add_f32_e32 v12, 1.0, v10
	v_add_f32_e32 v14, -1.0, v13
	v_sub_f32_e32 v12, v9, v12
	v_sub_f32_e32 v9, v9, v14
	v_add_f32_e32 v12, v8, v12
	v_add_f32_e32 v8, v8, v9
	;; [unrolled: 1-line block ×3, first 2 shown]
	v_rcp_f32_e32 v30, v25
	v_sub_f32_e32 v9, v13, v25
	v_add_f32_e32 v29, v8, v9
	v_add_f32_e32 v9, v10, v12
	v_sub_f32_e32 v8, v10, v9
	v_mul_f32_e32 v31, v9, v30
	v_add_f32_e32 v10, v12, v8
	v_mul_f32_e32 v12, v25, v31
	v_fma_f32 v14, v31, v25, -v12
	v_fmac_f32_e32 v14, v31, v29
	v_add_f32_e32 v8, v12, v14
	v_sub_f32_e32 v13, v9, v8
	v_pk_add_f32 v[26:27], v[8:9], v[12:13] neg_lo:[0,1] neg_hi:[0,1]
	v_mov_b32_e32 v15, v8
	v_pk_add_f32 v[8:9], v[26:27], v[14:15] neg_lo:[0,1] neg_hi:[0,1]
	v_cmp_eq_f32_e32 vcc, s13, v23
	v_add_f32_e32 v9, v10, v9
	v_add_f32_e32 v8, v8, v9
	;; [unrolled: 1-line block ×3, first 2 shown]
	v_mul_f32_e32 v10, v30, v9
	v_mul_f32_e32 v12, v25, v10
	v_fma_f32 v14, v10, v25, -v12
	v_fmac_f32_e32 v14, v10, v29
	v_sub_f32_e32 v13, v13, v9
	v_add_f32_e32 v25, v8, v13
	v_add_f32_e32 v8, v12, v14
	v_sub_f32_e32 v13, v9, v8
	v_pk_add_f32 v[26:27], v[8:9], v[12:13] neg_lo:[0,1] neg_hi:[0,1]
	v_mov_b32_e32 v15, v8
	v_pk_add_f32 v[8:9], v[26:27], v[14:15] neg_lo:[0,1] neg_hi:[0,1]
	s_or_b64 vcc, s[60:61], vcc
	v_add_f32_e32 v9, v25, v9
	v_add_f32_e32 v8, v8, v9
	v_add_f32_e32 v9, v31, v10
	v_add_f32_e32 v8, v13, v8
	v_sub_f32_e32 v12, v9, v31
	v_mul_f32_e32 v8, v30, v8
	v_sub_f32_e32 v10, v10, v12
	v_add_f32_e32 v10, v10, v8
	v_add_f32_e32 v12, v9, v10
	v_mul_f32_e32 v14, v12, v12
	v_fmamk_f32 v8, v14, 0x3e9b6dac, v135
	v_fmaak_f32 v25, v14, v8, 0x3f2aaada
	v_cvt_f32_i32_e32 v8, v28
	v_sub_f32_e32 v9, v12, v9
	v_sub_f32_e32 v9, v10, v9
	v_ldexp_f32 v10, v9, 1
	v_mul_f32_e32 v9, v12, v14
	v_pk_mul_f32 v[14:15], v[8:9], v[24:25]
	v_ldexp_f32 v13, v12, 1
	v_fma_f32 v12, v8, s15, -v14
	v_fmac_f32_e32 v12, 0xb102e308, v8
	v_pk_add_f32 v[8:9], v[14:15], v[12:13]
	v_mov_b32_e32 v26, v14
	v_sub_f32_e32 v13, v9, v13
	v_sub_f32_e32 v13, v15, v13
	v_add_f32_e32 v27, v10, v13
	v_pk_add_f32 v[14:15], v[8:9], v[14:15] neg_lo:[0,1] neg_hi:[0,1]
	v_pk_add_f32 v[28:29], v[8:9], v[26:27]
	v_mov_b32_e32 v13, v8
	v_mov_b32_e32 v15, v29
	v_pk_add_f32 v[30:31], v[12:13], v[14:15] neg_lo:[0,1] neg_hi:[0,1]
	v_pk_add_f32 v[12:13], v[12:13], v[14:15]
	s_nop 0
	v_mov_b32_e32 v10, v13
	v_pk_add_f32 v[14:15], v[10:11], v[8:9] neg_lo:[0,1] neg_hi:[0,1]
	v_mov_b32_e32 v12, v29
	v_mov_b32_e32 v15, v14
	v_pk_add_f32 v[32:33], v[28:29], v[14:15] neg_lo:[0,1] neg_hi:[0,1]
	v_mov_b32_e32 v28, v9
	v_mov_b32_e32 v29, v14
	;; [unrolled: 1-line block ×3, first 2 shown]
	v_pk_add_f32 v[12:13], v[12:13], v[28:29] neg_lo:[0,1] neg_hi:[0,1]
	v_mov_b32_e32 v14, v27
	v_mov_b32_e32 v15, v8
	v_pk_add_f32 v[8:9], v[14:15], v[12:13] neg_lo:[0,1] neg_hi:[0,1]
	v_mov_b32_e32 v32, v30
	v_pk_add_f32 v[12:13], v[32:33], v[8:9]
	s_nop 0
	v_mov_b32_e32 v14, v13
	v_pk_add_f32 v[14:15], v[12:13], v[14:15]
	s_nop 0
	v_pk_add_f32 v[26:27], v[10:11], v[14:15]
	v_mov_b32_e32 v9, v14
	v_mov_b32_e32 v13, v26
	v_pk_add_f32 v[28:29], v[12:13], v[30:31] neg_lo:[0,1] neg_hi:[0,1]
	s_nop 0
	v_sub_f32_e32 v10, v12, v28
	v_pk_add_f32 v[8:9], v[8:9], v[28:29] neg_lo:[0,1] neg_hi:[0,1]
	v_sub_f32_e32 v10, v30, v10
	v_add_f32_e32 v8, v8, v10
	v_add_f32_e32 v8, v8, v9
	;; [unrolled: 1-line block ×3, first 2 shown]
	v_cndmask_b32_e32 v26, v8, v23, vcc
.LBB122_105:                            ;   in Loop: Header=BB122_13 Depth=1
	s_or_b64 exec, exec, s[4:5]
	v_cvt_f32_f16_sdwa v8, v11 dst_sel:DWORD dst_unused:UNUSED_PAD src0_sel:WORD_1
	v_readlane_b32 s2, v167, 2
	s_nop 1
	v_add_f32_e32 v27, s2, v8
	v_readlane_b32 s2, v167, 30
	v_cmp_ge_f32_e32 vcc, s6, v27
	v_readlane_b32 s3, v167, 31
	s_and_b64 s[2:3], s[2:3], vcc
	s_and_saveexec_b64 s[4:5], s[2:3]
	s_cbranch_execz .LBB122_107
; %bb.106:                              ;   in Loop: Header=BB122_13 Depth=1
	v_mul_f32_e32 v8, 0x3fb8aa3b, v27
	v_rndne_f32_e32 v9, v8
	v_sub_f32_e32 v10, v8, v9
	v_fma_f32 v8, v27, s10, -v8
	v_fmac_f32_e32 v8, 0x32a5705f, v27
	v_add_f32_e32 v8, v10, v8
	v_cvt_i32_f32_e32 v9, v9
	v_exp_f32_e32 v8, v8
	v_cmp_ngt_f32_e32 vcc, s11, v27
	v_ldexp_f32 v8, v8, v9
	s_nop 0
	v_cndmask_b32_e32 v8, 0, v8, vcc
	v_cmp_nlt_f32_e32 vcc, s12, v27
	s_nop 1
	v_cndmask_b32_e32 v23, v136, v8, vcc
	v_add_f32_e32 v10, 1.0, v23
	v_add_f32_e32 v8, -1.0, v10
	v_sub_f32_e32 v9, v8, v10
	v_add_f32_e32 v9, 1.0, v9
	v_sub_f32_e32 v8, v23, v8
	v_add_f32_e32 v11, v8, v9
	v_frexp_mant_f32_e32 v12, v10
	v_cvt_f64_f32_e32 v[8:9], v10
	v_frexp_exp_i32_f64_e32 v8, v[8:9]
	v_cmp_gt_f32_e32 vcc, s14, v12
	v_cmp_gt_f32_e64 s[60:61], s16, v23
	s_nop 0
	v_subbrev_co_u32_e32 v27, vcc, 0, v8, vcc
	v_sub_u32_e32 v8, 0, v27
	v_ldexp_f32 v9, v10, v8
	v_add_f32_e32 v10, -1.0, v9
	v_add_f32_e32 v12, 1.0, v9
	v_ldexp_f32 v8, v11, v8
	v_add_f32_e32 v11, 1.0, v10
	v_add_f32_e32 v13, -1.0, v12
	v_sub_f32_e32 v11, v9, v11
	v_sub_f32_e32 v9, v9, v13
	v_add_f32_e32 v11, v8, v11
	v_add_f32_e32 v8, v8, v9
	v_add_f32_e32 v25, v12, v8
	v_rcp_f32_e32 v29, v25
	v_sub_f32_e32 v9, v12, v25
	v_add_f32_e32 v28, v8, v9
	v_add_f32_e32 v9, v10, v11
	v_mul_f32_e32 v31, v9, v29
	v_sub_f32_e32 v8, v10, v9
	v_mul_f32_e32 v10, v25, v31
	v_fma_f32 v12, v31, v25, -v10
	v_fmac_f32_e32 v12, v31, v28
	v_add_f32_e32 v30, v11, v8
	v_add_f32_e32 v8, v10, v12
	v_sub_f32_e32 v11, v9, v8
	v_pk_add_f32 v[14:15], v[8:9], v[10:11] neg_lo:[0,1] neg_hi:[0,1]
	v_mov_b32_e32 v13, v8
	v_pk_add_f32 v[8:9], v[14:15], v[12:13] neg_lo:[0,1] neg_hi:[0,1]
	v_cmp_eq_f32_e32 vcc, s13, v23
	v_add_f32_e32 v9, v30, v9
	v_add_f32_e32 v8, v8, v9
	;; [unrolled: 1-line block ×3, first 2 shown]
	v_mul_f32_e32 v30, v29, v9
	v_mul_f32_e32 v10, v25, v30
	v_fma_f32 v12, v30, v25, -v10
	v_fmac_f32_e32 v12, v30, v28
	v_sub_f32_e32 v11, v11, v9
	v_add_f32_e32 v25, v8, v11
	v_add_f32_e32 v8, v10, v12
	v_sub_f32_e32 v11, v9, v8
	v_pk_add_f32 v[14:15], v[8:9], v[10:11] neg_lo:[0,1] neg_hi:[0,1]
	v_mov_b32_e32 v13, v8
	v_pk_add_f32 v[8:9], v[14:15], v[12:13] neg_lo:[0,1] neg_hi:[0,1]
	s_or_b64 vcc, s[60:61], vcc
	v_add_f32_e32 v9, v25, v9
	v_add_f32_e32 v8, v8, v9
	;; [unrolled: 1-line block ×4, first 2 shown]
	v_sub_f32_e32 v10, v9, v31
	v_mul_f32_e32 v8, v29, v8
	v_sub_f32_e32 v10, v30, v10
	v_add_f32_e32 v10, v10, v8
	v_add_f32_e32 v12, v9, v10
	v_mul_f32_e32 v13, v12, v12
	v_fmamk_f32 v8, v13, 0x3e9b6dac, v135
	v_fmaak_f32 v25, v13, v8, 0x3f2aaada
	v_cvt_f32_i32_e32 v8, v27
	v_sub_f32_e32 v9, v12, v9
	v_sub_f32_e32 v9, v10, v9
	v_ldexp_f32 v14, v9, 1
	v_mul_f32_e32 v9, v12, v13
	v_ldexp_f32 v11, v12, 1
	v_pk_mul_f32 v[12:13], v[8:9], v[24:25]
	s_nop 0
	v_fma_f32 v10, v8, s15, -v12
	v_fmac_f32_e32 v10, 0xb102e308, v8
	v_pk_add_f32 v[8:9], v[12:13], v[10:11]
	s_nop 0
	v_sub_f32_e32 v11, v9, v11
	v_sub_f32_e32 v11, v13, v11
	v_add_f32_e32 v15, v14, v11
	v_mov_b32_e32 v14, v12
	v_pk_add_f32 v[12:13], v[8:9], v[12:13] neg_lo:[0,1] neg_hi:[0,1]
	v_pk_add_f32 v[28:29], v[8:9], v[14:15]
	v_mov_b32_e32 v11, v8
	v_mov_b32_e32 v13, v29
	v_pk_add_f32 v[30:31], v[10:11], v[12:13] neg_lo:[0,1] neg_hi:[0,1]
	v_pk_add_f32 v[10:11], v[10:11], v[12:13]
	v_mov_b32_e32 v14, v15
	v_mov_b32_e32 v12, v11
	v_pk_add_f32 v[32:33], v[12:13], v[8:9] neg_lo:[0,1] neg_hi:[0,1]
	v_mov_b32_e32 v10, v29
	v_mov_b32_e32 v13, v32
	v_pk_add_f32 v[34:35], v[28:29], v[12:13] neg_lo:[0,1] neg_hi:[0,1]
	v_mov_b32_e32 v28, v9
	v_mov_b32_e32 v29, v32
	;; [unrolled: 1-line block ×3, first 2 shown]
	v_pk_add_f32 v[10:11], v[10:11], v[28:29] neg_lo:[0,1] neg_hi:[0,1]
	v_mov_b32_e32 v15, v8
	v_pk_add_f32 v[8:9], v[14:15], v[10:11] neg_lo:[0,1] neg_hi:[0,1]
	v_mov_b32_e32 v34, v30
	v_pk_add_f32 v[10:11], v[34:35], v[8:9]
	s_nop 0
	v_mov_b32_e32 v14, v11
	v_pk_add_f32 v[14:15], v[10:11], v[14:15]
	s_nop 0
	v_pk_add_f32 v[12:13], v[12:13], v[14:15]
	v_mov_b32_e32 v9, v14
	v_mov_b32_e32 v11, v12
	v_pk_add_f32 v[28:29], v[10:11], v[30:31] neg_lo:[0,1] neg_hi:[0,1]
	s_nop 0
	v_sub_f32_e32 v10, v10, v28
	v_pk_add_f32 v[8:9], v[8:9], v[28:29] neg_lo:[0,1] neg_hi:[0,1]
	v_sub_f32_e32 v10, v30, v10
	v_add_f32_e32 v8, v8, v10
	v_add_f32_e32 v8, v8, v9
	v_add_f32_e32 v8, v12, v8
	v_cndmask_b32_e32 v27, v8, v23, vcc
.LBB122_107:                            ;   in Loop: Header=BB122_13 Depth=1
	s_or_b64 exec, exec, s[4:5]
	v_cvt_f32_f16_e32 v8, v7
	v_cvt_f32_f16_sdwa v9, v6 dst_sel:DWORD dst_unused:UNUSED_PAD src0_sel:WORD_1
	v_cvt_f32_f16_e32 v6, v6
	v_cvt_f32_f16_sdwa v13, v7 dst_sel:DWORD dst_unused:UNUSED_PAD src0_sel:WORD_1
	v_cvt_f32_f16_sdwa v7, v5 dst_sel:DWORD dst_unused:UNUSED_PAD src0_sel:WORD_1
	v_cvt_f32_f16_e32 v5, v5
	v_cvt_f32_f16_sdwa v10, v4 dst_sel:DWORD dst_unused:UNUSED_PAD src0_sel:WORD_1
	v_cvt_f32_f16_e32 v4, v4
	;; [unrolled: 2-line block ×6, first 2 shown]
	v_readlane_b32 s2, v167, 3
	s_barrier
	s_nop 0
	v_mul_f32_e32 v28, s2, v8
	v_mul_f32_e32 v31, s2, v9
	;; [unrolled: 1-line block ×16, first 2 shown]
	v_readlane_b32 s2, v167, 33
	v_readlane_b32 s3, v167, 34
	s_and_b64 vcc, exec, s[2:3]
	s_cbranch_vccz .LBB122_204
; %bb.108:                              ;   in Loop: Header=BB122_13 Depth=1
	v_readlane_b32 s2, v167, 8
	v_readlane_b32 s3, v167, 9
	v_mul_f32_e32 v165, v139, v0
	v_cmp_gt_u32_e32 vcc, s88, v19
	v_lshl_add_u64 v[44:45], s[2:3], 0, v[16:17]
	v_readlane_b32 s2, v167, 22
	v_readlane_b32 s3, v167, 23
	v_or_b32_e32 v0, 1, v19
	v_mov_b32_e32 v23, v17
	v_lshl_add_u64 v[46:47], s[2:3], 0, v[16:17]
	v_readlane_b32 s3, v167, 59
	s_cmp_lg_u32 s3, 0
	v_readlane_b32 s2, v167, 37
	s_cselect_b64 s[94:95], -1, 0
	s_cmp_eq_u32 s3, s2
	v_readlane_b32 s2, v167, 38
	v_readlane_b32 s3, v167, 39
	s_cselect_b64 s[96:97], -1, 0
	s_or_b64 s[60:61], s[2:3], vcc
	v_cmp_gt_u32_e32 vcc, s88, v0
	v_or_b32_e32 v0, 2, v19
	s_or_b64 s[62:63], s[2:3], vcc
	v_cmp_gt_u32_e32 vcc, s88, v0
	v_or_b32_e32 v0, 3, v19
	;; [unrolled: 3-line block ×13, first 2 shown]
	s_mov_b32 s6, 0
	s_or_b64 s[86:87], s[2:3], vcc
	v_cmp_gt_u32_e32 vcc, s88, v0
	v_cmp_gt_u32_e64 s[88:89], s88, v134
	v_mul_f32_e32 v25, v27, v13
	v_lshl_add_u64 v[44:45], v[44:45], 0, v[22:23]
	v_lshl_add_u64 v[46:47], v[46:47], 0, v[22:23]
	v_mul_f32_e32 v16, v26, v8
	v_mul_f32_e32 v23, v152, v9
	;; [unrolled: 1-line block ×14, first 2 shown]
	s_or_b64 s[88:89], s[2:3], s[88:89]
	s_or_b64 s[90:91], s[2:3], vcc
	s_mov_b32 s92, s6
	s_mov_b32 s98, s6
	s_mov_b32 s4, s6
	v_readlane_b32 s8, v167, 32
	v_readlane_b32 s9, v167, 58
	s_branch .LBB122_110
.LBB122_109:                            ;   in Loop: Header=BB122_110 Depth=2
	s_or_b64 exec, exec, s[2:3]
	v_cndmask_b32_e64 v8, v8, v67, s[24:25]
	v_cndmask_b32_e64 v48, v58, v66, s[24:25]
	v_mul_f32_e32 v48, v48, v120
	v_fma_f32 v8, v8, v120, v166
	v_cndmask_b32_e64 v8, v8, v166, s[22:23]
	v_cndmask_b32_e64 v48, v48, v120, s[22:23]
	s_waitcnt lgkmcnt(0)
	v_fmac_f32_e32 v8, v61, v48
	v_fmac_f32_e32 v9, v8, v121
	;; [unrolled: 1-line block ×13, first 2 shown]
	v_readlane_b32 s12, v167, 24
	v_fmac_f32_e32 v53, v52, v56
	v_readlane_b32 s13, v167, 25
	v_readlane_b32 s14, v167, 26
	;; [unrolled: 1-line block ×3, first 2 shown]
	v_fmac_f32_e32 v57, v53, v62
	s_add_i32 s4, s4, s14
	v_readlane_b32 s12, v167, 18
	v_fmac_f32_e32 v59, v57, v63
	v_cvt_f32_f16_sdwa v49, v4 dst_sel:DWORD dst_unused:UNUSED_PAD src0_sel:WORD_1
	v_cvt_f32_f16_sdwa v61, v5 dst_sel:DWORD dst_unused:UNUSED_PAD src0_sel:WORD_1
	v_cvt_f32_f16_e32 v48, v4
	v_cvt_f32_f16_e32 v60, v5
	v_cvt_f32_f16_sdwa v5, v6 dst_sel:DWORD dst_unused:UNUSED_PAD src0_sel:WORD_1
	v_cvt_f32_f16_sdwa v63, v7 dst_sel:DWORD dst_unused:UNUSED_PAD src0_sel:WORD_1
	v_cvt_f32_f16_e32 v4, v6
	v_cvt_f32_f16_e32 v62, v7
	;; [unrolled: 4-line block ×4, first 2 shown]
	v_readlane_b32 s13, v167, 19
	v_readlane_b32 s14, v167, 20
	;; [unrolled: 1-line block ×3, first 2 shown]
	s_add_i32 s98, s98, s12
	v_readlane_b32 s12, v167, 10
	v_readlane_b32 s13, v167, 11
	;; [unrolled: 1-line block ×3, first 2 shown]
	v_mov_b32_e32 v58, v57
	s_add_i32 s9, s9, 8
	s_add_i32 s8, s8, -1
	s_add_i32 s92, s92, s16
	s_add_i32 s6, s6, s13
	v_pk_fma_f32 v[40:41], v[10:11], v[60:61], v[40:41]
	v_pk_fma_f32 v[42:43], v[8:9], v[48:49], v[42:43]
	;; [unrolled: 1-line block ×7, first 2 shown]
	s_cmp_eq_u32 s8, 0
	v_pk_fma_f32 v[30:31], v[52:53], v[0:1], v[30:31]
	v_readlane_b32 s14, v167, 12
	v_readlane_b32 s15, v167, 13
	;; [unrolled: 1-line block ×5, first 2 shown]
	s_cbranch_scc1 .LBB122_203
.LBB122_110:                            ;   Parent Loop BB122_13 Depth=1
                                        ; =>  This Inner Loop Header: Depth=2
	s_lshl_b64 s[2:3], s[6:7], 2
	v_readlane_b32 s5, v167, 6
	s_add_u32 s2, s5, s2
	v_readlane_b32 s5, v167, 7
	s_addc_u32 s3, s5, s3
	global_load_dword v50, v17, s[2:3]
	s_mov_b32 s93, s7
	v_lshl_add_u64 v[0:1], s[92:93], 1, v[44:45]
	v_mov_b32_e32 v2, 0
	v_mov_b32_e32 v3, 0
	s_and_saveexec_b64 s[2:3], s[26:27]
	s_cbranch_execnz .LBB122_146
; %bb.111:                              ;   in Loop: Header=BB122_110 Depth=2
	s_or_b64 exec, exec, s[2:3]
	s_and_saveexec_b64 s[2:3], s[28:29]
	s_cbranch_execnz .LBB122_147
.LBB122_112:                            ;   in Loop: Header=BB122_110 Depth=2
	s_or_b64 exec, exec, s[2:3]
	v_mov_b32_e32 v4, 0
	s_and_saveexec_b64 s[2:3], s[30:31]
	s_cbranch_execnz .LBB122_148
.LBB122_113:                            ;   in Loop: Header=BB122_110 Depth=2
	s_or_b64 exec, exec, s[2:3]
	s_and_saveexec_b64 s[2:3], s[34:35]
	s_cbranch_execnz .LBB122_149
.LBB122_114:                            ;   in Loop: Header=BB122_110 Depth=2
	s_or_b64 exec, exec, s[2:3]
	v_mov_b32_e32 v5, 0
	s_and_saveexec_b64 s[2:3], s[36:37]
	s_cbranch_execnz .LBB122_150
.LBB122_115:                            ;   in Loop: Header=BB122_110 Depth=2
	s_or_b64 exec, exec, s[2:3]
	s_and_saveexec_b64 s[2:3], s[38:39]
	s_cbranch_execnz .LBB122_151
.LBB122_116:                            ;   in Loop: Header=BB122_110 Depth=2
	s_or_b64 exec, exec, s[2:3]
	v_mov_b32_e32 v6, 0
	s_and_saveexec_b64 s[2:3], s[40:41]
	s_cbranch_execnz .LBB122_152
.LBB122_117:                            ;   in Loop: Header=BB122_110 Depth=2
	s_or_b64 exec, exec, s[2:3]
	s_and_saveexec_b64 s[2:3], s[42:43]
	s_cbranch_execnz .LBB122_153
.LBB122_118:                            ;   in Loop: Header=BB122_110 Depth=2
	s_or_b64 exec, exec, s[2:3]
	v_mov_b32_e32 v7, 0
	s_and_saveexec_b64 s[2:3], s[44:45]
	s_cbranch_execnz .LBB122_154
.LBB122_119:                            ;   in Loop: Header=BB122_110 Depth=2
	s_or_b64 exec, exec, s[2:3]
	s_and_saveexec_b64 s[2:3], s[46:47]
	s_cbranch_execnz .LBB122_155
.LBB122_120:                            ;   in Loop: Header=BB122_110 Depth=2
	s_or_b64 exec, exec, s[2:3]
	v_mov_b32_e32 v8, 0
	s_and_saveexec_b64 s[2:3], s[48:49]
	s_cbranch_execnz .LBB122_156
.LBB122_121:                            ;   in Loop: Header=BB122_110 Depth=2
	s_or_b64 exec, exec, s[2:3]
	s_and_saveexec_b64 s[2:3], s[50:51]
	s_cbranch_execnz .LBB122_157
.LBB122_122:                            ;   in Loop: Header=BB122_110 Depth=2
	s_or_b64 exec, exec, s[2:3]
	v_mov_b32_e32 v9, 0
	s_and_saveexec_b64 s[2:3], s[52:53]
	s_cbranch_execnz .LBB122_158
.LBB122_123:                            ;   in Loop: Header=BB122_110 Depth=2
	s_or_b64 exec, exec, s[2:3]
	s_and_saveexec_b64 s[2:3], s[54:55]
	s_cbranch_execnz .LBB122_159
.LBB122_124:                            ;   in Loop: Header=BB122_110 Depth=2
	s_or_b64 exec, exec, s[2:3]
	v_mov_b32_e32 v10, 0
	s_and_saveexec_b64 s[2:3], s[56:57]
	s_cbranch_execnz .LBB122_160
.LBB122_125:                            ;   in Loop: Header=BB122_110 Depth=2
	s_or_b64 exec, exec, s[2:3]
	s_and_saveexec_b64 s[2:3], s[58:59]
	s_cbranch_execz .LBB122_127
.LBB122_126:                            ;   in Loop: Header=BB122_110 Depth=2
	global_load_ushort v0, v[0:1], off offset:1920
	s_waitcnt vmcnt(0)
	v_lshl_or_b32 v10, v0, 16, v10
.LBB122_127:                            ;   in Loop: Header=BB122_110 Depth=2
	s_or_b64 exec, exec, s[2:3]
	s_waitcnt vmcnt(0)
	ds_write_b16 v84, v3
	ds_write_b16 v85, v2 offset:128
	ds_write_b16 v86, v4 offset:256
	ds_write_b16_d16_hi v87, v4 offset:384
	ds_write_b16 v88, v5 offset:512
	ds_write_b16_d16_hi v89, v5 offset:640
	;; [unrolled: 2-line block ×7, first 2 shown]
	; wave barrier
	ds_read_b128 v[12:15], v100
	ds_read_b128 v[8:11], v100 offset:16
	s_mov_b32 s99, s7
	v_lshl_add_u64 v[0:1], s[98:99], 1, v[46:47]
	v_mov_b32_e32 v2, 0
	v_mov_b32_e32 v3, 0
	s_and_saveexec_b64 s[2:3], s[26:27]
	s_cbranch_execnz .LBB122_161
; %bb.128:                              ;   in Loop: Header=BB122_110 Depth=2
	s_or_b64 exec, exec, s[2:3]
	s_and_saveexec_b64 s[2:3], s[28:29]
	s_cbranch_execnz .LBB122_162
.LBB122_129:                            ;   in Loop: Header=BB122_110 Depth=2
	s_or_b64 exec, exec, s[2:3]
	v_mov_b32_e32 v4, 0
	s_and_saveexec_b64 s[2:3], s[30:31]
	s_cbranch_execnz .LBB122_163
.LBB122_130:                            ;   in Loop: Header=BB122_110 Depth=2
	s_or_b64 exec, exec, s[2:3]
	s_and_saveexec_b64 s[2:3], s[34:35]
	s_cbranch_execnz .LBB122_164
.LBB122_131:                            ;   in Loop: Header=BB122_110 Depth=2
	s_or_b64 exec, exec, s[2:3]
	v_mov_b32_e32 v5, 0
	s_and_saveexec_b64 s[2:3], s[36:37]
	s_cbranch_execnz .LBB122_165
.LBB122_132:                            ;   in Loop: Header=BB122_110 Depth=2
	s_or_b64 exec, exec, s[2:3]
	s_and_saveexec_b64 s[2:3], s[38:39]
	s_cbranch_execnz .LBB122_166
.LBB122_133:                            ;   in Loop: Header=BB122_110 Depth=2
	s_or_b64 exec, exec, s[2:3]
	v_mov_b32_e32 v6, 0
	s_and_saveexec_b64 s[2:3], s[40:41]
	s_cbranch_execnz .LBB122_167
.LBB122_134:                            ;   in Loop: Header=BB122_110 Depth=2
	s_or_b64 exec, exec, s[2:3]
	s_and_saveexec_b64 s[2:3], s[42:43]
	s_cbranch_execnz .LBB122_168
.LBB122_135:                            ;   in Loop: Header=BB122_110 Depth=2
	s_or_b64 exec, exec, s[2:3]
	v_mov_b32_e32 v7, 0
	s_and_saveexec_b64 s[2:3], s[44:45]
	s_cbranch_execnz .LBB122_169
.LBB122_136:                            ;   in Loop: Header=BB122_110 Depth=2
	s_or_b64 exec, exec, s[2:3]
	s_and_saveexec_b64 s[2:3], s[46:47]
	s_cbranch_execnz .LBB122_170
.LBB122_137:                            ;   in Loop: Header=BB122_110 Depth=2
	s_or_b64 exec, exec, s[2:3]
	v_mov_b32_e32 v48, 0
	s_and_saveexec_b64 s[2:3], s[48:49]
	s_cbranch_execnz .LBB122_171
.LBB122_138:                            ;   in Loop: Header=BB122_110 Depth=2
	s_or_b64 exec, exec, s[2:3]
	s_and_saveexec_b64 s[2:3], s[50:51]
	s_cbranch_execnz .LBB122_172
.LBB122_139:                            ;   in Loop: Header=BB122_110 Depth=2
	s_or_b64 exec, exec, s[2:3]
	v_mov_b32_e32 v49, 0
	s_and_saveexec_b64 s[2:3], s[52:53]
	s_cbranch_execnz .LBB122_173
.LBB122_140:                            ;   in Loop: Header=BB122_110 Depth=2
	s_or_b64 exec, exec, s[2:3]
	s_and_saveexec_b64 s[2:3], s[54:55]
	s_cbranch_execnz .LBB122_174
.LBB122_141:                            ;   in Loop: Header=BB122_110 Depth=2
	s_or_b64 exec, exec, s[2:3]
	v_mov_b32_e32 v51, 0
	s_and_saveexec_b64 s[2:3], s[56:57]
	s_cbranch_execnz .LBB122_175
.LBB122_142:                            ;   in Loop: Header=BB122_110 Depth=2
	s_or_b64 exec, exec, s[2:3]
	s_and_saveexec_b64 s[2:3], s[58:59]
	s_cbranch_execz .LBB122_144
.LBB122_143:                            ;   in Loop: Header=BB122_110 Depth=2
	global_load_ushort v0, v[0:1], off offset:1920
	s_waitcnt vmcnt(0)
	v_lshl_or_b32 v51, v0, 16, v51
.LBB122_144:                            ;   in Loop: Header=BB122_110 Depth=2
	s_or_b64 exec, exec, s[2:3]
	s_waitcnt vmcnt(0)
	ds_write_b16 v84, v3 offset:4224
	ds_write_b16 v101, v2 offset:128
	;; [unrolled: 1-line block ×3, first 2 shown]
	ds_write_b16_d16_hi v103, v4 offset:384
	ds_write_b16 v104, v5 offset:512
	ds_write_b16_d16_hi v105, v5 offset:640
	ds_write_b16 v106, v6 offset:768
	ds_write_b16_d16_hi v107, v6 offset:896
	ds_write_b16 v108, v7 offset:1024
	ds_write_b16_d16_hi v109, v7 offset:1152
	ds_write_b16 v110, v48 offset:1280
	ds_write_b16_d16_hi v111, v48 offset:1408
	ds_write_b16 v112, v49 offset:1536
	ds_write_b16_d16_hi v113, v49 offset:1664
	ds_write_b16 v114, v51 offset:1792
	ds_write_b16_d16_hi v115, v51 offset:1920
	; wave barrier
	ds_read_b128 v[4:7], v100 offset:4224
	ds_read_b128 v[0:3], v116 offset:16
	s_andn2_b64 vcc, exec, s[94:95]
	s_cbranch_vccnz .LBB122_176
; %bb.145:                              ;   in Loop: Header=BB122_110 Depth=2
	v_mov_b32_e32 v48, s9
	ds_read_b64 v[48:49], v48
	s_cbranch_execz .LBB122_177
	s_branch .LBB122_180
.LBB122_146:                            ;   in Loop: Header=BB122_110 Depth=2
	global_load_ushort v3, v[0:1], off
	s_or_b64 exec, exec, s[2:3]
	s_and_saveexec_b64 s[2:3], s[28:29]
	s_cbranch_execz .LBB122_112
.LBB122_147:                            ;   in Loop: Header=BB122_110 Depth=2
	global_load_ushort v2, v[0:1], off offset:128
	s_or_b64 exec, exec, s[2:3]
	v_mov_b32_e32 v4, 0
	s_and_saveexec_b64 s[2:3], s[30:31]
	s_cbranch_execz .LBB122_113
.LBB122_148:                            ;   in Loop: Header=BB122_110 Depth=2
	global_load_ushort v4, v[0:1], off offset:256
	s_or_b64 exec, exec, s[2:3]
	s_and_saveexec_b64 s[2:3], s[34:35]
	s_cbranch_execz .LBB122_114
.LBB122_149:                            ;   in Loop: Header=BB122_110 Depth=2
	global_load_ushort v5, v[0:1], off offset:384
	s_waitcnt vmcnt(0)
	v_lshl_or_b32 v4, v5, 16, v4
	s_or_b64 exec, exec, s[2:3]
	v_mov_b32_e32 v5, 0
	s_and_saveexec_b64 s[2:3], s[36:37]
	s_cbranch_execz .LBB122_115
.LBB122_150:                            ;   in Loop: Header=BB122_110 Depth=2
	global_load_ushort v5, v[0:1], off offset:512
	s_or_b64 exec, exec, s[2:3]
	s_and_saveexec_b64 s[2:3], s[38:39]
	s_cbranch_execz .LBB122_116
.LBB122_151:                            ;   in Loop: Header=BB122_110 Depth=2
	global_load_ushort v6, v[0:1], off offset:640
	s_waitcnt vmcnt(0)
	v_lshl_or_b32 v5, v6, 16, v5
	s_or_b64 exec, exec, s[2:3]
	v_mov_b32_e32 v6, 0
	s_and_saveexec_b64 s[2:3], s[40:41]
	s_cbranch_execz .LBB122_117
.LBB122_152:                            ;   in Loop: Header=BB122_110 Depth=2
	global_load_ushort v6, v[0:1], off offset:768
	s_or_b64 exec, exec, s[2:3]
	s_and_saveexec_b64 s[2:3], s[42:43]
	s_cbranch_execz .LBB122_118
.LBB122_153:                            ;   in Loop: Header=BB122_110 Depth=2
	global_load_ushort v7, v[0:1], off offset:896
	s_waitcnt vmcnt(0)
	v_lshl_or_b32 v6, v7, 16, v6
	s_or_b64 exec, exec, s[2:3]
	v_mov_b32_e32 v7, 0
	s_and_saveexec_b64 s[2:3], s[44:45]
	s_cbranch_execz .LBB122_119
.LBB122_154:                            ;   in Loop: Header=BB122_110 Depth=2
	global_load_ushort v7, v[0:1], off offset:1024
	s_or_b64 exec, exec, s[2:3]
	s_and_saveexec_b64 s[2:3], s[46:47]
	s_cbranch_execz .LBB122_120
.LBB122_155:                            ;   in Loop: Header=BB122_110 Depth=2
	global_load_ushort v8, v[0:1], off offset:1152
	s_waitcnt vmcnt(0)
	v_lshl_or_b32 v7, v8, 16, v7
	s_or_b64 exec, exec, s[2:3]
	v_mov_b32_e32 v8, 0
	s_and_saveexec_b64 s[2:3], s[48:49]
	s_cbranch_execz .LBB122_121
.LBB122_156:                            ;   in Loop: Header=BB122_110 Depth=2
	global_load_ushort v8, v[0:1], off offset:1280
	s_or_b64 exec, exec, s[2:3]
	s_and_saveexec_b64 s[2:3], s[50:51]
	s_cbranch_execz .LBB122_122
.LBB122_157:                            ;   in Loop: Header=BB122_110 Depth=2
	global_load_ushort v9, v[0:1], off offset:1408
	s_waitcnt vmcnt(0)
	v_lshl_or_b32 v8, v9, 16, v8
	s_or_b64 exec, exec, s[2:3]
	v_mov_b32_e32 v9, 0
	s_and_saveexec_b64 s[2:3], s[52:53]
	s_cbranch_execz .LBB122_123
.LBB122_158:                            ;   in Loop: Header=BB122_110 Depth=2
	global_load_ushort v9, v[0:1], off offset:1536
	s_or_b64 exec, exec, s[2:3]
	s_and_saveexec_b64 s[2:3], s[54:55]
	s_cbranch_execz .LBB122_124
.LBB122_159:                            ;   in Loop: Header=BB122_110 Depth=2
	global_load_ushort v10, v[0:1], off offset:1664
	s_waitcnt vmcnt(0)
	v_lshl_or_b32 v9, v10, 16, v9
	s_or_b64 exec, exec, s[2:3]
	v_mov_b32_e32 v10, 0
	s_and_saveexec_b64 s[2:3], s[56:57]
	s_cbranch_execz .LBB122_125
.LBB122_160:                            ;   in Loop: Header=BB122_110 Depth=2
	global_load_ushort v10, v[0:1], off offset:1792
	s_or_b64 exec, exec, s[2:3]
	s_and_saveexec_b64 s[2:3], s[58:59]
	s_cbranch_execnz .LBB122_126
	s_branch .LBB122_127
.LBB122_161:                            ;   in Loop: Header=BB122_110 Depth=2
	global_load_ushort v3, v[0:1], off
	s_or_b64 exec, exec, s[2:3]
	s_and_saveexec_b64 s[2:3], s[28:29]
	s_cbranch_execz .LBB122_129
.LBB122_162:                            ;   in Loop: Header=BB122_110 Depth=2
	global_load_ushort v2, v[0:1], off offset:128
	s_or_b64 exec, exec, s[2:3]
	v_mov_b32_e32 v4, 0
	s_and_saveexec_b64 s[2:3], s[30:31]
	s_cbranch_execz .LBB122_130
.LBB122_163:                            ;   in Loop: Header=BB122_110 Depth=2
	global_load_ushort v4, v[0:1], off offset:256
	s_or_b64 exec, exec, s[2:3]
	s_and_saveexec_b64 s[2:3], s[34:35]
	s_cbranch_execz .LBB122_131
.LBB122_164:                            ;   in Loop: Header=BB122_110 Depth=2
	global_load_ushort v5, v[0:1], off offset:384
	s_waitcnt vmcnt(0)
	v_lshl_or_b32 v4, v5, 16, v4
	s_or_b64 exec, exec, s[2:3]
	v_mov_b32_e32 v5, 0
	s_and_saveexec_b64 s[2:3], s[36:37]
	s_cbranch_execz .LBB122_132
.LBB122_165:                            ;   in Loop: Header=BB122_110 Depth=2
	global_load_ushort v5, v[0:1], off offset:512
	s_or_b64 exec, exec, s[2:3]
	s_and_saveexec_b64 s[2:3], s[38:39]
	s_cbranch_execz .LBB122_133
.LBB122_166:                            ;   in Loop: Header=BB122_110 Depth=2
	global_load_ushort v6, v[0:1], off offset:640
	s_waitcnt vmcnt(0)
	v_lshl_or_b32 v5, v6, 16, v5
	s_or_b64 exec, exec, s[2:3]
	v_mov_b32_e32 v6, 0
	s_and_saveexec_b64 s[2:3], s[40:41]
	s_cbranch_execz .LBB122_134
.LBB122_167:                            ;   in Loop: Header=BB122_110 Depth=2
	global_load_ushort v6, v[0:1], off offset:768
	s_or_b64 exec, exec, s[2:3]
	s_and_saveexec_b64 s[2:3], s[42:43]
	s_cbranch_execz .LBB122_135
.LBB122_168:                            ;   in Loop: Header=BB122_110 Depth=2
	global_load_ushort v7, v[0:1], off offset:896
	s_waitcnt vmcnt(0)
	v_lshl_or_b32 v6, v7, 16, v6
	s_or_b64 exec, exec, s[2:3]
	v_mov_b32_e32 v7, 0
	s_and_saveexec_b64 s[2:3], s[44:45]
	s_cbranch_execz .LBB122_136
.LBB122_169:                            ;   in Loop: Header=BB122_110 Depth=2
	global_load_ushort v7, v[0:1], off offset:1024
	s_or_b64 exec, exec, s[2:3]
	s_and_saveexec_b64 s[2:3], s[46:47]
	s_cbranch_execz .LBB122_137
.LBB122_170:                            ;   in Loop: Header=BB122_110 Depth=2
	global_load_ushort v48, v[0:1], off offset:1152
	s_waitcnt vmcnt(0)
	v_lshl_or_b32 v7, v48, 16, v7
	s_or_b64 exec, exec, s[2:3]
	v_mov_b32_e32 v48, 0
	s_and_saveexec_b64 s[2:3], s[48:49]
	s_cbranch_execz .LBB122_138
.LBB122_171:                            ;   in Loop: Header=BB122_110 Depth=2
	global_load_ushort v48, v[0:1], off offset:1280
	s_or_b64 exec, exec, s[2:3]
	s_and_saveexec_b64 s[2:3], s[50:51]
	s_cbranch_execz .LBB122_139
.LBB122_172:                            ;   in Loop: Header=BB122_110 Depth=2
	global_load_ushort v49, v[0:1], off offset:1408
	s_waitcnt vmcnt(0)
	v_lshl_or_b32 v48, v49, 16, v48
	s_or_b64 exec, exec, s[2:3]
	v_mov_b32_e32 v49, 0
	s_and_saveexec_b64 s[2:3], s[52:53]
	s_cbranch_execz .LBB122_140
.LBB122_173:                            ;   in Loop: Header=BB122_110 Depth=2
	global_load_ushort v49, v[0:1], off offset:1536
	s_or_b64 exec, exec, s[2:3]
	s_and_saveexec_b64 s[2:3], s[54:55]
	s_cbranch_execz .LBB122_141
.LBB122_174:                            ;   in Loop: Header=BB122_110 Depth=2
	global_load_ushort v51, v[0:1], off offset:1664
	s_waitcnt vmcnt(0)
	v_lshl_or_b32 v49, v51, 16, v49
	s_or_b64 exec, exec, s[2:3]
	v_mov_b32_e32 v51, 0
	s_and_saveexec_b64 s[2:3], s[56:57]
	s_cbranch_execz .LBB122_142
.LBB122_175:                            ;   in Loop: Header=BB122_110 Depth=2
	global_load_ushort v51, v[0:1], off offset:1792
	s_or_b64 exec, exec, s[2:3]
	s_and_saveexec_b64 s[2:3], s[58:59]
	s_cbranch_execnz .LBB122_143
	s_branch .LBB122_144
.LBB122_176:                            ;   in Loop: Header=BB122_110 Depth=2
                                        ; implicit-def: $vgpr49
.LBB122_177:                            ;   in Loop: Header=BB122_110 Depth=2
	v_readlane_b32 s2, v167, 0
	v_readlane_b32 s3, v167, 1
	s_andn2_b64 vcc, exec, s[2:3]
	s_waitcnt lgkmcnt(0)
	v_mov_b32_e32 v49, 0
	s_cbranch_vccnz .LBB122_179
; %bb.178:                              ;   in Loop: Header=BB122_110 Depth=2
	s_mov_b32 s5, s7
	s_lshl_b64 s[2:3], s[4:5], 2
	v_readlane_b32 s5, v167, 28
	s_add_u32 s2, s5, s2
	v_readlane_b32 s5, v167, 29
	s_addc_u32 s3, s5, s3
	global_load_dword v49, v17, s[2:3]
.LBB122_179:                            ;   in Loop: Header=BB122_110 Depth=2
	v_mov_b32_e32 v48, 1.0
.LBB122_180:                            ;   in Loop: Header=BB122_110 Depth=2
	s_waitcnt lgkmcnt(14)
	v_cvt_f32_f16_e32 v55, v8
	v_cvt_f32_f16_sdwa v56, v8 dst_sel:DWORD dst_unused:UNUSED_PAD src0_sel:WORD_1
	v_mul_f32_e32 v8, 0x3fb8aa3b, v50
	v_cvt_f32_f16_e32 v57, v9
	v_cvt_f32_f16_sdwa v59, v9 dst_sel:DWORD dst_unused:UNUSED_PAD src0_sel:WORD_1
	v_mul_f32_e32 v9, v8, v139
	v_cmp_gt_f32_e32 vcc, s33, v9
	v_cvt_f32_f16_e32 v60, v10
	v_cvt_f32_f16_sdwa v61, v10 dst_sel:DWORD dst_unused:UNUSED_PAD src0_sel:WORD_1
	v_cndmask_b32_e32 v9, 0, v137, vcc
	v_fmac_f32_e32 v9, v8, v139
	v_exp_f32_e32 v9, v9
	v_cndmask_b32_e32 v10, 1.0, v138, vcc
	v_cvt_f32_f16_e32 v51, v12
	v_cvt_f32_f16_e32 v64, v11
	v_mul_f32_e32 v9, v9, v10
	v_cndmask_b32_e64 v120, 1.0, v9, s[60:61]
	v_mul_f32_e32 v9, v8, v140
	v_cmp_gt_f32_e32 vcc, s33, v9
	v_mul_f32_e32 v10, v165, v51
	v_cndmask_b32_e64 v166, 0, v10, s[60:61]
	v_cndmask_b32_e32 v9, 0, v137, vcc
	v_fmac_f32_e32 v9, v8, v140
	v_exp_f32_e32 v9, v9
	v_cndmask_b32_e32 v10, 1.0, v138, vcc
	v_cvt_f32_f16_sdwa v58, v11 dst_sel:DWORD dst_unused:UNUSED_PAD src0_sel:WORD_1
	v_cvt_f32_f16_sdwa v12, v12 dst_sel:DWORD dst_unused:UNUSED_PAD src0_sel:WORD_1
	v_mul_f32_e32 v10, v9, v10
	v_cndmask_b32_e64 v121, 1.0, v10, s[62:63]
	v_mul_f32_e32 v10, v8, v141
	v_cmp_gt_f32_e32 vcc, s33, v10
	v_mul_f32_e32 v9, v164, v12
	v_cvt_f32_f16_e32 v52, v13
	v_cndmask_b32_e32 v10, 0, v137, vcc
	v_fmac_f32_e32 v10, v8, v141
	v_exp_f32_e32 v10, v10
	v_cndmask_b32_e32 v11, 1.0, v138, vcc
	v_cvt_f32_f16_sdwa v13, v13 dst_sel:DWORD dst_unused:UNUSED_PAD src0_sel:WORD_1
	v_cvt_f32_f16_e32 v53, v14
	v_mul_f32_e32 v11, v10, v11
	v_cndmask_b32_e64 v122, 1.0, v11, s[64:65]
	v_mul_f32_e32 v11, v8, v142
	v_cmp_gt_f32_e32 vcc, s33, v11
	v_cvt_f32_f16_sdwa v14, v14 dst_sel:DWORD dst_unused:UNUSED_PAD src0_sel:WORD_1
	v_mul_f32_e32 v10, v163, v52
	v_cndmask_b32_e32 v11, 0, v137, vcc
	v_fmac_f32_e32 v11, v8, v142
	v_exp_f32_e32 v11, v11
	v_cndmask_b32_e32 v12, 1.0, v138, vcc
	v_cvt_f32_f16_e32 v54, v15
	v_cndmask_b32_e64 v9, 0, v9, s[62:63]
	v_mul_f32_e32 v12, v11, v12
	v_cndmask_b32_e64 v123, 1.0, v12, s[66:67]
	v_mul_f32_e32 v12, v8, v143
	v_cmp_gt_f32_e32 vcc, s33, v12
	v_mul_f32_e32 v11, v162, v13
	v_pk_mul_f32 v[62:63], v[8:9], v[26:27] op_sel_hi:[0,1]
	v_cndmask_b32_e32 v12, 0, v137, vcc
	v_fmac_f32_e32 v12, v8, v143
	v_exp_f32_e32 v12, v12
	v_cndmask_b32_e32 v13, 1.0, v138, vcc
	v_mul_f32_e32 v58, v25, v58
	v_cvt_f32_f16_sdwa v15, v15 dst_sel:DWORD dst_unused:UNUSED_PAD src0_sel:WORD_1
	v_mul_f32_e32 v13, v12, v13
	v_cndmask_b32_e64 v124, 1.0, v13, s[68:69]
	v_mul_f32_e32 v13, v8, v144
	v_cmp_gt_f32_e32 vcc, s33, v13
	v_mul_f32_e32 v12, v161, v53
	v_cndmask_b32_e64 v10, 0, v10, s[64:65]
	v_cndmask_b32_e32 v13, 0, v137, vcc
	v_fmac_f32_e32 v13, v8, v144
	v_exp_f32_e32 v13, v13
	v_cndmask_b32_e32 v50, 1.0, v138, vcc
	v_cndmask_b32_e64 v11, 0, v11, s[66:67]
	v_cndmask_b32_e64 v12, 0, v12, s[68:69]
	v_mul_f32_e32 v50, v13, v50
	v_mul_f32_e32 v13, v160, v14
	v_mul_f32_e32 v14, v8, v145
	v_cmp_gt_f32_e32 vcc, s33, v14
	v_cndmask_b32_e64 v125, 1.0, v50, s[70:71]
	v_cndmask_b32_e64 v13, 0, v13, s[70:71]
	v_cndmask_b32_e32 v14, 0, v137, vcc
	v_fmac_f32_e32 v14, v8, v145
	v_exp_f32_e32 v14, v14
	v_cndmask_b32_e32 v50, 1.0, v138, vcc
	v_mul_f32_e32 v15, v158, v15
	v_cndmask_b32_e64 v15, 0, v15, s[74:75]
	v_mul_f32_e32 v50, v14, v50
	v_cndmask_b32_e64 v126, 1.0, v50, s[72:73]
	v_mul_f32_e32 v50, v8, v146
	v_cmp_gt_f32_e32 vcc, s33, v50
	v_mul_f32_e32 v14, v159, v54
	v_cndmask_b32_e64 v14, 0, v14, s[72:73]
	v_cndmask_b32_e32 v50, 0, v137, vcc
	v_fmac_f32_e32 v50, v8, v146
	v_exp_f32_e32 v50, v50
	v_cndmask_b32_e32 v51, 1.0, v138, vcc
	v_readlane_b32 s10, v167, 40
	v_readlane_b32 s11, v167, 41
	v_mul_f32_e32 v50, v50, v51
	v_cndmask_b32_e64 v127, 1.0, v50, s[74:75]
	v_mul_f32_e32 v50, v8, v147
	v_cmp_gt_f32_e32 vcc, s33, v50
	s_nop 1
	v_cndmask_b32_e32 v50, 0, v137, vcc
	v_fmac_f32_e32 v50, v8, v147
	v_exp_f32_e32 v50, v50
	v_cndmask_b32_e32 v51, 1.0, v138, vcc
	v_mul_f32_e32 v51, v50, v51
	v_cndmask_b32_e64 v128, 1.0, v51, s[76:77]
	v_mul_f32_e32 v51, v8, v148
	v_cmp_gt_f32_e32 vcc, s33, v51
	v_mul_f32_e32 v50, v157, v55
	v_cndmask_b32_e64 v50, 0, v50, s[76:77]
	v_cndmask_b32_e32 v51, 0, v137, vcc
	v_fmac_f32_e32 v51, v8, v148
	v_exp_f32_e32 v51, v51
	v_cndmask_b32_e32 v52, 1.0, v138, vcc
	v_mul_f32_e32 v52, v51, v52
	v_cndmask_b32_e64 v129, 1.0, v52, s[78:79]
	v_mul_f32_e32 v52, v8, v149
	v_cmp_gt_f32_e32 vcc, s33, v52
	v_mul_f32_e32 v51, v156, v56
	v_cndmask_b32_e64 v51, 0, v51, s[78:79]
	;; [unrolled: 10-line block ×4, first 2 shown]
	v_cndmask_b32_e32 v52, 0, v137, vcc
	v_fmac_f32_e32 v52, v8, v151
	v_exp_f32_e32 v52, v52
	v_cndmask_b32_e32 v53, 1.0, v138, vcc
	v_mul_f32_e32 v53, v52, v53
	v_mul_f32_e32 v52, v153, v60
	v_cndmask_b32_e64 v60, 1.0, v53, s[84:85]
	v_mul_f32_e32 v53, v8, v152
	v_cmp_gt_f32_e32 vcc, s33, v53
	v_cndmask_b32_e64 v52, 0, v52, s[84:85]
	s_nop 0
	v_cndmask_b32_e32 v53, 0, v137, vcc
	v_fmac_f32_e32 v53, v8, v152
	v_cndmask_b32_e32 v56, 1.0, v138, vcc
	v_mul_f32_e32 v8, v16, v64
	v_cmp_gt_f32_e32 vcc, s33, v62
	v_cndmask_b32_e64 v57, 0, v8, s[90:91]
	v_exp_f32_e32 v53, v53
	v_cndmask_b32_e32 v8, 0, v137, vcc
	v_add_f32_e32 v8, v62, v8
	v_exp_f32_e32 v8, v8
	v_cndmask_b32_e32 v59, 1.0, v138, vcc
	v_cmp_gt_f32_e32 vcc, s33, v63
	v_mul_f32_e32 v56, v53, v56
	v_mul_f32_e32 v8, v8, v59
	v_cndmask_b32_e32 v59, 0, v137, vcc
	v_add_f32_e32 v59, v63, v59
	v_exp_f32_e32 v59, v59
	v_mul_f32_e32 v53, v23, v61
	v_cndmask_b32_e32 v61, 1.0, v138, vcc
	v_cndmask_b32_e64 v62, 1.0, v8, s[90:91]
	v_mul_f32_e32 v61, v59, v61
	v_cndmask_b32_e64 v59, 0, v58, s[88:89]
	v_mul_f32_e32 v8, v121, v120
	v_fma_f32 v58, v121, v166, v9
	v_mul_f32_e32 v8, v8, v122
	v_fma_f32 v58, v58, v122, v10
	;; [unrolled: 2-line block ×11, first 2 shown]
	v_cndmask_b32_e64 v53, 0, v53, s[86:87]
	v_cndmask_b32_e64 v56, 1.0, v56, s[86:87]
	v_fma_f32 v8, v8, v60, v52
	v_cndmask_b32_e64 v63, 1.0, v61, s[88:89]
	v_fma_f32 v65, v8, v56, v53
	v_mov_b32_e32 v61, v62
	v_pk_mul_f32 v[132:133], v[64:65], v[60:61]
	v_pk_fma_f32 v[64:65], v[64:65], v[60:61], v[56:57]
	v_pk_mul_f32 v[132:133], v[132:133], v[56:57]
	v_mov_b32_e32 v66, v63
	v_mov_b32_e32 v133, v65
	;; [unrolled: 1-line block ×3, first 2 shown]
	v_pk_mul_f32 v[64:65], v[132:133], v[62:63]
	v_mov_b32_e32 v58, v63
	v_pk_mul_f32 v[66:67], v[64:65], v[66:67]
	v_pk_fma_f32 v[64:65], v[132:133], v[62:63], v[58:59]
	s_nop 0
	v_mov_b32_dpp v8, v66 row_shr:1 row_mask:0xf bank_mask:0xf
	v_mov_b32_dpp v58, v65 row_shr:1 row_mask:0xf bank_mask:0xf
	v_mul_f32_e32 v61, v66, v8
	v_fma_f32 v58, v66, v58, v65
	v_cndmask_b32_e64 v64, v61, v66, s[0:1]
	v_cndmask_b32_e64 v67, v58, v65, s[0:1]
	;; [unrolled: 1-line block ×4, first 2 shown]
	v_mov_b32_dpp v61, v67 row_shr:2 row_mask:0xf bank_mask:0xf
	v_mov_b32_dpp v58, v66 row_shr:2 row_mask:0xf bank_mask:0xf
	s_and_saveexec_b64 s[2:3], s[10:11]
; %bb.181:                              ;   in Loop: Header=BB122_110 Depth=2
	v_fmac_f32_e32 v67, v66, v61
	v_mul_f32_e32 v66, v66, v58
	v_mov_b32_e32 v64, v66
	v_mov_b32_e32 v8, v67
; %bb.182:                              ;   in Loop: Header=BB122_110 Depth=2
	s_or_b64 exec, exec, s[2:3]
	v_readlane_b32 s10, v167, 42
	v_mov_b32_dpp v58, v66 row_shr:4 row_mask:0xf bank_mask:0xf
	v_mov_b32_dpp v61, v67 row_shr:4 row_mask:0xf bank_mask:0xf
	v_readlane_b32 s11, v167, 43
	s_and_saveexec_b64 s[2:3], s[10:11]
; %bb.183:                              ;   in Loop: Header=BB122_110 Depth=2
	v_fmac_f32_e32 v67, v66, v61
	v_mul_f32_e32 v66, v66, v58
	v_mov_b32_e32 v64, v66
	v_mov_b32_e32 v8, v67
; %bb.184:                              ;   in Loop: Header=BB122_110 Depth=2
	s_or_b64 exec, exec, s[2:3]
	v_readlane_b32 s10, v167, 44
	v_mov_b32_dpp v58, v66 row_shr:8 row_mask:0xf bank_mask:0xf
	v_mov_b32_dpp v61, v67 row_shr:8 row_mask:0xf bank_mask:0xf
	v_readlane_b32 s11, v167, 45
	s_and_saveexec_b64 s[2:3], s[10:11]
; %bb.185:                              ;   in Loop: Header=BB122_110 Depth=2
	v_fmac_f32_e32 v67, v66, v61
	v_mul_f32_e32 v66, v66, v58
	v_mov_b32_e32 v64, v66
	v_mov_b32_e32 v8, v67
; %bb.186:                              ;   in Loop: Header=BB122_110 Depth=2
	s_or_b64 exec, exec, s[2:3]
	v_readlane_b32 s10, v167, 46
	v_mov_b32_dpp v58, v66 row_bcast:15 row_mask:0xf bank_mask:0xf
	v_mov_b32_dpp v61, v67 row_bcast:15 row_mask:0xf bank_mask:0xf
	v_readlane_b32 s11, v167, 47
	s_and_saveexec_b64 s[2:3], s[10:11]
; %bb.187:                              ;   in Loop: Header=BB122_110 Depth=2
	v_fmac_f32_e32 v67, v66, v61
	v_mul_f32_e32 v66, v66, v58
	v_mov_b32_e32 v64, v66
	v_mov_b32_e32 v8, v67
; %bb.188:                              ;   in Loop: Header=BB122_110 Depth=2
	s_or_b64 exec, exec, s[2:3]
	v_readlane_b32 s10, v167, 48
	v_mov_b32_dpp v61, v66 row_bcast:31 row_mask:0xf bank_mask:0xf
	v_mov_b32_dpp v58, v67 row_bcast:31 row_mask:0xf bank_mask:0xf
	v_readlane_b32 s11, v167, 49
	s_and_saveexec_b64 s[2:3], s[10:11]
; %bb.189:                              ;   in Loop: Header=BB122_110 Depth=2
	v_fmac_f32_e32 v67, v66, v58
	v_mul_f32_e32 v64, v66, v61
	v_mov_b32_e32 v65, v67
	v_mov_b32_e32 v8, v67
	v_mov_b64_e32 v[66:67], v[64:65]
; %bb.190:                              ;   in Loop: Header=BB122_110 Depth=2
	s_or_b64 exec, exec, s[2:3]
	v_readlane_b32 s10, v167, 50
	v_readlane_b32 s11, v167, 51
	s_and_saveexec_b64 s[2:3], s[10:11]
	s_cbranch_execz .LBB122_192
; %bb.191:                              ;   in Loop: Header=BB122_110 Depth=2
	ds_write_b64 v117, v[66:67] offset:8448
.LBB122_192:                            ;   in Loop: Header=BB122_110 Depth=2
	s_or_b64 exec, exec, s[2:3]
	v_readlane_b32 s10, v167, 52
	v_readlane_b32 s11, v167, 53
	s_waitcnt lgkmcnt(0)
	s_barrier
	s_and_saveexec_b64 s[2:3], s[10:11]
	s_cbranch_execz .LBB122_194
; %bb.193:                              ;   in Loop: Header=BB122_110 Depth=2
	ds_read_b64 v[66:67], v118 offset:8448
	v_readlane_b32 s10, v167, 54
	v_readlane_b32 s11, v167, 55
	s_waitcnt lgkmcnt(0)
	v_mov_b32_dpp v58, v66 row_shr:1 row_mask:0xf bank_mask:0xf
	v_mov_b32_dpp v61, v67 row_shr:1 row_mask:0xf bank_mask:0xf
	v_fma_f32 v61, v66, v61, v67
	v_mul_f32_e32 v58, v66, v58
	v_cndmask_b32_e64 v66, v58, v66, s[10:11]
	v_cndmask_b32_e64 v67, v61, v67, s[10:11]
	ds_write_b64 v118, v[66:67] offset:8448
.LBB122_194:                            ;   in Loop: Header=BB122_110 Depth=2
	s_or_b64 exec, exec, s[2:3]
	s_waitcnt lgkmcnt(0)
	s_barrier
	s_waitcnt lgkmcnt(0)
                                        ; implicit-def: $vgpr66
	s_and_saveexec_b64 s[2:3], s[20:21]
	s_cbranch_execz .LBB122_196
; %bb.195:                              ;   in Loop: Header=BB122_110 Depth=2
	ds_read_b64 v[66:67], v117 offset:8440
	s_waitcnt lgkmcnt(0)
	v_mul_f32_e32 v58, v64, v66
	v_fmac_f32_e32 v8, v64, v67
	v_mov_b32_e32 v64, v58
.LBB122_196:                            ;   in Loop: Header=BB122_110 Depth=2
	s_or_b64 exec, exec, s[2:3]
	ds_bpermute_b32 v58, v119, v64
	ds_bpermute_b32 v8, v119, v8
	v_readlane_b32 s10, v167, 56
	s_waitcnt vmcnt(0)
	v_mov_b32_e32 v65, v49
	v_readlane_b32 s11, v167, 57
	s_and_saveexec_b64 s[2:3], s[10:11]
	s_cbranch_execz .LBB122_200
; %bb.197:                              ;   in Loop: Header=BB122_110 Depth=2
	ds_read_b64 v[64:65], v17 offset:8456
	s_and_saveexec_b64 vcc, s[22:23]
	s_cbranch_execz .LBB122_199
; %bb.198:                              ;   in Loop: Header=BB122_110 Depth=2
	ds_write_b64 v17, v[48:49] offset:8456
.LBB122_199:                            ;   in Loop: Header=BB122_110 Depth=2
	s_or_b64 exec, exec, vcc
	s_waitcnt lgkmcnt(0)
	v_fmac_f32_e32 v65, v49, v64
	v_mul_f32_e32 v48, v48, v64
	v_mov_b32_e32 v49, v65
.LBB122_200:                            ;   in Loop: Header=BB122_110 Depth=2
	s_or_b64 exec, exec, s[2:3]
	s_waitcnt lgkmcnt(0)
	s_barrier
	ds_read_b32 v61, v17 offset:8460
	s_and_saveexec_b64 s[2:3], s[22:23]
	s_cbranch_execz .LBB122_109
; %bb.201:                              ;   in Loop: Header=BB122_110 Depth=2
	v_mov_b32_e32 v64, s9
	s_andn2_b64 vcc, exec, s[96:97]
	ds_write_b64 v64, v[48:49]
	s_cbranch_vccnz .LBB122_109
; %bb.202:                              ;   in Loop: Header=BB122_110 Depth=2
	s_mov_b32 s5, s7
	s_lshl_b64 s[10:11], s[4:5], 2
	v_readlane_b32 s5, v167, 28
	s_add_u32 s10, s5, s10
	v_readlane_b32 s5, v167, 29
	s_addc_u32 s11, s5, s11
	global_store_dword v17, v65, s[10:11]
	s_branch .LBB122_109
.LBB122_203:                            ;   in Loop: Header=BB122_13 Depth=1
	s_mov_b32 s6, 0x41a00000
	s_mov_b32 s10, 0x3fb8aa3b
	;; [unrolled: 1-line block ×8, first 2 shown]
.LBB122_204:                            ;   in Loop: Header=BB122_13 Depth=1
	v_cvt_f16_f32_e32 v0, v43
	v_cvt_f16_f32_e32 v4, v42
	;; [unrolled: 1-line block ×16, first 2 shown]
	v_pack_b32_f16 v3, v7, v3
	v_pack_b32_f16 v2, v6, v2
	v_pack_b32_f16 v1, v5, v1
	v_pack_b32_f16 v0, v4, v0
	s_barrier
	ds_write_b128 v100, v[0:3]
	v_pack_b32_f16 v3, v15, v14
	v_pack_b32_f16 v2, v13, v12
	;; [unrolled: 1-line block ×4, first 2 shown]
	ds_write_b128 v100, v[0:3] offset:16
	; wave barrier
	ds_read_u16 v16, v85 offset:128
	ds_read_u16 v15, v86 offset:256
	;; [unrolled: 1-line block ×15, first 2 shown]
	v_readlane_b32 s2, v167, 60
	v_readlane_b32 s3, v167, 61
	s_mov_b32 s3, s7
	s_nop 0
	v_lshl_add_u64 v[0:1], s[2:3], 1, v[20:21]
	s_and_saveexec_b64 s[2:3], s[26:27]
	s_cbranch_execz .LBB122_206
; %bb.205:                              ;   in Loop: Header=BB122_13 Depth=1
	ds_read_u16 v23, v84
	s_waitcnt lgkmcnt(0)
	global_store_short v[0:1], v23, off
.LBB122_206:                            ;   in Loop: Header=BB122_13 Depth=1
	s_or_b64 exec, exec, s[2:3]
	s_and_saveexec_b64 s[2:3], s[28:29]
	v_readlane_b32 s8, v167, 62
	v_readlane_b32 s9, v167, 63
	s_cbranch_execnz .LBB122_223
; %bb.207:                              ;   in Loop: Header=BB122_13 Depth=1
	s_or_b64 exec, exec, s[2:3]
	s_and_saveexec_b64 s[2:3], s[30:31]
	s_cbranch_execnz .LBB122_224
.LBB122_208:                            ;   in Loop: Header=BB122_13 Depth=1
	s_or_b64 exec, exec, s[2:3]
	s_and_saveexec_b64 s[2:3], s[34:35]
	s_cbranch_execnz .LBB122_225
.LBB122_209:                            ;   in Loop: Header=BB122_13 Depth=1
	s_or_b64 exec, exec, s[2:3]
	s_and_saveexec_b64 s[2:3], s[36:37]
	s_cbranch_execnz .LBB122_226
.LBB122_210:                            ;   in Loop: Header=BB122_13 Depth=1
	s_or_b64 exec, exec, s[2:3]
	s_and_saveexec_b64 s[2:3], s[38:39]
	s_cbranch_execnz .LBB122_227
.LBB122_211:                            ;   in Loop: Header=BB122_13 Depth=1
	s_or_b64 exec, exec, s[2:3]
	s_and_saveexec_b64 s[2:3], s[40:41]
	s_cbranch_execnz .LBB122_228
.LBB122_212:                            ;   in Loop: Header=BB122_13 Depth=1
	s_or_b64 exec, exec, s[2:3]
	s_and_saveexec_b64 s[2:3], s[42:43]
	s_cbranch_execnz .LBB122_229
.LBB122_213:                            ;   in Loop: Header=BB122_13 Depth=1
	s_or_b64 exec, exec, s[2:3]
	s_and_saveexec_b64 s[2:3], s[44:45]
	s_cbranch_execnz .LBB122_230
.LBB122_214:                            ;   in Loop: Header=BB122_13 Depth=1
	s_or_b64 exec, exec, s[2:3]
	s_and_saveexec_b64 s[2:3], s[46:47]
	s_cbranch_execnz .LBB122_231
.LBB122_215:                            ;   in Loop: Header=BB122_13 Depth=1
	s_or_b64 exec, exec, s[2:3]
	s_and_saveexec_b64 s[2:3], s[48:49]
	s_cbranch_execnz .LBB122_232
.LBB122_216:                            ;   in Loop: Header=BB122_13 Depth=1
	s_or_b64 exec, exec, s[2:3]
	s_and_saveexec_b64 s[2:3], s[50:51]
	s_cbranch_execnz .LBB122_233
.LBB122_217:                            ;   in Loop: Header=BB122_13 Depth=1
	s_or_b64 exec, exec, s[2:3]
	s_and_saveexec_b64 s[2:3], s[52:53]
	s_cbranch_execnz .LBB122_234
.LBB122_218:                            ;   in Loop: Header=BB122_13 Depth=1
	s_or_b64 exec, exec, s[2:3]
	s_and_saveexec_b64 s[2:3], s[54:55]
	s_cbranch_execnz .LBB122_235
.LBB122_219:                            ;   in Loop: Header=BB122_13 Depth=1
	s_or_b64 exec, exec, s[2:3]
	s_and_saveexec_b64 s[2:3], s[56:57]
	s_cbranch_execnz .LBB122_236
.LBB122_220:                            ;   in Loop: Header=BB122_13 Depth=1
	s_or_b64 exec, exec, s[2:3]
	s_and_saveexec_b64 s[2:3], s[58:59]
	s_cbranch_execz .LBB122_12
	s_branch .LBB122_237
.LBB122_221:                            ;   in Loop: Header=BB122_13 Depth=1
	global_load_ushort v32, v[8:9], off offset:1664
	s_or_b64 exec, exec, s[2:3]
	s_and_saveexec_b64 s[2:3], s[56:57]
	s_cbranch_execz .LBB122_73
.LBB122_222:                            ;   in Loop: Header=BB122_13 Depth=1
	global_load_ushort v31, v[8:9], off offset:1792
	s_or_b64 exec, exec, s[2:3]
	v_mov_b32_e32 v33, 0
	s_and_saveexec_b64 s[2:3], s[58:59]
	s_cbranch_execnz .LBB122_74
	s_branch .LBB122_75
.LBB122_223:                            ;   in Loop: Header=BB122_13 Depth=1
	s_waitcnt lgkmcnt(14)
	global_store_short v[0:1], v16, off offset:128
	s_or_b64 exec, exec, s[2:3]
	s_and_saveexec_b64 s[2:3], s[30:31]
	s_cbranch_execz .LBB122_208
.LBB122_224:                            ;   in Loop: Header=BB122_13 Depth=1
	s_waitcnt lgkmcnt(13)
	global_store_short v[0:1], v15, off offset:256
	s_or_b64 exec, exec, s[2:3]
	s_and_saveexec_b64 s[2:3], s[34:35]
	s_cbranch_execz .LBB122_209
.LBB122_225:                            ;   in Loop: Header=BB122_13 Depth=1
	s_waitcnt lgkmcnt(12)
	global_store_short v[0:1], v14, off offset:384
	s_or_b64 exec, exec, s[2:3]
	s_and_saveexec_b64 s[2:3], s[36:37]
	s_cbranch_execz .LBB122_210
.LBB122_226:                            ;   in Loop: Header=BB122_13 Depth=1
	s_waitcnt lgkmcnt(11)
	global_store_short v[0:1], v13, off offset:512
	s_or_b64 exec, exec, s[2:3]
	s_and_saveexec_b64 s[2:3], s[38:39]
	s_cbranch_execz .LBB122_211
.LBB122_227:                            ;   in Loop: Header=BB122_13 Depth=1
	s_waitcnt lgkmcnt(10)
	global_store_short v[0:1], v12, off offset:640
	s_or_b64 exec, exec, s[2:3]
	s_and_saveexec_b64 s[2:3], s[40:41]
	s_cbranch_execz .LBB122_212
.LBB122_228:                            ;   in Loop: Header=BB122_13 Depth=1
	s_waitcnt lgkmcnt(9)
	global_store_short v[0:1], v11, off offset:768
	s_or_b64 exec, exec, s[2:3]
	s_and_saveexec_b64 s[2:3], s[42:43]
	s_cbranch_execz .LBB122_213
.LBB122_229:                            ;   in Loop: Header=BB122_13 Depth=1
	s_waitcnt lgkmcnt(8)
	global_store_short v[0:1], v10, off offset:896
	s_or_b64 exec, exec, s[2:3]
	s_and_saveexec_b64 s[2:3], s[44:45]
	s_cbranch_execz .LBB122_214
.LBB122_230:                            ;   in Loop: Header=BB122_13 Depth=1
	s_waitcnt lgkmcnt(7)
	global_store_short v[0:1], v9, off offset:1024
	s_or_b64 exec, exec, s[2:3]
	s_and_saveexec_b64 s[2:3], s[46:47]
	s_cbranch_execz .LBB122_215
.LBB122_231:                            ;   in Loop: Header=BB122_13 Depth=1
	s_waitcnt lgkmcnt(6)
	global_store_short v[0:1], v8, off offset:1152
	s_or_b64 exec, exec, s[2:3]
	s_and_saveexec_b64 s[2:3], s[48:49]
	s_cbranch_execz .LBB122_216
.LBB122_232:                            ;   in Loop: Header=BB122_13 Depth=1
	s_waitcnt lgkmcnt(5)
	global_store_short v[0:1], v7, off offset:1280
	s_or_b64 exec, exec, s[2:3]
	s_and_saveexec_b64 s[2:3], s[50:51]
	s_cbranch_execz .LBB122_217
.LBB122_233:                            ;   in Loop: Header=BB122_13 Depth=1
	s_waitcnt lgkmcnt(4)
	global_store_short v[0:1], v6, off offset:1408
	s_or_b64 exec, exec, s[2:3]
	s_and_saveexec_b64 s[2:3], s[52:53]
	s_cbranch_execz .LBB122_218
.LBB122_234:                            ;   in Loop: Header=BB122_13 Depth=1
	s_waitcnt lgkmcnt(3)
	global_store_short v[0:1], v5, off offset:1536
	s_or_b64 exec, exec, s[2:3]
	s_and_saveexec_b64 s[2:3], s[54:55]
	s_cbranch_execz .LBB122_219
.LBB122_235:                            ;   in Loop: Header=BB122_13 Depth=1
	s_waitcnt lgkmcnt(2)
	global_store_short v[0:1], v4, off offset:1664
	s_or_b64 exec, exec, s[2:3]
	s_and_saveexec_b64 s[2:3], s[56:57]
	s_cbranch_execz .LBB122_220
.LBB122_236:                            ;   in Loop: Header=BB122_13 Depth=1
	s_waitcnt lgkmcnt(1)
	global_store_short v[0:1], v3, off offset:1792
	s_or_b64 exec, exec, s[2:3]
	s_and_saveexec_b64 s[2:3], s[58:59]
	s_cbranch_execz .LBB122_12
.LBB122_237:                            ;   in Loop: Header=BB122_13 Depth=1
	s_waitcnt lgkmcnt(0)
	global_store_short v[0:1], v2, off offset:1920
	s_branch .LBB122_12
.LBB122_238:
	s_endpgm
	.section	.rodata,"a",@progbits
	.p2align	6, 0x0
	.amdhsa_kernel _Z25selective_scan_fwd_kernelI32Selective_Scan_fwd_kernel_traitsILi128ELi16ELi1ELb1ELb1ELb1ELb0ELb1EN3c104HalfEffEEv13SSMParamsBase
		.amdhsa_group_segment_fixed_size 0
		.amdhsa_private_segment_fixed_size 0
		.amdhsa_kernarg_size 248
		.amdhsa_user_sgpr_count 2
		.amdhsa_user_sgpr_dispatch_ptr 0
		.amdhsa_user_sgpr_queue_ptr 0
		.amdhsa_user_sgpr_kernarg_segment_ptr 1
		.amdhsa_user_sgpr_dispatch_id 0
		.amdhsa_user_sgpr_kernarg_preload_length 0
		.amdhsa_user_sgpr_kernarg_preload_offset 0
		.amdhsa_user_sgpr_private_segment_size 0
		.amdhsa_uses_dynamic_stack 0
		.amdhsa_enable_private_segment 0
		.amdhsa_system_sgpr_workgroup_id_x 1
		.amdhsa_system_sgpr_workgroup_id_y 1
		.amdhsa_system_sgpr_workgroup_id_z 0
		.amdhsa_system_sgpr_workgroup_info 0
		.amdhsa_system_vgpr_workitem_id 0
		.amdhsa_next_free_vgpr 168
		.amdhsa_next_free_sgpr 100
		.amdhsa_accum_offset 168
		.amdhsa_reserve_vcc 1
		.amdhsa_float_round_mode_32 0
		.amdhsa_float_round_mode_16_64 0
		.amdhsa_float_denorm_mode_32 3
		.amdhsa_float_denorm_mode_16_64 3
		.amdhsa_dx10_clamp 1
		.amdhsa_ieee_mode 1
		.amdhsa_fp16_overflow 0
		.amdhsa_tg_split 0
		.amdhsa_exception_fp_ieee_invalid_op 0
		.amdhsa_exception_fp_denorm_src 0
		.amdhsa_exception_fp_ieee_div_zero 0
		.amdhsa_exception_fp_ieee_overflow 0
		.amdhsa_exception_fp_ieee_underflow 0
		.amdhsa_exception_fp_ieee_inexact 0
		.amdhsa_exception_int_div_zero 0
	.end_amdhsa_kernel
	.section	.text._Z25selective_scan_fwd_kernelI32Selective_Scan_fwd_kernel_traitsILi128ELi16ELi1ELb1ELb1ELb1ELb0ELb1EN3c104HalfEffEEv13SSMParamsBase,"axG",@progbits,_Z25selective_scan_fwd_kernelI32Selective_Scan_fwd_kernel_traitsILi128ELi16ELi1ELb1ELb1ELb1ELb0ELb1EN3c104HalfEffEEv13SSMParamsBase,comdat
.Lfunc_end122:
	.size	_Z25selective_scan_fwd_kernelI32Selective_Scan_fwd_kernel_traitsILi128ELi16ELi1ELb1ELb1ELb1ELb0ELb1EN3c104HalfEffEEv13SSMParamsBase, .Lfunc_end122-_Z25selective_scan_fwd_kernelI32Selective_Scan_fwd_kernel_traitsILi128ELi16ELi1ELb1ELb1ELb1ELb0ELb1EN3c104HalfEffEEv13SSMParamsBase
                                        ; -- End function
	.section	.AMDGPU.csdata,"",@progbits
; Kernel info:
; codeLenInByte = 20940
; NumSgprs: 106
; NumVgprs: 168
; NumAgprs: 0
; TotalNumVgprs: 168
; ScratchSize: 0
; MemoryBound: 0
; FloatMode: 240
; IeeeMode: 1
; LDSByteSize: 0 bytes/workgroup (compile time only)
; SGPRBlocks: 13
; VGPRBlocks: 20
; NumSGPRsForWavesPerEU: 106
; NumVGPRsForWavesPerEU: 168
; AccumOffset: 168
; Occupancy: 3
; WaveLimiterHint : 1
; COMPUTE_PGM_RSRC2:SCRATCH_EN: 0
; COMPUTE_PGM_RSRC2:USER_SGPR: 2
; COMPUTE_PGM_RSRC2:TRAP_HANDLER: 0
; COMPUTE_PGM_RSRC2:TGID_X_EN: 1
; COMPUTE_PGM_RSRC2:TGID_Y_EN: 1
; COMPUTE_PGM_RSRC2:TGID_Z_EN: 0
; COMPUTE_PGM_RSRC2:TIDIG_COMP_CNT: 0
; COMPUTE_PGM_RSRC3_GFX90A:ACCUM_OFFSET: 41
; COMPUTE_PGM_RSRC3_GFX90A:TG_SPLIT: 0
	.section	.text._Z25selective_scan_fwd_kernelI32Selective_Scan_fwd_kernel_traitsILi128ELi16ELi1ELb1ELb1ELb1ELb0ELb0EN3c104HalfEffEEv13SSMParamsBase,"axG",@progbits,_Z25selective_scan_fwd_kernelI32Selective_Scan_fwd_kernel_traitsILi128ELi16ELi1ELb1ELb1ELb1ELb0ELb0EN3c104HalfEffEEv13SSMParamsBase,comdat
	.protected	_Z25selective_scan_fwd_kernelI32Selective_Scan_fwd_kernel_traitsILi128ELi16ELi1ELb1ELb1ELb1ELb0ELb0EN3c104HalfEffEEv13SSMParamsBase ; -- Begin function _Z25selective_scan_fwd_kernelI32Selective_Scan_fwd_kernel_traitsILi128ELi16ELi1ELb1ELb1ELb1ELb0ELb0EN3c104HalfEffEEv13SSMParamsBase
	.globl	_Z25selective_scan_fwd_kernelI32Selective_Scan_fwd_kernel_traitsILi128ELi16ELi1ELb1ELb1ELb1ELb0ELb0EN3c104HalfEffEEv13SSMParamsBase
	.p2align	8
	.type	_Z25selective_scan_fwd_kernelI32Selective_Scan_fwd_kernel_traitsILi128ELi16ELi1ELb1ELb1ELb1ELb0ELb0EN3c104HalfEffEEv13SSMParamsBase,@function
_Z25selective_scan_fwd_kernelI32Selective_Scan_fwd_kernel_traitsILi128ELi16ELi1ELb1ELb1ELb1ELb0ELb0EN3c104HalfEffEEv13SSMParamsBase: ; @_Z25selective_scan_fwd_kernelI32Selective_Scan_fwd_kernel_traitsILi128ELi16ELi1ELb1ELb1ELb1ELb0ELb0EN3c104HalfEffEEv13SSMParamsBase
; %bb.0:
	s_load_dword s25, s[0:1], 0x18
	s_load_dwordx4 s[4:7], s[0:1], 0xe8
	s_mov_b32 s20, s3
                                        ; implicit-def: $vgpr154 : SGPR spill to VGPR lane
	s_waitcnt lgkmcnt(0)
	s_abs_i32 s24, s25
	v_cvt_f32_u32_e32 v1, s24
	s_cmp_eq_u64 s[6:7], 0
	v_rcp_iflag_f32_e32 v1, v1
	s_nop 0
	v_mul_f32_e32 v1, 0x4f7ffffe, v1
	v_cvt_u32_f32_e32 v1, v1
	s_nop 0
	v_readfirstlane_b32 s26, v1
	s_cbranch_scc1 .LBB123_2
; %bb.1:
	s_ashr_i32 s3, s2, 31
	s_add_u32 s6, s6, s2
	s_addc_u32 s7, s7, s3
	v_mov_b32_e32 v1, 0
	global_load_ubyte v1, v1, s[6:7]
	s_waitcnt vmcnt(0)
	v_and_b32_e32 v1, 1, v1
	v_cmp_eq_u32_e64 s[6:7], 1, v1
	s_branch .LBB123_3
.LBB123_2:
	s_mov_b64 s[6:7], 0
.LBB123_3:
	s_nop 0
	v_writelane_b32 v154, s6, 0
	s_cmp_eq_u64 s[4:5], 0
	s_nop 0
	v_writelane_b32 v154, s7, 1
	s_load_dwordx2 s[6:7], s[0:1], 0x20
	s_cbranch_scc1 .LBB123_5
; %bb.4:
	s_ashr_i32 s3, s2, 31
	s_lshl_b64 s[8:9], s[2:3], 2
	s_add_u32 s4, s4, s8
	s_addc_u32 s5, s5, s9
	s_load_dword s22, s[4:5], 0x0
	s_waitcnt lgkmcnt(0)
	s_ashr_i32 s23, s22, 31
	s_cmp_eq_u64 s[6:7], s[22:23]
	s_cbranch_scc0 .LBB123_6
	s_branch .LBB123_86
.LBB123_5:
	s_mov_b32 s22, s2
	s_ashr_i32 s23, s22, 31
	s_waitcnt lgkmcnt(0)
	s_cmp_eq_u64 s[6:7], s[22:23]
	s_cbranch_scc1 .LBB123_86
.LBB123_6:
	s_load_dwordx16 s[36:51], s[0:1], 0x88
	s_load_dwordx2 s[30:31], s[0:1], 0x8
	s_mov_b32 s33, 0
	s_mov_b32 s80, 0
	s_waitcnt lgkmcnt(0)
	s_cmp_eq_u64 s[42:43], 0
	s_cbranch_scc1 .LBB123_8
; %bb.7:
	s_ashr_i32 s21, s20, 31
	s_lshl_b64 s[28:29], s[20:21], 2
	s_add_u32 s10, s42, s28
	s_addc_u32 s11, s43, s29
	s_load_dword s80, s[10:11], 0x0
.LBB123_8:
	s_cmp_eq_u64 s[48:49], 0
	s_cbranch_scc1 .LBB123_10
; %bb.9:
	s_ashr_i32 s21, s20, 31
	s_lshl_b64 s[10:11], s[20:21], 2
	s_add_u32 s10, s48, s10
	s_addc_u32 s11, s49, s11
	s_load_dword s33, s[10:11], 0x0
.LBB123_10:
	s_cmp_lt_i32 s30, 1
	s_cbranch_scc1 .LBB123_86
; %bb.11:
	s_sub_i32 s3, 0, s24
	s_mul_i32 s3, s3, s26
	s_mul_hi_u32 s3, s26, s3
	s_abs_i32 s21, s20
	s_add_i32 s3, s26, s3
	s_load_dwordx8 s[52:59], s[0:1], 0x2c
	s_load_dwordx2 s[16:17], s[0:1], 0x5c
	s_load_dwordx4 s[72:75], s[0:1], 0x4c
	s_load_dwordx4 s[64:67], s[0:1], 0x7c
	s_load_dwordx2 s[6:7], s[0:1], 0x6c
	s_load_dwordx2 s[26:27], s[0:1], 0xc8
	s_mul_hi_u32 s3, s21, s3
	s_load_dword s23, s[0:1], 0x28
	s_ashr_i32 s0, s20, 31
	s_ashr_i32 s1, s25, 31
	s_xor_b32 s0, s0, s1
	s_mul_i32 s1, s3, s24
	s_sub_i32 s1, s21, s1
	s_add_i32 s21, s3, 1
	s_sub_i32 s25, s1, s24
	s_cmp_ge_u32 s1, s24
	s_cselect_b32 s3, s21, s3
	s_cselect_b32 s1, s25, s1
	s_add_i32 s21, s3, 1
	s_cmp_ge_u32 s1, s24
	s_cselect_b32 s1, s21, s3
	s_xor_b32 s1, s1, s0
	s_waitcnt lgkmcnt(0)
	s_mul_i32 s82, s74, s2
	s_mov_b32 s83, 0
	s_sub_i32 s3, s1, s0
	s_lshl_b64 s[0:1], s[82:83], 1
	s_add_u32 s12, s44, s0
	s_mul_i32 s82, s75, s20
	s_addc_u32 s13, s45, s1
	s_lshl_b64 s[0:1], s[82:83], 1
	s_add_u32 s78, s12, s0
	s_mul_i32 s82, s16, s2
	s_addc_u32 s79, s13, s1
	s_lshl_b64 s[0:1], s[82:83], 1
	s_add_u32 s12, s46, s0
	s_mul_i32 s82, s17, s20
	s_addc_u32 s13, s47, s1
	s_lshl_b64 s[0:1], s[82:83], 1
	s_add_u32 s86, s12, s0
	s_mul_i32 s82, s52, s20
	s_addc_u32 s87, s13, s1
	s_lshl_b64 s[0:1], s[82:83], 2
	s_add_u32 s67, s36, s0
	s_mul_i32 s82, s54, s2
	s_addc_u32 s68, s37, s1
	s_lshl_b64 s[0:1], s[82:83], 1
	s_add_u32 s4, s38, s0
	s_mul_i32 s82, s3, s57
	s_addc_u32 s5, s39, s1
	s_lshl_b64 s[0:1], s[82:83], 1
	s_add_u32 s0, s4, s0
	s_addc_u32 s1, s5, s1
	v_writelane_b32 v154, s0, 2
	s_mul_i32 s82, s58, s2
	v_mbcnt_lo_u32_b32 v1, -1, 0
	v_writelane_b32 v154, s1, 3
	s_lshl_b64 s[0:1], s[82:83], 1
	s_add_u32 s4, s40, s0
	s_mul_i32 s82, s3, s73
	s_addc_u32 s5, s41, s1
	s_lshl_b64 s[0:1], s[82:83], 1
	s_add_u32 s74, s4, s0
	s_mul_i32 s82, s22, s64
	s_addc_u32 s75, s5, s1
	;; [unrolled: 4-line block ×3, first 2 shown]
	s_lshl_b64 s[0:1], s[82:83], 2
	s_add_u32 s69, s3, s0
	v_mbcnt_hi_u32_b32 v4, -1, v1
	v_lshlrev_b32_e32 v1, 1, v0
	s_addc_u32 s64, s4, s1
	s_add_i32 s0, s30, 0x7ff
	v_and_b32_e32 v2, 0x80, v1
	s_lshr_b32 s8, s0, 11
	v_or_b32_e32 v1, v4, v2
	s_movk_i32 s0, 0x100
	v_cmp_gt_u32_e64 s[4:5], s0, v1
	v_add_u32_e32 v3, 64, v1
	v_cmp_gt_u32_e64 s[0:1], s0, v3
	v_writelane_b32 v154, s4, 4
	s_bitcmp1_b32 s23, 0
	v_lshrrev_b32_e32 v5, 5, v1
	v_writelane_b32 v154, s5, 5
	v_writelane_b32 v154, s0, 6
	v_lshrrev_b32_e32 v3, 5, v3
	s_cselect_b64 s[88:89], -1, 0
	s_cmp_gt_i32 s31, 0
	v_writelane_b32 v154, s1, 7
	v_add_u32_e32 v5, v5, v1
	v_add_lshl_u32 v1, v3, v1, 4
	v_and_b32_e32 v3, 64, v0
	s_cselect_b64 s[0:1], -1, 0
	v_lshl_add_u32 v84, v5, 4, 0
	v_add_u32_e32 v5, v4, v3
	v_writelane_b32 v154, s0, 8
	v_lshlrev_b32_e32 v6, 1, v5
	v_bfe_u32 v5, v5, 4, 27
	v_writelane_b32 v154, s1, 9
	v_add_lshl_u32 v5, v5, v6, 4
	s_add_i32 s0, 0, 0x1080
	v_writelane_b32 v154, s30, 10
	v_add_u32_e32 v87, s0, v1
	v_add_u32_e32 v88, s0, v5
	v_writelane_b32 v154, s31, 11
	s_add_i32 s0, s8, -1
	s_mul_i32 s82, s6, s2
	s_and_b32 s3, s30, 0x7ff
	v_writelane_b32 v154, s0, 12
	s_lshl_b64 s[0:1], s[82:83], 1
	s_add_u32 s2, s50, s0
	s_mul_i32 s82, s7, s20
	s_addc_u32 s4, s51, s1
	s_lshl_b64 s[0:1], s[82:83], 1
	v_add_u32_e32 v85, 0, v1
	s_add_u32 s0, s2, s0
	v_and_b32_e32 v1, 15, v4
	s_addc_u32 s1, s4, s1
	v_cmp_eq_u32_e64 s[4:5], 0, v1
	v_cmp_lt_u32_e64 s[6:7], 1, v1
	v_cmp_lt_u32_e64 s[10:11], 3, v1
	;; [unrolled: 1-line block ×3, first 2 shown]
	v_and_b32_e32 v1, 16, v4
	v_cmp_ne_u32_e64 s[92:93], 0, v1
	v_or_b32_e32 v1, 63, v3
	v_cmp_eq_u32_e64 s[16:17], v1, v0
	v_lshrrev_b32_e32 v1, 3, v0
	v_and_b32_e32 v1, 8, v1
	v_add_u32_e32 v90, 0, v1
	v_and_b32_e32 v1, 1, v4
	s_cmp_eq_u32 s3, 0
	v_cmp_eq_u32_e64 s[20:21], 0, v1
	v_add_u32_e32 v1, -1, v4
	v_and_b32_e32 v3, 64, v4
	v_mov_b32_e32 v35, 0
	s_cselect_b64 s[2:3], -1, 0
	v_cmp_lt_i32_e32 vcc, v1, v3
	v_lshlrev_b32_e32 v34, 4, v4
	v_writelane_b32 v154, s2, 13
	v_lshlrev_b32_e32 v89, 4, v0
	v_cndmask_b32_e32 v1, v1, v4, vcc
	v_lshl_add_u64 v[6:7], s[0:1], 0, v[34:35]
	v_lshlrev_b32_e32 v34, 4, v2
	v_lshlrev_b32_e32 v38, 4, v2
	s_mov_b32 s9, s53
	s_mov_b32 s12, s56
	v_add_u32_e32 v86, 0, v5
	v_writelane_b32 v154, s3, 14
	v_cmp_lt_u32_e64 s[70:71], 31, v4
	v_cmp_gt_u32_e64 s[18:19], 2, v0
	v_lshl_add_u32 v91, v0, 3, 0
	v_cmp_gt_u32_e64 s[22:23], 64, v0
	v_cmp_lt_u32_e64 s[24:25], 63, v0
	v_lshlrev_b32_e32 v92, 2, v1
	v_lshl_add_u64 v[36:37], v[6:7], 0, v[34:35]
	v_or_b32_e32 v93, 1, v89
	v_or_b32_e32 v94, 2, v89
	;; [unrolled: 1-line block ×15, first 2 shown]
	v_lshlrev_b32_e32 v34, 4, v4
	v_mov_b32_e32 v108, 0x3ecc95a3
	s_add_i32 s0, 0, 0x2110
	s_mov_b32 s65, 0xc2fc0000
	v_mov_b32_e32 v40, v38
	v_mov_b32_e32 v41, v35
	;; [unrolled: 1-line block ×6, first 2 shown]
	s_mov_b32 s13, 0
	v_cmp_eq_u32_e64 s[26:27], 0, v0
	v_cmp_eq_u32_e64 s[28:29], 0, v4
                                        ; implicit-def: $vgpr1
	v_writelane_b32 v154, s0, 15
                                        ; implicit-def: $vgpr10_vgpr11
                                        ; implicit-def: $vgpr2_vgpr3
                                        ; implicit-def: $vgpr14_vgpr15
                                        ; implicit-def: $vgpr6_vgpr7
	s_branch .LBB123_14
.LBB123_12:                             ;   in Loop: Header=BB123_14 Depth=1
	s_mov_b32 s13, s34
.LBB123_13:                             ;   in Loop: Header=BB123_14 Depth=1
	v_cvt_f16_f32_e32 v0, v59
	v_cvt_f16_f32_e32 v1, v58
	;; [unrolled: 1-line block ×16, first 2 shown]
	s_add_u32 s86, s86, 0x1000
	s_addc_u32 s87, s87, 0
	v_pack_b32_f16 v21, v23, v21
	v_pack_b32_f16 v20, v22, v20
	;; [unrolled: 1-line block ×4, first 2 shown]
	s_barrier
	ds_write_b128 v86, v[18:21]
	v_pack_b32_f16 v21, v31, v30
	v_pack_b32_f16 v20, v29, v28
	;; [unrolled: 1-line block ×4, first 2 shown]
	s_add_u32 s78, s78, 0x1000
	ds_write_b128 v86, v[18:21] offset:16
	; wave barrier
	ds_read_b128 v[18:21], v84
	ds_read_b128 v[22:25], v85 offset:1024
	s_addc_u32 s79, s79, 0
	v_readlane_b32 s0, v154, 2
	v_readlane_b32 s1, v154, 3
	s_add_u32 s0, s0, 0x1000
	s_addc_u32 s1, s1, 0
	s_add_u32 s74, s74, 0x1000
	s_mov_b32 s91, s83
	s_addc_u32 s75, s75, 0
	s_add_i32 s13, s13, 1
	s_waitcnt lgkmcnt(1)
	v_lshrrev_b32_e32 v28, 16, v21
	v_lshl_add_u64 v[0:1], s[90:91], 1, v[36:37]
	v_writelane_b32 v154, s0, 2
	s_cmp_eq_u32 s13, s8
	global_store_short v[0:1], v18, off
	v_alignbit_b32 v27, v20, v19, 16
	v_alignbit_b32 v26, v19, v18, 16
	;; [unrolled: 1-line block ×3, first 2 shown]
	global_store_short v[0:1], v28, off offset:14
	global_store_dword v[0:1], v18, off offset:10
	global_store_dwordx2 v[0:1], v[26:27], off offset:2
	v_writelane_b32 v154, s1, 3
	s_waitcnt lgkmcnt(0)
	global_store_dwordx4 v[0:1], v[22:25], off offset:1024
	s_cbranch_scc1 .LBB123_86
.LBB123_14:                             ; =>This Loop Header: Depth=1
                                        ;     Child Loop BB123_57 Depth 2
	v_lshl_add_u64 v[0:1], s[78:79], 0, v[34:35]
	v_lshl_add_u64 v[0:1], v[0:1], 0, v[40:41]
	s_barrier
	s_mov_b64 s[0:1], exec
	v_readlane_b32 s2, v154, 4
	v_readlane_b32 s3, v154, 5
	s_and_b64 s[2:3], s[0:1], s[2:3]
	s_mov_b64 exec, s[2:3]
	s_cbranch_execz .LBB123_16
; %bb.15:                               ;   in Loop: Header=BB123_14 Depth=1
	global_load_dwordx4 v[14:17], v[0:1], off
.LBB123_16:                             ;   in Loop: Header=BB123_14 Depth=1
	s_or_b64 exec, exec, s[0:1]
	s_mov_b64 s[0:1], exec
	v_readlane_b32 s2, v154, 6
	v_readlane_b32 s3, v154, 7
	s_and_b64 s[2:3], s[0:1], s[2:3]
	s_mov_b64 exec, s[2:3]
	s_cbranch_execz .LBB123_18
; %bb.17:                               ;   in Loop: Header=BB123_14 Depth=1
	global_load_dwordx4 v[6:9], v[0:1], off offset:1024
.LBB123_18:                             ;   in Loop: Header=BB123_14 Depth=1
	s_or_b64 exec, exec, s[0:1]
	s_waitcnt vmcnt(0)
	ds_write_b128 v84, v[14:17]
	ds_write_b128 v85, v[6:9] offset:1024
	; wave barrier
	ds_read_b128 v[14:17], v86
	ds_read_b128 v[6:9], v86 offset:16
	v_lshl_add_u64 v[0:1], s[86:87], 0, v[34:35]
	v_mov_b32_e32 v39, v35
	v_lshl_add_u64 v[0:1], v[0:1], 0, v[38:39]
	s_waitcnt lgkmcnt(0)
	s_barrier
	s_mov_b64 s[0:1], exec
	v_readlane_b32 s2, v154, 4
	v_readlane_b32 s3, v154, 5
	s_and_b64 s[2:3], s[0:1], s[2:3]
	s_mov_b64 exec, s[2:3]
	s_cbranch_execz .LBB123_20
; %bb.19:                               ;   in Loop: Header=BB123_14 Depth=1
	global_load_dwordx4 v[10:13], v[0:1], off
.LBB123_20:                             ;   in Loop: Header=BB123_14 Depth=1
	s_or_b64 exec, exec, s[0:1]
	s_mov_b64 s[0:1], exec
	v_readlane_b32 s2, v154, 6
	v_readlane_b32 s3, v154, 7
	s_and_b64 s[2:3], s[0:1], s[2:3]
	s_mov_b64 exec, s[2:3]
	s_cbranch_execz .LBB123_22
; %bb.21:                               ;   in Loop: Header=BB123_14 Depth=1
	global_load_dwordx4 v[2:5], v[0:1], off offset:1024
.LBB123_22:                             ;   in Loop: Header=BB123_14 Depth=1
	s_or_b64 exec, exec, s[0:1]
	s_waitcnt vmcnt(0)
	ds_write_b128 v84, v[10:13]
	ds_write_b128 v85, v[2:5] offset:1024
	; wave barrier
	ds_read_b128 v[10:13], v86
	ds_read_b128 v[2:5], v86 offset:16
	s_mov_b32 s0, 0x41a00000
	s_waitcnt lgkmcnt(1)
	v_cvt_f32_f16_e32 v0, v10
	v_add_f32_e32 v112, s33, v0
	v_cmp_ge_f32_e32 vcc, s0, v112
	s_and_b64 s[0:1], s[88:89], vcc
	s_and_saveexec_b64 s[30:31], s[0:1]
	s_cbranch_execz .LBB123_24
; %bb.23:                               ;   in Loop: Header=BB123_14 Depth=1
	v_mul_f32_e32 v0, 0x3fb8aa3b, v112
	v_rndne_f32_e32 v1, v0
	s_mov_b32 s0, 0x3fb8aa3b
	v_sub_f32_e32 v18, v0, v1
	v_fma_f32 v0, v112, s0, -v0
	v_fmac_f32_e32 v0, 0x32a5705f, v112
	v_add_f32_e32 v0, v18, v0
	v_cvt_i32_f32_e32 v1, v1
	v_exp_f32_e32 v0, v0
	s_mov_b32 s0, 0xc2ce8ed0
	v_cmp_ngt_f32_e32 vcc, s0, v112
	s_mov_b32 s0, 0x42b17218
	v_ldexp_f32 v0, v0, v1
	v_cndmask_b32_e32 v0, 0, v0, vcc
	v_cmp_nlt_f32_e32 vcc, s0, v112
	s_mov_b32 s0, 0x3f2aaaab
	s_nop 0
	v_cndmask_b32_e32 v32, v109, v0, vcc
	v_add_f32_e32 v18, 1.0, v32
	v_add_f32_e32 v0, -1.0, v18
	v_sub_f32_e32 v1, v0, v18
	v_add_f32_e32 v1, 1.0, v1
	v_sub_f32_e32 v0, v32, v0
	v_add_f32_e32 v19, v0, v1
	v_frexp_mant_f32_e32 v20, v18
	v_cvt_f64_f32_e32 v[0:1], v18
	v_frexp_exp_i32_f64_e32 v0, v[0:1]
	v_cmp_gt_f32_e32 vcc, s0, v20
	s_mov_b32 s0, 0x3f317218
	s_nop 0
	v_subbrev_co_u32_e32 v24, vcc, 0, v0, vcc
	v_sub_u32_e32 v0, 0, v24
	v_ldexp_f32 v1, v18, v0
	v_add_f32_e32 v18, -1.0, v1
	v_add_f32_e32 v20, 1.0, v1
	v_ldexp_f32 v0, v19, v0
	v_add_f32_e32 v19, 1.0, v18
	v_add_f32_e32 v21, -1.0, v20
	v_sub_f32_e32 v19, v1, v19
	v_sub_f32_e32 v1, v1, v21
	v_add_f32_e32 v19, v0, v19
	v_add_f32_e32 v0, v0, v1
	;; [unrolled: 1-line block ×3, first 2 shown]
	v_rcp_f32_e32 v27, v25
	v_sub_f32_e32 v1, v20, v25
	v_add_f32_e32 v26, v0, v1
	v_add_f32_e32 v1, v18, v19
	v_mul_f32_e32 v29, v1, v27
	v_sub_f32_e32 v0, v18, v1
	v_mul_f32_e32 v18, v25, v29
	v_fma_f32 v20, v29, v25, -v18
	v_fmac_f32_e32 v20, v29, v26
	v_add_f32_e32 v28, v19, v0
	v_add_f32_e32 v0, v18, v20
	v_sub_f32_e32 v19, v1, v0
	v_pk_add_f32 v[22:23], v[0:1], v[18:19] neg_lo:[0,1] neg_hi:[0,1]
	v_mov_b32_e32 v21, v0
	v_pk_add_f32 v[0:1], v[22:23], v[20:21] neg_lo:[0,1] neg_hi:[0,1]
	s_nop 0
	v_add_f32_e32 v1, v28, v1
	v_add_f32_e32 v0, v0, v1
	;; [unrolled: 1-line block ×3, first 2 shown]
	v_mul_f32_e32 v28, v27, v1
	v_mul_f32_e32 v18, v25, v28
	v_fma_f32 v20, v28, v25, -v18
	v_fmac_f32_e32 v20, v28, v26
	v_sub_f32_e32 v19, v19, v1
	v_add_f32_e32 v25, v0, v19
	v_add_f32_e32 v0, v18, v20
	v_sub_f32_e32 v19, v1, v0
	v_pk_add_f32 v[22:23], v[0:1], v[18:19] neg_lo:[0,1] neg_hi:[0,1]
	v_mov_b32_e32 v21, v0
	v_pk_add_f32 v[0:1], v[22:23], v[20:21] neg_lo:[0,1] neg_hi:[0,1]
	s_nop 0
	v_add_f32_e32 v1, v25, v1
	v_add_f32_e32 v0, v0, v1
	;; [unrolled: 1-line block ×4, first 2 shown]
	v_sub_f32_e32 v18, v1, v29
	v_mul_f32_e32 v0, v27, v0
	v_sub_f32_e32 v18, v28, v18
	v_add_f32_e32 v18, v18, v0
	v_add_f32_e32 v20, v1, v18
	v_mul_f32_e32 v21, v20, v20
	v_fmamk_f32 v0, v21, 0x3e9b6dac, v108
	v_fmaak_f32 v43, v21, v0, 0x3f2aaada
	v_cvt_f32_i32_e32 v0, v24
	v_sub_f32_e32 v1, v20, v1
	v_sub_f32_e32 v1, v18, v1
	v_ldexp_f32 v22, v1, 1
	v_mul_f32_e32 v1, v20, v21
	v_ldexp_f32 v19, v20, 1
	v_pk_mul_f32 v[20:21], v[0:1], v[42:43]
	s_nop 0
	v_fma_f32 v18, v0, s0, -v20
	v_fmac_f32_e32 v18, 0xb102e308, v0
	v_pk_add_f32 v[0:1], v[20:21], v[18:19]
	s_mov_b32 s0, 0x7f800000
	v_sub_f32_e32 v19, v1, v19
	v_sub_f32_e32 v19, v21, v19
	v_add_f32_e32 v23, v22, v19
	v_mov_b32_e32 v22, v20
	v_pk_add_f32 v[20:21], v[0:1], v[20:21] neg_lo:[0,1] neg_hi:[0,1]
	v_pk_add_f32 v[24:25], v[0:1], v[22:23]
	v_mov_b32_e32 v19, v0
	v_mov_b32_e32 v21, v25
	v_pk_add_f32 v[26:27], v[18:19], v[20:21] neg_lo:[0,1] neg_hi:[0,1]
	v_pk_add_f32 v[18:19], v[18:19], v[20:21]
	v_mov_b32_e32 v22, v23
	v_mov_b32_e32 v20, v19
	v_pk_add_f32 v[28:29], v[20:21], v[0:1] neg_lo:[0,1] neg_hi:[0,1]
	v_mov_b32_e32 v18, v25
	v_mov_b32_e32 v21, v28
	v_pk_add_f32 v[30:31], v[24:25], v[20:21] neg_lo:[0,1] neg_hi:[0,1]
	v_mov_b32_e32 v24, v1
	v_mov_b32_e32 v25, v28
	;; [unrolled: 1-line block ×3, first 2 shown]
	v_pk_add_f32 v[18:19], v[18:19], v[24:25] neg_lo:[0,1] neg_hi:[0,1]
	v_mov_b32_e32 v23, v0
	v_pk_add_f32 v[0:1], v[22:23], v[18:19] neg_lo:[0,1] neg_hi:[0,1]
	v_mov_b32_e32 v30, v26
	v_pk_add_f32 v[18:19], v[30:31], v[0:1]
	v_cmp_eq_f32_e32 vcc, s0, v32
	v_mov_b32_e32 v22, v19
	v_pk_add_f32 v[22:23], v[18:19], v[22:23]
	s_mov_b32 s0, 0x33800000
	v_pk_add_f32 v[20:21], v[20:21], v[22:23]
	v_mov_b32_e32 v1, v22
	v_mov_b32_e32 v19, v20
	v_pk_add_f32 v[24:25], v[18:19], v[26:27] neg_lo:[0,1] neg_hi:[0,1]
	v_cmp_gt_f32_e64 s[2:3], s0, v32
	v_sub_f32_e32 v18, v18, v24
	v_pk_add_f32 v[0:1], v[0:1], v[24:25] neg_lo:[0,1] neg_hi:[0,1]
	v_sub_f32_e32 v18, v26, v18
	v_add_f32_e32 v0, v0, v18
	v_add_f32_e32 v0, v0, v1
	v_add_f32_e32 v0, v20, v0
	s_or_b64 vcc, s[2:3], vcc
	v_cndmask_b32_e32 v112, v0, v32, vcc
.LBB123_24:                             ;   in Loop: Header=BB123_14 Depth=1
	s_or_b64 exec, exec, s[30:31]
	v_cvt_f32_f16_sdwa v0, v10 dst_sel:DWORD dst_unused:UNUSED_PAD src0_sel:WORD_1
	s_mov_b32 s0, 0x41a00000
	v_add_f32_e32 v113, s33, v0
	v_cmp_ge_f32_e32 vcc, s0, v113
	s_and_b64 s[0:1], s[88:89], vcc
	s_and_saveexec_b64 s[30:31], s[0:1]
	s_cbranch_execz .LBB123_26
; %bb.25:                               ;   in Loop: Header=BB123_14 Depth=1
	v_mul_f32_e32 v0, 0x3fb8aa3b, v113
	v_rndne_f32_e32 v1, v0
	s_mov_b32 s0, 0x3fb8aa3b
	v_sub_f32_e32 v18, v0, v1
	v_fma_f32 v0, v113, s0, -v0
	v_fmac_f32_e32 v0, 0x32a5705f, v113
	v_add_f32_e32 v0, v18, v0
	v_cvt_i32_f32_e32 v1, v1
	v_exp_f32_e32 v0, v0
	s_mov_b32 s0, 0xc2ce8ed0
	v_cmp_ngt_f32_e32 vcc, s0, v113
	s_mov_b32 s0, 0x42b17218
	v_ldexp_f32 v0, v0, v1
	v_cndmask_b32_e32 v0, 0, v0, vcc
	v_cmp_nlt_f32_e32 vcc, s0, v113
	s_mov_b32 s0, 0x3f2aaaab
	s_nop 0
	v_cndmask_b32_e32 v32, v109, v0, vcc
	v_add_f32_e32 v18, 1.0, v32
	v_add_f32_e32 v0, -1.0, v18
	v_sub_f32_e32 v1, v0, v18
	v_add_f32_e32 v1, 1.0, v1
	v_sub_f32_e32 v0, v32, v0
	v_add_f32_e32 v19, v0, v1
	v_frexp_mant_f32_e32 v20, v18
	v_cvt_f64_f32_e32 v[0:1], v18
	v_frexp_exp_i32_f64_e32 v0, v[0:1]
	v_cmp_gt_f32_e32 vcc, s0, v20
	s_mov_b32 s0, 0x3f317218
	s_nop 0
	v_subbrev_co_u32_e32 v24, vcc, 0, v0, vcc
	v_sub_u32_e32 v0, 0, v24
	v_ldexp_f32 v1, v18, v0
	v_add_f32_e32 v18, -1.0, v1
	v_add_f32_e32 v20, 1.0, v1
	v_ldexp_f32 v0, v19, v0
	v_add_f32_e32 v19, 1.0, v18
	v_add_f32_e32 v21, -1.0, v20
	v_sub_f32_e32 v19, v1, v19
	v_sub_f32_e32 v1, v1, v21
	v_add_f32_e32 v19, v0, v19
	v_add_f32_e32 v0, v0, v1
	;; [unrolled: 1-line block ×3, first 2 shown]
	v_rcp_f32_e32 v27, v25
	v_sub_f32_e32 v1, v20, v25
	v_add_f32_e32 v26, v0, v1
	v_add_f32_e32 v1, v18, v19
	v_mul_f32_e32 v29, v1, v27
	v_sub_f32_e32 v0, v18, v1
	v_mul_f32_e32 v18, v25, v29
	v_fma_f32 v20, v29, v25, -v18
	v_fmac_f32_e32 v20, v29, v26
	v_add_f32_e32 v28, v19, v0
	v_add_f32_e32 v0, v18, v20
	v_sub_f32_e32 v19, v1, v0
	v_pk_add_f32 v[22:23], v[0:1], v[18:19] neg_lo:[0,1] neg_hi:[0,1]
	v_mov_b32_e32 v21, v0
	v_pk_add_f32 v[0:1], v[22:23], v[20:21] neg_lo:[0,1] neg_hi:[0,1]
	s_nop 0
	v_add_f32_e32 v1, v28, v1
	v_add_f32_e32 v0, v0, v1
	;; [unrolled: 1-line block ×3, first 2 shown]
	v_mul_f32_e32 v28, v27, v1
	v_mul_f32_e32 v18, v25, v28
	v_fma_f32 v20, v28, v25, -v18
	v_fmac_f32_e32 v20, v28, v26
	v_sub_f32_e32 v19, v19, v1
	v_add_f32_e32 v25, v0, v19
	v_add_f32_e32 v0, v18, v20
	v_sub_f32_e32 v19, v1, v0
	v_pk_add_f32 v[22:23], v[0:1], v[18:19] neg_lo:[0,1] neg_hi:[0,1]
	v_mov_b32_e32 v21, v0
	v_pk_add_f32 v[0:1], v[22:23], v[20:21] neg_lo:[0,1] neg_hi:[0,1]
	s_nop 0
	v_add_f32_e32 v1, v25, v1
	v_add_f32_e32 v0, v0, v1
	;; [unrolled: 1-line block ×4, first 2 shown]
	v_sub_f32_e32 v18, v1, v29
	v_mul_f32_e32 v0, v27, v0
	v_sub_f32_e32 v18, v28, v18
	v_add_f32_e32 v18, v18, v0
	v_add_f32_e32 v20, v1, v18
	v_mul_f32_e32 v21, v20, v20
	v_fmamk_f32 v0, v21, 0x3e9b6dac, v108
	v_fmaak_f32 v43, v21, v0, 0x3f2aaada
	v_cvt_f32_i32_e32 v0, v24
	v_sub_f32_e32 v1, v20, v1
	v_sub_f32_e32 v1, v18, v1
	v_ldexp_f32 v22, v1, 1
	v_mul_f32_e32 v1, v20, v21
	v_ldexp_f32 v19, v20, 1
	v_pk_mul_f32 v[20:21], v[0:1], v[42:43]
	s_nop 0
	v_fma_f32 v18, v0, s0, -v20
	v_fmac_f32_e32 v18, 0xb102e308, v0
	v_pk_add_f32 v[0:1], v[20:21], v[18:19]
	s_mov_b32 s0, 0x7f800000
	v_sub_f32_e32 v19, v1, v19
	v_sub_f32_e32 v19, v21, v19
	v_add_f32_e32 v23, v22, v19
	v_mov_b32_e32 v22, v20
	v_pk_add_f32 v[20:21], v[0:1], v[20:21] neg_lo:[0,1] neg_hi:[0,1]
	v_pk_add_f32 v[24:25], v[0:1], v[22:23]
	v_mov_b32_e32 v19, v0
	v_mov_b32_e32 v21, v25
	v_pk_add_f32 v[26:27], v[18:19], v[20:21] neg_lo:[0,1] neg_hi:[0,1]
	v_pk_add_f32 v[18:19], v[18:19], v[20:21]
	v_mov_b32_e32 v22, v23
	v_mov_b32_e32 v20, v19
	v_pk_add_f32 v[28:29], v[20:21], v[0:1] neg_lo:[0,1] neg_hi:[0,1]
	v_mov_b32_e32 v18, v25
	v_mov_b32_e32 v21, v28
	v_pk_add_f32 v[30:31], v[24:25], v[20:21] neg_lo:[0,1] neg_hi:[0,1]
	v_mov_b32_e32 v24, v1
	v_mov_b32_e32 v25, v28
	;; [unrolled: 1-line block ×3, first 2 shown]
	v_pk_add_f32 v[18:19], v[18:19], v[24:25] neg_lo:[0,1] neg_hi:[0,1]
	v_mov_b32_e32 v23, v0
	v_pk_add_f32 v[0:1], v[22:23], v[18:19] neg_lo:[0,1] neg_hi:[0,1]
	v_mov_b32_e32 v30, v26
	v_pk_add_f32 v[18:19], v[30:31], v[0:1]
	v_cmp_eq_f32_e32 vcc, s0, v32
	v_mov_b32_e32 v22, v19
	v_pk_add_f32 v[22:23], v[18:19], v[22:23]
	s_mov_b32 s0, 0x33800000
	v_pk_add_f32 v[20:21], v[20:21], v[22:23]
	v_mov_b32_e32 v1, v22
	v_mov_b32_e32 v19, v20
	v_pk_add_f32 v[24:25], v[18:19], v[26:27] neg_lo:[0,1] neg_hi:[0,1]
	v_cmp_gt_f32_e64 s[2:3], s0, v32
	v_sub_f32_e32 v18, v18, v24
	v_pk_add_f32 v[0:1], v[0:1], v[24:25] neg_lo:[0,1] neg_hi:[0,1]
	v_sub_f32_e32 v18, v26, v18
	v_add_f32_e32 v0, v0, v18
	v_add_f32_e32 v0, v0, v1
	;; [unrolled: 1-line block ×3, first 2 shown]
	s_or_b64 vcc, s[2:3], vcc
	v_cndmask_b32_e32 v113, v0, v32, vcc
.LBB123_26:                             ;   in Loop: Header=BB123_14 Depth=1
	s_or_b64 exec, exec, s[30:31]
	v_cvt_f32_f16_e32 v0, v11
	s_mov_b32 s0, 0x41a00000
	v_add_f32_e32 v114, s33, v0
	v_cmp_ge_f32_e32 vcc, s0, v114
	s_and_b64 s[0:1], s[88:89], vcc
	s_and_saveexec_b64 s[30:31], s[0:1]
	s_cbranch_execz .LBB123_28
; %bb.27:                               ;   in Loop: Header=BB123_14 Depth=1
	v_mul_f32_e32 v0, 0x3fb8aa3b, v114
	v_rndne_f32_e32 v1, v0
	s_mov_b32 s0, 0x3fb8aa3b
	v_sub_f32_e32 v18, v0, v1
	v_fma_f32 v0, v114, s0, -v0
	v_fmac_f32_e32 v0, 0x32a5705f, v114
	v_add_f32_e32 v0, v18, v0
	v_cvt_i32_f32_e32 v1, v1
	v_exp_f32_e32 v0, v0
	s_mov_b32 s0, 0xc2ce8ed0
	v_cmp_ngt_f32_e32 vcc, s0, v114
	s_mov_b32 s0, 0x42b17218
	v_ldexp_f32 v0, v0, v1
	v_cndmask_b32_e32 v0, 0, v0, vcc
	v_cmp_nlt_f32_e32 vcc, s0, v114
	s_mov_b32 s0, 0x3f2aaaab
	s_nop 0
	v_cndmask_b32_e32 v32, v109, v0, vcc
	v_add_f32_e32 v18, 1.0, v32
	v_add_f32_e32 v0, -1.0, v18
	v_sub_f32_e32 v1, v0, v18
	v_add_f32_e32 v1, 1.0, v1
	v_sub_f32_e32 v0, v32, v0
	v_add_f32_e32 v19, v0, v1
	v_frexp_mant_f32_e32 v20, v18
	v_cvt_f64_f32_e32 v[0:1], v18
	v_frexp_exp_i32_f64_e32 v0, v[0:1]
	v_cmp_gt_f32_e32 vcc, s0, v20
	s_mov_b32 s0, 0x3f317218
	s_nop 0
	v_subbrev_co_u32_e32 v24, vcc, 0, v0, vcc
	v_sub_u32_e32 v0, 0, v24
	v_ldexp_f32 v1, v18, v0
	v_add_f32_e32 v18, -1.0, v1
	v_add_f32_e32 v20, 1.0, v1
	v_ldexp_f32 v0, v19, v0
	v_add_f32_e32 v19, 1.0, v18
	v_add_f32_e32 v21, -1.0, v20
	v_sub_f32_e32 v19, v1, v19
	v_sub_f32_e32 v1, v1, v21
	v_add_f32_e32 v19, v0, v19
	v_add_f32_e32 v0, v0, v1
	;; [unrolled: 1-line block ×3, first 2 shown]
	v_rcp_f32_e32 v27, v25
	v_sub_f32_e32 v1, v20, v25
	v_add_f32_e32 v26, v0, v1
	v_add_f32_e32 v1, v18, v19
	v_mul_f32_e32 v29, v1, v27
	v_sub_f32_e32 v0, v18, v1
	v_mul_f32_e32 v18, v25, v29
	v_fma_f32 v20, v29, v25, -v18
	v_fmac_f32_e32 v20, v29, v26
	v_add_f32_e32 v28, v19, v0
	v_add_f32_e32 v0, v18, v20
	v_sub_f32_e32 v19, v1, v0
	v_pk_add_f32 v[22:23], v[0:1], v[18:19] neg_lo:[0,1] neg_hi:[0,1]
	v_mov_b32_e32 v21, v0
	v_pk_add_f32 v[0:1], v[22:23], v[20:21] neg_lo:[0,1] neg_hi:[0,1]
	s_nop 0
	v_add_f32_e32 v1, v28, v1
	v_add_f32_e32 v0, v0, v1
	;; [unrolled: 1-line block ×3, first 2 shown]
	v_mul_f32_e32 v28, v27, v1
	v_mul_f32_e32 v18, v25, v28
	v_fma_f32 v20, v28, v25, -v18
	v_fmac_f32_e32 v20, v28, v26
	v_sub_f32_e32 v19, v19, v1
	v_add_f32_e32 v25, v0, v19
	v_add_f32_e32 v0, v18, v20
	v_sub_f32_e32 v19, v1, v0
	v_pk_add_f32 v[22:23], v[0:1], v[18:19] neg_lo:[0,1] neg_hi:[0,1]
	v_mov_b32_e32 v21, v0
	v_pk_add_f32 v[0:1], v[22:23], v[20:21] neg_lo:[0,1] neg_hi:[0,1]
	s_nop 0
	v_add_f32_e32 v1, v25, v1
	v_add_f32_e32 v0, v0, v1
	;; [unrolled: 1-line block ×4, first 2 shown]
	v_sub_f32_e32 v18, v1, v29
	v_mul_f32_e32 v0, v27, v0
	v_sub_f32_e32 v18, v28, v18
	v_add_f32_e32 v18, v18, v0
	v_add_f32_e32 v20, v1, v18
	v_mul_f32_e32 v21, v20, v20
	v_fmamk_f32 v0, v21, 0x3e9b6dac, v108
	v_fmaak_f32 v43, v21, v0, 0x3f2aaada
	v_cvt_f32_i32_e32 v0, v24
	v_sub_f32_e32 v1, v20, v1
	v_sub_f32_e32 v1, v18, v1
	v_ldexp_f32 v22, v1, 1
	v_mul_f32_e32 v1, v20, v21
	v_ldexp_f32 v19, v20, 1
	v_pk_mul_f32 v[20:21], v[0:1], v[42:43]
	s_nop 0
	v_fma_f32 v18, v0, s0, -v20
	v_fmac_f32_e32 v18, 0xb102e308, v0
	v_pk_add_f32 v[0:1], v[20:21], v[18:19]
	s_mov_b32 s0, 0x7f800000
	v_sub_f32_e32 v19, v1, v19
	v_sub_f32_e32 v19, v21, v19
	v_add_f32_e32 v23, v22, v19
	v_mov_b32_e32 v22, v20
	v_pk_add_f32 v[20:21], v[0:1], v[20:21] neg_lo:[0,1] neg_hi:[0,1]
	v_pk_add_f32 v[24:25], v[0:1], v[22:23]
	v_mov_b32_e32 v19, v0
	v_mov_b32_e32 v21, v25
	v_pk_add_f32 v[26:27], v[18:19], v[20:21] neg_lo:[0,1] neg_hi:[0,1]
	v_pk_add_f32 v[18:19], v[18:19], v[20:21]
	v_mov_b32_e32 v22, v23
	v_mov_b32_e32 v20, v19
	v_pk_add_f32 v[28:29], v[20:21], v[0:1] neg_lo:[0,1] neg_hi:[0,1]
	v_mov_b32_e32 v18, v25
	v_mov_b32_e32 v21, v28
	v_pk_add_f32 v[30:31], v[24:25], v[20:21] neg_lo:[0,1] neg_hi:[0,1]
	v_mov_b32_e32 v24, v1
	v_mov_b32_e32 v25, v28
	v_mov_b32_e32 v27, v19
	v_pk_add_f32 v[18:19], v[18:19], v[24:25] neg_lo:[0,1] neg_hi:[0,1]
	v_mov_b32_e32 v23, v0
	v_pk_add_f32 v[0:1], v[22:23], v[18:19] neg_lo:[0,1] neg_hi:[0,1]
	v_mov_b32_e32 v30, v26
	v_pk_add_f32 v[18:19], v[30:31], v[0:1]
	v_cmp_eq_f32_e32 vcc, s0, v32
	v_mov_b32_e32 v22, v19
	v_pk_add_f32 v[22:23], v[18:19], v[22:23]
	s_mov_b32 s0, 0x33800000
	v_pk_add_f32 v[20:21], v[20:21], v[22:23]
	v_mov_b32_e32 v1, v22
	v_mov_b32_e32 v19, v20
	v_pk_add_f32 v[24:25], v[18:19], v[26:27] neg_lo:[0,1] neg_hi:[0,1]
	v_cmp_gt_f32_e64 s[2:3], s0, v32
	v_sub_f32_e32 v18, v18, v24
	v_pk_add_f32 v[0:1], v[0:1], v[24:25] neg_lo:[0,1] neg_hi:[0,1]
	v_sub_f32_e32 v18, v26, v18
	v_add_f32_e32 v0, v0, v18
	v_add_f32_e32 v0, v0, v1
	;; [unrolled: 1-line block ×3, first 2 shown]
	s_or_b64 vcc, s[2:3], vcc
	v_cndmask_b32_e32 v114, v0, v32, vcc
.LBB123_28:                             ;   in Loop: Header=BB123_14 Depth=1
	s_or_b64 exec, exec, s[30:31]
	v_cvt_f32_f16_sdwa v0, v11 dst_sel:DWORD dst_unused:UNUSED_PAD src0_sel:WORD_1
	s_mov_b32 s0, 0x41a00000
	v_add_f32_e32 v115, s33, v0
	v_cmp_ge_f32_e32 vcc, s0, v115
	s_and_b64 s[0:1], s[88:89], vcc
	s_and_saveexec_b64 s[30:31], s[0:1]
	s_cbranch_execz .LBB123_30
; %bb.29:                               ;   in Loop: Header=BB123_14 Depth=1
	v_mul_f32_e32 v0, 0x3fb8aa3b, v115
	v_rndne_f32_e32 v1, v0
	s_mov_b32 s0, 0x3fb8aa3b
	v_sub_f32_e32 v18, v0, v1
	v_fma_f32 v0, v115, s0, -v0
	v_fmac_f32_e32 v0, 0x32a5705f, v115
	v_add_f32_e32 v0, v18, v0
	v_cvt_i32_f32_e32 v1, v1
	v_exp_f32_e32 v0, v0
	s_mov_b32 s0, 0xc2ce8ed0
	v_cmp_ngt_f32_e32 vcc, s0, v115
	s_mov_b32 s0, 0x42b17218
	v_ldexp_f32 v0, v0, v1
	v_cndmask_b32_e32 v0, 0, v0, vcc
	v_cmp_nlt_f32_e32 vcc, s0, v115
	s_mov_b32 s0, 0x3f2aaaab
	s_nop 0
	v_cndmask_b32_e32 v32, v109, v0, vcc
	v_add_f32_e32 v18, 1.0, v32
	v_add_f32_e32 v0, -1.0, v18
	v_sub_f32_e32 v1, v0, v18
	v_add_f32_e32 v1, 1.0, v1
	v_sub_f32_e32 v0, v32, v0
	v_add_f32_e32 v19, v0, v1
	v_frexp_mant_f32_e32 v20, v18
	v_cvt_f64_f32_e32 v[0:1], v18
	v_frexp_exp_i32_f64_e32 v0, v[0:1]
	v_cmp_gt_f32_e32 vcc, s0, v20
	s_mov_b32 s0, 0x3f317218
	s_nop 0
	v_subbrev_co_u32_e32 v24, vcc, 0, v0, vcc
	v_sub_u32_e32 v0, 0, v24
	v_ldexp_f32 v1, v18, v0
	v_add_f32_e32 v18, -1.0, v1
	v_add_f32_e32 v20, 1.0, v1
	v_ldexp_f32 v0, v19, v0
	v_add_f32_e32 v19, 1.0, v18
	v_add_f32_e32 v21, -1.0, v20
	v_sub_f32_e32 v19, v1, v19
	v_sub_f32_e32 v1, v1, v21
	v_add_f32_e32 v19, v0, v19
	v_add_f32_e32 v0, v0, v1
	;; [unrolled: 1-line block ×3, first 2 shown]
	v_rcp_f32_e32 v27, v25
	v_sub_f32_e32 v1, v20, v25
	v_add_f32_e32 v26, v0, v1
	v_add_f32_e32 v1, v18, v19
	v_mul_f32_e32 v29, v1, v27
	v_sub_f32_e32 v0, v18, v1
	v_mul_f32_e32 v18, v25, v29
	v_fma_f32 v20, v29, v25, -v18
	v_fmac_f32_e32 v20, v29, v26
	v_add_f32_e32 v28, v19, v0
	v_add_f32_e32 v0, v18, v20
	v_sub_f32_e32 v19, v1, v0
	v_pk_add_f32 v[22:23], v[0:1], v[18:19] neg_lo:[0,1] neg_hi:[0,1]
	v_mov_b32_e32 v21, v0
	v_pk_add_f32 v[0:1], v[22:23], v[20:21] neg_lo:[0,1] neg_hi:[0,1]
	s_nop 0
	v_add_f32_e32 v1, v28, v1
	v_add_f32_e32 v0, v0, v1
	;; [unrolled: 1-line block ×3, first 2 shown]
	v_mul_f32_e32 v28, v27, v1
	v_mul_f32_e32 v18, v25, v28
	v_fma_f32 v20, v28, v25, -v18
	v_fmac_f32_e32 v20, v28, v26
	v_sub_f32_e32 v19, v19, v1
	v_add_f32_e32 v25, v0, v19
	v_add_f32_e32 v0, v18, v20
	v_sub_f32_e32 v19, v1, v0
	v_pk_add_f32 v[22:23], v[0:1], v[18:19] neg_lo:[0,1] neg_hi:[0,1]
	v_mov_b32_e32 v21, v0
	v_pk_add_f32 v[0:1], v[22:23], v[20:21] neg_lo:[0,1] neg_hi:[0,1]
	s_nop 0
	v_add_f32_e32 v1, v25, v1
	v_add_f32_e32 v0, v0, v1
	;; [unrolled: 1-line block ×4, first 2 shown]
	v_sub_f32_e32 v18, v1, v29
	v_mul_f32_e32 v0, v27, v0
	v_sub_f32_e32 v18, v28, v18
	v_add_f32_e32 v18, v18, v0
	v_add_f32_e32 v20, v1, v18
	v_mul_f32_e32 v21, v20, v20
	v_fmamk_f32 v0, v21, 0x3e9b6dac, v108
	v_fmaak_f32 v43, v21, v0, 0x3f2aaada
	v_cvt_f32_i32_e32 v0, v24
	v_sub_f32_e32 v1, v20, v1
	v_sub_f32_e32 v1, v18, v1
	v_ldexp_f32 v22, v1, 1
	v_mul_f32_e32 v1, v20, v21
	v_ldexp_f32 v19, v20, 1
	v_pk_mul_f32 v[20:21], v[0:1], v[42:43]
	s_nop 0
	v_fma_f32 v18, v0, s0, -v20
	v_fmac_f32_e32 v18, 0xb102e308, v0
	v_pk_add_f32 v[0:1], v[20:21], v[18:19]
	s_mov_b32 s0, 0x7f800000
	v_sub_f32_e32 v19, v1, v19
	v_sub_f32_e32 v19, v21, v19
	v_add_f32_e32 v23, v22, v19
	v_mov_b32_e32 v22, v20
	v_pk_add_f32 v[20:21], v[0:1], v[20:21] neg_lo:[0,1] neg_hi:[0,1]
	v_pk_add_f32 v[24:25], v[0:1], v[22:23]
	v_mov_b32_e32 v19, v0
	v_mov_b32_e32 v21, v25
	v_pk_add_f32 v[26:27], v[18:19], v[20:21] neg_lo:[0,1] neg_hi:[0,1]
	v_pk_add_f32 v[18:19], v[18:19], v[20:21]
	v_mov_b32_e32 v22, v23
	v_mov_b32_e32 v20, v19
	v_pk_add_f32 v[28:29], v[20:21], v[0:1] neg_lo:[0,1] neg_hi:[0,1]
	v_mov_b32_e32 v18, v25
	v_mov_b32_e32 v21, v28
	v_pk_add_f32 v[30:31], v[24:25], v[20:21] neg_lo:[0,1] neg_hi:[0,1]
	v_mov_b32_e32 v24, v1
	v_mov_b32_e32 v25, v28
	;; [unrolled: 1-line block ×3, first 2 shown]
	v_pk_add_f32 v[18:19], v[18:19], v[24:25] neg_lo:[0,1] neg_hi:[0,1]
	v_mov_b32_e32 v23, v0
	v_pk_add_f32 v[0:1], v[22:23], v[18:19] neg_lo:[0,1] neg_hi:[0,1]
	v_mov_b32_e32 v30, v26
	v_pk_add_f32 v[18:19], v[30:31], v[0:1]
	v_cmp_eq_f32_e32 vcc, s0, v32
	v_mov_b32_e32 v22, v19
	v_pk_add_f32 v[22:23], v[18:19], v[22:23]
	s_mov_b32 s0, 0x33800000
	v_pk_add_f32 v[20:21], v[20:21], v[22:23]
	v_mov_b32_e32 v1, v22
	v_mov_b32_e32 v19, v20
	v_pk_add_f32 v[24:25], v[18:19], v[26:27] neg_lo:[0,1] neg_hi:[0,1]
	v_cmp_gt_f32_e64 s[2:3], s0, v32
	v_sub_f32_e32 v18, v18, v24
	v_pk_add_f32 v[0:1], v[0:1], v[24:25] neg_lo:[0,1] neg_hi:[0,1]
	v_sub_f32_e32 v18, v26, v18
	v_add_f32_e32 v0, v0, v18
	v_add_f32_e32 v0, v0, v1
	;; [unrolled: 1-line block ×3, first 2 shown]
	s_or_b64 vcc, s[2:3], vcc
	v_cndmask_b32_e32 v115, v0, v32, vcc
.LBB123_30:                             ;   in Loop: Header=BB123_14 Depth=1
	s_or_b64 exec, exec, s[30:31]
	v_cvt_f32_f16_e32 v0, v12
	s_mov_b32 s0, 0x41a00000
	v_add_f32_e32 v116, s33, v0
	v_cmp_ge_f32_e32 vcc, s0, v116
	s_and_b64 s[0:1], s[88:89], vcc
	s_and_saveexec_b64 s[30:31], s[0:1]
	s_cbranch_execz .LBB123_32
; %bb.31:                               ;   in Loop: Header=BB123_14 Depth=1
	v_mul_f32_e32 v0, 0x3fb8aa3b, v116
	v_rndne_f32_e32 v1, v0
	s_mov_b32 s0, 0x3fb8aa3b
	v_sub_f32_e32 v18, v0, v1
	v_fma_f32 v0, v116, s0, -v0
	v_fmac_f32_e32 v0, 0x32a5705f, v116
	v_add_f32_e32 v0, v18, v0
	v_cvt_i32_f32_e32 v1, v1
	v_exp_f32_e32 v0, v0
	s_mov_b32 s0, 0xc2ce8ed0
	v_cmp_ngt_f32_e32 vcc, s0, v116
	s_mov_b32 s0, 0x42b17218
	v_ldexp_f32 v0, v0, v1
	v_cndmask_b32_e32 v0, 0, v0, vcc
	v_cmp_nlt_f32_e32 vcc, s0, v116
	s_mov_b32 s0, 0x3f2aaaab
	s_nop 0
	v_cndmask_b32_e32 v32, v109, v0, vcc
	v_add_f32_e32 v18, 1.0, v32
	v_add_f32_e32 v0, -1.0, v18
	v_sub_f32_e32 v1, v0, v18
	v_add_f32_e32 v1, 1.0, v1
	v_sub_f32_e32 v0, v32, v0
	v_add_f32_e32 v19, v0, v1
	v_frexp_mant_f32_e32 v20, v18
	v_cvt_f64_f32_e32 v[0:1], v18
	v_frexp_exp_i32_f64_e32 v0, v[0:1]
	v_cmp_gt_f32_e32 vcc, s0, v20
	s_mov_b32 s0, 0x3f317218
	s_nop 0
	v_subbrev_co_u32_e32 v24, vcc, 0, v0, vcc
	v_sub_u32_e32 v0, 0, v24
	v_ldexp_f32 v1, v18, v0
	v_add_f32_e32 v18, -1.0, v1
	v_add_f32_e32 v20, 1.0, v1
	v_ldexp_f32 v0, v19, v0
	v_add_f32_e32 v19, 1.0, v18
	v_add_f32_e32 v21, -1.0, v20
	v_sub_f32_e32 v19, v1, v19
	v_sub_f32_e32 v1, v1, v21
	v_add_f32_e32 v19, v0, v19
	v_add_f32_e32 v0, v0, v1
	;; [unrolled: 1-line block ×3, first 2 shown]
	v_rcp_f32_e32 v27, v25
	v_sub_f32_e32 v1, v20, v25
	v_add_f32_e32 v26, v0, v1
	v_add_f32_e32 v1, v18, v19
	v_mul_f32_e32 v29, v1, v27
	v_sub_f32_e32 v0, v18, v1
	v_mul_f32_e32 v18, v25, v29
	v_fma_f32 v20, v29, v25, -v18
	v_fmac_f32_e32 v20, v29, v26
	v_add_f32_e32 v28, v19, v0
	v_add_f32_e32 v0, v18, v20
	v_sub_f32_e32 v19, v1, v0
	v_pk_add_f32 v[22:23], v[0:1], v[18:19] neg_lo:[0,1] neg_hi:[0,1]
	v_mov_b32_e32 v21, v0
	v_pk_add_f32 v[0:1], v[22:23], v[20:21] neg_lo:[0,1] neg_hi:[0,1]
	s_nop 0
	v_add_f32_e32 v1, v28, v1
	v_add_f32_e32 v0, v0, v1
	;; [unrolled: 1-line block ×3, first 2 shown]
	v_mul_f32_e32 v28, v27, v1
	v_mul_f32_e32 v18, v25, v28
	v_fma_f32 v20, v28, v25, -v18
	v_fmac_f32_e32 v20, v28, v26
	v_sub_f32_e32 v19, v19, v1
	v_add_f32_e32 v25, v0, v19
	v_add_f32_e32 v0, v18, v20
	v_sub_f32_e32 v19, v1, v0
	v_pk_add_f32 v[22:23], v[0:1], v[18:19] neg_lo:[0,1] neg_hi:[0,1]
	v_mov_b32_e32 v21, v0
	v_pk_add_f32 v[0:1], v[22:23], v[20:21] neg_lo:[0,1] neg_hi:[0,1]
	s_nop 0
	v_add_f32_e32 v1, v25, v1
	v_add_f32_e32 v0, v0, v1
	;; [unrolled: 1-line block ×4, first 2 shown]
	v_sub_f32_e32 v18, v1, v29
	v_mul_f32_e32 v0, v27, v0
	v_sub_f32_e32 v18, v28, v18
	v_add_f32_e32 v18, v18, v0
	v_add_f32_e32 v20, v1, v18
	v_mul_f32_e32 v21, v20, v20
	v_fmamk_f32 v0, v21, 0x3e9b6dac, v108
	v_fmaak_f32 v43, v21, v0, 0x3f2aaada
	v_cvt_f32_i32_e32 v0, v24
	v_sub_f32_e32 v1, v20, v1
	v_sub_f32_e32 v1, v18, v1
	v_ldexp_f32 v22, v1, 1
	v_mul_f32_e32 v1, v20, v21
	v_ldexp_f32 v19, v20, 1
	v_pk_mul_f32 v[20:21], v[0:1], v[42:43]
	s_nop 0
	v_fma_f32 v18, v0, s0, -v20
	v_fmac_f32_e32 v18, 0xb102e308, v0
	v_pk_add_f32 v[0:1], v[20:21], v[18:19]
	s_mov_b32 s0, 0x7f800000
	v_sub_f32_e32 v19, v1, v19
	v_sub_f32_e32 v19, v21, v19
	v_add_f32_e32 v23, v22, v19
	v_mov_b32_e32 v22, v20
	v_pk_add_f32 v[20:21], v[0:1], v[20:21] neg_lo:[0,1] neg_hi:[0,1]
	v_pk_add_f32 v[24:25], v[0:1], v[22:23]
	v_mov_b32_e32 v19, v0
	v_mov_b32_e32 v21, v25
	v_pk_add_f32 v[26:27], v[18:19], v[20:21] neg_lo:[0,1] neg_hi:[0,1]
	v_pk_add_f32 v[18:19], v[18:19], v[20:21]
	v_mov_b32_e32 v22, v23
	v_mov_b32_e32 v20, v19
	v_pk_add_f32 v[28:29], v[20:21], v[0:1] neg_lo:[0,1] neg_hi:[0,1]
	v_mov_b32_e32 v18, v25
	v_mov_b32_e32 v21, v28
	v_pk_add_f32 v[30:31], v[24:25], v[20:21] neg_lo:[0,1] neg_hi:[0,1]
	v_mov_b32_e32 v24, v1
	v_mov_b32_e32 v25, v28
	;; [unrolled: 1-line block ×3, first 2 shown]
	v_pk_add_f32 v[18:19], v[18:19], v[24:25] neg_lo:[0,1] neg_hi:[0,1]
	v_mov_b32_e32 v23, v0
	v_pk_add_f32 v[0:1], v[22:23], v[18:19] neg_lo:[0,1] neg_hi:[0,1]
	v_mov_b32_e32 v30, v26
	v_pk_add_f32 v[18:19], v[30:31], v[0:1]
	v_cmp_eq_f32_e32 vcc, s0, v32
	v_mov_b32_e32 v22, v19
	v_pk_add_f32 v[22:23], v[18:19], v[22:23]
	s_mov_b32 s0, 0x33800000
	v_pk_add_f32 v[20:21], v[20:21], v[22:23]
	v_mov_b32_e32 v1, v22
	v_mov_b32_e32 v19, v20
	v_pk_add_f32 v[24:25], v[18:19], v[26:27] neg_lo:[0,1] neg_hi:[0,1]
	v_cmp_gt_f32_e64 s[2:3], s0, v32
	v_sub_f32_e32 v18, v18, v24
	v_pk_add_f32 v[0:1], v[0:1], v[24:25] neg_lo:[0,1] neg_hi:[0,1]
	v_sub_f32_e32 v18, v26, v18
	v_add_f32_e32 v0, v0, v18
	v_add_f32_e32 v0, v0, v1
	;; [unrolled: 1-line block ×3, first 2 shown]
	s_or_b64 vcc, s[2:3], vcc
	v_cndmask_b32_e32 v116, v0, v32, vcc
.LBB123_32:                             ;   in Loop: Header=BB123_14 Depth=1
	s_or_b64 exec, exec, s[30:31]
	v_cvt_f32_f16_sdwa v0, v12 dst_sel:DWORD dst_unused:UNUSED_PAD src0_sel:WORD_1
	s_mov_b32 s0, 0x41a00000
	v_add_f32_e32 v117, s33, v0
	v_cmp_ge_f32_e32 vcc, s0, v117
	s_and_b64 s[0:1], s[88:89], vcc
	s_and_saveexec_b64 s[30:31], s[0:1]
	s_cbranch_execz .LBB123_34
; %bb.33:                               ;   in Loop: Header=BB123_14 Depth=1
	v_mul_f32_e32 v0, 0x3fb8aa3b, v117
	v_rndne_f32_e32 v1, v0
	s_mov_b32 s0, 0x3fb8aa3b
	v_sub_f32_e32 v18, v0, v1
	v_fma_f32 v0, v117, s0, -v0
	v_fmac_f32_e32 v0, 0x32a5705f, v117
	v_add_f32_e32 v0, v18, v0
	v_cvt_i32_f32_e32 v1, v1
	v_exp_f32_e32 v0, v0
	s_mov_b32 s0, 0xc2ce8ed0
	v_cmp_ngt_f32_e32 vcc, s0, v117
	s_mov_b32 s0, 0x42b17218
	v_ldexp_f32 v0, v0, v1
	v_cndmask_b32_e32 v0, 0, v0, vcc
	v_cmp_nlt_f32_e32 vcc, s0, v117
	s_mov_b32 s0, 0x3f2aaaab
	s_nop 0
	v_cndmask_b32_e32 v32, v109, v0, vcc
	v_add_f32_e32 v18, 1.0, v32
	v_add_f32_e32 v0, -1.0, v18
	v_sub_f32_e32 v1, v0, v18
	v_add_f32_e32 v1, 1.0, v1
	v_sub_f32_e32 v0, v32, v0
	v_add_f32_e32 v19, v0, v1
	v_frexp_mant_f32_e32 v20, v18
	v_cvt_f64_f32_e32 v[0:1], v18
	v_frexp_exp_i32_f64_e32 v0, v[0:1]
	v_cmp_gt_f32_e32 vcc, s0, v20
	s_mov_b32 s0, 0x3f317218
	s_nop 0
	v_subbrev_co_u32_e32 v24, vcc, 0, v0, vcc
	v_sub_u32_e32 v0, 0, v24
	v_ldexp_f32 v1, v18, v0
	v_add_f32_e32 v18, -1.0, v1
	v_add_f32_e32 v20, 1.0, v1
	v_ldexp_f32 v0, v19, v0
	v_add_f32_e32 v19, 1.0, v18
	v_add_f32_e32 v21, -1.0, v20
	v_sub_f32_e32 v19, v1, v19
	v_sub_f32_e32 v1, v1, v21
	v_add_f32_e32 v19, v0, v19
	v_add_f32_e32 v0, v0, v1
	;; [unrolled: 1-line block ×3, first 2 shown]
	v_rcp_f32_e32 v27, v25
	v_sub_f32_e32 v1, v20, v25
	v_add_f32_e32 v26, v0, v1
	v_add_f32_e32 v1, v18, v19
	v_mul_f32_e32 v29, v1, v27
	v_sub_f32_e32 v0, v18, v1
	v_mul_f32_e32 v18, v25, v29
	v_fma_f32 v20, v29, v25, -v18
	v_fmac_f32_e32 v20, v29, v26
	v_add_f32_e32 v28, v19, v0
	v_add_f32_e32 v0, v18, v20
	v_sub_f32_e32 v19, v1, v0
	v_pk_add_f32 v[22:23], v[0:1], v[18:19] neg_lo:[0,1] neg_hi:[0,1]
	v_mov_b32_e32 v21, v0
	v_pk_add_f32 v[0:1], v[22:23], v[20:21] neg_lo:[0,1] neg_hi:[0,1]
	s_nop 0
	v_add_f32_e32 v1, v28, v1
	v_add_f32_e32 v0, v0, v1
	;; [unrolled: 1-line block ×3, first 2 shown]
	v_mul_f32_e32 v28, v27, v1
	v_mul_f32_e32 v18, v25, v28
	v_fma_f32 v20, v28, v25, -v18
	v_fmac_f32_e32 v20, v28, v26
	v_sub_f32_e32 v19, v19, v1
	v_add_f32_e32 v25, v0, v19
	v_add_f32_e32 v0, v18, v20
	v_sub_f32_e32 v19, v1, v0
	v_pk_add_f32 v[22:23], v[0:1], v[18:19] neg_lo:[0,1] neg_hi:[0,1]
	v_mov_b32_e32 v21, v0
	v_pk_add_f32 v[0:1], v[22:23], v[20:21] neg_lo:[0,1] neg_hi:[0,1]
	s_nop 0
	v_add_f32_e32 v1, v25, v1
	v_add_f32_e32 v0, v0, v1
	;; [unrolled: 1-line block ×4, first 2 shown]
	v_sub_f32_e32 v18, v1, v29
	v_mul_f32_e32 v0, v27, v0
	v_sub_f32_e32 v18, v28, v18
	v_add_f32_e32 v18, v18, v0
	v_add_f32_e32 v20, v1, v18
	v_mul_f32_e32 v21, v20, v20
	v_fmamk_f32 v0, v21, 0x3e9b6dac, v108
	v_fmaak_f32 v43, v21, v0, 0x3f2aaada
	v_cvt_f32_i32_e32 v0, v24
	v_sub_f32_e32 v1, v20, v1
	v_sub_f32_e32 v1, v18, v1
	v_ldexp_f32 v22, v1, 1
	v_mul_f32_e32 v1, v20, v21
	v_ldexp_f32 v19, v20, 1
	v_pk_mul_f32 v[20:21], v[0:1], v[42:43]
	s_nop 0
	v_fma_f32 v18, v0, s0, -v20
	v_fmac_f32_e32 v18, 0xb102e308, v0
	v_pk_add_f32 v[0:1], v[20:21], v[18:19]
	s_mov_b32 s0, 0x7f800000
	v_sub_f32_e32 v19, v1, v19
	v_sub_f32_e32 v19, v21, v19
	v_add_f32_e32 v23, v22, v19
	v_mov_b32_e32 v22, v20
	v_pk_add_f32 v[20:21], v[0:1], v[20:21] neg_lo:[0,1] neg_hi:[0,1]
	v_pk_add_f32 v[24:25], v[0:1], v[22:23]
	v_mov_b32_e32 v19, v0
	v_mov_b32_e32 v21, v25
	v_pk_add_f32 v[26:27], v[18:19], v[20:21] neg_lo:[0,1] neg_hi:[0,1]
	v_pk_add_f32 v[18:19], v[18:19], v[20:21]
	v_mov_b32_e32 v22, v23
	v_mov_b32_e32 v20, v19
	v_pk_add_f32 v[28:29], v[20:21], v[0:1] neg_lo:[0,1] neg_hi:[0,1]
	v_mov_b32_e32 v18, v25
	v_mov_b32_e32 v21, v28
	v_pk_add_f32 v[30:31], v[24:25], v[20:21] neg_lo:[0,1] neg_hi:[0,1]
	v_mov_b32_e32 v24, v1
	v_mov_b32_e32 v25, v28
	v_mov_b32_e32 v27, v19
	v_pk_add_f32 v[18:19], v[18:19], v[24:25] neg_lo:[0,1] neg_hi:[0,1]
	v_mov_b32_e32 v23, v0
	v_pk_add_f32 v[0:1], v[22:23], v[18:19] neg_lo:[0,1] neg_hi:[0,1]
	v_mov_b32_e32 v30, v26
	v_pk_add_f32 v[18:19], v[30:31], v[0:1]
	v_cmp_eq_f32_e32 vcc, s0, v32
	v_mov_b32_e32 v22, v19
	v_pk_add_f32 v[22:23], v[18:19], v[22:23]
	s_mov_b32 s0, 0x33800000
	v_pk_add_f32 v[20:21], v[20:21], v[22:23]
	v_mov_b32_e32 v1, v22
	v_mov_b32_e32 v19, v20
	v_pk_add_f32 v[24:25], v[18:19], v[26:27] neg_lo:[0,1] neg_hi:[0,1]
	v_cmp_gt_f32_e64 s[2:3], s0, v32
	v_sub_f32_e32 v18, v18, v24
	v_pk_add_f32 v[0:1], v[0:1], v[24:25] neg_lo:[0,1] neg_hi:[0,1]
	v_sub_f32_e32 v18, v26, v18
	v_add_f32_e32 v0, v0, v18
	v_add_f32_e32 v0, v0, v1
	;; [unrolled: 1-line block ×3, first 2 shown]
	s_or_b64 vcc, s[2:3], vcc
	v_cndmask_b32_e32 v117, v0, v32, vcc
.LBB123_34:                             ;   in Loop: Header=BB123_14 Depth=1
	s_or_b64 exec, exec, s[30:31]
	v_cvt_f32_f16_e32 v0, v13
	s_mov_b32 s0, 0x41a00000
	v_add_f32_e32 v118, s33, v0
	v_cmp_ge_f32_e32 vcc, s0, v118
	s_and_b64 s[0:1], s[88:89], vcc
	s_and_saveexec_b64 s[30:31], s[0:1]
	s_cbranch_execz .LBB123_36
; %bb.35:                               ;   in Loop: Header=BB123_14 Depth=1
	v_mul_f32_e32 v0, 0x3fb8aa3b, v118
	v_rndne_f32_e32 v1, v0
	s_mov_b32 s0, 0x3fb8aa3b
	v_sub_f32_e32 v18, v0, v1
	v_fma_f32 v0, v118, s0, -v0
	v_fmac_f32_e32 v0, 0x32a5705f, v118
	v_add_f32_e32 v0, v18, v0
	v_cvt_i32_f32_e32 v1, v1
	v_exp_f32_e32 v0, v0
	s_mov_b32 s0, 0xc2ce8ed0
	v_cmp_ngt_f32_e32 vcc, s0, v118
	s_mov_b32 s0, 0x42b17218
	v_ldexp_f32 v0, v0, v1
	v_cndmask_b32_e32 v0, 0, v0, vcc
	v_cmp_nlt_f32_e32 vcc, s0, v118
	s_mov_b32 s0, 0x3f2aaaab
	s_nop 0
	v_cndmask_b32_e32 v32, v109, v0, vcc
	v_add_f32_e32 v18, 1.0, v32
	v_add_f32_e32 v0, -1.0, v18
	v_sub_f32_e32 v1, v0, v18
	v_add_f32_e32 v1, 1.0, v1
	v_sub_f32_e32 v0, v32, v0
	v_add_f32_e32 v19, v0, v1
	v_frexp_mant_f32_e32 v20, v18
	v_cvt_f64_f32_e32 v[0:1], v18
	v_frexp_exp_i32_f64_e32 v0, v[0:1]
	v_cmp_gt_f32_e32 vcc, s0, v20
	s_mov_b32 s0, 0x3f317218
	s_nop 0
	v_subbrev_co_u32_e32 v24, vcc, 0, v0, vcc
	v_sub_u32_e32 v0, 0, v24
	v_ldexp_f32 v1, v18, v0
	v_add_f32_e32 v18, -1.0, v1
	v_add_f32_e32 v20, 1.0, v1
	v_ldexp_f32 v0, v19, v0
	v_add_f32_e32 v19, 1.0, v18
	v_add_f32_e32 v21, -1.0, v20
	v_sub_f32_e32 v19, v1, v19
	v_sub_f32_e32 v1, v1, v21
	v_add_f32_e32 v19, v0, v19
	v_add_f32_e32 v0, v0, v1
	;; [unrolled: 1-line block ×3, first 2 shown]
	v_rcp_f32_e32 v27, v25
	v_sub_f32_e32 v1, v20, v25
	v_add_f32_e32 v26, v0, v1
	v_add_f32_e32 v1, v18, v19
	v_mul_f32_e32 v29, v1, v27
	v_sub_f32_e32 v0, v18, v1
	v_mul_f32_e32 v18, v25, v29
	v_fma_f32 v20, v29, v25, -v18
	v_fmac_f32_e32 v20, v29, v26
	v_add_f32_e32 v28, v19, v0
	v_add_f32_e32 v0, v18, v20
	v_sub_f32_e32 v19, v1, v0
	v_pk_add_f32 v[22:23], v[0:1], v[18:19] neg_lo:[0,1] neg_hi:[0,1]
	v_mov_b32_e32 v21, v0
	v_pk_add_f32 v[0:1], v[22:23], v[20:21] neg_lo:[0,1] neg_hi:[0,1]
	s_nop 0
	v_add_f32_e32 v1, v28, v1
	v_add_f32_e32 v0, v0, v1
	;; [unrolled: 1-line block ×3, first 2 shown]
	v_mul_f32_e32 v28, v27, v1
	v_mul_f32_e32 v18, v25, v28
	v_fma_f32 v20, v28, v25, -v18
	v_fmac_f32_e32 v20, v28, v26
	v_sub_f32_e32 v19, v19, v1
	v_add_f32_e32 v25, v0, v19
	v_add_f32_e32 v0, v18, v20
	v_sub_f32_e32 v19, v1, v0
	v_pk_add_f32 v[22:23], v[0:1], v[18:19] neg_lo:[0,1] neg_hi:[0,1]
	v_mov_b32_e32 v21, v0
	v_pk_add_f32 v[0:1], v[22:23], v[20:21] neg_lo:[0,1] neg_hi:[0,1]
	s_nop 0
	v_add_f32_e32 v1, v25, v1
	v_add_f32_e32 v0, v0, v1
	;; [unrolled: 1-line block ×4, first 2 shown]
	v_sub_f32_e32 v18, v1, v29
	v_mul_f32_e32 v0, v27, v0
	v_sub_f32_e32 v18, v28, v18
	v_add_f32_e32 v18, v18, v0
	v_add_f32_e32 v20, v1, v18
	v_mul_f32_e32 v21, v20, v20
	v_fmamk_f32 v0, v21, 0x3e9b6dac, v108
	v_fmaak_f32 v43, v21, v0, 0x3f2aaada
	v_cvt_f32_i32_e32 v0, v24
	v_sub_f32_e32 v1, v20, v1
	v_sub_f32_e32 v1, v18, v1
	v_ldexp_f32 v22, v1, 1
	v_mul_f32_e32 v1, v20, v21
	v_ldexp_f32 v19, v20, 1
	v_pk_mul_f32 v[20:21], v[0:1], v[42:43]
	s_nop 0
	v_fma_f32 v18, v0, s0, -v20
	v_fmac_f32_e32 v18, 0xb102e308, v0
	v_pk_add_f32 v[0:1], v[20:21], v[18:19]
	s_mov_b32 s0, 0x7f800000
	v_sub_f32_e32 v19, v1, v19
	v_sub_f32_e32 v19, v21, v19
	v_add_f32_e32 v23, v22, v19
	v_mov_b32_e32 v22, v20
	v_pk_add_f32 v[20:21], v[0:1], v[20:21] neg_lo:[0,1] neg_hi:[0,1]
	v_pk_add_f32 v[24:25], v[0:1], v[22:23]
	v_mov_b32_e32 v19, v0
	v_mov_b32_e32 v21, v25
	v_pk_add_f32 v[26:27], v[18:19], v[20:21] neg_lo:[0,1] neg_hi:[0,1]
	v_pk_add_f32 v[18:19], v[18:19], v[20:21]
	v_mov_b32_e32 v22, v23
	v_mov_b32_e32 v20, v19
	v_pk_add_f32 v[28:29], v[20:21], v[0:1] neg_lo:[0,1] neg_hi:[0,1]
	v_mov_b32_e32 v18, v25
	v_mov_b32_e32 v21, v28
	v_pk_add_f32 v[30:31], v[24:25], v[20:21] neg_lo:[0,1] neg_hi:[0,1]
	v_mov_b32_e32 v24, v1
	v_mov_b32_e32 v25, v28
	v_mov_b32_e32 v27, v19
	v_pk_add_f32 v[18:19], v[18:19], v[24:25] neg_lo:[0,1] neg_hi:[0,1]
	v_mov_b32_e32 v23, v0
	v_pk_add_f32 v[0:1], v[22:23], v[18:19] neg_lo:[0,1] neg_hi:[0,1]
	v_mov_b32_e32 v30, v26
	v_pk_add_f32 v[18:19], v[30:31], v[0:1]
	v_cmp_eq_f32_e32 vcc, s0, v32
	v_mov_b32_e32 v22, v19
	v_pk_add_f32 v[22:23], v[18:19], v[22:23]
	s_mov_b32 s0, 0x33800000
	v_pk_add_f32 v[20:21], v[20:21], v[22:23]
	v_mov_b32_e32 v1, v22
	v_mov_b32_e32 v19, v20
	v_pk_add_f32 v[24:25], v[18:19], v[26:27] neg_lo:[0,1] neg_hi:[0,1]
	v_cmp_gt_f32_e64 s[2:3], s0, v32
	v_sub_f32_e32 v18, v18, v24
	v_pk_add_f32 v[0:1], v[0:1], v[24:25] neg_lo:[0,1] neg_hi:[0,1]
	v_sub_f32_e32 v18, v26, v18
	v_add_f32_e32 v0, v0, v18
	v_add_f32_e32 v0, v0, v1
	;; [unrolled: 1-line block ×3, first 2 shown]
	s_or_b64 vcc, s[2:3], vcc
	v_cndmask_b32_e32 v118, v0, v32, vcc
.LBB123_36:                             ;   in Loop: Header=BB123_14 Depth=1
	s_or_b64 exec, exec, s[30:31]
	v_cvt_f32_f16_sdwa v0, v13 dst_sel:DWORD dst_unused:UNUSED_PAD src0_sel:WORD_1
	s_mov_b32 s0, 0x41a00000
	v_add_f32_e32 v119, s33, v0
	v_cmp_ge_f32_e32 vcc, s0, v119
	s_and_b64 s[0:1], s[88:89], vcc
	s_and_saveexec_b64 s[30:31], s[0:1]
	s_cbranch_execz .LBB123_38
; %bb.37:                               ;   in Loop: Header=BB123_14 Depth=1
	v_mul_f32_e32 v0, 0x3fb8aa3b, v119
	v_rndne_f32_e32 v1, v0
	s_mov_b32 s0, 0x3fb8aa3b
	v_sub_f32_e32 v18, v0, v1
	v_fma_f32 v0, v119, s0, -v0
	v_fmac_f32_e32 v0, 0x32a5705f, v119
	v_add_f32_e32 v0, v18, v0
	v_cvt_i32_f32_e32 v1, v1
	v_exp_f32_e32 v0, v0
	s_mov_b32 s0, 0xc2ce8ed0
	v_cmp_ngt_f32_e32 vcc, s0, v119
	s_mov_b32 s0, 0x42b17218
	v_ldexp_f32 v0, v0, v1
	v_cndmask_b32_e32 v0, 0, v0, vcc
	v_cmp_nlt_f32_e32 vcc, s0, v119
	s_mov_b32 s0, 0x3f2aaaab
	s_nop 0
	v_cndmask_b32_e32 v32, v109, v0, vcc
	v_add_f32_e32 v18, 1.0, v32
	v_add_f32_e32 v0, -1.0, v18
	v_sub_f32_e32 v1, v0, v18
	v_add_f32_e32 v1, 1.0, v1
	v_sub_f32_e32 v0, v32, v0
	v_add_f32_e32 v19, v0, v1
	v_frexp_mant_f32_e32 v20, v18
	v_cvt_f64_f32_e32 v[0:1], v18
	v_frexp_exp_i32_f64_e32 v0, v[0:1]
	v_cmp_gt_f32_e32 vcc, s0, v20
	s_mov_b32 s0, 0x3f317218
	s_nop 0
	v_subbrev_co_u32_e32 v24, vcc, 0, v0, vcc
	v_sub_u32_e32 v0, 0, v24
	v_ldexp_f32 v1, v18, v0
	v_add_f32_e32 v18, -1.0, v1
	v_add_f32_e32 v20, 1.0, v1
	v_ldexp_f32 v0, v19, v0
	v_add_f32_e32 v19, 1.0, v18
	v_add_f32_e32 v21, -1.0, v20
	v_sub_f32_e32 v19, v1, v19
	v_sub_f32_e32 v1, v1, v21
	v_add_f32_e32 v19, v0, v19
	v_add_f32_e32 v0, v0, v1
	;; [unrolled: 1-line block ×3, first 2 shown]
	v_rcp_f32_e32 v27, v25
	v_sub_f32_e32 v1, v20, v25
	v_add_f32_e32 v26, v0, v1
	v_add_f32_e32 v1, v18, v19
	v_mul_f32_e32 v29, v1, v27
	v_sub_f32_e32 v0, v18, v1
	v_mul_f32_e32 v18, v25, v29
	v_fma_f32 v20, v29, v25, -v18
	v_fmac_f32_e32 v20, v29, v26
	v_add_f32_e32 v28, v19, v0
	v_add_f32_e32 v0, v18, v20
	v_sub_f32_e32 v19, v1, v0
	v_pk_add_f32 v[22:23], v[0:1], v[18:19] neg_lo:[0,1] neg_hi:[0,1]
	v_mov_b32_e32 v21, v0
	v_pk_add_f32 v[0:1], v[22:23], v[20:21] neg_lo:[0,1] neg_hi:[0,1]
	s_nop 0
	v_add_f32_e32 v1, v28, v1
	v_add_f32_e32 v0, v0, v1
	;; [unrolled: 1-line block ×3, first 2 shown]
	v_mul_f32_e32 v28, v27, v1
	v_mul_f32_e32 v18, v25, v28
	v_fma_f32 v20, v28, v25, -v18
	v_fmac_f32_e32 v20, v28, v26
	v_sub_f32_e32 v19, v19, v1
	v_add_f32_e32 v25, v0, v19
	v_add_f32_e32 v0, v18, v20
	v_sub_f32_e32 v19, v1, v0
	v_pk_add_f32 v[22:23], v[0:1], v[18:19] neg_lo:[0,1] neg_hi:[0,1]
	v_mov_b32_e32 v21, v0
	v_pk_add_f32 v[0:1], v[22:23], v[20:21] neg_lo:[0,1] neg_hi:[0,1]
	s_nop 0
	v_add_f32_e32 v1, v25, v1
	v_add_f32_e32 v0, v0, v1
	;; [unrolled: 1-line block ×4, first 2 shown]
	v_sub_f32_e32 v18, v1, v29
	v_mul_f32_e32 v0, v27, v0
	v_sub_f32_e32 v18, v28, v18
	v_add_f32_e32 v18, v18, v0
	v_add_f32_e32 v20, v1, v18
	v_mul_f32_e32 v21, v20, v20
	v_fmamk_f32 v0, v21, 0x3e9b6dac, v108
	v_fmaak_f32 v43, v21, v0, 0x3f2aaada
	v_cvt_f32_i32_e32 v0, v24
	v_sub_f32_e32 v1, v20, v1
	v_sub_f32_e32 v1, v18, v1
	v_ldexp_f32 v22, v1, 1
	v_mul_f32_e32 v1, v20, v21
	v_ldexp_f32 v19, v20, 1
	v_pk_mul_f32 v[20:21], v[0:1], v[42:43]
	s_nop 0
	v_fma_f32 v18, v0, s0, -v20
	v_fmac_f32_e32 v18, 0xb102e308, v0
	v_pk_add_f32 v[0:1], v[20:21], v[18:19]
	s_mov_b32 s0, 0x7f800000
	v_sub_f32_e32 v19, v1, v19
	v_sub_f32_e32 v19, v21, v19
	v_add_f32_e32 v23, v22, v19
	v_mov_b32_e32 v22, v20
	v_pk_add_f32 v[20:21], v[0:1], v[20:21] neg_lo:[0,1] neg_hi:[0,1]
	v_pk_add_f32 v[24:25], v[0:1], v[22:23]
	v_mov_b32_e32 v19, v0
	v_mov_b32_e32 v21, v25
	v_pk_add_f32 v[26:27], v[18:19], v[20:21] neg_lo:[0,1] neg_hi:[0,1]
	v_pk_add_f32 v[18:19], v[18:19], v[20:21]
	v_mov_b32_e32 v22, v23
	v_mov_b32_e32 v20, v19
	v_pk_add_f32 v[28:29], v[20:21], v[0:1] neg_lo:[0,1] neg_hi:[0,1]
	v_mov_b32_e32 v18, v25
	v_mov_b32_e32 v21, v28
	v_pk_add_f32 v[30:31], v[24:25], v[20:21] neg_lo:[0,1] neg_hi:[0,1]
	v_mov_b32_e32 v24, v1
	v_mov_b32_e32 v25, v28
	;; [unrolled: 1-line block ×3, first 2 shown]
	v_pk_add_f32 v[18:19], v[18:19], v[24:25] neg_lo:[0,1] neg_hi:[0,1]
	v_mov_b32_e32 v23, v0
	v_pk_add_f32 v[0:1], v[22:23], v[18:19] neg_lo:[0,1] neg_hi:[0,1]
	v_mov_b32_e32 v30, v26
	v_pk_add_f32 v[18:19], v[30:31], v[0:1]
	v_cmp_eq_f32_e32 vcc, s0, v32
	v_mov_b32_e32 v22, v19
	v_pk_add_f32 v[22:23], v[18:19], v[22:23]
	s_mov_b32 s0, 0x33800000
	v_pk_add_f32 v[20:21], v[20:21], v[22:23]
	v_mov_b32_e32 v1, v22
	v_mov_b32_e32 v19, v20
	v_pk_add_f32 v[24:25], v[18:19], v[26:27] neg_lo:[0,1] neg_hi:[0,1]
	v_cmp_gt_f32_e64 s[2:3], s0, v32
	v_sub_f32_e32 v18, v18, v24
	v_pk_add_f32 v[0:1], v[0:1], v[24:25] neg_lo:[0,1] neg_hi:[0,1]
	v_sub_f32_e32 v18, v26, v18
	v_add_f32_e32 v0, v0, v18
	v_add_f32_e32 v0, v0, v1
	;; [unrolled: 1-line block ×3, first 2 shown]
	s_or_b64 vcc, s[2:3], vcc
	v_cndmask_b32_e32 v119, v0, v32, vcc
.LBB123_38:                             ;   in Loop: Header=BB123_14 Depth=1
	s_or_b64 exec, exec, s[30:31]
	s_waitcnt lgkmcnt(0)
	v_cvt_f32_f16_e32 v0, v2
	s_mov_b32 s0, 0x41a00000
	v_add_f32_e32 v120, s33, v0
	v_cmp_ge_f32_e32 vcc, s0, v120
	s_and_b64 s[0:1], s[88:89], vcc
	s_and_saveexec_b64 s[30:31], s[0:1]
	s_cbranch_execz .LBB123_40
; %bb.39:                               ;   in Loop: Header=BB123_14 Depth=1
	v_mul_f32_e32 v0, 0x3fb8aa3b, v120
	v_rndne_f32_e32 v1, v0
	s_mov_b32 s0, 0x3fb8aa3b
	v_sub_f32_e32 v18, v0, v1
	v_fma_f32 v0, v120, s0, -v0
	v_fmac_f32_e32 v0, 0x32a5705f, v120
	v_add_f32_e32 v0, v18, v0
	v_cvt_i32_f32_e32 v1, v1
	v_exp_f32_e32 v0, v0
	s_mov_b32 s0, 0xc2ce8ed0
	v_cmp_ngt_f32_e32 vcc, s0, v120
	s_mov_b32 s0, 0x42b17218
	v_ldexp_f32 v0, v0, v1
	v_cndmask_b32_e32 v0, 0, v0, vcc
	v_cmp_nlt_f32_e32 vcc, s0, v120
	s_mov_b32 s0, 0x3f2aaaab
	s_nop 0
	v_cndmask_b32_e32 v32, v109, v0, vcc
	v_add_f32_e32 v18, 1.0, v32
	v_add_f32_e32 v0, -1.0, v18
	v_sub_f32_e32 v1, v0, v18
	v_add_f32_e32 v1, 1.0, v1
	v_sub_f32_e32 v0, v32, v0
	v_add_f32_e32 v19, v0, v1
	v_frexp_mant_f32_e32 v20, v18
	v_cvt_f64_f32_e32 v[0:1], v18
	v_frexp_exp_i32_f64_e32 v0, v[0:1]
	v_cmp_gt_f32_e32 vcc, s0, v20
	s_mov_b32 s0, 0x3f317218
	s_nop 0
	v_subbrev_co_u32_e32 v24, vcc, 0, v0, vcc
	v_sub_u32_e32 v0, 0, v24
	v_ldexp_f32 v1, v18, v0
	v_add_f32_e32 v18, -1.0, v1
	v_add_f32_e32 v20, 1.0, v1
	v_ldexp_f32 v0, v19, v0
	v_add_f32_e32 v19, 1.0, v18
	v_add_f32_e32 v21, -1.0, v20
	v_sub_f32_e32 v19, v1, v19
	v_sub_f32_e32 v1, v1, v21
	v_add_f32_e32 v19, v0, v19
	v_add_f32_e32 v0, v0, v1
	;; [unrolled: 1-line block ×3, first 2 shown]
	v_rcp_f32_e32 v27, v25
	v_sub_f32_e32 v1, v20, v25
	v_add_f32_e32 v26, v0, v1
	v_add_f32_e32 v1, v18, v19
	v_mul_f32_e32 v29, v1, v27
	v_sub_f32_e32 v0, v18, v1
	v_mul_f32_e32 v18, v25, v29
	v_fma_f32 v20, v29, v25, -v18
	v_fmac_f32_e32 v20, v29, v26
	v_add_f32_e32 v28, v19, v0
	v_add_f32_e32 v0, v18, v20
	v_sub_f32_e32 v19, v1, v0
	v_pk_add_f32 v[22:23], v[0:1], v[18:19] neg_lo:[0,1] neg_hi:[0,1]
	v_mov_b32_e32 v21, v0
	v_pk_add_f32 v[0:1], v[22:23], v[20:21] neg_lo:[0,1] neg_hi:[0,1]
	s_nop 0
	v_add_f32_e32 v1, v28, v1
	v_add_f32_e32 v0, v0, v1
	;; [unrolled: 1-line block ×3, first 2 shown]
	v_mul_f32_e32 v28, v27, v1
	v_mul_f32_e32 v18, v25, v28
	v_fma_f32 v20, v28, v25, -v18
	v_fmac_f32_e32 v20, v28, v26
	v_sub_f32_e32 v19, v19, v1
	v_add_f32_e32 v25, v0, v19
	v_add_f32_e32 v0, v18, v20
	v_sub_f32_e32 v19, v1, v0
	v_pk_add_f32 v[22:23], v[0:1], v[18:19] neg_lo:[0,1] neg_hi:[0,1]
	v_mov_b32_e32 v21, v0
	v_pk_add_f32 v[0:1], v[22:23], v[20:21] neg_lo:[0,1] neg_hi:[0,1]
	s_nop 0
	v_add_f32_e32 v1, v25, v1
	v_add_f32_e32 v0, v0, v1
	;; [unrolled: 1-line block ×4, first 2 shown]
	v_sub_f32_e32 v18, v1, v29
	v_mul_f32_e32 v0, v27, v0
	v_sub_f32_e32 v18, v28, v18
	v_add_f32_e32 v18, v18, v0
	v_add_f32_e32 v20, v1, v18
	v_mul_f32_e32 v21, v20, v20
	v_fmamk_f32 v0, v21, 0x3e9b6dac, v108
	v_fmaak_f32 v43, v21, v0, 0x3f2aaada
	v_cvt_f32_i32_e32 v0, v24
	v_sub_f32_e32 v1, v20, v1
	v_sub_f32_e32 v1, v18, v1
	v_ldexp_f32 v22, v1, 1
	v_mul_f32_e32 v1, v20, v21
	v_ldexp_f32 v19, v20, 1
	v_pk_mul_f32 v[20:21], v[0:1], v[42:43]
	s_nop 0
	v_fma_f32 v18, v0, s0, -v20
	v_fmac_f32_e32 v18, 0xb102e308, v0
	v_pk_add_f32 v[0:1], v[20:21], v[18:19]
	s_mov_b32 s0, 0x7f800000
	v_sub_f32_e32 v19, v1, v19
	v_sub_f32_e32 v19, v21, v19
	v_add_f32_e32 v23, v22, v19
	v_mov_b32_e32 v22, v20
	v_pk_add_f32 v[20:21], v[0:1], v[20:21] neg_lo:[0,1] neg_hi:[0,1]
	v_pk_add_f32 v[24:25], v[0:1], v[22:23]
	v_mov_b32_e32 v19, v0
	v_mov_b32_e32 v21, v25
	v_pk_add_f32 v[26:27], v[18:19], v[20:21] neg_lo:[0,1] neg_hi:[0,1]
	v_pk_add_f32 v[18:19], v[18:19], v[20:21]
	v_mov_b32_e32 v22, v23
	v_mov_b32_e32 v20, v19
	v_pk_add_f32 v[28:29], v[20:21], v[0:1] neg_lo:[0,1] neg_hi:[0,1]
	v_mov_b32_e32 v18, v25
	v_mov_b32_e32 v21, v28
	v_pk_add_f32 v[30:31], v[24:25], v[20:21] neg_lo:[0,1] neg_hi:[0,1]
	v_mov_b32_e32 v24, v1
	v_mov_b32_e32 v25, v28
	;; [unrolled: 1-line block ×3, first 2 shown]
	v_pk_add_f32 v[18:19], v[18:19], v[24:25] neg_lo:[0,1] neg_hi:[0,1]
	v_mov_b32_e32 v23, v0
	v_pk_add_f32 v[0:1], v[22:23], v[18:19] neg_lo:[0,1] neg_hi:[0,1]
	v_mov_b32_e32 v30, v26
	v_pk_add_f32 v[18:19], v[30:31], v[0:1]
	v_cmp_eq_f32_e32 vcc, s0, v32
	v_mov_b32_e32 v22, v19
	v_pk_add_f32 v[22:23], v[18:19], v[22:23]
	s_mov_b32 s0, 0x33800000
	v_pk_add_f32 v[20:21], v[20:21], v[22:23]
	v_mov_b32_e32 v1, v22
	v_mov_b32_e32 v19, v20
	v_pk_add_f32 v[24:25], v[18:19], v[26:27] neg_lo:[0,1] neg_hi:[0,1]
	v_cmp_gt_f32_e64 s[2:3], s0, v32
	v_sub_f32_e32 v18, v18, v24
	v_pk_add_f32 v[0:1], v[0:1], v[24:25] neg_lo:[0,1] neg_hi:[0,1]
	v_sub_f32_e32 v18, v26, v18
	v_add_f32_e32 v0, v0, v18
	v_add_f32_e32 v0, v0, v1
	;; [unrolled: 1-line block ×3, first 2 shown]
	s_or_b64 vcc, s[2:3], vcc
	v_cndmask_b32_e32 v120, v0, v32, vcc
.LBB123_40:                             ;   in Loop: Header=BB123_14 Depth=1
	s_or_b64 exec, exec, s[30:31]
	v_cvt_f32_f16_sdwa v0, v2 dst_sel:DWORD dst_unused:UNUSED_PAD src0_sel:WORD_1
	s_mov_b32 s0, 0x41a00000
	v_add_f32_e32 v121, s33, v0
	v_cmp_ge_f32_e32 vcc, s0, v121
	s_and_b64 s[0:1], s[88:89], vcc
	s_and_saveexec_b64 s[30:31], s[0:1]
	s_cbranch_execz .LBB123_42
; %bb.41:                               ;   in Loop: Header=BB123_14 Depth=1
	v_mul_f32_e32 v0, 0x3fb8aa3b, v121
	v_rndne_f32_e32 v1, v0
	s_mov_b32 s0, 0x3fb8aa3b
	v_sub_f32_e32 v18, v0, v1
	v_fma_f32 v0, v121, s0, -v0
	v_fmac_f32_e32 v0, 0x32a5705f, v121
	v_add_f32_e32 v0, v18, v0
	v_cvt_i32_f32_e32 v1, v1
	v_exp_f32_e32 v0, v0
	s_mov_b32 s0, 0xc2ce8ed0
	v_cmp_ngt_f32_e32 vcc, s0, v121
	s_mov_b32 s0, 0x42b17218
	v_ldexp_f32 v0, v0, v1
	v_cndmask_b32_e32 v0, 0, v0, vcc
	v_cmp_nlt_f32_e32 vcc, s0, v121
	s_mov_b32 s0, 0x3f2aaaab
	s_nop 0
	v_cndmask_b32_e32 v32, v109, v0, vcc
	v_add_f32_e32 v18, 1.0, v32
	v_add_f32_e32 v0, -1.0, v18
	v_sub_f32_e32 v1, v0, v18
	v_add_f32_e32 v1, 1.0, v1
	v_sub_f32_e32 v0, v32, v0
	v_add_f32_e32 v19, v0, v1
	v_frexp_mant_f32_e32 v20, v18
	v_cvt_f64_f32_e32 v[0:1], v18
	v_frexp_exp_i32_f64_e32 v0, v[0:1]
	v_cmp_gt_f32_e32 vcc, s0, v20
	s_mov_b32 s0, 0x3f317218
	s_nop 0
	v_subbrev_co_u32_e32 v24, vcc, 0, v0, vcc
	v_sub_u32_e32 v0, 0, v24
	v_ldexp_f32 v1, v18, v0
	v_add_f32_e32 v18, -1.0, v1
	v_add_f32_e32 v20, 1.0, v1
	v_ldexp_f32 v0, v19, v0
	v_add_f32_e32 v19, 1.0, v18
	v_add_f32_e32 v21, -1.0, v20
	v_sub_f32_e32 v19, v1, v19
	v_sub_f32_e32 v1, v1, v21
	v_add_f32_e32 v19, v0, v19
	v_add_f32_e32 v0, v0, v1
	;; [unrolled: 1-line block ×3, first 2 shown]
	v_rcp_f32_e32 v27, v25
	v_sub_f32_e32 v1, v20, v25
	v_add_f32_e32 v26, v0, v1
	v_add_f32_e32 v1, v18, v19
	v_mul_f32_e32 v29, v1, v27
	v_sub_f32_e32 v0, v18, v1
	v_mul_f32_e32 v18, v25, v29
	v_fma_f32 v20, v29, v25, -v18
	v_fmac_f32_e32 v20, v29, v26
	v_add_f32_e32 v28, v19, v0
	v_add_f32_e32 v0, v18, v20
	v_sub_f32_e32 v19, v1, v0
	v_pk_add_f32 v[22:23], v[0:1], v[18:19] neg_lo:[0,1] neg_hi:[0,1]
	v_mov_b32_e32 v21, v0
	v_pk_add_f32 v[0:1], v[22:23], v[20:21] neg_lo:[0,1] neg_hi:[0,1]
	s_nop 0
	v_add_f32_e32 v1, v28, v1
	v_add_f32_e32 v0, v0, v1
	;; [unrolled: 1-line block ×3, first 2 shown]
	v_mul_f32_e32 v28, v27, v1
	v_mul_f32_e32 v18, v25, v28
	v_fma_f32 v20, v28, v25, -v18
	v_fmac_f32_e32 v20, v28, v26
	v_sub_f32_e32 v19, v19, v1
	v_add_f32_e32 v25, v0, v19
	v_add_f32_e32 v0, v18, v20
	v_sub_f32_e32 v19, v1, v0
	v_pk_add_f32 v[22:23], v[0:1], v[18:19] neg_lo:[0,1] neg_hi:[0,1]
	v_mov_b32_e32 v21, v0
	v_pk_add_f32 v[0:1], v[22:23], v[20:21] neg_lo:[0,1] neg_hi:[0,1]
	s_nop 0
	v_add_f32_e32 v1, v25, v1
	v_add_f32_e32 v0, v0, v1
	;; [unrolled: 1-line block ×4, first 2 shown]
	v_sub_f32_e32 v18, v1, v29
	v_mul_f32_e32 v0, v27, v0
	v_sub_f32_e32 v18, v28, v18
	v_add_f32_e32 v18, v18, v0
	v_add_f32_e32 v20, v1, v18
	v_mul_f32_e32 v21, v20, v20
	v_fmamk_f32 v0, v21, 0x3e9b6dac, v108
	v_fmaak_f32 v43, v21, v0, 0x3f2aaada
	v_cvt_f32_i32_e32 v0, v24
	v_sub_f32_e32 v1, v20, v1
	v_sub_f32_e32 v1, v18, v1
	v_ldexp_f32 v22, v1, 1
	v_mul_f32_e32 v1, v20, v21
	v_ldexp_f32 v19, v20, 1
	v_pk_mul_f32 v[20:21], v[0:1], v[42:43]
	s_nop 0
	v_fma_f32 v18, v0, s0, -v20
	v_fmac_f32_e32 v18, 0xb102e308, v0
	v_pk_add_f32 v[0:1], v[20:21], v[18:19]
	s_mov_b32 s0, 0x7f800000
	v_sub_f32_e32 v19, v1, v19
	v_sub_f32_e32 v19, v21, v19
	v_add_f32_e32 v23, v22, v19
	v_mov_b32_e32 v22, v20
	v_pk_add_f32 v[20:21], v[0:1], v[20:21] neg_lo:[0,1] neg_hi:[0,1]
	v_pk_add_f32 v[24:25], v[0:1], v[22:23]
	v_mov_b32_e32 v19, v0
	v_mov_b32_e32 v21, v25
	v_pk_add_f32 v[26:27], v[18:19], v[20:21] neg_lo:[0,1] neg_hi:[0,1]
	v_pk_add_f32 v[18:19], v[18:19], v[20:21]
	v_mov_b32_e32 v22, v23
	v_mov_b32_e32 v20, v19
	v_pk_add_f32 v[28:29], v[20:21], v[0:1] neg_lo:[0,1] neg_hi:[0,1]
	v_mov_b32_e32 v18, v25
	v_mov_b32_e32 v21, v28
	v_pk_add_f32 v[30:31], v[24:25], v[20:21] neg_lo:[0,1] neg_hi:[0,1]
	v_mov_b32_e32 v24, v1
	v_mov_b32_e32 v25, v28
	;; [unrolled: 1-line block ×3, first 2 shown]
	v_pk_add_f32 v[18:19], v[18:19], v[24:25] neg_lo:[0,1] neg_hi:[0,1]
	v_mov_b32_e32 v23, v0
	v_pk_add_f32 v[0:1], v[22:23], v[18:19] neg_lo:[0,1] neg_hi:[0,1]
	v_mov_b32_e32 v30, v26
	v_pk_add_f32 v[18:19], v[30:31], v[0:1]
	v_cmp_eq_f32_e32 vcc, s0, v32
	v_mov_b32_e32 v22, v19
	v_pk_add_f32 v[22:23], v[18:19], v[22:23]
	s_mov_b32 s0, 0x33800000
	v_pk_add_f32 v[20:21], v[20:21], v[22:23]
	v_mov_b32_e32 v1, v22
	v_mov_b32_e32 v19, v20
	v_pk_add_f32 v[24:25], v[18:19], v[26:27] neg_lo:[0,1] neg_hi:[0,1]
	v_cmp_gt_f32_e64 s[2:3], s0, v32
	v_sub_f32_e32 v18, v18, v24
	v_pk_add_f32 v[0:1], v[0:1], v[24:25] neg_lo:[0,1] neg_hi:[0,1]
	v_sub_f32_e32 v18, v26, v18
	v_add_f32_e32 v0, v0, v18
	v_add_f32_e32 v0, v0, v1
	;; [unrolled: 1-line block ×3, first 2 shown]
	s_or_b64 vcc, s[2:3], vcc
	v_cndmask_b32_e32 v121, v0, v32, vcc
.LBB123_42:                             ;   in Loop: Header=BB123_14 Depth=1
	s_or_b64 exec, exec, s[30:31]
	v_cvt_f32_f16_e32 v0, v3
	s_mov_b32 s0, 0x41a00000
	v_add_f32_e32 v122, s33, v0
	v_cmp_ge_f32_e32 vcc, s0, v122
	s_and_b64 s[0:1], s[88:89], vcc
	s_and_saveexec_b64 s[30:31], s[0:1]
	s_cbranch_execz .LBB123_44
; %bb.43:                               ;   in Loop: Header=BB123_14 Depth=1
	v_mul_f32_e32 v0, 0x3fb8aa3b, v122
	v_rndne_f32_e32 v1, v0
	s_mov_b32 s0, 0x3fb8aa3b
	v_sub_f32_e32 v18, v0, v1
	v_fma_f32 v0, v122, s0, -v0
	v_fmac_f32_e32 v0, 0x32a5705f, v122
	v_add_f32_e32 v0, v18, v0
	v_cvt_i32_f32_e32 v1, v1
	v_exp_f32_e32 v0, v0
	s_mov_b32 s0, 0xc2ce8ed0
	v_cmp_ngt_f32_e32 vcc, s0, v122
	s_mov_b32 s0, 0x42b17218
	v_ldexp_f32 v0, v0, v1
	v_cndmask_b32_e32 v0, 0, v0, vcc
	v_cmp_nlt_f32_e32 vcc, s0, v122
	s_mov_b32 s0, 0x3f2aaaab
	s_nop 0
	v_cndmask_b32_e32 v32, v109, v0, vcc
	v_add_f32_e32 v18, 1.0, v32
	v_add_f32_e32 v0, -1.0, v18
	v_sub_f32_e32 v1, v0, v18
	v_add_f32_e32 v1, 1.0, v1
	v_sub_f32_e32 v0, v32, v0
	v_add_f32_e32 v19, v0, v1
	v_frexp_mant_f32_e32 v20, v18
	v_cvt_f64_f32_e32 v[0:1], v18
	v_frexp_exp_i32_f64_e32 v0, v[0:1]
	v_cmp_gt_f32_e32 vcc, s0, v20
	s_mov_b32 s0, 0x3f317218
	s_nop 0
	v_subbrev_co_u32_e32 v24, vcc, 0, v0, vcc
	v_sub_u32_e32 v0, 0, v24
	v_ldexp_f32 v1, v18, v0
	v_add_f32_e32 v18, -1.0, v1
	v_add_f32_e32 v20, 1.0, v1
	v_ldexp_f32 v0, v19, v0
	v_add_f32_e32 v19, 1.0, v18
	v_add_f32_e32 v21, -1.0, v20
	v_sub_f32_e32 v19, v1, v19
	v_sub_f32_e32 v1, v1, v21
	v_add_f32_e32 v19, v0, v19
	v_add_f32_e32 v0, v0, v1
	v_add_f32_e32 v25, v20, v0
	v_rcp_f32_e32 v27, v25
	v_sub_f32_e32 v1, v20, v25
	v_add_f32_e32 v26, v0, v1
	v_add_f32_e32 v1, v18, v19
	v_mul_f32_e32 v29, v1, v27
	v_sub_f32_e32 v0, v18, v1
	v_mul_f32_e32 v18, v25, v29
	v_fma_f32 v20, v29, v25, -v18
	v_fmac_f32_e32 v20, v29, v26
	v_add_f32_e32 v28, v19, v0
	v_add_f32_e32 v0, v18, v20
	v_sub_f32_e32 v19, v1, v0
	v_pk_add_f32 v[22:23], v[0:1], v[18:19] neg_lo:[0,1] neg_hi:[0,1]
	v_mov_b32_e32 v21, v0
	v_pk_add_f32 v[0:1], v[22:23], v[20:21] neg_lo:[0,1] neg_hi:[0,1]
	s_nop 0
	v_add_f32_e32 v1, v28, v1
	v_add_f32_e32 v0, v0, v1
	;; [unrolled: 1-line block ×3, first 2 shown]
	v_mul_f32_e32 v28, v27, v1
	v_mul_f32_e32 v18, v25, v28
	v_fma_f32 v20, v28, v25, -v18
	v_fmac_f32_e32 v20, v28, v26
	v_sub_f32_e32 v19, v19, v1
	v_add_f32_e32 v25, v0, v19
	v_add_f32_e32 v0, v18, v20
	v_sub_f32_e32 v19, v1, v0
	v_pk_add_f32 v[22:23], v[0:1], v[18:19] neg_lo:[0,1] neg_hi:[0,1]
	v_mov_b32_e32 v21, v0
	v_pk_add_f32 v[0:1], v[22:23], v[20:21] neg_lo:[0,1] neg_hi:[0,1]
	s_nop 0
	v_add_f32_e32 v1, v25, v1
	v_add_f32_e32 v0, v0, v1
	;; [unrolled: 1-line block ×4, first 2 shown]
	v_sub_f32_e32 v18, v1, v29
	v_mul_f32_e32 v0, v27, v0
	v_sub_f32_e32 v18, v28, v18
	v_add_f32_e32 v18, v18, v0
	v_add_f32_e32 v20, v1, v18
	v_mul_f32_e32 v21, v20, v20
	v_fmamk_f32 v0, v21, 0x3e9b6dac, v108
	v_fmaak_f32 v43, v21, v0, 0x3f2aaada
	v_cvt_f32_i32_e32 v0, v24
	v_sub_f32_e32 v1, v20, v1
	v_sub_f32_e32 v1, v18, v1
	v_ldexp_f32 v22, v1, 1
	v_mul_f32_e32 v1, v20, v21
	v_ldexp_f32 v19, v20, 1
	v_pk_mul_f32 v[20:21], v[0:1], v[42:43]
	s_nop 0
	v_fma_f32 v18, v0, s0, -v20
	v_fmac_f32_e32 v18, 0xb102e308, v0
	v_pk_add_f32 v[0:1], v[20:21], v[18:19]
	s_mov_b32 s0, 0x7f800000
	v_sub_f32_e32 v19, v1, v19
	v_sub_f32_e32 v19, v21, v19
	v_add_f32_e32 v23, v22, v19
	v_mov_b32_e32 v22, v20
	v_pk_add_f32 v[20:21], v[0:1], v[20:21] neg_lo:[0,1] neg_hi:[0,1]
	v_pk_add_f32 v[24:25], v[0:1], v[22:23]
	v_mov_b32_e32 v19, v0
	v_mov_b32_e32 v21, v25
	v_pk_add_f32 v[26:27], v[18:19], v[20:21] neg_lo:[0,1] neg_hi:[0,1]
	v_pk_add_f32 v[18:19], v[18:19], v[20:21]
	v_mov_b32_e32 v22, v23
	v_mov_b32_e32 v20, v19
	v_pk_add_f32 v[28:29], v[20:21], v[0:1] neg_lo:[0,1] neg_hi:[0,1]
	v_mov_b32_e32 v18, v25
	v_mov_b32_e32 v21, v28
	v_pk_add_f32 v[30:31], v[24:25], v[20:21] neg_lo:[0,1] neg_hi:[0,1]
	v_mov_b32_e32 v24, v1
	v_mov_b32_e32 v25, v28
	;; [unrolled: 1-line block ×3, first 2 shown]
	v_pk_add_f32 v[18:19], v[18:19], v[24:25] neg_lo:[0,1] neg_hi:[0,1]
	v_mov_b32_e32 v23, v0
	v_pk_add_f32 v[0:1], v[22:23], v[18:19] neg_lo:[0,1] neg_hi:[0,1]
	v_mov_b32_e32 v30, v26
	v_pk_add_f32 v[18:19], v[30:31], v[0:1]
	v_cmp_eq_f32_e32 vcc, s0, v32
	v_mov_b32_e32 v22, v19
	v_pk_add_f32 v[22:23], v[18:19], v[22:23]
	s_mov_b32 s0, 0x33800000
	v_pk_add_f32 v[20:21], v[20:21], v[22:23]
	v_mov_b32_e32 v1, v22
	v_mov_b32_e32 v19, v20
	v_pk_add_f32 v[24:25], v[18:19], v[26:27] neg_lo:[0,1] neg_hi:[0,1]
	v_cmp_gt_f32_e64 s[2:3], s0, v32
	v_sub_f32_e32 v18, v18, v24
	v_pk_add_f32 v[0:1], v[0:1], v[24:25] neg_lo:[0,1] neg_hi:[0,1]
	v_sub_f32_e32 v18, v26, v18
	v_add_f32_e32 v0, v0, v18
	v_add_f32_e32 v0, v0, v1
	;; [unrolled: 1-line block ×3, first 2 shown]
	s_or_b64 vcc, s[2:3], vcc
	v_cndmask_b32_e32 v122, v0, v32, vcc
.LBB123_44:                             ;   in Loop: Header=BB123_14 Depth=1
	s_or_b64 exec, exec, s[30:31]
	v_cvt_f32_f16_sdwa v0, v3 dst_sel:DWORD dst_unused:UNUSED_PAD src0_sel:WORD_1
	s_mov_b32 s0, 0x41a00000
	v_add_f32_e32 v123, s33, v0
	v_cmp_ge_f32_e32 vcc, s0, v123
	s_and_b64 s[0:1], s[88:89], vcc
	s_and_saveexec_b64 s[30:31], s[0:1]
	s_cbranch_execz .LBB123_46
; %bb.45:                               ;   in Loop: Header=BB123_14 Depth=1
	v_mul_f32_e32 v0, 0x3fb8aa3b, v123
	v_rndne_f32_e32 v1, v0
	s_mov_b32 s0, 0x3fb8aa3b
	v_sub_f32_e32 v18, v0, v1
	v_fma_f32 v0, v123, s0, -v0
	v_fmac_f32_e32 v0, 0x32a5705f, v123
	v_add_f32_e32 v0, v18, v0
	v_cvt_i32_f32_e32 v1, v1
	v_exp_f32_e32 v0, v0
	s_mov_b32 s0, 0xc2ce8ed0
	v_cmp_ngt_f32_e32 vcc, s0, v123
	s_mov_b32 s0, 0x42b17218
	v_ldexp_f32 v0, v0, v1
	v_cndmask_b32_e32 v0, 0, v0, vcc
	v_cmp_nlt_f32_e32 vcc, s0, v123
	s_mov_b32 s0, 0x3f2aaaab
	s_nop 0
	v_cndmask_b32_e32 v32, v109, v0, vcc
	v_add_f32_e32 v18, 1.0, v32
	v_add_f32_e32 v0, -1.0, v18
	v_sub_f32_e32 v1, v0, v18
	v_add_f32_e32 v1, 1.0, v1
	v_sub_f32_e32 v0, v32, v0
	v_add_f32_e32 v19, v0, v1
	v_frexp_mant_f32_e32 v20, v18
	v_cvt_f64_f32_e32 v[0:1], v18
	v_frexp_exp_i32_f64_e32 v0, v[0:1]
	v_cmp_gt_f32_e32 vcc, s0, v20
	s_mov_b32 s0, 0x3f317218
	s_nop 0
	v_subbrev_co_u32_e32 v24, vcc, 0, v0, vcc
	v_sub_u32_e32 v0, 0, v24
	v_ldexp_f32 v1, v18, v0
	v_add_f32_e32 v18, -1.0, v1
	v_add_f32_e32 v20, 1.0, v1
	v_ldexp_f32 v0, v19, v0
	v_add_f32_e32 v19, 1.0, v18
	v_add_f32_e32 v21, -1.0, v20
	v_sub_f32_e32 v19, v1, v19
	v_sub_f32_e32 v1, v1, v21
	v_add_f32_e32 v19, v0, v19
	v_add_f32_e32 v0, v0, v1
	;; [unrolled: 1-line block ×3, first 2 shown]
	v_rcp_f32_e32 v27, v25
	v_sub_f32_e32 v1, v20, v25
	v_add_f32_e32 v26, v0, v1
	v_add_f32_e32 v1, v18, v19
	v_mul_f32_e32 v29, v1, v27
	v_sub_f32_e32 v0, v18, v1
	v_mul_f32_e32 v18, v25, v29
	v_fma_f32 v20, v29, v25, -v18
	v_fmac_f32_e32 v20, v29, v26
	v_add_f32_e32 v28, v19, v0
	v_add_f32_e32 v0, v18, v20
	v_sub_f32_e32 v19, v1, v0
	v_pk_add_f32 v[22:23], v[0:1], v[18:19] neg_lo:[0,1] neg_hi:[0,1]
	v_mov_b32_e32 v21, v0
	v_pk_add_f32 v[0:1], v[22:23], v[20:21] neg_lo:[0,1] neg_hi:[0,1]
	s_nop 0
	v_add_f32_e32 v1, v28, v1
	v_add_f32_e32 v0, v0, v1
	;; [unrolled: 1-line block ×3, first 2 shown]
	v_mul_f32_e32 v28, v27, v1
	v_mul_f32_e32 v18, v25, v28
	v_fma_f32 v20, v28, v25, -v18
	v_fmac_f32_e32 v20, v28, v26
	v_sub_f32_e32 v19, v19, v1
	v_add_f32_e32 v25, v0, v19
	v_add_f32_e32 v0, v18, v20
	v_sub_f32_e32 v19, v1, v0
	v_pk_add_f32 v[22:23], v[0:1], v[18:19] neg_lo:[0,1] neg_hi:[0,1]
	v_mov_b32_e32 v21, v0
	v_pk_add_f32 v[0:1], v[22:23], v[20:21] neg_lo:[0,1] neg_hi:[0,1]
	s_nop 0
	v_add_f32_e32 v1, v25, v1
	v_add_f32_e32 v0, v0, v1
	;; [unrolled: 1-line block ×4, first 2 shown]
	v_sub_f32_e32 v18, v1, v29
	v_mul_f32_e32 v0, v27, v0
	v_sub_f32_e32 v18, v28, v18
	v_add_f32_e32 v18, v18, v0
	v_add_f32_e32 v20, v1, v18
	v_mul_f32_e32 v21, v20, v20
	v_fmamk_f32 v0, v21, 0x3e9b6dac, v108
	v_fmaak_f32 v43, v21, v0, 0x3f2aaada
	v_cvt_f32_i32_e32 v0, v24
	v_sub_f32_e32 v1, v20, v1
	v_sub_f32_e32 v1, v18, v1
	v_ldexp_f32 v22, v1, 1
	v_mul_f32_e32 v1, v20, v21
	v_ldexp_f32 v19, v20, 1
	v_pk_mul_f32 v[20:21], v[0:1], v[42:43]
	s_nop 0
	v_fma_f32 v18, v0, s0, -v20
	v_fmac_f32_e32 v18, 0xb102e308, v0
	v_pk_add_f32 v[0:1], v[20:21], v[18:19]
	s_mov_b32 s0, 0x7f800000
	v_sub_f32_e32 v19, v1, v19
	v_sub_f32_e32 v19, v21, v19
	v_add_f32_e32 v23, v22, v19
	v_mov_b32_e32 v22, v20
	v_pk_add_f32 v[20:21], v[0:1], v[20:21] neg_lo:[0,1] neg_hi:[0,1]
	v_pk_add_f32 v[24:25], v[0:1], v[22:23]
	v_mov_b32_e32 v19, v0
	v_mov_b32_e32 v21, v25
	v_pk_add_f32 v[26:27], v[18:19], v[20:21] neg_lo:[0,1] neg_hi:[0,1]
	v_pk_add_f32 v[18:19], v[18:19], v[20:21]
	v_mov_b32_e32 v22, v23
	v_mov_b32_e32 v20, v19
	v_pk_add_f32 v[28:29], v[20:21], v[0:1] neg_lo:[0,1] neg_hi:[0,1]
	v_mov_b32_e32 v18, v25
	v_mov_b32_e32 v21, v28
	v_pk_add_f32 v[30:31], v[24:25], v[20:21] neg_lo:[0,1] neg_hi:[0,1]
	v_mov_b32_e32 v24, v1
	v_mov_b32_e32 v25, v28
	;; [unrolled: 1-line block ×3, first 2 shown]
	v_pk_add_f32 v[18:19], v[18:19], v[24:25] neg_lo:[0,1] neg_hi:[0,1]
	v_mov_b32_e32 v23, v0
	v_pk_add_f32 v[0:1], v[22:23], v[18:19] neg_lo:[0,1] neg_hi:[0,1]
	v_mov_b32_e32 v30, v26
	v_pk_add_f32 v[18:19], v[30:31], v[0:1]
	v_cmp_eq_f32_e32 vcc, s0, v32
	v_mov_b32_e32 v22, v19
	v_pk_add_f32 v[22:23], v[18:19], v[22:23]
	s_mov_b32 s0, 0x33800000
	v_pk_add_f32 v[20:21], v[20:21], v[22:23]
	v_mov_b32_e32 v1, v22
	v_mov_b32_e32 v19, v20
	v_pk_add_f32 v[24:25], v[18:19], v[26:27] neg_lo:[0,1] neg_hi:[0,1]
	v_cmp_gt_f32_e64 s[2:3], s0, v32
	v_sub_f32_e32 v18, v18, v24
	v_pk_add_f32 v[0:1], v[0:1], v[24:25] neg_lo:[0,1] neg_hi:[0,1]
	v_sub_f32_e32 v18, v26, v18
	v_add_f32_e32 v0, v0, v18
	v_add_f32_e32 v0, v0, v1
	;; [unrolled: 1-line block ×3, first 2 shown]
	s_or_b64 vcc, s[2:3], vcc
	v_cndmask_b32_e32 v123, v0, v32, vcc
.LBB123_46:                             ;   in Loop: Header=BB123_14 Depth=1
	s_or_b64 exec, exec, s[30:31]
	v_cvt_f32_f16_e32 v0, v4
	s_mov_b32 s0, 0x41a00000
	v_add_f32_e32 v124, s33, v0
	v_cmp_ge_f32_e32 vcc, s0, v124
	s_and_b64 s[0:1], s[88:89], vcc
	s_and_saveexec_b64 s[30:31], s[0:1]
	s_cbranch_execz .LBB123_48
; %bb.47:                               ;   in Loop: Header=BB123_14 Depth=1
	v_mul_f32_e32 v0, 0x3fb8aa3b, v124
	v_rndne_f32_e32 v1, v0
	s_mov_b32 s0, 0x3fb8aa3b
	v_sub_f32_e32 v18, v0, v1
	v_fma_f32 v0, v124, s0, -v0
	v_fmac_f32_e32 v0, 0x32a5705f, v124
	v_add_f32_e32 v0, v18, v0
	v_cvt_i32_f32_e32 v1, v1
	v_exp_f32_e32 v0, v0
	s_mov_b32 s0, 0xc2ce8ed0
	v_cmp_ngt_f32_e32 vcc, s0, v124
	s_mov_b32 s0, 0x42b17218
	v_ldexp_f32 v0, v0, v1
	v_cndmask_b32_e32 v0, 0, v0, vcc
	v_cmp_nlt_f32_e32 vcc, s0, v124
	s_mov_b32 s0, 0x3f2aaaab
	s_nop 0
	v_cndmask_b32_e32 v32, v109, v0, vcc
	v_add_f32_e32 v18, 1.0, v32
	v_add_f32_e32 v0, -1.0, v18
	v_sub_f32_e32 v1, v0, v18
	v_add_f32_e32 v1, 1.0, v1
	v_sub_f32_e32 v0, v32, v0
	v_add_f32_e32 v19, v0, v1
	v_frexp_mant_f32_e32 v20, v18
	v_cvt_f64_f32_e32 v[0:1], v18
	v_frexp_exp_i32_f64_e32 v0, v[0:1]
	v_cmp_gt_f32_e32 vcc, s0, v20
	s_mov_b32 s0, 0x3f317218
	s_nop 0
	v_subbrev_co_u32_e32 v24, vcc, 0, v0, vcc
	v_sub_u32_e32 v0, 0, v24
	v_ldexp_f32 v1, v18, v0
	v_add_f32_e32 v18, -1.0, v1
	v_add_f32_e32 v20, 1.0, v1
	v_ldexp_f32 v0, v19, v0
	v_add_f32_e32 v19, 1.0, v18
	v_add_f32_e32 v21, -1.0, v20
	v_sub_f32_e32 v19, v1, v19
	v_sub_f32_e32 v1, v1, v21
	v_add_f32_e32 v19, v0, v19
	v_add_f32_e32 v0, v0, v1
	;; [unrolled: 1-line block ×3, first 2 shown]
	v_rcp_f32_e32 v27, v25
	v_sub_f32_e32 v1, v20, v25
	v_add_f32_e32 v26, v0, v1
	v_add_f32_e32 v1, v18, v19
	v_mul_f32_e32 v29, v1, v27
	v_sub_f32_e32 v0, v18, v1
	v_mul_f32_e32 v18, v25, v29
	v_fma_f32 v20, v29, v25, -v18
	v_fmac_f32_e32 v20, v29, v26
	v_add_f32_e32 v28, v19, v0
	v_add_f32_e32 v0, v18, v20
	v_sub_f32_e32 v19, v1, v0
	v_pk_add_f32 v[22:23], v[0:1], v[18:19] neg_lo:[0,1] neg_hi:[0,1]
	v_mov_b32_e32 v21, v0
	v_pk_add_f32 v[0:1], v[22:23], v[20:21] neg_lo:[0,1] neg_hi:[0,1]
	s_nop 0
	v_add_f32_e32 v1, v28, v1
	v_add_f32_e32 v0, v0, v1
	;; [unrolled: 1-line block ×3, first 2 shown]
	v_mul_f32_e32 v28, v27, v1
	v_mul_f32_e32 v18, v25, v28
	v_fma_f32 v20, v28, v25, -v18
	v_fmac_f32_e32 v20, v28, v26
	v_sub_f32_e32 v19, v19, v1
	v_add_f32_e32 v25, v0, v19
	v_add_f32_e32 v0, v18, v20
	v_sub_f32_e32 v19, v1, v0
	v_pk_add_f32 v[22:23], v[0:1], v[18:19] neg_lo:[0,1] neg_hi:[0,1]
	v_mov_b32_e32 v21, v0
	v_pk_add_f32 v[0:1], v[22:23], v[20:21] neg_lo:[0,1] neg_hi:[0,1]
	s_nop 0
	v_add_f32_e32 v1, v25, v1
	v_add_f32_e32 v0, v0, v1
	;; [unrolled: 1-line block ×4, first 2 shown]
	v_sub_f32_e32 v18, v1, v29
	v_mul_f32_e32 v0, v27, v0
	v_sub_f32_e32 v18, v28, v18
	v_add_f32_e32 v18, v18, v0
	v_add_f32_e32 v20, v1, v18
	v_mul_f32_e32 v21, v20, v20
	v_fmamk_f32 v0, v21, 0x3e9b6dac, v108
	v_fmaak_f32 v43, v21, v0, 0x3f2aaada
	v_cvt_f32_i32_e32 v0, v24
	v_sub_f32_e32 v1, v20, v1
	v_sub_f32_e32 v1, v18, v1
	v_ldexp_f32 v22, v1, 1
	v_mul_f32_e32 v1, v20, v21
	v_ldexp_f32 v19, v20, 1
	v_pk_mul_f32 v[20:21], v[0:1], v[42:43]
	s_nop 0
	v_fma_f32 v18, v0, s0, -v20
	v_fmac_f32_e32 v18, 0xb102e308, v0
	v_pk_add_f32 v[0:1], v[20:21], v[18:19]
	s_mov_b32 s0, 0x7f800000
	v_sub_f32_e32 v19, v1, v19
	v_sub_f32_e32 v19, v21, v19
	v_add_f32_e32 v23, v22, v19
	v_mov_b32_e32 v22, v20
	v_pk_add_f32 v[20:21], v[0:1], v[20:21] neg_lo:[0,1] neg_hi:[0,1]
	v_pk_add_f32 v[24:25], v[0:1], v[22:23]
	v_mov_b32_e32 v19, v0
	v_mov_b32_e32 v21, v25
	v_pk_add_f32 v[26:27], v[18:19], v[20:21] neg_lo:[0,1] neg_hi:[0,1]
	v_pk_add_f32 v[18:19], v[18:19], v[20:21]
	v_mov_b32_e32 v22, v23
	v_mov_b32_e32 v20, v19
	v_pk_add_f32 v[28:29], v[20:21], v[0:1] neg_lo:[0,1] neg_hi:[0,1]
	v_mov_b32_e32 v18, v25
	v_mov_b32_e32 v21, v28
	v_pk_add_f32 v[30:31], v[24:25], v[20:21] neg_lo:[0,1] neg_hi:[0,1]
	v_mov_b32_e32 v24, v1
	v_mov_b32_e32 v25, v28
	;; [unrolled: 1-line block ×3, first 2 shown]
	v_pk_add_f32 v[18:19], v[18:19], v[24:25] neg_lo:[0,1] neg_hi:[0,1]
	v_mov_b32_e32 v23, v0
	v_pk_add_f32 v[0:1], v[22:23], v[18:19] neg_lo:[0,1] neg_hi:[0,1]
	v_mov_b32_e32 v30, v26
	v_pk_add_f32 v[18:19], v[30:31], v[0:1]
	v_cmp_eq_f32_e32 vcc, s0, v32
	v_mov_b32_e32 v22, v19
	v_pk_add_f32 v[22:23], v[18:19], v[22:23]
	s_mov_b32 s0, 0x33800000
	v_pk_add_f32 v[20:21], v[20:21], v[22:23]
	v_mov_b32_e32 v1, v22
	v_mov_b32_e32 v19, v20
	v_pk_add_f32 v[24:25], v[18:19], v[26:27] neg_lo:[0,1] neg_hi:[0,1]
	v_cmp_gt_f32_e64 s[2:3], s0, v32
	v_sub_f32_e32 v18, v18, v24
	v_pk_add_f32 v[0:1], v[0:1], v[24:25] neg_lo:[0,1] neg_hi:[0,1]
	v_sub_f32_e32 v18, v26, v18
	v_add_f32_e32 v0, v0, v18
	v_add_f32_e32 v0, v0, v1
	v_add_f32_e32 v0, v20, v0
	s_or_b64 vcc, s[2:3], vcc
	v_cndmask_b32_e32 v124, v0, v32, vcc
.LBB123_48:                             ;   in Loop: Header=BB123_14 Depth=1
	s_or_b64 exec, exec, s[30:31]
	v_cvt_f32_f16_sdwa v0, v4 dst_sel:DWORD dst_unused:UNUSED_PAD src0_sel:WORD_1
	s_mov_b32 s0, 0x41a00000
	v_add_f32_e32 v125, s33, v0
	v_cmp_ge_f32_e32 vcc, s0, v125
	s_and_b64 s[0:1], s[88:89], vcc
	s_and_saveexec_b64 s[30:31], s[0:1]
	s_cbranch_execz .LBB123_50
; %bb.49:                               ;   in Loop: Header=BB123_14 Depth=1
	v_mul_f32_e32 v0, 0x3fb8aa3b, v125
	v_rndne_f32_e32 v1, v0
	s_mov_b32 s0, 0x3fb8aa3b
	v_sub_f32_e32 v18, v0, v1
	v_fma_f32 v0, v125, s0, -v0
	v_fmac_f32_e32 v0, 0x32a5705f, v125
	v_add_f32_e32 v0, v18, v0
	v_cvt_i32_f32_e32 v1, v1
	v_exp_f32_e32 v0, v0
	s_mov_b32 s0, 0xc2ce8ed0
	v_cmp_ngt_f32_e32 vcc, s0, v125
	s_mov_b32 s0, 0x42b17218
	v_ldexp_f32 v0, v0, v1
	v_cndmask_b32_e32 v0, 0, v0, vcc
	v_cmp_nlt_f32_e32 vcc, s0, v125
	s_mov_b32 s0, 0x3f2aaaab
	s_nop 0
	v_cndmask_b32_e32 v32, v109, v0, vcc
	v_add_f32_e32 v18, 1.0, v32
	v_add_f32_e32 v0, -1.0, v18
	v_sub_f32_e32 v1, v0, v18
	v_add_f32_e32 v1, 1.0, v1
	v_sub_f32_e32 v0, v32, v0
	v_add_f32_e32 v19, v0, v1
	v_frexp_mant_f32_e32 v20, v18
	v_cvt_f64_f32_e32 v[0:1], v18
	v_frexp_exp_i32_f64_e32 v0, v[0:1]
	v_cmp_gt_f32_e32 vcc, s0, v20
	s_mov_b32 s0, 0x3f317218
	s_nop 0
	v_subbrev_co_u32_e32 v24, vcc, 0, v0, vcc
	v_sub_u32_e32 v0, 0, v24
	v_ldexp_f32 v1, v18, v0
	v_add_f32_e32 v18, -1.0, v1
	v_add_f32_e32 v20, 1.0, v1
	v_ldexp_f32 v0, v19, v0
	v_add_f32_e32 v19, 1.0, v18
	v_add_f32_e32 v21, -1.0, v20
	v_sub_f32_e32 v19, v1, v19
	v_sub_f32_e32 v1, v1, v21
	v_add_f32_e32 v19, v0, v19
	v_add_f32_e32 v0, v0, v1
	v_add_f32_e32 v25, v20, v0
	v_rcp_f32_e32 v27, v25
	v_sub_f32_e32 v1, v20, v25
	v_add_f32_e32 v26, v0, v1
	v_add_f32_e32 v1, v18, v19
	v_mul_f32_e32 v29, v1, v27
	v_sub_f32_e32 v0, v18, v1
	v_mul_f32_e32 v18, v25, v29
	v_fma_f32 v20, v29, v25, -v18
	v_fmac_f32_e32 v20, v29, v26
	v_add_f32_e32 v28, v19, v0
	v_add_f32_e32 v0, v18, v20
	v_sub_f32_e32 v19, v1, v0
	v_pk_add_f32 v[22:23], v[0:1], v[18:19] neg_lo:[0,1] neg_hi:[0,1]
	v_mov_b32_e32 v21, v0
	v_pk_add_f32 v[0:1], v[22:23], v[20:21] neg_lo:[0,1] neg_hi:[0,1]
	s_nop 0
	v_add_f32_e32 v1, v28, v1
	v_add_f32_e32 v0, v0, v1
	;; [unrolled: 1-line block ×3, first 2 shown]
	v_mul_f32_e32 v28, v27, v1
	v_mul_f32_e32 v18, v25, v28
	v_fma_f32 v20, v28, v25, -v18
	v_fmac_f32_e32 v20, v28, v26
	v_sub_f32_e32 v19, v19, v1
	v_add_f32_e32 v25, v0, v19
	v_add_f32_e32 v0, v18, v20
	v_sub_f32_e32 v19, v1, v0
	v_pk_add_f32 v[22:23], v[0:1], v[18:19] neg_lo:[0,1] neg_hi:[0,1]
	v_mov_b32_e32 v21, v0
	v_pk_add_f32 v[0:1], v[22:23], v[20:21] neg_lo:[0,1] neg_hi:[0,1]
	s_nop 0
	v_add_f32_e32 v1, v25, v1
	v_add_f32_e32 v0, v0, v1
	;; [unrolled: 1-line block ×4, first 2 shown]
	v_sub_f32_e32 v18, v1, v29
	v_mul_f32_e32 v0, v27, v0
	v_sub_f32_e32 v18, v28, v18
	v_add_f32_e32 v18, v18, v0
	v_add_f32_e32 v20, v1, v18
	v_mul_f32_e32 v21, v20, v20
	v_fmamk_f32 v0, v21, 0x3e9b6dac, v108
	v_fmaak_f32 v43, v21, v0, 0x3f2aaada
	v_cvt_f32_i32_e32 v0, v24
	v_sub_f32_e32 v1, v20, v1
	v_sub_f32_e32 v1, v18, v1
	v_ldexp_f32 v22, v1, 1
	v_mul_f32_e32 v1, v20, v21
	v_ldexp_f32 v19, v20, 1
	v_pk_mul_f32 v[20:21], v[0:1], v[42:43]
	s_nop 0
	v_fma_f32 v18, v0, s0, -v20
	v_fmac_f32_e32 v18, 0xb102e308, v0
	v_pk_add_f32 v[0:1], v[20:21], v[18:19]
	s_mov_b32 s0, 0x7f800000
	v_sub_f32_e32 v19, v1, v19
	v_sub_f32_e32 v19, v21, v19
	v_add_f32_e32 v23, v22, v19
	v_mov_b32_e32 v22, v20
	v_pk_add_f32 v[20:21], v[0:1], v[20:21] neg_lo:[0,1] neg_hi:[0,1]
	v_pk_add_f32 v[24:25], v[0:1], v[22:23]
	v_mov_b32_e32 v19, v0
	v_mov_b32_e32 v21, v25
	v_pk_add_f32 v[26:27], v[18:19], v[20:21] neg_lo:[0,1] neg_hi:[0,1]
	v_pk_add_f32 v[18:19], v[18:19], v[20:21]
	v_mov_b32_e32 v22, v23
	v_mov_b32_e32 v20, v19
	v_pk_add_f32 v[28:29], v[20:21], v[0:1] neg_lo:[0,1] neg_hi:[0,1]
	v_mov_b32_e32 v18, v25
	v_mov_b32_e32 v21, v28
	v_pk_add_f32 v[30:31], v[24:25], v[20:21] neg_lo:[0,1] neg_hi:[0,1]
	v_mov_b32_e32 v24, v1
	v_mov_b32_e32 v25, v28
	;; [unrolled: 1-line block ×3, first 2 shown]
	v_pk_add_f32 v[18:19], v[18:19], v[24:25] neg_lo:[0,1] neg_hi:[0,1]
	v_mov_b32_e32 v23, v0
	v_pk_add_f32 v[0:1], v[22:23], v[18:19] neg_lo:[0,1] neg_hi:[0,1]
	v_mov_b32_e32 v30, v26
	v_pk_add_f32 v[18:19], v[30:31], v[0:1]
	v_cmp_eq_f32_e32 vcc, s0, v32
	v_mov_b32_e32 v22, v19
	v_pk_add_f32 v[22:23], v[18:19], v[22:23]
	s_mov_b32 s0, 0x33800000
	v_pk_add_f32 v[20:21], v[20:21], v[22:23]
	v_mov_b32_e32 v1, v22
	v_mov_b32_e32 v19, v20
	v_pk_add_f32 v[24:25], v[18:19], v[26:27] neg_lo:[0,1] neg_hi:[0,1]
	v_cmp_gt_f32_e64 s[2:3], s0, v32
	v_sub_f32_e32 v18, v18, v24
	v_pk_add_f32 v[0:1], v[0:1], v[24:25] neg_lo:[0,1] neg_hi:[0,1]
	v_sub_f32_e32 v18, v26, v18
	v_add_f32_e32 v0, v0, v18
	v_add_f32_e32 v0, v0, v1
	;; [unrolled: 1-line block ×3, first 2 shown]
	s_or_b64 vcc, s[2:3], vcc
	v_cndmask_b32_e32 v125, v0, v32, vcc
.LBB123_50:                             ;   in Loop: Header=BB123_14 Depth=1
	s_or_b64 exec, exec, s[30:31]
	v_cvt_f32_f16_e32 v0, v5
	s_mov_b32 s0, 0x41a00000
	v_add_f32_e32 v0, s33, v0
	v_cmp_ge_f32_e32 vcc, s0, v0
	s_and_b64 s[0:1], s[88:89], vcc
	s_and_saveexec_b64 s[30:31], s[0:1]
	s_cbranch_execz .LBB123_52
; %bb.51:                               ;   in Loop: Header=BB123_14 Depth=1
	v_mul_f32_e32 v1, 0x3fb8aa3b, v0
	v_rndne_f32_e32 v18, v1
	s_mov_b32 s0, 0x3fb8aa3b
	v_sub_f32_e32 v19, v1, v18
	v_fma_f32 v1, v0, s0, -v1
	v_fmac_f32_e32 v1, 0x32a5705f, v0
	v_add_f32_e32 v1, v19, v1
	v_cvt_i32_f32_e32 v18, v18
	v_exp_f32_e32 v1, v1
	s_mov_b32 s0, 0xc2ce8ed0
	v_cmp_ngt_f32_e32 vcc, s0, v0
	s_mov_b32 s0, 0x42b17218
	v_ldexp_f32 v1, v1, v18
	v_cndmask_b32_e32 v1, 0, v1, vcc
	v_cmp_nlt_f32_e32 vcc, s0, v0
	s_mov_b32 s0, 0x3f2aaaab
	s_nop 0
	v_cndmask_b32_e32 v32, v109, v1, vcc
	v_add_f32_e32 v18, 1.0, v32
	v_add_f32_e32 v0, -1.0, v18
	v_sub_f32_e32 v1, v0, v18
	v_add_f32_e32 v1, 1.0, v1
	v_sub_f32_e32 v0, v32, v0
	v_add_f32_e32 v19, v0, v1
	v_frexp_mant_f32_e32 v20, v18
	v_cvt_f64_f32_e32 v[0:1], v18
	v_frexp_exp_i32_f64_e32 v0, v[0:1]
	v_cmp_gt_f32_e32 vcc, s0, v20
	s_mov_b32 s0, 0x3f317218
	s_nop 0
	v_subbrev_co_u32_e32 v24, vcc, 0, v0, vcc
	v_sub_u32_e32 v0, 0, v24
	v_ldexp_f32 v1, v18, v0
	v_add_f32_e32 v18, -1.0, v1
	v_add_f32_e32 v20, 1.0, v1
	v_ldexp_f32 v0, v19, v0
	v_add_f32_e32 v19, 1.0, v18
	v_add_f32_e32 v21, -1.0, v20
	v_sub_f32_e32 v19, v1, v19
	v_sub_f32_e32 v1, v1, v21
	v_add_f32_e32 v19, v0, v19
	v_add_f32_e32 v0, v0, v1
	;; [unrolled: 1-line block ×3, first 2 shown]
	v_rcp_f32_e32 v27, v25
	v_sub_f32_e32 v1, v20, v25
	v_add_f32_e32 v26, v0, v1
	v_add_f32_e32 v1, v18, v19
	v_mul_f32_e32 v29, v1, v27
	v_sub_f32_e32 v0, v18, v1
	v_mul_f32_e32 v18, v25, v29
	v_fma_f32 v20, v29, v25, -v18
	v_fmac_f32_e32 v20, v29, v26
	v_add_f32_e32 v28, v19, v0
	v_add_f32_e32 v0, v18, v20
	v_sub_f32_e32 v19, v1, v0
	v_pk_add_f32 v[22:23], v[0:1], v[18:19] neg_lo:[0,1] neg_hi:[0,1]
	v_mov_b32_e32 v21, v0
	v_pk_add_f32 v[0:1], v[22:23], v[20:21] neg_lo:[0,1] neg_hi:[0,1]
	s_nop 0
	v_add_f32_e32 v1, v28, v1
	v_add_f32_e32 v0, v0, v1
	;; [unrolled: 1-line block ×3, first 2 shown]
	v_mul_f32_e32 v28, v27, v1
	v_mul_f32_e32 v18, v25, v28
	v_fma_f32 v20, v28, v25, -v18
	v_fmac_f32_e32 v20, v28, v26
	v_sub_f32_e32 v19, v19, v1
	v_add_f32_e32 v25, v0, v19
	v_add_f32_e32 v0, v18, v20
	v_sub_f32_e32 v19, v1, v0
	v_pk_add_f32 v[22:23], v[0:1], v[18:19] neg_lo:[0,1] neg_hi:[0,1]
	v_mov_b32_e32 v21, v0
	v_pk_add_f32 v[0:1], v[22:23], v[20:21] neg_lo:[0,1] neg_hi:[0,1]
	s_nop 0
	v_add_f32_e32 v1, v25, v1
	v_add_f32_e32 v0, v0, v1
	;; [unrolled: 1-line block ×4, first 2 shown]
	v_sub_f32_e32 v18, v1, v29
	v_mul_f32_e32 v0, v27, v0
	v_sub_f32_e32 v18, v28, v18
	v_add_f32_e32 v18, v18, v0
	v_add_f32_e32 v20, v1, v18
	v_mul_f32_e32 v21, v20, v20
	v_fmamk_f32 v0, v21, 0x3e9b6dac, v108
	v_fmaak_f32 v43, v21, v0, 0x3f2aaada
	v_cvt_f32_i32_e32 v0, v24
	v_sub_f32_e32 v1, v20, v1
	v_sub_f32_e32 v1, v18, v1
	v_ldexp_f32 v22, v1, 1
	v_mul_f32_e32 v1, v20, v21
	v_ldexp_f32 v19, v20, 1
	v_pk_mul_f32 v[20:21], v[0:1], v[42:43]
	s_nop 0
	v_fma_f32 v18, v0, s0, -v20
	v_fmac_f32_e32 v18, 0xb102e308, v0
	v_pk_add_f32 v[0:1], v[20:21], v[18:19]
	s_mov_b32 s0, 0x7f800000
	v_sub_f32_e32 v19, v1, v19
	v_sub_f32_e32 v19, v21, v19
	v_add_f32_e32 v23, v22, v19
	v_mov_b32_e32 v22, v20
	v_pk_add_f32 v[20:21], v[0:1], v[20:21] neg_lo:[0,1] neg_hi:[0,1]
	v_pk_add_f32 v[24:25], v[0:1], v[22:23]
	v_mov_b32_e32 v19, v0
	v_mov_b32_e32 v21, v25
	v_pk_add_f32 v[26:27], v[18:19], v[20:21] neg_lo:[0,1] neg_hi:[0,1]
	v_pk_add_f32 v[18:19], v[18:19], v[20:21]
	v_mov_b32_e32 v22, v23
	v_mov_b32_e32 v20, v19
	v_pk_add_f32 v[28:29], v[20:21], v[0:1] neg_lo:[0,1] neg_hi:[0,1]
	v_mov_b32_e32 v18, v25
	v_mov_b32_e32 v21, v28
	v_pk_add_f32 v[30:31], v[24:25], v[20:21] neg_lo:[0,1] neg_hi:[0,1]
	v_mov_b32_e32 v24, v1
	v_mov_b32_e32 v25, v28
	;; [unrolled: 1-line block ×3, first 2 shown]
	v_pk_add_f32 v[18:19], v[18:19], v[24:25] neg_lo:[0,1] neg_hi:[0,1]
	v_mov_b32_e32 v23, v0
	v_pk_add_f32 v[0:1], v[22:23], v[18:19] neg_lo:[0,1] neg_hi:[0,1]
	v_mov_b32_e32 v30, v26
	v_pk_add_f32 v[18:19], v[30:31], v[0:1]
	v_cmp_eq_f32_e32 vcc, s0, v32
	v_mov_b32_e32 v22, v19
	v_pk_add_f32 v[22:23], v[18:19], v[22:23]
	s_mov_b32 s0, 0x33800000
	v_pk_add_f32 v[20:21], v[20:21], v[22:23]
	v_mov_b32_e32 v1, v22
	v_mov_b32_e32 v19, v20
	v_pk_add_f32 v[24:25], v[18:19], v[26:27] neg_lo:[0,1] neg_hi:[0,1]
	v_cmp_gt_f32_e64 s[2:3], s0, v32
	v_sub_f32_e32 v18, v18, v24
	v_pk_add_f32 v[0:1], v[0:1], v[24:25] neg_lo:[0,1] neg_hi:[0,1]
	v_sub_f32_e32 v18, v26, v18
	v_add_f32_e32 v0, v0, v18
	v_add_f32_e32 v0, v0, v1
	v_add_f32_e32 v0, v20, v0
	s_or_b64 vcc, s[2:3], vcc
	v_cndmask_b32_e32 v0, v0, v32, vcc
.LBB123_52:                             ;   in Loop: Header=BB123_14 Depth=1
	s_or_b64 exec, exec, s[30:31]
	v_cvt_f32_f16_sdwa v1, v5 dst_sel:DWORD dst_unused:UNUSED_PAD src0_sel:WORD_1
	s_mov_b32 s0, 0x41a00000
	v_add_f32_e32 v1, s33, v1
	v_cmp_ge_f32_e32 vcc, s0, v1
	s_and_b64 s[0:1], s[88:89], vcc
	s_and_saveexec_b64 s[30:31], s[0:1]
	s_cbranch_execz .LBB123_54
; %bb.53:                               ;   in Loop: Header=BB123_14 Depth=1
	v_mul_f32_e32 v18, 0x3fb8aa3b, v1
	v_rndne_f32_e32 v19, v18
	s_mov_b32 s0, 0x3fb8aa3b
	v_sub_f32_e32 v20, v18, v19
	v_fma_f32 v18, v1, s0, -v18
	v_fmac_f32_e32 v18, 0x32a5705f, v1
	v_add_f32_e32 v18, v20, v18
	v_cvt_i32_f32_e32 v19, v19
	v_exp_f32_e32 v18, v18
	s_mov_b32 s0, 0xc2ce8ed0
	v_cmp_ngt_f32_e32 vcc, s0, v1
	s_mov_b32 s0, 0x42b17218
	v_ldexp_f32 v18, v18, v19
	v_cndmask_b32_e32 v18, 0, v18, vcc
	v_cmp_nlt_f32_e32 vcc, s0, v1
	s_mov_b32 s0, 0x3f2aaaab
	s_nop 0
	v_cndmask_b32_e32 v39, v109, v18, vcc
	v_add_f32_e32 v1, 1.0, v39
	v_add_f32_e32 v18, -1.0, v1
	v_sub_f32_e32 v19, v18, v1
	v_add_f32_e32 v19, 1.0, v19
	v_sub_f32_e32 v18, v39, v18
	v_add_f32_e32 v20, v18, v19
	v_frexp_mant_f32_e32 v21, v1
	v_cvt_f64_f32_e32 v[18:19], v1
	v_frexp_exp_i32_f64_e32 v18, v[18:19]
	v_cmp_gt_f32_e32 vcc, s0, v21
	s_mov_b32 s0, 0x3f317218
	s_nop 0
	v_subbrev_co_u32_e32 v26, vcc, 0, v18, vcc
	v_sub_u32_e32 v18, 0, v26
	v_ldexp_f32 v1, v1, v18
	v_ldexp_f32 v18, v20, v18
	v_add_f32_e32 v20, -1.0, v1
	v_add_f32_e32 v19, 1.0, v20
	v_sub_f32_e32 v19, v1, v19
	v_add_f32_e32 v21, v18, v19
	v_add_f32_e32 v19, 1.0, v1
	v_add_f32_e32 v22, -1.0, v19
	v_sub_f32_e32 v1, v1, v22
	v_add_f32_e32 v1, v18, v1
	v_add_f32_e32 v27, v19, v1
	v_rcp_f32_e32 v28, v27
	v_sub_f32_e32 v18, v19, v27
	v_add_f32_e32 v19, v20, v21
	v_add_f32_e32 v1, v1, v18
	v_mul_f32_e32 v30, v19, v28
	v_sub_f32_e32 v18, v20, v19
	v_mul_f32_e32 v20, v27, v30
	v_fma_f32 v22, v30, v27, -v20
	v_fmac_f32_e32 v22, v30, v1
	v_add_f32_e32 v29, v21, v18
	v_add_f32_e32 v18, v20, v22
	v_sub_f32_e32 v21, v19, v18
	v_pk_add_f32 v[24:25], v[18:19], v[20:21] neg_lo:[0,1] neg_hi:[0,1]
	v_mov_b32_e32 v23, v18
	v_pk_add_f32 v[18:19], v[24:25], v[22:23] neg_lo:[0,1] neg_hi:[0,1]
	s_nop 0
	v_add_f32_e32 v19, v29, v19
	v_add_f32_e32 v18, v18, v19
	;; [unrolled: 1-line block ×3, first 2 shown]
	v_mul_f32_e32 v29, v28, v19
	v_mul_f32_e32 v20, v27, v29
	v_fma_f32 v22, v29, v27, -v20
	v_fmac_f32_e32 v22, v29, v1
	v_sub_f32_e32 v1, v21, v19
	v_add_f32_e32 v1, v18, v1
	v_add_f32_e32 v18, v20, v22
	v_sub_f32_e32 v21, v19, v18
	v_pk_add_f32 v[24:25], v[18:19], v[20:21] neg_lo:[0,1] neg_hi:[0,1]
	v_mov_b32_e32 v23, v18
	v_pk_add_f32 v[18:19], v[24:25], v[22:23] neg_lo:[0,1] neg_hi:[0,1]
	s_nop 0
	v_add_f32_e32 v1, v1, v19
	v_add_f32_e32 v1, v18, v1
	v_add_f32_e32 v19, v30, v29
	v_add_f32_e32 v1, v21, v1
	v_sub_f32_e32 v18, v19, v30
	v_mul_f32_e32 v1, v28, v1
	v_sub_f32_e32 v18, v29, v18
	v_add_f32_e32 v1, v18, v1
	v_add_f32_e32 v20, v19, v1
	v_mul_f32_e32 v22, v20, v20
	v_fmamk_f32 v18, v22, 0x3e9b6dac, v108
	v_fmaak_f32 v43, v22, v18, 0x3f2aaada
	v_cvt_f32_i32_e32 v18, v26
	v_sub_f32_e32 v19, v20, v19
	v_sub_f32_e32 v1, v1, v19
	v_mul_f32_e32 v19, v20, v22
	v_pk_mul_f32 v[22:23], v[18:19], v[42:43]
	v_ldexp_f32 v21, v20, 1
	v_fma_f32 v20, v18, s0, -v22
	v_fmac_f32_e32 v20, 0xb102e308, v18
	v_pk_add_f32 v[18:19], v[22:23], v[20:21]
	v_ldexp_f32 v1, v1, 1
	v_sub_f32_e32 v21, v19, v21
	v_sub_f32_e32 v21, v23, v21
	v_add_f32_e32 v25, v1, v21
	v_mov_b32_e32 v24, v22
	v_pk_add_f32 v[22:23], v[18:19], v[22:23] neg_lo:[0,1] neg_hi:[0,1]
	v_pk_add_f32 v[26:27], v[18:19], v[24:25]
	v_mov_b32_e32 v21, v18
	v_mov_b32_e32 v23, v27
	v_pk_add_f32 v[28:29], v[20:21], v[22:23] neg_lo:[0,1] neg_hi:[0,1]
	v_pk_add_f32 v[20:21], v[20:21], v[22:23]
	v_mov_b32_e32 v24, v25
	v_mov_b32_e32 v22, v21
	v_pk_add_f32 v[30:31], v[22:23], v[18:19] neg_lo:[0,1] neg_hi:[0,1]
	v_mov_b32_e32 v20, v27
	v_mov_b32_e32 v1, v30
	v_pk_add_f32 v[32:33], v[26:27], v[0:1] neg_lo:[0,1] neg_hi:[0,1]
	v_mov_b32_e32 v26, v19
	v_mov_b32_e32 v27, v30
	;; [unrolled: 1-line block ×3, first 2 shown]
	v_pk_add_f32 v[20:21], v[20:21], v[26:27] neg_lo:[0,1] neg_hi:[0,1]
	v_mov_b32_e32 v25, v18
	v_pk_add_f32 v[18:19], v[24:25], v[20:21] neg_lo:[0,1] neg_hi:[0,1]
	v_mov_b32_e32 v32, v28
	v_pk_add_f32 v[20:21], v[32:33], v[18:19]
	s_mov_b32 s0, 0x7f800000
	v_mov_b32_e32 v24, v21
	v_pk_add_f32 v[24:25], v[20:21], v[24:25]
	v_cmp_eq_f32_e32 vcc, s0, v39
	v_pk_add_f32 v[22:23], v[22:23], v[24:25]
	v_mov_b32_e32 v19, v24
	v_mov_b32_e32 v21, v22
	v_pk_add_f32 v[26:27], v[20:21], v[28:29] neg_lo:[0,1] neg_hi:[0,1]
	s_mov_b32 s0, 0x33800000
	v_sub_f32_e32 v1, v20, v26
	v_pk_add_f32 v[18:19], v[18:19], v[26:27] neg_lo:[0,1] neg_hi:[0,1]
	v_sub_f32_e32 v1, v28, v1
	v_add_f32_e32 v1, v18, v1
	v_add_f32_e32 v1, v1, v19
	v_cmp_gt_f32_e64 s[2:3], s0, v39
	v_add_f32_e32 v1, v22, v1
	s_or_b64 vcc, s[2:3], vcc
	v_cndmask_b32_e32 v1, v1, v39, vcc
.LBB123_54:                             ;   in Loop: Header=BB123_14 Depth=1
	s_or_b64 exec, exec, s[30:31]
	v_cvt_f32_f16_e32 v18, v9
	v_cvt_f32_f16_sdwa v19, v8 dst_sel:DWORD dst_unused:UNUSED_PAD src0_sel:WORD_1
	v_cvt_f32_f16_e32 v20, v8
	v_cvt_f32_f16_sdwa v25, v9 dst_sel:DWORD dst_unused:UNUSED_PAD src0_sel:WORD_1
	v_cvt_f32_f16_sdwa v21, v7 dst_sel:DWORD dst_unused:UNUSED_PAD src0_sel:WORD_1
	v_cvt_f32_f16_e32 v22, v7
	v_cvt_f32_f16_sdwa v23, v6 dst_sel:DWORD dst_unused:UNUSED_PAD src0_sel:WORD_1
	v_cvt_f32_f16_e32 v24, v6
	;; [unrolled: 2-line block ×6, first 2 shown]
	v_readlane_b32 s0, v154, 8
	v_readlane_b32 s1, v154, 9
	v_mul_f32_e32 v44, s80, v18
	v_mul_f32_e32 v47, s80, v19
	;; [unrolled: 1-line block ×15, first 2 shown]
	s_mov_b32 s34, s13
	s_lshl_b32 s90, s13, 11
	v_mul_f32_e32 v45, s80, v25
	s_and_b64 vcc, exec, s[0:1]
	s_barrier
	s_cbranch_vccz .LBB123_12
; %bb.55:                               ;   in Loop: Header=BB123_14 Depth=1
	v_readlane_b32 s0, v154, 2
	v_readlane_b32 s1, v154, 3
	;; [unrolled: 1-line block ×4, first 2 shown]
	v_lshl_add_u64 v[60:61], s[0:1], 0, v[34:35]
	v_readlane_b32 s0, v154, 10
	s_sub_i32 s0, s0, s90
	s_cmp_lg_u32 s34, 0
	s_cselect_b64 s[96:97], -1, 0
	s_cmp_eq_u32 s34, s2
	v_cmp_gt_u32_e32 vcc, s0, v89
	v_readlane_b32 s63, v154, 14
	s_cselect_b64 s[98:99], -1, 0
	s_or_b64 s[30:31], s[62:63], vcc
	v_cmp_gt_u32_e32 vcc, s0, v93
	s_mov_b32 s13, s34
	s_or_b64 s[34:35], s[62:63], vcc
	v_cmp_gt_u32_e32 vcc, s0, v94
	s_or_b64 s[36:37], s[62:63], vcc
	v_cmp_gt_u32_e32 vcc, s0, v95
	;; [unrolled: 2-line block ×12, first 2 shown]
	v_mov_b32_e32 v39, v35
	v_lshl_add_u64 v[62:63], s[74:75], 0, v[34:35]
	v_readlane_b32 s1, v154, 11
	s_mov_b32 s82, 0
	s_or_b64 s[58:59], s[62:63], vcc
	v_cmp_gt_u32_e32 vcc, s0, v106
	v_cmp_gt_u32_e64 s[2:3], s0, v107
	v_mul_f32_e32 v43, v1, v25
	v_lshl_add_u64 v[60:61], v[60:61], 0, v[38:39]
	v_lshl_add_u64 v[62:63], v[62:63], 0, v[38:39]
	v_mul_f32_e32 v39, v0, v18
	v_mul_f32_e32 v126, v125, v19
	;; [unrolled: 1-line block ×15, first 2 shown]
	s_or_b64 s[60:61], s[62:63], s[2:3]
	s_or_b64 s[62:63], s[62:63], vcc
	s_mov_b32 s2, s82
	s_mov_b32 s84, s82
	;; [unrolled: 1-line block ×4, first 2 shown]
	v_readlane_b32 s81, v154, 15
	s_branch .LBB123_57
.LBB123_56:                             ;   in Loop: Header=BB123_57 Depth=2
	s_or_b64 exec, exec, s[0:1]
	v_cndmask_b32_e64 v64, v74, v83, s[28:29]
	v_cndmask_b32_e64 v65, v77, v82, s[28:29]
	v_mul_f32_e32 v65, v65, v140
	v_fma_f32 v64, v64, v140, v26
	v_cndmask_b32_e64 v26, v64, v26, s[26:27]
	v_cndmask_b32_e64 v64, v65, v140, s[26:27]
	s_waitcnt lgkmcnt(0)
	v_fmac_f32_e32 v26, v80, v64
	v_fmac_f32_e32 v27, v26, v141
	;; [unrolled: 1-line block ×16, first 2 shown]
	v_cvt_f32_f16_sdwa v65, v22 dst_sel:DWORD dst_unused:UNUSED_PAD src0_sel:WORD_1
	v_cvt_f32_f16_sdwa v77, v23 dst_sel:DWORD dst_unused:UNUSED_PAD src0_sel:WORD_1
	v_cvt_f32_f16_e32 v64, v22
	v_cvt_f32_f16_e32 v76, v23
	v_cvt_f32_f16_sdwa v23, v24 dst_sel:DWORD dst_unused:UNUSED_PAD src0_sel:WORD_1
	v_cvt_f32_f16_sdwa v79, v25 dst_sel:DWORD dst_unused:UNUSED_PAD src0_sel:WORD_1
	v_cvt_f32_f16_e32 v22, v24
	v_cvt_f32_f16_e32 v78, v25
	;; [unrolled: 4-line block ×4, first 2 shown]
	v_mov_b32_e32 v74, v73
	s_add_i32 s81, s81, 8
	s_add_i32 s91, s91, -1
	s_add_i32 s94, s94, s66
	s_add_i32 s84, s84, s72
	;; [unrolled: 1-line block ×4, first 2 shown]
	v_pk_fma_f32 v[56:57], v[28:29], v[76:77], v[56:57]
	v_pk_fma_f32 v[58:59], v[26:27], v[64:65], v[58:59]
	v_pk_fma_f32 v[52:53], v[32:33], v[78:79], v[52:53]
	v_pk_fma_f32 v[54:55], v[30:31], v[22:23], v[54:55]
	v_pk_fma_f32 v[48:49], v[70:71], v[80:81], v[48:49]
	v_pk_fma_f32 v[50:51], v[66:67], v[24:25], v[50:51]
	v_pk_fma_f32 v[44:45], v[74:75], v[82:83], v[44:45]
	s_cmp_eq_u32 s91, 0
	v_pk_fma_f32 v[46:47], v[68:69], v[18:19], v[46:47]
	s_mov_b32 s73, s9
	s_cbranch_scc1 .LBB123_13
.LBB123_57:                             ;   Parent Loop BB123_14 Depth=1
                                        ; =>  This Inner Loop Header: Depth=2
	s_mov_b32 s3, s83
	v_lshl_add_u64 v[22:23], s[2:3], 1, v[60:61]
	global_load_dwordx4 v[18:21], v[22:23], off
	s_nop 0
	global_load_dwordx4 v[22:25], v[22:23], off offset:1024
	s_lshl_b64 s[0:1], s[82:83], 2
	s_mov_b32 s85, s83
	s_add_u32 s0, s67, s0
	v_lshl_add_u64 v[26:27], s[84:85], 1, v[62:63]
	s_addc_u32 s1, s68, s1
	global_load_dword v66, v35, s[0:1]
	s_andn2_b64 vcc, exec, s[96:97]
	s_waitcnt vmcnt(2)
	ds_write_b128 v84, v[18:21]
	s_waitcnt vmcnt(1)
	ds_write_b128 v85, v[22:25] offset:1024
	; wave barrier
	global_load_dwordx4 v[18:21], v[26:27], off
	global_load_dwordx4 v[22:25], v[26:27], off offset:1024
	ds_read_b128 v[30:33], v86
	ds_read_b128 v[26:29], v86 offset:16
	s_waitcnt vmcnt(1)
	ds_write_b128 v84, v[18:21] offset:4224
	s_waitcnt vmcnt(0)
	ds_write_b128 v87, v[22:25] offset:1024
	; wave barrier
	ds_read_b128 v[22:25], v86 offset:4224
	ds_read_b128 v[18:21], v88 offset:16
	s_cbranch_vccnz .LBB123_59
; %bb.58:                               ;   in Loop: Header=BB123_57 Depth=2
	v_mov_b32_e32 v64, s81
	ds_read_b64 v[64:65], v64
	s_cbranch_execz .LBB123_60
	s_branch .LBB123_63
.LBB123_59:                             ;   in Loop: Header=BB123_57 Depth=2
                                        ; implicit-def: $vgpr65
.LBB123_60:                             ;   in Loop: Header=BB123_57 Depth=2
	v_readlane_b32 s0, v154, 0
	v_readlane_b32 s1, v154, 1
	s_andn2_b64 vcc, exec, s[0:1]
	s_waitcnt lgkmcnt(0)
	v_mov_b32_e32 v65, 0
	s_cbranch_vccnz .LBB123_62
; %bb.61:                               ;   in Loop: Header=BB123_57 Depth=2
	s_mov_b32 s95, s83
	s_lshl_b64 s[0:1], s[94:95], 2
	s_add_u32 s0, s69, s0
	s_addc_u32 s1, s64, s1
	global_load_dword v65, v35, s[0:1]
.LBB123_62:                             ;   in Loop: Header=BB123_57 Depth=2
	v_mov_b32_e32 v64, 1.0
.LBB123_63:                             ;   in Loop: Header=BB123_57 Depth=2
	v_mul_f32_e32 v74, 0x3fb8aa3b, v66
	s_waitcnt lgkmcnt(4)
	v_cvt_f32_f16_e32 v70, v26
	v_cvt_f32_f16_sdwa v71, v26 dst_sel:DWORD dst_unused:UNUSED_PAD src0_sel:WORD_1
	v_mul_f32_e32 v26, v74, v112
	v_cmp_gt_f32_e32 vcc, s65, v26
	v_cvt_f32_f16_e32 v72, v27
	v_cvt_f32_f16_sdwa v73, v27 dst_sel:DWORD dst_unused:UNUSED_PAD src0_sel:WORD_1
	v_cndmask_b32_e32 v26, 0, v110, vcc
	v_fmac_f32_e32 v26, v74, v112
	v_exp_f32_e32 v26, v26
	v_cndmask_b32_e32 v27, 1.0, v111, vcc
	v_cvt_f32_f16_e32 v76, v28
	v_cvt_f32_f16_sdwa v77, v28 dst_sel:DWORD dst_unused:UNUSED_PAD src0_sel:WORD_1
	v_mul_f32_e32 v27, v26, v27
	v_cndmask_b32_e64 v140, 1.0, v27, s[30:31]
	v_mul_f32_e32 v27, v74, v113
	v_cmp_gt_f32_e32 vcc, s65, v27
	v_cvt_f32_f16_e32 v78, v29
	v_cvt_f32_f16_sdwa v75, v29 dst_sel:DWORD dst_unused:UNUSED_PAD src0_sel:WORD_1
	v_cndmask_b32_e32 v27, 0, v110, vcc
	v_fmac_f32_e32 v27, v74, v113
	v_exp_f32_e32 v27, v27
	v_cndmask_b32_e32 v28, 1.0, v111, vcc
	v_cvt_f32_f16_e32 v66, v30
	v_cvt_f32_f16_sdwa v30, v30 dst_sel:DWORD dst_unused:UNUSED_PAD src0_sel:WORD_1
	v_mul_f32_e32 v28, v27, v28
	v_cndmask_b32_e64 v141, 1.0, v28, s[34:35]
	v_mul_f32_e32 v28, v74, v114
	v_cmp_gt_f32_e32 vcc, s65, v28
	v_mul_f32_e32 v27, v138, v30
	v_cvt_f32_f16_e32 v67, v31
	v_cndmask_b32_e32 v28, 0, v110, vcc
	v_fmac_f32_e32 v28, v74, v114
	v_exp_f32_e32 v28, v28
	v_cndmask_b32_e32 v29, 1.0, v111, vcc
	v_cvt_f32_f16_sdwa v31, v31 dst_sel:DWORD dst_unused:UNUSED_PAD src0_sel:WORD_1
	v_cvt_f32_f16_e32 v68, v32
	v_mul_f32_e32 v29, v28, v29
	v_cndmask_b32_e64 v142, 1.0, v29, s[36:37]
	v_mul_f32_e32 v29, v74, v115
	v_cmp_gt_f32_e32 vcc, s65, v29
	v_cvt_f32_f16_sdwa v32, v32 dst_sel:DWORD dst_unused:UNUSED_PAD src0_sel:WORD_1
	v_mul_f32_e32 v26, v139, v66
	v_cndmask_b32_e32 v29, 0, v110, vcc
	v_fmac_f32_e32 v29, v74, v115
	v_exp_f32_e32 v29, v29
	v_cndmask_b32_e32 v30, 1.0, v111, vcc
	v_mul_f32_e32 v28, v137, v67
	v_cvt_f32_f16_e32 v69, v33
	v_mul_f32_e32 v30, v29, v30
	v_cndmask_b32_e64 v143, 1.0, v30, s[38:39]
	v_mul_f32_e32 v30, v74, v116
	v_cmp_gt_f32_e32 vcc, s65, v30
	v_mul_f32_e32 v29, v136, v31
	v_cndmask_b32_e64 v26, 0, v26, s[30:31]
	v_cndmask_b32_e32 v30, 0, v110, vcc
	v_fmac_f32_e32 v30, v74, v116
	v_exp_f32_e32 v30, v30
	v_cndmask_b32_e32 v31, 1.0, v111, vcc
	v_cndmask_b32_e64 v27, 0, v27, s[34:35]
	v_cvt_f32_f16_sdwa v33, v33 dst_sel:DWORD dst_unused:UNUSED_PAD src0_sel:WORD_1
	v_mul_f32_e32 v31, v30, v31
	v_cndmask_b32_e64 v144, 1.0, v31, s[40:41]
	v_mul_f32_e32 v31, v74, v117
	v_cmp_gt_f32_e32 vcc, s65, v31
	v_mul_f32_e32 v30, v135, v68
	v_cndmask_b32_e64 v28, 0, v28, s[36:37]
	v_cndmask_b32_e32 v31, 0, v110, vcc
	v_fmac_f32_e32 v31, v74, v117
	v_exp_f32_e32 v31, v31
	v_cndmask_b32_e32 v66, 1.0, v111, vcc
	v_cndmask_b32_e64 v29, 0, v29, s[38:39]
	v_cndmask_b32_e64 v30, 0, v30, s[40:41]
	v_mul_f32_e32 v66, v31, v66
	v_mul_f32_e32 v31, v134, v32
	;; [unrolled: 1-line block ×3, first 2 shown]
	v_cmp_gt_f32_e32 vcc, s65, v32
	v_cndmask_b32_e64 v145, 1.0, v66, s[42:43]
	v_cndmask_b32_e64 v31, 0, v31, s[42:43]
	v_cndmask_b32_e32 v32, 0, v110, vcc
	v_fmac_f32_e32 v32, v74, v118
	v_exp_f32_e32 v32, v32
	v_cndmask_b32_e32 v66, 1.0, v111, vcc
	v_mul_f32_e32 v33, v132, v33
	v_cndmask_b32_e64 v33, 0, v33, s[46:47]
	v_mul_f32_e32 v66, v32, v66
	v_cndmask_b32_e64 v146, 1.0, v66, s[44:45]
	v_mul_f32_e32 v66, v74, v119
	v_cmp_gt_f32_e32 vcc, s65, v66
	v_mul_f32_e32 v32, v133, v69
	v_cndmask_b32_e64 v32, 0, v32, s[44:45]
	v_cndmask_b32_e32 v66, 0, v110, vcc
	v_fmac_f32_e32 v66, v74, v119
	v_exp_f32_e32 v66, v66
	v_cndmask_b32_e32 v67, 1.0, v111, vcc
	v_mul_f32_e32 v66, v66, v67
	v_cndmask_b32_e64 v147, 1.0, v66, s[46:47]
	v_mul_f32_e32 v66, v74, v120
	v_cmp_gt_f32_e32 vcc, s65, v66
	s_nop 1
	v_cndmask_b32_e32 v66, 0, v110, vcc
	v_fmac_f32_e32 v66, v74, v120
	v_exp_f32_e32 v66, v66
	v_cndmask_b32_e32 v67, 1.0, v111, vcc
	v_mul_f32_e32 v67, v66, v67
	v_cndmask_b32_e64 v148, 1.0, v67, s[48:49]
	v_mul_f32_e32 v67, v74, v121
	v_cmp_gt_f32_e32 vcc, s65, v67
	v_mul_f32_e32 v66, v131, v70
	v_cndmask_b32_e64 v66, 0, v66, s[48:49]
	v_cndmask_b32_e32 v67, 0, v110, vcc
	v_fmac_f32_e32 v67, v74, v121
	v_exp_f32_e32 v67, v67
	v_cndmask_b32_e32 v68, 1.0, v111, vcc
	v_mul_f32_e32 v68, v67, v68
	v_cndmask_b32_e64 v149, 1.0, v68, s[50:51]
	v_mul_f32_e32 v68, v74, v122
	v_cmp_gt_f32_e32 vcc, s65, v68
	v_mul_f32_e32 v67, v130, v71
	v_cndmask_b32_e64 v67, 0, v67, s[50:51]
	;; [unrolled: 10-line block ×4, first 2 shown]
	v_cndmask_b32_e32 v68, 0, v110, vcc
	v_fmac_f32_e32 v68, v74, v124
	v_exp_f32_e32 v68, v68
	v_cndmask_b32_e32 v69, 1.0, v111, vcc
	v_mul_f32_e32 v73, v39, v78
	v_pk_mul_f32 v[78:79], v[74:75], v[0:1] op_sel_hi:[0,1]
	v_mul_f32_e32 v69, v68, v69
	v_mul_f32_e32 v68, v127, v76
	v_cndmask_b32_e64 v76, 1.0, v69, s[56:57]
	v_mul_f32_e32 v69, v74, v125
	v_cmp_gt_f32_e32 vcc, s65, v69
	v_cndmask_b32_e64 v68, 0, v68, s[56:57]
	v_cndmask_b32_e64 v73, 0, v73, s[62:63]
	v_cndmask_b32_e32 v69, 0, v110, vcc
	v_cndmask_b32_e32 v72, 1.0, v111, vcc
	v_cmp_gt_f32_e32 vcc, s65, v78
	v_fmac_f32_e32 v69, v74, v125
	v_exp_f32_e32 v69, v69
	v_cndmask_b32_e32 v74, 0, v110, vcc
	v_add_f32_e32 v74, v78, v74
	v_exp_f32_e32 v74, v74
	v_mul_f32_e32 v72, v69, v72
	v_mul_f32_e32 v69, v126, v77
	v_cndmask_b32_e32 v77, 1.0, v111, vcc
	v_cmp_gt_f32_e32 vcc, s65, v79
	v_mul_f32_e32 v74, v74, v77
	v_cndmask_b32_e64 v69, 0, v69, s[58:59]
	v_cndmask_b32_e32 v77, 0, v110, vcc
	v_add_f32_e32 v77, v79, v77
	v_exp_f32_e32 v77, v77
	v_cndmask_b32_e32 v78, 1.0, v111, vcc
	v_cndmask_b32_e64 v72, 1.0, v72, s[58:59]
	v_mul_f32_e32 v75, v43, v75
	v_mul_f32_e32 v77, v77, v78
	v_cndmask_b32_e64 v79, 1.0, v77, s[60:61]
	v_cndmask_b32_e64 v78, 1.0, v74, s[62:63]
	v_mul_f32_e32 v74, v141, v140
	v_fma_f32 v77, v141, v26, v27
	v_mul_f32_e32 v74, v74, v142
	v_fma_f32 v77, v77, v142, v28
	;; [unrolled: 2-line block ×11, first 2 shown]
	v_fma_f32 v74, v74, v76, v68
	v_fma_f32 v81, v74, v72, v69
	v_mov_b32_e32 v77, v78
	v_pk_mul_f32 v[152:153], v[80:81], v[76:77]
	v_pk_fma_f32 v[80:81], v[80:81], v[76:77], v[72:73]
	v_pk_mul_f32 v[152:153], v[152:153], v[72:73]
	v_cndmask_b32_e64 v75, 0, v75, s[60:61]
	v_mov_b32_e32 v153, v81
	v_mov_b32_e32 v82, v79
	v_mov_b32_e32 v83, v78
	v_pk_mul_f32 v[80:81], v[152:153], v[78:79]
	v_mov_b32_e32 v74, v79
	v_pk_mul_f32 v[82:83], v[80:81], v[82:83]
	v_pk_fma_f32 v[80:81], v[152:153], v[78:79], v[74:75]
	s_nop 0
	v_mov_b32_dpp v74, v82 row_shr:1 row_mask:0xf bank_mask:0xf
	v_mov_b32_dpp v77, v81 row_shr:1 row_mask:0xf bank_mask:0xf
	v_mul_f32_e32 v152, v82, v74
	v_fma_f32 v77, v82, v77, v81
	v_cndmask_b32_e64 v80, v152, v82, s[4:5]
	v_cndmask_b32_e64 v83, v77, v81, s[4:5]
	;; [unrolled: 1-line block ×4, first 2 shown]
	v_mov_b32_dpp v81, v83 row_shr:2 row_mask:0xf bank_mask:0xf
	v_mov_b32_dpp v77, v82 row_shr:2 row_mask:0xf bank_mask:0xf
	s_and_saveexec_b64 s[0:1], s[6:7]
; %bb.64:                               ;   in Loop: Header=BB123_57 Depth=2
	v_fmac_f32_e32 v83, v82, v81
	v_mul_f32_e32 v82, v82, v77
	v_mov_b32_e32 v80, v82
	v_mov_b32_e32 v74, v83
; %bb.65:                               ;   in Loop: Header=BB123_57 Depth=2
	s_or_b64 exec, exec, s[0:1]
	v_mov_b32_dpp v77, v82 row_shr:4 row_mask:0xf bank_mask:0xf
	v_mov_b32_dpp v81, v83 row_shr:4 row_mask:0xf bank_mask:0xf
	s_and_saveexec_b64 s[0:1], s[10:11]
; %bb.66:                               ;   in Loop: Header=BB123_57 Depth=2
	v_fmac_f32_e32 v83, v82, v81
	v_mul_f32_e32 v82, v82, v77
	v_mov_b32_e32 v80, v82
	v_mov_b32_e32 v74, v83
; %bb.67:                               ;   in Loop: Header=BB123_57 Depth=2
	s_or_b64 exec, exec, s[0:1]
	;; [unrolled: 10-line block ×3, first 2 shown]
	v_mov_b32_dpp v77, v82 row_bcast:15 row_mask:0xf bank_mask:0xf
	v_mov_b32_dpp v81, v83 row_bcast:15 row_mask:0xf bank_mask:0xf
	s_and_saveexec_b64 s[0:1], s[92:93]
; %bb.70:                               ;   in Loop: Header=BB123_57 Depth=2
	v_fmac_f32_e32 v83, v82, v81
	v_mul_f32_e32 v82, v82, v77
	v_mov_b32_e32 v80, v82
	v_mov_b32_e32 v74, v83
; %bb.71:                               ;   in Loop: Header=BB123_57 Depth=2
	s_or_b64 exec, exec, s[0:1]
	v_mov_b32_dpp v81, v82 row_bcast:31 row_mask:0xf bank_mask:0xf
	v_mov_b32_dpp v77, v83 row_bcast:31 row_mask:0xf bank_mask:0xf
	s_and_saveexec_b64 s[0:1], s[70:71]
; %bb.72:                               ;   in Loop: Header=BB123_57 Depth=2
	v_fmac_f32_e32 v83, v82, v77
	v_mul_f32_e32 v80, v82, v81
	v_mov_b32_e32 v81, v83
	v_mov_b32_e32 v74, v83
	v_mov_b64_e32 v[82:83], v[80:81]
; %bb.73:                               ;   in Loop: Header=BB123_57 Depth=2
	s_or_b64 exec, exec, s[0:1]
	s_and_saveexec_b64 s[0:1], s[16:17]
	s_cbranch_execz .LBB123_75
; %bb.74:                               ;   in Loop: Header=BB123_57 Depth=2
	ds_write_b64 v90, v[82:83] offset:8448
.LBB123_75:                             ;   in Loop: Header=BB123_57 Depth=2
	s_or_b64 exec, exec, s[0:1]
	s_waitcnt lgkmcnt(0)
	s_barrier
	s_and_saveexec_b64 s[0:1], s[18:19]
	s_cbranch_execz .LBB123_77
; %bb.76:                               ;   in Loop: Header=BB123_57 Depth=2
	ds_read_b64 v[82:83], v91 offset:8448
	s_waitcnt lgkmcnt(0)
	s_nop 0
	v_mov_b32_dpp v77, v82 row_shr:1 row_mask:0xf bank_mask:0xf
	v_mov_b32_dpp v81, v83 row_shr:1 row_mask:0xf bank_mask:0xf
	v_fma_f32 v81, v82, v81, v83
	v_mul_f32_e32 v77, v82, v77
	v_cndmask_b32_e64 v82, v77, v82, s[20:21]
	v_cndmask_b32_e64 v83, v81, v83, s[20:21]
	ds_write_b64 v91, v[82:83] offset:8448
.LBB123_77:                             ;   in Loop: Header=BB123_57 Depth=2
	s_or_b64 exec, exec, s[0:1]
	s_waitcnt lgkmcnt(0)
	s_barrier
	s_waitcnt lgkmcnt(0)
                                        ; implicit-def: $vgpr82
	s_and_saveexec_b64 s[0:1], s[24:25]
	s_cbranch_execz .LBB123_79
; %bb.78:                               ;   in Loop: Header=BB123_57 Depth=2
	ds_read_b64 v[82:83], v90 offset:8440
	s_waitcnt lgkmcnt(0)
	v_mul_f32_e32 v77, v80, v82
	v_fmac_f32_e32 v74, v80, v83
	v_mov_b32_e32 v80, v77
.LBB123_79:                             ;   in Loop: Header=BB123_57 Depth=2
	s_or_b64 exec, exec, s[0:1]
	ds_bpermute_b32 v77, v92, v80
	ds_bpermute_b32 v74, v92, v74
	s_waitcnt vmcnt(0)
	v_mov_b32_e32 v81, v65
	s_and_saveexec_b64 s[0:1], s[22:23]
	s_cbranch_execz .LBB123_83
; %bb.80:                               ;   in Loop: Header=BB123_57 Depth=2
	ds_read_b64 v[80:81], v35 offset:8456
	s_and_saveexec_b64 vcc, s[26:27]
	s_cbranch_execz .LBB123_82
; %bb.81:                               ;   in Loop: Header=BB123_57 Depth=2
	ds_write_b64 v35, v[64:65] offset:8456
.LBB123_82:                             ;   in Loop: Header=BB123_57 Depth=2
	s_or_b64 exec, exec, vcc
	s_waitcnt lgkmcnt(0)
	v_fmac_f32_e32 v81, v65, v80
	v_mul_f32_e32 v64, v64, v80
	v_mov_b32_e32 v65, v81
.LBB123_83:                             ;   in Loop: Header=BB123_57 Depth=2
	s_or_b64 exec, exec, s[0:1]
	s_waitcnt lgkmcnt(0)
	s_barrier
	ds_read_b32 v80, v35 offset:8460
	s_and_saveexec_b64 s[0:1], s[26:27]
	s_cbranch_execz .LBB123_56
; %bb.84:                               ;   in Loop: Header=BB123_57 Depth=2
	v_mov_b32_e32 v152, s81
	s_andn2_b64 vcc, exec, s[98:99]
	ds_write_b64 v152, v[64:65]
	s_cbranch_vccnz .LBB123_56
; %bb.85:                               ;   in Loop: Header=BB123_57 Depth=2
	s_mov_b32 s95, s83
	s_lshl_b64 s[76:77], s[94:95], 2
	s_add_u32 s76, s69, s76
	s_addc_u32 s77, s64, s77
	global_store_dword v35, v81, s[76:77]
	s_branch .LBB123_56
.LBB123_86:
	s_endpgm
	.section	.rodata,"a",@progbits
	.p2align	6, 0x0
	.amdhsa_kernel _Z25selective_scan_fwd_kernelI32Selective_Scan_fwd_kernel_traitsILi128ELi16ELi1ELb1ELb1ELb1ELb0ELb0EN3c104HalfEffEEv13SSMParamsBase
		.amdhsa_group_segment_fixed_size 0
		.amdhsa_private_segment_fixed_size 0
		.amdhsa_kernarg_size 248
		.amdhsa_user_sgpr_count 2
		.amdhsa_user_sgpr_dispatch_ptr 0
		.amdhsa_user_sgpr_queue_ptr 0
		.amdhsa_user_sgpr_kernarg_segment_ptr 1
		.amdhsa_user_sgpr_dispatch_id 0
		.amdhsa_user_sgpr_kernarg_preload_length 0
		.amdhsa_user_sgpr_kernarg_preload_offset 0
		.amdhsa_user_sgpr_private_segment_size 0
		.amdhsa_uses_dynamic_stack 0
		.amdhsa_enable_private_segment 0
		.amdhsa_system_sgpr_workgroup_id_x 1
		.amdhsa_system_sgpr_workgroup_id_y 1
		.amdhsa_system_sgpr_workgroup_id_z 0
		.amdhsa_system_sgpr_workgroup_info 0
		.amdhsa_system_vgpr_workitem_id 0
		.amdhsa_next_free_vgpr 155
		.amdhsa_next_free_sgpr 100
		.amdhsa_accum_offset 156
		.amdhsa_reserve_vcc 1
		.amdhsa_float_round_mode_32 0
		.amdhsa_float_round_mode_16_64 0
		.amdhsa_float_denorm_mode_32 3
		.amdhsa_float_denorm_mode_16_64 3
		.amdhsa_dx10_clamp 1
		.amdhsa_ieee_mode 1
		.amdhsa_fp16_overflow 0
		.amdhsa_tg_split 0
		.amdhsa_exception_fp_ieee_invalid_op 0
		.amdhsa_exception_fp_denorm_src 0
		.amdhsa_exception_fp_ieee_div_zero 0
		.amdhsa_exception_fp_ieee_overflow 0
		.amdhsa_exception_fp_ieee_underflow 0
		.amdhsa_exception_fp_ieee_inexact 0
		.amdhsa_exception_int_div_zero 0
	.end_amdhsa_kernel
	.section	.text._Z25selective_scan_fwd_kernelI32Selective_Scan_fwd_kernel_traitsILi128ELi16ELi1ELb1ELb1ELb1ELb0ELb0EN3c104HalfEffEEv13SSMParamsBase,"axG",@progbits,_Z25selective_scan_fwd_kernelI32Selective_Scan_fwd_kernel_traitsILi128ELi16ELi1ELb1ELb1ELb1ELb0ELb0EN3c104HalfEffEEv13SSMParamsBase,comdat
.Lfunc_end123:
	.size	_Z25selective_scan_fwd_kernelI32Selective_Scan_fwd_kernel_traitsILi128ELi16ELi1ELb1ELb1ELb1ELb0ELb0EN3c104HalfEffEEv13SSMParamsBase, .Lfunc_end123-_Z25selective_scan_fwd_kernelI32Selective_Scan_fwd_kernel_traitsILi128ELi16ELi1ELb1ELb1ELb1ELb0ELb0EN3c104HalfEffEEv13SSMParamsBase
                                        ; -- End function
	.section	.AMDGPU.csdata,"",@progbits
; Kernel info:
; codeLenInByte = 16868
; NumSgprs: 106
; NumVgprs: 155
; NumAgprs: 0
; TotalNumVgprs: 155
; ScratchSize: 0
; MemoryBound: 1
; FloatMode: 240
; IeeeMode: 1
; LDSByteSize: 0 bytes/workgroup (compile time only)
; SGPRBlocks: 13
; VGPRBlocks: 19
; NumSGPRsForWavesPerEU: 106
; NumVGPRsForWavesPerEU: 155
; AccumOffset: 156
; Occupancy: 3
; WaveLimiterHint : 1
; COMPUTE_PGM_RSRC2:SCRATCH_EN: 0
; COMPUTE_PGM_RSRC2:USER_SGPR: 2
; COMPUTE_PGM_RSRC2:TRAP_HANDLER: 0
; COMPUTE_PGM_RSRC2:TGID_X_EN: 1
; COMPUTE_PGM_RSRC2:TGID_Y_EN: 1
; COMPUTE_PGM_RSRC2:TGID_Z_EN: 0
; COMPUTE_PGM_RSRC2:TIDIG_COMP_CNT: 0
; COMPUTE_PGM_RSRC3_GFX90A:ACCUM_OFFSET: 38
; COMPUTE_PGM_RSRC3_GFX90A:TG_SPLIT: 0
	.section	.text._Z25selective_scan_fwd_kernelI32Selective_Scan_fwd_kernel_traitsILi128ELi16ELi1ELb0ELb1ELb1ELb1ELb1EN3c104HalfEffEEv13SSMParamsBase,"axG",@progbits,_Z25selective_scan_fwd_kernelI32Selective_Scan_fwd_kernel_traitsILi128ELi16ELi1ELb0ELb1ELb1ELb1ELb1EN3c104HalfEffEEv13SSMParamsBase,comdat
	.protected	_Z25selective_scan_fwd_kernelI32Selective_Scan_fwd_kernel_traitsILi128ELi16ELi1ELb0ELb1ELb1ELb1ELb1EN3c104HalfEffEEv13SSMParamsBase ; -- Begin function _Z25selective_scan_fwd_kernelI32Selective_Scan_fwd_kernel_traitsILi128ELi16ELi1ELb0ELb1ELb1ELb1ELb1EN3c104HalfEffEEv13SSMParamsBase
	.globl	_Z25selective_scan_fwd_kernelI32Selective_Scan_fwd_kernel_traitsILi128ELi16ELi1ELb0ELb1ELb1ELb1ELb1EN3c104HalfEffEEv13SSMParamsBase
	.p2align	8
	.type	_Z25selective_scan_fwd_kernelI32Selective_Scan_fwd_kernel_traitsILi128ELi16ELi1ELb0ELb1ELb1ELb1ELb1EN3c104HalfEffEEv13SSMParamsBase,@function
_Z25selective_scan_fwd_kernelI32Selective_Scan_fwd_kernel_traitsILi128ELi16ELi1ELb0ELb1ELb1ELb1ELb1EN3c104HalfEffEEv13SSMParamsBase: ; @_Z25selective_scan_fwd_kernelI32Selective_Scan_fwd_kernel_traitsILi128ELi16ELi1ELb0ELb1ELb1ELb1ELb1EN3c104HalfEffEEv13SSMParamsBase
; %bb.0:
	s_load_dword s15, s[0:1], 0x18
	s_load_dwordx4 s[4:7], s[0:1], 0xe8
	s_load_dwordx8 s[20:27], s[0:1], 0xc8
	s_mov_b32 s8, s3
	s_ashr_i32 s3, s2, 31
	s_lshl_b64 s[12:13], s[2:3], 2
	s_waitcnt lgkmcnt(0)
	s_abs_i32 s14, s15
	v_cvt_f32_u32_e32 v1, s14
	s_add_u32 s10, s26, s12
	s_addc_u32 s11, s27, s13
	s_cmp_eq_u64 s[6:7], 0
	v_rcp_iflag_f32_e32 v1, v1
                                        ; implicit-def: $vgpr166 : SGPR spill to VGPR lane
	s_nop 0
	v_mul_f32_e32 v1, 0x4f7ffffe, v1
	v_cvt_u32_f32_e32 v1, v1
	s_nop 0
	v_readfirstlane_b32 s16, v1
	s_cbranch_scc1 .LBB124_2
; %bb.1:
	s_add_u32 s6, s6, s2
	s_addc_u32 s7, s7, s3
	v_mov_b32_e32 v1, 0
	global_load_ubyte v1, v1, s[6:7]
	s_waitcnt vmcnt(0)
	v_and_b32_e32 v1, 1, v1
	v_cmp_eq_u32_e64 s[6:7], 1, v1
	s_branch .LBB124_3
.LBB124_2:
	s_mov_b64 s[6:7], 0
.LBB124_3:
	s_nop 0
	v_writelane_b32 v166, s6, 0
	s_cmp_eq_u64 s[4:5], 0
	s_nop 0
	v_writelane_b32 v166, s7, 1
	s_load_dwordx2 s[6:7], s[0:1], 0x20
	s_cbranch_scc1 .LBB124_5
; %bb.4:
	s_add_u32 s2, s4, s12
	s_addc_u32 s3, s5, s13
	s_load_dword s2, s[2:3], 0x0
	s_waitcnt lgkmcnt(0)
	s_ashr_i32 s3, s2, 31
.LBB124_5:
	s_waitcnt lgkmcnt(0)
	s_cmp_eq_u64 s[6:7], s[2:3]
	s_cbranch_scc1 .LBB124_302
; %bb.6:
	s_load_dwordx16 s[36:51], s[0:1], 0x88
	s_load_dwordx2 s[4:5], s[10:11], 0x0
	s_mov_b32 s3, 0
	v_writelane_b32 v166, s3, 2
	v_writelane_b32 v166, s3, 3
	s_waitcnt lgkmcnt(0)
	s_cmp_eq_u64 s[42:43], 0
	s_cbranch_scc1 .LBB124_8
; %bb.7:
	s_ashr_i32 s9, s8, 31
	s_lshl_b64 s[6:7], s[8:9], 2
	s_add_u32 s6, s42, s6
	s_addc_u32 s7, s43, s7
	s_load_dword s3, s[6:7], 0x0
	s_waitcnt lgkmcnt(0)
	v_writelane_b32 v166, s3, 3
.LBB124_8:
	s_cmp_eq_u64 s[48:49], 0
	s_cbranch_scc1 .LBB124_10
; %bb.9:
	s_ashr_i32 s9, s8, 31
	s_lshl_b64 s[6:7], s[8:9], 2
	s_add_u32 s6, s48, s6
	s_addc_u32 s7, s49, s7
	s_load_dword s3, s[6:7], 0x0
	s_waitcnt lgkmcnt(0)
	v_writelane_b32 v166, s3, 2
.LBB124_10:
	s_sub_i32 s17, s5, s4
	s_cmp_lt_i32 s17, 1
	s_cbranch_scc1 .LBB124_302
; %bb.11:
	s_sub_i32 s3, 0, s14
	s_mul_i32 s3, s3, s16
	s_mul_hi_u32 s3, s16, s3
	s_add_i32 s16, s16, s3
	s_load_dword s3, s[0:1], 0x84
	s_abs_i32 s5, s8
	s_load_dwordx8 s[52:59], s[0:1], 0x2c
	s_load_dwordx2 s[10:11], s[0:1], 0x7c
	s_load_dwordx4 s[28:31], s[0:1], 0x6c
	s_load_dwordx8 s[60:67], s[0:1], 0x4c
	s_load_dword s13, s[0:1], 0xc
	s_load_dword s9, s[0:1], 0x28
	s_ashr_i32 s0, s8, 31
	s_waitcnt lgkmcnt(0)
	v_writelane_b32 v166, s3, 4
	s_mul_hi_u32 s3, s5, s16
	s_ashr_i32 s1, s15, 31
	s_xor_b32 s0, s0, s1
	s_mul_i32 s1, s3, s14
	s_sub_i32 s1, s5, s1
	s_add_i32 s5, s3, 1
	s_sub_i32 s6, s1, s14
	s_cmp_ge_u32 s1, s14
	s_cselect_b32 s3, s5, s3
	s_cselect_b32 s1, s6, s1
	s_add_i32 s5, s3, 1
	s_cmp_ge_u32 s1, s14
	s_cselect_b32 s1, s5, s3
	s_xor_b32 s1, s1, s0
	s_mul_i32 s6, s4, s62
	s_mov_b32 s7, 0
	s_sub_i32 s3, s1, s0
	s_lshl_b64 s[0:1], s[6:7], 1
	s_add_u32 s5, s44, s0
	s_mul_i32 s6, s63, s8
	s_addc_u32 s12, s45, s1
	s_lshl_b64 s[0:1], s[6:7], 1
	s_add_u32 s14, s5, s0
	s_mul_i32 s6, s4, s64
	s_addc_u32 s15, s12, s1
	;; [unrolled: 4-line block ×3, first 2 shown]
	s_lshl_b64 s[0:1], s[6:7], 1
	s_add_u32 s0, s5, s0
	s_addc_u32 s1, s12, s1
	v_writelane_b32 v166, s0, 5
	s_mul_i32 s6, s52, s8
	v_mbcnt_lo_u32_b32 v1, -1, 0
	v_writelane_b32 v166, s1, 6
	s_lshl_b64 s[0:1], s[6:7], 2
	s_add_u32 s0, s36, s0
	v_writelane_b32 v166, s0, 7
	s_addc_u32 s0, s37, s1
	s_mul_i32 s6, s4, s54
	v_writelane_b32 v166, s0, 8
	s_lshl_b64 s[0:1], s[6:7], 1
	s_add_u32 s5, s38, s0
	s_mul_i32 s6, s3, s57
	s_addc_u32 s12, s39, s1
	s_lshl_b64 s[0:1], s[6:7], 1
	s_add_u32 s0, s5, s0
	s_addc_u32 s1, s12, s1
	v_writelane_b32 v166, s0, 9
	v_lshlrev_b32_e32 v19, 4, v0
	v_mbcnt_hi_u32_b32 v18, -1, v1
	v_writelane_b32 v166, s1, 10
	v_writelane_b32 v166, s52, 11
	v_and_b32_e32 v2, 0x400, v19
	v_or_b32_e32 v72, v18, v2
	v_writelane_b32 v166, s53, 12
	v_writelane_b32 v166, s54, 13
	s_mul_i32 s6, s4, s58
	v_lshrrev_b32_e32 v1, 5, v72
	v_writelane_b32 v166, s55, 14
	s_lshl_b64 s[0:1], s[6:7], 1
	v_and_b32_e32 v1, 34, v1
	v_writelane_b32 v166, s56, 15
	s_add_u32 s5, s40, s0
	s_mul_i32 s6, s3, s61
	v_add_u32_e32 v3, 64, v72
	v_or_b32_e32 v4, 0x80, v72
	v_add_u32_e32 v5, 0xc0, v72
	v_add_u32_e32 v1, v1, v72
	v_writelane_b32 v166, s57, 16
	s_addc_u32 s12, s41, s1
	s_lshl_b64 s[0:1], s[6:7], 1
	v_lshl_add_u32 v88, v1, 1, 0
	v_lshrrev_b32_e32 v1, 5, v3
	v_lshrrev_b32_e32 v3, 5, v4
	;; [unrolled: 1-line block ×3, first 2 shown]
	v_writelane_b32 v166, s58, 17
	s_add_u32 s0, s5, s0
	v_or_b32_e32 v75, 0x100, v72
	v_and_b32_e32 v4, 46, v4
	v_writelane_b32 v166, s59, 18
	s_addc_u32 s1, s12, s1
	v_add_lshl_u32 v8, v4, v72, 1
	v_lshrrev_b32_e32 v4, 5, v75
	v_writelane_b32 v166, s0, 19
	s_mul_i32 s6, s2, s10
	v_add_u32_e32 v6, 0x140, v72
	v_and_b32_e32 v4, 42, v4
	v_writelane_b32 v166, s1, 20
	s_lshl_b64 s[0:1], s[6:7], 2
	v_add_lshl_u32 v9, v4, v72, 1
	v_lshrrev_b32_e32 v4, 5, v6
	s_add_u32 s2, s20, s0
	s_mul_i32 s6, s11, s8
	v_or_b32_e32 v78, 0x180, v72
	v_and_b32_e32 v4, 46, v4
	s_addc_u32 s3, s21, s1
	s_lshl_b64 s[0:1], s[6:7], 2
	v_add_lshl_u32 v10, v4, v72, 1
	v_lshrrev_b32_e32 v4, 5, v78
	s_add_u32 s0, s2, s0
	v_add_u32_e32 v79, 0x1c0, v72
	v_and_b32_e32 v4, 46, v4
	v_writelane_b32 v166, s0, 21
	s_addc_u32 s0, s3, s1
	v_add_lshl_u32 v11, v4, v72, 1
	v_lshrrev_b32_e32 v4, 5, v79
	v_writelane_b32 v166, s0, 22
	s_add_i32 s0, s17, 0x7ff
	v_or_b32_e32 v80, 0x200, v72
	v_and_b32_e32 v4, 62, v4
	s_lshr_b32 s0, s0, 11
	v_add_lshl_u32 v12, v4, v72, 1
	v_lshrrev_b32_e32 v4, 5, v80
	v_add_u32_e32 v81, 0x240, v72
	v_and_b32_e32 v4, 50, v4
	s_bitcmp1_b32 s9, 0
	v_add_lshl_u32 v13, v4, v72, 1
	v_lshrrev_b32_e32 v4, 5, v81
	s_cselect_b64 s[2:3], -1, 0
	v_or_b32_e32 v82, 0x280, v72
	v_and_b32_e32 v4, 54, v4
	v_writelane_b32 v166, s2, 23
	v_add_lshl_u32 v14, v4, v72, 1
	v_lshrrev_b32_e32 v4, 5, v82
	v_writelane_b32 v166, s3, 24
	s_cmp_gt_i32 s13, 0
	v_add_u32_e32 v83, 0x2c0, v72
	v_and_b32_e32 v4, 54, v4
	v_writelane_b32 v166, s13, 25
	s_cselect_b64 s[2:3], -1, 0
	v_add_lshl_u32 v15, v4, v72, 1
	v_lshrrev_b32_e32 v4, 5, v83
	v_writelane_b32 v166, s2, 26
	v_or_b32_e32 v84, 0x300, v72
	v_and_b32_e32 v4, 62, v4
	v_writelane_b32 v166, s3, 27
	v_add_lshl_u32 v26, v4, v72, 1
	v_lshrrev_b32_e32 v4, 5, v84
	v_writelane_b32 v166, s17, 28
	v_add_u32_e32 v85, 0x340, v72
	v_and_b32_e32 v4, 58, v4
	v_writelane_b32 v166, s0, 29
	s_add_i32 s0, s0, -1
	s_mul_i32 s6, s4, s28
	v_add_lshl_u32 v27, v4, v72, 1
	v_lshrrev_b32_e32 v4, 5, v85
	s_add_i32 s9, 0, 0x1080
	s_and_b32 s10, s17, 0x7ff
	v_writelane_b32 v166, s0, 30
	s_lshl_b64 s[0:1], s[6:7], 1
	v_or_b32_e32 v86, 0x380, v72
	v_and_b32_e32 v4, 62, v4
	s_add_u32 s2, s50, s0
	s_mul_i32 s6, s29, s8
	v_add_lshl_u32 v28, v4, v72, 1
	v_lshrrev_b32_e32 v4, 5, v86
	s_addc_u32 s3, s51, s1
	s_lshl_b64 s[0:1], s[6:7], 1
	s_mul_i32 s6, s4, s66
	v_writelane_b32 v166, s60, 31
	v_and_b32_e32 v4, 62, v4
	v_add_lshl_u32 v29, v4, v72, 1
	v_writelane_b32 v166, s61, 32
	v_and_b32_e32 v4, 64, v0
	v_writelane_b32 v166, s62, 33
	v_add_u16_e32 v6, v18, v4
	s_add_u32 s2, s2, s0
	v_writelane_b32 v166, s63, 34
	v_lshrrev_b16_e32 v6, 1, v6
	s_addc_u32 s3, s3, s1
	s_lshl_b64 s[0:1], s[6:7], 1
	v_writelane_b32 v166, s64, 35
	v_add_lshl_u32 v5, v18, v4, 4
	v_and_b32_e32 v6, 0x7e, v6
	s_add_u32 s5, s22, s0
	v_writelane_b32 v166, s65, 36
	s_mul_i32 s6, s67, s8
	v_add_lshl_u32 v30, v6, v5, 1
	s_addc_u32 s11, s23, s1
	v_writelane_b32 v166, s66, 37
	s_lshl_b64 s[0:1], s[6:7], 1
	v_and_b32_e32 v5, 15, v18
	v_writelane_b32 v166, s67, 38
	s_add_u32 s12, s5, s0
	s_mul_i32 s6, s4, s30
	v_cmp_lt_u32_e64 s[16:17], 1, v5
	s_addc_u32 s13, s11, s1
	s_lshl_b64 s[0:1], s[6:7], 1
	v_writelane_b32 v166, s16, 39
	s_add_u32 s4, s24, s0
	s_mul_i32 s6, s31, s8
	v_writelane_b32 v166, s17, 40
	v_cmp_lt_u32_e64 s[16:17], 3, v5
	s_addc_u32 s5, s25, s1
	s_lshl_b64 s[0:1], s[6:7], 1
	v_writelane_b32 v166, s16, 41
	s_add_u32 s4, s4, s0
	s_addc_u32 s5, s5, s1
	v_writelane_b32 v166, s17, 42
	v_cmp_lt_u32_e64 s[16:17], 7, v5
	v_cmp_eq_u32_e64 s[0:1], 0, v5
	v_and_b32_e32 v5, 16, v18
	v_writelane_b32 v166, s16, 43
	v_or_b32_e32 v4, 63, v4
	v_mov_b32_e32 v17, 0
	v_writelane_b32 v166, s17, 44
	v_cmp_ne_u32_e64 s[16:17], 0, v5
	v_lshlrev_b32_e32 v16, 1, v18
	s_cmp_eq_u32 s10, 0
	v_writelane_b32 v166, s16, 45
	v_lshlrev_b32_e32 v6, 1, v2
	v_mov_b32_e32 v7, v17
	v_writelane_b32 v166, s17, 46
	v_cmp_eq_u32_e64 s[16:17], v4, v0
	v_and_b32_e32 v4, 1, v18
	v_add_u32_e32 v87, 0x3c0, v72
	v_writelane_b32 v166, s16, 47
	v_and_b32_e32 v1, 38, v1
	v_add_lshl_u32 v1, v1, v72, 1
	v_writelane_b32 v166, s17, 48
	v_cmp_eq_u32_e64 s[16:17], 0, v4
	v_lshl_add_u64 v[4:5], s[2:3], 0, v[16:17]
	s_cselect_b64 s[2:3], -1, 0
	v_writelane_b32 v166, s16, 49
	v_lshl_add_u64 v[20:21], v[4:5], 0, v[6:7]
	v_lshl_add_u64 v[4:5], s[12:13], 0, v[16:17]
	v_writelane_b32 v166, s17, 50
	v_writelane_b32 v166, s2, 51
	v_lshl_add_u64 v[22:23], v[4:5], 0, v[6:7]
	v_lshl_add_u64 v[4:5], s[4:5], 0, v[16:17]
	v_writelane_b32 v166, s3, 52
	v_cmp_lt_u32_e64 s[2:3], 31, v18
	v_lshl_add_u64 v[24:25], v[4:5], 0, v[6:7]
	v_add_u32_e32 v4, -1, v18
	v_writelane_b32 v166, s2, 53
	v_and_b32_e32 v5, 64, v18
	v_lshrrev_b32_e32 v6, 5, v87
	v_writelane_b32 v166, s3, 54
	v_cmp_gt_u32_e64 s[2:3], 2, v0
	v_add_u32_e32 v89, 0, v1
	v_and_b32_e32 v3, 38, v3
	v_writelane_b32 v166, s2, 55
	v_and_b32_e32 v6, 0x7e, v6
	v_add_u32_e32 v101, s9, v1
	v_writelane_b32 v166, s3, 56
	v_cmp_gt_u32_e64 s[2:3], 64, v0
	v_lshrrev_b32_e32 v1, 3, v0
	v_cmp_lt_i32_e32 vcc, v4, v5
	v_writelane_b32 v166, s2, 57
	v_add_lshl_u32 v3, v3, v72, 1
	v_add_lshl_u32 v6, v6, v72, 1
	v_and_b32_e32 v1, 8, v1
	v_writelane_b32 v166, s3, 58
	v_cmp_lt_u32_e64 s[20:21], 63, v0
	v_cmp_eq_u32_e64 s[22:23], 0, v0
	v_lshl_add_u32 v122, v0, 3, 0
	v_cndmask_b32_e32 v0, v4, v18, vcc
	s_add_i32 s2, 0, 0x2110
	v_add_u32_e32 v90, 0, v3
	v_add_u32_e32 v91, 0, v8
	v_add_u32_e32 v92, 0, v9
	v_add_u32_e32 v93, 0, v10
	v_add_u32_e32 v94, 0, v11
	v_add_u32_e32 v95, 0, v12
	v_add_u32_e32 v96, 0, v13
	v_add_u32_e32 v97, 0, v14
	v_add_u32_e32 v98, 0, v15
	v_add_u32_e32 v99, 0, v26
	v_add_u32_e32 v100, 0, v27
	v_add_u32_e32 v102, s9, v3
	v_add_u32_e32 v103, s9, v8
	v_add_u32_e32 v104, s9, v9
	v_add_u32_e32 v105, s9, v10
	v_add_u32_e32 v106, s9, v11
	v_add_u32_e32 v107, s9, v12
	v_add_u32_e32 v108, s9, v13
	v_add_u32_e32 v109, s9, v14
	v_add_u32_e32 v110, s9, v15
	v_add_u32_e32 v111, s9, v26
	v_add_u32_e32 v112, s9, v27
	v_add_u32_e32 v113, 0, v28
	v_add_u32_e32 v114, s9, v28
	v_add_u32_e32 v115, 0, v29
	v_add_u32_e32 v116, s9, v29
	v_add_u32_e32 v117, 0, v6
	v_add_u32_e32 v118, s9, v6
	v_add_u32_e32 v119, 0, v30
	v_add_u32_e32 v120, s9, v30
	v_add_u32_e32 v121, 0, v1
	v_lshlrev_b32_e32 v123, 2, v0
	v_cmp_eq_u32_e64 s[24:25], 0, v18
	v_lshlrev_b32_e32 v26, 1, v2
	s_mov_b32 s6, 0x41a00000
	s_mov_b32 s8, 0x3fb8aa3b
	;; [unrolled: 1-line block ×8, first 2 shown]
	v_writelane_b32 v166, s2, 59
	s_mov_b32 s33, 0xc2fc0000
	s_mov_b32 s3, 0
	v_mov_b32_e32 v139, 0x3ecc95a3
	v_mov_b32_e32 v140, 0x7f800000
	;; [unrolled: 1-line block ×5, first 2 shown]
                                        ; implicit-def: $vgpr0
	s_branch .LBB124_13
.LBB124_12:                             ;   in Loop: Header=BB124_13 Depth=1
	s_or_b64 exec, exec, s[2:3]
	v_readlane_b32 s2, v166, 5
	v_readlane_b32 s3, v166, 6
	s_add_u32 s2, s2, 0x1000
	s_addc_u32 s3, s3, 0
	v_writelane_b32 v166, s2, 5
	s_nop 1
	v_writelane_b32 v166, s3, 6
	s_nop 0
	v_readlane_b32 s14, v166, 63
	v_readlane_b32 s15, v167, 0
	s_add_u32 s14, s14, 0x1000
	s_addc_u32 s15, s15, 0
	v_readlane_b32 s2, v166, 9
	v_readlane_b32 s3, v166, 10
	s_add_u32 s2, s2, 0x1000
	s_addc_u32 s3, s3, 0
	v_writelane_b32 v166, s2, 9
	s_nop 1
	v_writelane_b32 v166, s3, 10
	s_nop 0
	v_readlane_b32 s2, v166, 19
	v_readlane_b32 s3, v166, 20
	s_add_u32 s2, s2, 0x1000
	s_addc_u32 s3, s3, 0
	v_writelane_b32 v166, s2, 19
	s_nop 1
	v_writelane_b32 v166, s3, 20
	s_nop 0
	v_readlane_b32 s3, v166, 60
	s_add_i32 s3, s3, 1
	v_readlane_b32 s2, v166, 29
	s_cmp_lg_u32 s3, s2
	s_cbranch_scc0 .LBB124_302
.LBB124_13:                             ; =>This Loop Header: Depth=1
                                        ;     Child Loop BB124_110 Depth 2
	s_lshl_b32 s18, s3, 11
	v_writelane_b32 v166, s3, 60
	s_mov_b32 s4, s18
	v_readlane_b32 s2, v166, 28
	v_writelane_b32 v166, s4, 61
	s_waitcnt lgkmcnt(14)
	v_lshlrev_b32_e32 v16, 1, v18
	s_sub_i32 s88, s2, s18
	v_writelane_b32 v166, s5, 62
                                        ; implicit-def: $vgpr167 : SGPR spill to VGPR lane
	v_writelane_b32 v166, s14, 63
	v_mov_b32_e32 v27, v17
	v_cmp_gt_u32_e64 s[26:27], s88, v72
	v_lshl_add_u64 v[0:1], s[14:15], 0, v[16:17]
	v_writelane_b32 v167, s15, 0
	v_lshl_add_u64 v[0:1], v[0:1], 0, v[26:27]
	s_waitcnt lgkmcnt(0)
	v_mov_b32_e32 v2, 0
	s_barrier
	s_and_saveexec_b64 s[2:3], s[26:27]
	s_cbranch_execz .LBB124_15
; %bb.14:                               ;   in Loop: Header=BB124_13 Depth=1
	global_load_ushort v2, v[0:1], off
.LBB124_15:                             ;   in Loop: Header=BB124_13 Depth=1
	s_or_b64 exec, exec, s[2:3]
	v_add_u32_e32 v3, 64, v72
	v_cmp_gt_u32_e64 s[28:29], s88, v3
	v_mov_b32_e32 v3, 0
	v_mov_b32_e32 v4, 0
	s_and_saveexec_b64 s[2:3], s[28:29]
	s_cbranch_execz .LBB124_17
; %bb.16:                               ;   in Loop: Header=BB124_13 Depth=1
	global_load_ushort v4, v[0:1], off offset:128
.LBB124_17:                             ;   in Loop: Header=BB124_13 Depth=1
	s_or_b64 exec, exec, s[2:3]
	v_or_b32_e32 v5, 0x80, v72
	v_cmp_gt_u32_e64 s[30:31], s88, v5
	s_and_saveexec_b64 s[2:3], s[30:31]
	s_cbranch_execz .LBB124_19
; %bb.18:                               ;   in Loop: Header=BB124_13 Depth=1
	global_load_ushort v3, v[0:1], off offset:256
.LBB124_19:                             ;   in Loop: Header=BB124_13 Depth=1
	s_or_b64 exec, exec, s[2:3]
	v_add_u32_e32 v5, 0xc0, v72
	v_cmp_gt_u32_e64 s[34:35], s88, v5
	v_mov_b32_e32 v5, 0
	v_mov_b32_e32 v6, 0
	s_and_saveexec_b64 s[2:3], s[34:35]
	s_cbranch_execz .LBB124_21
; %bb.20:                               ;   in Loop: Header=BB124_13 Depth=1
	global_load_ushort v6, v[0:1], off offset:384
.LBB124_21:                             ;   in Loop: Header=BB124_13 Depth=1
	s_or_b64 exec, exec, s[2:3]
	v_cmp_gt_u32_e64 s[36:37], s88, v75
	s_and_saveexec_b64 s[2:3], s[36:37]
	s_cbranch_execz .LBB124_23
; %bb.22:                               ;   in Loop: Header=BB124_13 Depth=1
	global_load_ushort v5, v[0:1], off offset:512
.LBB124_23:                             ;   in Loop: Header=BB124_13 Depth=1
	s_or_b64 exec, exec, s[2:3]
	v_add_u32_e32 v7, 0x140, v72
	v_cmp_gt_u32_e64 s[38:39], s88, v7
	v_mov_b32_e32 v7, 0
	v_mov_b32_e32 v8, 0
	s_and_saveexec_b64 s[2:3], s[38:39]
	s_cbranch_execz .LBB124_25
; %bb.24:                               ;   in Loop: Header=BB124_13 Depth=1
	global_load_ushort v8, v[0:1], off offset:640
.LBB124_25:                             ;   in Loop: Header=BB124_13 Depth=1
	s_or_b64 exec, exec, s[2:3]
	v_cmp_gt_u32_e64 s[40:41], s88, v78
	s_and_saveexec_b64 s[2:3], s[40:41]
	s_cbranch_execz .LBB124_27
; %bb.26:                               ;   in Loop: Header=BB124_13 Depth=1
	global_load_ushort v7, v[0:1], off offset:768
.LBB124_27:                             ;   in Loop: Header=BB124_13 Depth=1
	s_or_b64 exec, exec, s[2:3]
	v_cmp_gt_u32_e64 s[42:43], s88, v79
	v_mov_b32_e32 v9, 0
	v_mov_b32_e32 v11, 0
	s_and_saveexec_b64 s[2:3], s[42:43]
	s_cbranch_execz .LBB124_29
; %bb.28:                               ;   in Loop: Header=BB124_13 Depth=1
	global_load_ushort v11, v[0:1], off offset:896
.LBB124_29:                             ;   in Loop: Header=BB124_13 Depth=1
	s_or_b64 exec, exec, s[2:3]
	v_cmp_gt_u32_e64 s[44:45], s88, v80
	s_and_saveexec_b64 s[2:3], s[44:45]
	s_cbranch_execz .LBB124_31
; %bb.30:                               ;   in Loop: Header=BB124_13 Depth=1
	global_load_ushort v9, v[0:1], off offset:1024
.LBB124_31:                             ;   in Loop: Header=BB124_13 Depth=1
	s_or_b64 exec, exec, s[2:3]
	;; [unrolled: 16-line block ×5, first 2 shown]
	v_cmp_gt_u32_e64 s[58:59], s88, v87
	v_mov_b32_e32 v10, 0
	v_mov_b32_e32 v30, 0
	s_and_saveexec_b64 s[2:3], s[58:59]
	s_cbranch_execz .LBB124_45
; %bb.44:                               ;   in Loop: Header=BB124_13 Depth=1
	global_load_ushort v30, v[0:1], off offset:1920
.LBB124_45:                             ;   in Loop: Header=BB124_13 Depth=1
	s_or_b64 exec, exec, s[2:3]
	s_waitcnt vmcnt(0)
	ds_write_b16 v88, v2
	ds_write_b16 v89, v4 offset:128
	ds_write_b16 v90, v3 offset:256
	;; [unrolled: 1-line block ×15, first 2 shown]
	; wave barrier
	ds_read_b128 v[0:3], v119
	ds_read_b128 v[4:7], v119 offset:16
	v_readlane_b32 s2, v166, 5
	v_readlane_b32 s3, v166, 6
	v_mov_b32_e32 v27, v17
	s_waitcnt lgkmcnt(0)
	v_lshl_add_u64 v[8:9], s[2:3], 0, v[16:17]
	v_lshl_add_u64 v[8:9], v[8:9], 0, v[26:27]
	s_barrier
	s_and_saveexec_b64 s[2:3], s[26:27]
	s_cbranch_execz .LBB124_47
; %bb.46:                               ;   in Loop: Header=BB124_13 Depth=1
	global_load_ushort v10, v[8:9], off
.LBB124_47:                             ;   in Loop: Header=BB124_13 Depth=1
	s_or_b64 exec, exec, s[2:3]
	v_mov_b32_e32 v11, 0
	v_mov_b32_e32 v12, 0
	s_and_saveexec_b64 s[2:3], s[28:29]
	s_cbranch_execz .LBB124_49
; %bb.48:                               ;   in Loop: Header=BB124_13 Depth=1
	global_load_ushort v12, v[8:9], off offset:128
.LBB124_49:                             ;   in Loop: Header=BB124_13 Depth=1
	s_or_b64 exec, exec, s[2:3]
	s_and_saveexec_b64 s[2:3], s[30:31]
	s_cbranch_execz .LBB124_51
; %bb.50:                               ;   in Loop: Header=BB124_13 Depth=1
	global_load_ushort v11, v[8:9], off offset:256
.LBB124_51:                             ;   in Loop: Header=BB124_13 Depth=1
	s_or_b64 exec, exec, s[2:3]
	v_mov_b32_e32 v13, 0
	v_mov_b32_e32 v14, 0
	s_and_saveexec_b64 s[2:3], s[34:35]
	s_cbranch_execz .LBB124_53
; %bb.52:                               ;   in Loop: Header=BB124_13 Depth=1
	global_load_ushort v14, v[8:9], off offset:384
.LBB124_53:                             ;   in Loop: Header=BB124_13 Depth=1
	s_or_b64 exec, exec, s[2:3]
	s_and_saveexec_b64 s[2:3], s[36:37]
	s_cbranch_execz .LBB124_55
; %bb.54:                               ;   in Loop: Header=BB124_13 Depth=1
	global_load_ushort v13, v[8:9], off offset:512
.LBB124_55:                             ;   in Loop: Header=BB124_13 Depth=1
	;; [unrolled: 14-line block ×6, first 2 shown]
	s_or_b64 exec, exec, s[2:3]
	v_mov_b32_e32 v35, 0
	v_mov_b32_e32 v36, 0
	s_and_saveexec_b64 s[2:3], s[54:55]
	s_cbranch_execnz .LBB124_269
; %bb.72:                               ;   in Loop: Header=BB124_13 Depth=1
	s_or_b64 exec, exec, s[2:3]
	s_and_saveexec_b64 s[2:3], s[56:57]
	s_cbranch_execnz .LBB124_270
.LBB124_73:                             ;   in Loop: Header=BB124_13 Depth=1
	s_or_b64 exec, exec, s[2:3]
	v_mov_b32_e32 v37, 0
	s_and_saveexec_b64 s[2:3], s[58:59]
	s_cbranch_execz .LBB124_75
.LBB124_74:                             ;   in Loop: Header=BB124_13 Depth=1
	global_load_ushort v37, v[8:9], off offset:1920
.LBB124_75:                             ;   in Loop: Header=BB124_13 Depth=1
	s_or_b64 exec, exec, s[2:3]
	s_waitcnt vmcnt(0)
	ds_write_b16 v88, v10
	ds_write_b16 v89, v12 offset:128
	ds_write_b16 v90, v11 offset:256
	;; [unrolled: 1-line block ×15, first 2 shown]
	; wave barrier
	ds_read_b128 v[12:15], v119
	ds_read_b128 v[8:11], v119 offset:16
	v_readlane_b32 s2, v166, 2
	s_waitcnt lgkmcnt(1)
	v_cvt_f32_f16_e32 v27, v12
	v_add_f32_e32 v143, s2, v27
	v_readlane_b32 s2, v166, 23
	v_cmp_ge_f32_e32 vcc, s6, v143
	v_readlane_b32 s3, v166, 24
	s_and_b64 s[2:3], s[2:3], vcc
	s_and_saveexec_b64 s[4:5], s[2:3]
	s_cbranch_execz .LBB124_77
; %bb.76:                               ;   in Loop: Header=BB124_13 Depth=1
	v_mul_f32_e32 v27, 0x3fb8aa3b, v143
	v_rndne_f32_e32 v29, v27
	v_sub_f32_e32 v30, v27, v29
	v_fma_f32 v27, v143, s8, -v27
	v_fmac_f32_e32 v27, 0x32a5705f, v143
	v_add_f32_e32 v27, v30, v27
	v_cvt_i32_f32_e32 v29, v29
	v_exp_f32_e32 v27, v27
	v_cmp_ngt_f32_e32 vcc, s9, v143
	v_ldexp_f32 v27, v27, v29
	s_nop 0
	v_cndmask_b32_e32 v27, 0, v27, vcc
	v_cmp_nlt_f32_e32 vcc, s10, v143
	s_nop 1
	v_cndmask_b32_e32 v46, v140, v27, vcc
	v_add_f32_e32 v27, 1.0, v46
	v_add_f32_e32 v29, -1.0, v27
	v_sub_f32_e32 v30, v29, v27
	v_add_f32_e32 v30, 1.0, v30
	v_sub_f32_e32 v29, v46, v29
	v_add_f32_e32 v29, v29, v30
	v_frexp_mant_f32_e32 v32, v27
	v_cvt_f64_f32_e32 v[30:31], v27
	v_frexp_exp_i32_f64_e32 v30, v[30:31]
	v_cmp_gt_f32_e32 vcc, s12, v32
	v_cmp_gt_f32_e64 s[60:61], s16, v46
	s_nop 0
	v_subbrev_co_u32_e32 v38, vcc, 0, v30, vcc
	v_sub_u32_e32 v30, 0, v38
	v_ldexp_f32 v27, v27, v30
	v_ldexp_f32 v29, v29, v30
	v_add_f32_e32 v30, -1.0, v27
	v_add_f32_e32 v31, 1.0, v30
	v_sub_f32_e32 v31, v27, v31
	v_add_f32_e32 v32, v29, v31
	v_add_f32_e32 v31, 1.0, v27
	v_add_f32_e32 v33, -1.0, v31
	v_sub_f32_e32 v27, v27, v33
	v_add_f32_e32 v27, v29, v27
	v_add_f32_e32 v29, v31, v27
	v_rcp_f32_e32 v39, v29
	v_sub_f32_e32 v31, v31, v29
	v_add_f32_e32 v27, v27, v31
	v_add_f32_e32 v31, v30, v32
	v_sub_f32_e32 v30, v30, v31
	v_mul_f32_e32 v41, v31, v39
	v_add_f32_e32 v40, v32, v30
	v_mul_f32_e32 v32, v29, v41
	v_fma_f32 v34, v41, v29, -v32
	v_fmac_f32_e32 v34, v41, v27
	v_add_f32_e32 v30, v32, v34
	v_sub_f32_e32 v33, v31, v30
	v_pk_add_f32 v[36:37], v[30:31], v[32:33] neg_lo:[0,1] neg_hi:[0,1]
	v_mov_b32_e32 v35, v30
	v_pk_add_f32 v[30:31], v[36:37], v[34:35] neg_lo:[0,1] neg_hi:[0,1]
	v_cmp_eq_f32_e32 vcc, s11, v46
	v_add_f32_e32 v31, v40, v31
	v_add_f32_e32 v30, v30, v31
	;; [unrolled: 1-line block ×3, first 2 shown]
	v_mul_f32_e32 v40, v39, v31
	v_mul_f32_e32 v32, v29, v40
	v_fma_f32 v34, v40, v29, -v32
	v_fmac_f32_e32 v34, v40, v27
	v_sub_f32_e32 v27, v33, v31
	v_add_f32_e32 v27, v30, v27
	v_add_f32_e32 v30, v32, v34
	v_sub_f32_e32 v33, v31, v30
	v_pk_add_f32 v[36:37], v[30:31], v[32:33] neg_lo:[0,1] neg_hi:[0,1]
	v_mov_b32_e32 v35, v30
	v_pk_add_f32 v[30:31], v[36:37], v[34:35] neg_lo:[0,1] neg_hi:[0,1]
	s_or_b64 vcc, s[60:61], vcc
	v_add_f32_e32 v27, v27, v31
	v_add_f32_e32 v27, v30, v27
	;; [unrolled: 1-line block ×4, first 2 shown]
	v_sub_f32_e32 v29, v31, v41
	v_mul_f32_e32 v27, v39, v27
	v_sub_f32_e32 v29, v40, v29
	v_add_f32_e32 v27, v29, v27
	v_add_f32_e32 v32, v31, v27
	v_cvt_f32_i32_e32 v30, v38
	v_mul_f32_e32 v34, v32, v32
	v_fmamk_f32 v29, v34, 0x3e9b6dac, v139
	v_sub_f32_e32 v31, v32, v31
	v_fmaak_f32 v29, v34, v29, 0x3f2aaada
	v_sub_f32_e32 v27, v27, v31
	v_mul_f32_e32 v31, v32, v34
	v_pk_mul_f32 v[34:35], v[30:31], v[28:29]
	v_ldexp_f32 v33, v32, 1
	v_fma_f32 v32, v30, s13, -v34
	v_fmac_f32_e32 v32, 0xb102e308, v30
	v_pk_add_f32 v[30:31], v[34:35], v[32:33]
	v_ldexp_f32 v27, v27, 1
	v_sub_f32_e32 v29, v31, v33
	v_sub_f32_e32 v29, v35, v29
	v_add_f32_e32 v37, v27, v29
	v_mov_b32_e32 v36, v34
	v_pk_add_f32 v[34:35], v[30:31], v[34:35] neg_lo:[0,1] neg_hi:[0,1]
	v_pk_add_f32 v[38:39], v[30:31], v[36:37]
	v_mov_b32_e32 v33, v30
	v_mov_b32_e32 v35, v39
	v_pk_add_f32 v[40:41], v[32:33], v[34:35] neg_lo:[0,1] neg_hi:[0,1]
	v_pk_add_f32 v[32:33], v[32:33], v[34:35]
	v_mov_b32_e32 v36, v37
	v_mov_b32_e32 v34, v33
	v_pk_add_f32 v[42:43], v[34:35], v[30:31] neg_lo:[0,1] neg_hi:[0,1]
	v_mov_b32_e32 v32, v39
	v_mov_b32_e32 v27, v42
	v_pk_add_f32 v[44:45], v[38:39], v[26:27] neg_lo:[0,1] neg_hi:[0,1]
	v_mov_b32_e32 v38, v31
	v_mov_b32_e32 v39, v42
	;; [unrolled: 1-line block ×3, first 2 shown]
	v_pk_add_f32 v[32:33], v[32:33], v[38:39] neg_lo:[0,1] neg_hi:[0,1]
	v_mov_b32_e32 v37, v30
	v_pk_add_f32 v[30:31], v[36:37], v[32:33] neg_lo:[0,1] neg_hi:[0,1]
	v_mov_b32_e32 v44, v40
	v_pk_add_f32 v[32:33], v[44:45], v[30:31]
	s_nop 0
	v_mov_b32_e32 v36, v33
	v_pk_add_f32 v[36:37], v[32:33], v[36:37]
	s_nop 0
	v_pk_add_f32 v[34:35], v[34:35], v[36:37]
	v_mov_b32_e32 v31, v36
	v_mov_b32_e32 v33, v34
	v_pk_add_f32 v[38:39], v[32:33], v[40:41] neg_lo:[0,1] neg_hi:[0,1]
	s_nop 0
	v_sub_f32_e32 v27, v32, v38
	v_pk_add_f32 v[30:31], v[30:31], v[38:39] neg_lo:[0,1] neg_hi:[0,1]
	v_sub_f32_e32 v27, v40, v27
	v_add_f32_e32 v27, v30, v27
	v_add_f32_e32 v27, v27, v31
	;; [unrolled: 1-line block ×3, first 2 shown]
	v_cndmask_b32_e32 v143, v27, v46, vcc
.LBB124_77:                             ;   in Loop: Header=BB124_13 Depth=1
	s_or_b64 exec, exec, s[4:5]
	v_cvt_f32_f16_sdwa v12, v12 dst_sel:DWORD dst_unused:UNUSED_PAD src0_sel:WORD_1
	v_readlane_b32 s2, v166, 2
	s_nop 1
	v_add_f32_e32 v144, s2, v12
	v_readlane_b32 s2, v166, 23
	v_cmp_ge_f32_e32 vcc, s6, v144
	v_readlane_b32 s3, v166, 24
	s_and_b64 s[2:3], s[2:3], vcc
	s_and_saveexec_b64 s[4:5], s[2:3]
	s_cbranch_execz .LBB124_79
; %bb.78:                               ;   in Loop: Header=BB124_13 Depth=1
	v_mul_f32_e32 v12, 0x3fb8aa3b, v144
	v_rndne_f32_e32 v27, v12
	v_sub_f32_e32 v29, v12, v27
	v_fma_f32 v12, v144, s8, -v12
	v_fmac_f32_e32 v12, 0x32a5705f, v144
	v_add_f32_e32 v12, v29, v12
	v_cvt_i32_f32_e32 v27, v27
	v_exp_f32_e32 v12, v12
	v_cmp_ngt_f32_e32 vcc, s9, v144
	v_ldexp_f32 v12, v12, v27
	s_nop 0
	v_cndmask_b32_e32 v12, 0, v12, vcc
	v_cmp_nlt_f32_e32 vcc, s10, v144
	s_nop 1
	v_cndmask_b32_e32 v44, v140, v12, vcc
	v_add_f32_e32 v12, 1.0, v44
	v_add_f32_e32 v27, -1.0, v12
	v_sub_f32_e32 v29, v27, v12
	v_add_f32_e32 v29, 1.0, v29
	v_sub_f32_e32 v27, v44, v27
	v_add_f32_e32 v27, v27, v29
	v_frexp_mant_f32_e32 v29, v12
	v_cvt_f64_f32_e32 v[30:31], v12
	v_frexp_exp_i32_f64_e32 v30, v[30:31]
	v_cmp_gt_f32_e32 vcc, s12, v29
	v_cmp_gt_f32_e64 s[60:61], s16, v44
	s_nop 0
	v_subbrev_co_u32_e32 v38, vcc, 0, v30, vcc
	v_sub_u32_e32 v29, 0, v38
	v_ldexp_f32 v12, v12, v29
	v_ldexp_f32 v27, v27, v29
	v_add_f32_e32 v29, -1.0, v12
	v_add_f32_e32 v31, 1.0, v12
	v_add_f32_e32 v30, 1.0, v29
	v_add_f32_e32 v32, -1.0, v31
	v_sub_f32_e32 v30, v12, v30
	v_sub_f32_e32 v12, v12, v32
	v_add_f32_e32 v12, v27, v12
	v_add_f32_e32 v30, v27, v30
	;; [unrolled: 1-line block ×3, first 2 shown]
	v_rcp_f32_e32 v39, v27
	v_sub_f32_e32 v31, v31, v27
	v_add_f32_e32 v12, v12, v31
	v_add_f32_e32 v31, v29, v30
	v_mul_f32_e32 v40, v31, v39
	v_mul_f32_e32 v32, v27, v40
	v_fma_f32 v34, v40, v27, -v32
	v_sub_f32_e32 v29, v29, v31
	v_fmac_f32_e32 v34, v40, v12
	v_add_f32_e32 v29, v30, v29
	v_add_f32_e32 v30, v32, v34
	v_sub_f32_e32 v33, v31, v30
	v_pk_add_f32 v[36:37], v[30:31], v[32:33] neg_lo:[0,1] neg_hi:[0,1]
	v_mov_b32_e32 v35, v30
	v_pk_add_f32 v[30:31], v[36:37], v[34:35] neg_lo:[0,1] neg_hi:[0,1]
	v_cmp_eq_f32_e32 vcc, s11, v44
	v_add_f32_e32 v29, v29, v31
	v_add_f32_e32 v29, v30, v29
	;; [unrolled: 1-line block ×3, first 2 shown]
	v_mul_f32_e32 v41, v39, v31
	v_mul_f32_e32 v32, v27, v41
	v_fma_f32 v34, v41, v27, -v32
	v_fmac_f32_e32 v34, v41, v12
	v_add_f32_e32 v30, v32, v34
	v_sub_f32_e32 v12, v33, v31
	v_sub_f32_e32 v33, v31, v30
	v_pk_add_f32 v[36:37], v[30:31], v[32:33] neg_lo:[0,1] neg_hi:[0,1]
	v_mov_b32_e32 v35, v30
	v_add_f32_e32 v12, v29, v12
	v_pk_add_f32 v[30:31], v[36:37], v[34:35] neg_lo:[0,1] neg_hi:[0,1]
	v_add_f32_e32 v27, v40, v41
	v_add_f32_e32 v12, v12, v31
	;; [unrolled: 1-line block ×4, first 2 shown]
	v_sub_f32_e32 v29, v27, v40
	v_mul_f32_e32 v12, v39, v12
	v_sub_f32_e32 v29, v41, v29
	v_add_f32_e32 v12, v29, v12
	v_add_f32_e32 v31, v27, v12
	v_cvt_f32_i32_e32 v30, v38
	v_mul_f32_e32 v32, v31, v31
	v_fmamk_f32 v29, v32, 0x3e9b6dac, v139
	v_fmaak_f32 v29, v32, v29, 0x3f2aaada
	v_sub_f32_e32 v27, v31, v27
	v_ldexp_f32 v33, v31, 1
	v_mul_f32_e32 v31, v31, v32
	v_pk_mul_f32 v[34:35], v[30:31], v[28:29]
	v_sub_f32_e32 v12, v12, v27
	v_fma_f32 v32, v30, s13, -v34
	v_fmac_f32_e32 v32, 0xb102e308, v30
	v_pk_add_f32 v[30:31], v[34:35], v[32:33]
	v_ldexp_f32 v12, v12, 1
	v_sub_f32_e32 v27, v31, v33
	v_sub_f32_e32 v27, v35, v27
	v_add_f32_e32 v37, v12, v27
	v_mov_b32_e32 v36, v34
	v_pk_add_f32 v[34:35], v[30:31], v[34:35] neg_lo:[0,1] neg_hi:[0,1]
	v_pk_add_f32 v[38:39], v[30:31], v[36:37]
	v_mov_b32_e32 v33, v30
	v_mov_b32_e32 v35, v39
	v_pk_add_f32 v[40:41], v[32:33], v[34:35] neg_lo:[0,1] neg_hi:[0,1]
	v_pk_add_f32 v[32:33], v[32:33], v[34:35]
	s_or_b64 vcc, s[60:61], vcc
	v_mov_b32_e32 v12, v33
	v_pk_add_f32 v[34:35], v[12:13], v[30:31] neg_lo:[0,1] neg_hi:[0,1]
	v_mov_b32_e32 v32, v39
	v_mov_b32_e32 v27, v34
	v_pk_add_f32 v[42:43], v[38:39], v[26:27] neg_lo:[0,1] neg_hi:[0,1]
	v_mov_b32_e32 v38, v31
	v_mov_b32_e32 v39, v34
	;; [unrolled: 1-line block ×3, first 2 shown]
	v_pk_add_f32 v[32:33], v[32:33], v[38:39] neg_lo:[0,1] neg_hi:[0,1]
	v_mov_b32_e32 v34, v37
	v_mov_b32_e32 v35, v30
	v_pk_add_f32 v[30:31], v[34:35], v[32:33] neg_lo:[0,1] neg_hi:[0,1]
	v_mov_b32_e32 v42, v40
	v_pk_add_f32 v[32:33], v[42:43], v[30:31]
	s_nop 0
	v_mov_b32_e32 v34, v33
	v_pk_add_f32 v[34:35], v[32:33], v[34:35]
	s_nop 0
	v_pk_add_f32 v[36:37], v[12:13], v[34:35]
	v_mov_b32_e32 v31, v34
	v_mov_b32_e32 v33, v36
	v_pk_add_f32 v[38:39], v[32:33], v[40:41] neg_lo:[0,1] neg_hi:[0,1]
	s_nop 0
	v_sub_f32_e32 v12, v32, v38
	v_pk_add_f32 v[30:31], v[30:31], v[38:39] neg_lo:[0,1] neg_hi:[0,1]
	v_sub_f32_e32 v12, v40, v12
	v_add_f32_e32 v12, v30, v12
	v_add_f32_e32 v12, v12, v31
	v_add_f32_e32 v12, v36, v12
	v_cndmask_b32_e32 v144, v12, v44, vcc
.LBB124_79:                             ;   in Loop: Header=BB124_13 Depth=1
	s_or_b64 exec, exec, s[4:5]
	v_cvt_f32_f16_e32 v12, v13
	v_readlane_b32 s2, v166, 2
	s_nop 1
	v_add_f32_e32 v145, s2, v12
	v_readlane_b32 s2, v166, 23
	v_cmp_ge_f32_e32 vcc, s6, v145
	v_readlane_b32 s3, v166, 24
	s_and_b64 s[2:3], s[2:3], vcc
	s_and_saveexec_b64 s[4:5], s[2:3]
	s_cbranch_execz .LBB124_81
; %bb.80:                               ;   in Loop: Header=BB124_13 Depth=1
	v_mul_f32_e32 v12, 0x3fb8aa3b, v145
	v_rndne_f32_e32 v27, v12
	v_sub_f32_e32 v29, v12, v27
	v_fma_f32 v12, v145, s8, -v12
	v_fmac_f32_e32 v12, 0x32a5705f, v145
	v_add_f32_e32 v12, v29, v12
	v_cvt_i32_f32_e32 v27, v27
	v_exp_f32_e32 v12, v12
	v_cmp_ngt_f32_e32 vcc, s9, v145
	v_ldexp_f32 v12, v12, v27
	s_nop 0
	v_cndmask_b32_e32 v12, 0, v12, vcc
	v_cmp_nlt_f32_e32 vcc, s10, v145
	s_nop 1
	v_cndmask_b32_e32 v44, v140, v12, vcc
	v_add_f32_e32 v12, 1.0, v44
	v_add_f32_e32 v27, -1.0, v12
	v_sub_f32_e32 v29, v27, v12
	v_add_f32_e32 v29, 1.0, v29
	v_sub_f32_e32 v27, v44, v27
	v_add_f32_e32 v27, v27, v29
	v_frexp_mant_f32_e32 v29, v12
	v_cvt_f64_f32_e32 v[30:31], v12
	v_frexp_exp_i32_f64_e32 v30, v[30:31]
	v_cmp_gt_f32_e32 vcc, s12, v29
	v_cmp_gt_f32_e64 s[60:61], s16, v44
	s_nop 0
	v_subbrev_co_u32_e32 v38, vcc, 0, v30, vcc
	v_sub_u32_e32 v29, 0, v38
	v_ldexp_f32 v12, v12, v29
	v_ldexp_f32 v27, v27, v29
	v_add_f32_e32 v29, -1.0, v12
	v_add_f32_e32 v31, 1.0, v12
	v_add_f32_e32 v30, 1.0, v29
	v_add_f32_e32 v32, -1.0, v31
	v_sub_f32_e32 v30, v12, v30
	v_sub_f32_e32 v12, v12, v32
	v_add_f32_e32 v12, v27, v12
	v_add_f32_e32 v30, v27, v30
	;; [unrolled: 1-line block ×3, first 2 shown]
	v_rcp_f32_e32 v39, v27
	v_sub_f32_e32 v31, v31, v27
	v_add_f32_e32 v12, v12, v31
	v_add_f32_e32 v31, v29, v30
	v_mul_f32_e32 v40, v31, v39
	v_mul_f32_e32 v32, v27, v40
	v_fma_f32 v34, v40, v27, -v32
	v_sub_f32_e32 v29, v29, v31
	v_fmac_f32_e32 v34, v40, v12
	v_add_f32_e32 v29, v30, v29
	v_add_f32_e32 v30, v32, v34
	v_sub_f32_e32 v33, v31, v30
	v_pk_add_f32 v[36:37], v[30:31], v[32:33] neg_lo:[0,1] neg_hi:[0,1]
	v_mov_b32_e32 v35, v30
	v_pk_add_f32 v[30:31], v[36:37], v[34:35] neg_lo:[0,1] neg_hi:[0,1]
	v_cmp_eq_f32_e32 vcc, s11, v44
	v_add_f32_e32 v29, v29, v31
	v_add_f32_e32 v29, v30, v29
	v_add_f32_e32 v31, v33, v29
	v_mul_f32_e32 v41, v39, v31
	v_mul_f32_e32 v32, v27, v41
	v_fma_f32 v34, v41, v27, -v32
	v_fmac_f32_e32 v34, v41, v12
	v_add_f32_e32 v30, v32, v34
	v_sub_f32_e32 v12, v33, v31
	v_sub_f32_e32 v33, v31, v30
	v_pk_add_f32 v[36:37], v[30:31], v[32:33] neg_lo:[0,1] neg_hi:[0,1]
	v_mov_b32_e32 v35, v30
	v_add_f32_e32 v12, v29, v12
	v_pk_add_f32 v[30:31], v[36:37], v[34:35] neg_lo:[0,1] neg_hi:[0,1]
	v_add_f32_e32 v27, v40, v41
	v_add_f32_e32 v12, v12, v31
	;; [unrolled: 1-line block ×4, first 2 shown]
	v_sub_f32_e32 v29, v27, v40
	v_mul_f32_e32 v12, v39, v12
	v_sub_f32_e32 v29, v41, v29
	v_add_f32_e32 v12, v29, v12
	v_add_f32_e32 v31, v27, v12
	v_cvt_f32_i32_e32 v30, v38
	v_mul_f32_e32 v32, v31, v31
	v_fmamk_f32 v29, v32, 0x3e9b6dac, v139
	v_fmaak_f32 v29, v32, v29, 0x3f2aaada
	v_sub_f32_e32 v27, v31, v27
	v_ldexp_f32 v33, v31, 1
	v_mul_f32_e32 v31, v31, v32
	v_pk_mul_f32 v[34:35], v[30:31], v[28:29]
	v_sub_f32_e32 v12, v12, v27
	v_fma_f32 v32, v30, s13, -v34
	v_fmac_f32_e32 v32, 0xb102e308, v30
	v_pk_add_f32 v[30:31], v[34:35], v[32:33]
	v_ldexp_f32 v12, v12, 1
	v_sub_f32_e32 v27, v31, v33
	v_sub_f32_e32 v27, v35, v27
	v_add_f32_e32 v37, v12, v27
	v_mov_b32_e32 v36, v34
	v_pk_add_f32 v[34:35], v[30:31], v[34:35] neg_lo:[0,1] neg_hi:[0,1]
	v_pk_add_f32 v[38:39], v[30:31], v[36:37]
	v_mov_b32_e32 v33, v30
	v_mov_b32_e32 v35, v39
	v_pk_add_f32 v[40:41], v[32:33], v[34:35] neg_lo:[0,1] neg_hi:[0,1]
	v_pk_add_f32 v[32:33], v[32:33], v[34:35]
	s_or_b64 vcc, s[60:61], vcc
	v_mov_b32_e32 v12, v33
	v_pk_add_f32 v[34:35], v[12:13], v[30:31] neg_lo:[0,1] neg_hi:[0,1]
	v_mov_b32_e32 v32, v39
	v_mov_b32_e32 v27, v34
	v_pk_add_f32 v[42:43], v[38:39], v[26:27] neg_lo:[0,1] neg_hi:[0,1]
	v_mov_b32_e32 v38, v31
	v_mov_b32_e32 v39, v34
	;; [unrolled: 1-line block ×3, first 2 shown]
	v_pk_add_f32 v[32:33], v[32:33], v[38:39] neg_lo:[0,1] neg_hi:[0,1]
	v_mov_b32_e32 v34, v37
	v_mov_b32_e32 v35, v30
	v_pk_add_f32 v[30:31], v[34:35], v[32:33] neg_lo:[0,1] neg_hi:[0,1]
	v_mov_b32_e32 v42, v40
	v_pk_add_f32 v[32:33], v[42:43], v[30:31]
	s_nop 0
	v_mov_b32_e32 v34, v33
	v_pk_add_f32 v[34:35], v[32:33], v[34:35]
	s_nop 0
	v_pk_add_f32 v[36:37], v[12:13], v[34:35]
	v_mov_b32_e32 v31, v34
	v_mov_b32_e32 v33, v36
	v_pk_add_f32 v[38:39], v[32:33], v[40:41] neg_lo:[0,1] neg_hi:[0,1]
	s_nop 0
	v_sub_f32_e32 v12, v32, v38
	v_pk_add_f32 v[30:31], v[30:31], v[38:39] neg_lo:[0,1] neg_hi:[0,1]
	v_sub_f32_e32 v12, v40, v12
	v_add_f32_e32 v12, v30, v12
	v_add_f32_e32 v12, v12, v31
	;; [unrolled: 1-line block ×3, first 2 shown]
	v_cndmask_b32_e32 v145, v12, v44, vcc
.LBB124_81:                             ;   in Loop: Header=BB124_13 Depth=1
	s_or_b64 exec, exec, s[4:5]
	v_cvt_f32_f16_sdwa v12, v13 dst_sel:DWORD dst_unused:UNUSED_PAD src0_sel:WORD_1
	v_readlane_b32 s2, v166, 2
	s_nop 1
	v_add_f32_e32 v146, s2, v12
	v_readlane_b32 s2, v166, 23
	v_cmp_ge_f32_e32 vcc, s6, v146
	v_readlane_b32 s3, v166, 24
	s_and_b64 s[2:3], s[2:3], vcc
	s_and_saveexec_b64 s[4:5], s[2:3]
	s_cbranch_execz .LBB124_83
; %bb.82:                               ;   in Loop: Header=BB124_13 Depth=1
	v_mul_f32_e32 v12, 0x3fb8aa3b, v146
	v_rndne_f32_e32 v13, v12
	v_sub_f32_e32 v27, v12, v13
	v_fma_f32 v12, v146, s8, -v12
	v_fmac_f32_e32 v12, 0x32a5705f, v146
	v_add_f32_e32 v12, v27, v12
	v_cvt_i32_f32_e32 v13, v13
	v_exp_f32_e32 v12, v12
	v_cmp_ngt_f32_e32 vcc, s9, v146
	v_ldexp_f32 v12, v12, v13
	s_nop 0
	v_cndmask_b32_e32 v12, 0, v12, vcc
	v_cmp_nlt_f32_e32 vcc, s10, v146
	s_nop 1
	v_cndmask_b32_e32 v44, v140, v12, vcc
	v_add_f32_e32 v27, 1.0, v44
	v_add_f32_e32 v12, -1.0, v27
	v_sub_f32_e32 v13, v12, v27
	v_add_f32_e32 v13, 1.0, v13
	v_sub_f32_e32 v12, v44, v12
	v_add_f32_e32 v29, v12, v13
	v_frexp_mant_f32_e32 v30, v27
	v_cvt_f64_f32_e32 v[12:13], v27
	v_frexp_exp_i32_f64_e32 v12, v[12:13]
	v_cmp_gt_f32_e32 vcc, s12, v30
	v_cmp_gt_f32_e64 s[60:61], s16, v44
	s_nop 0
	v_subbrev_co_u32_e32 v36, vcc, 0, v12, vcc
	v_sub_u32_e32 v12, 0, v36
	v_ldexp_f32 v13, v27, v12
	v_add_f32_e32 v27, -1.0, v13
	v_add_f32_e32 v30, 1.0, v13
	v_ldexp_f32 v12, v29, v12
	v_add_f32_e32 v29, 1.0, v27
	v_add_f32_e32 v31, -1.0, v30
	v_sub_f32_e32 v29, v13, v29
	v_sub_f32_e32 v13, v13, v31
	v_add_f32_e32 v29, v12, v29
	v_add_f32_e32 v12, v12, v13
	;; [unrolled: 1-line block ×3, first 2 shown]
	v_rcp_f32_e32 v39, v37
	v_sub_f32_e32 v13, v30, v37
	v_add_f32_e32 v38, v12, v13
	v_add_f32_e32 v13, v27, v29
	v_sub_f32_e32 v12, v27, v13
	v_add_f32_e32 v27, v29, v12
	v_mul_f32_e32 v29, v13, v39
	v_mul_f32_e32 v30, v37, v29
	v_fma_f32 v32, v29, v37, -v30
	v_fmac_f32_e32 v32, v29, v38
	v_add_f32_e32 v12, v30, v32
	v_sub_f32_e32 v31, v13, v12
	v_pk_add_f32 v[34:35], v[12:13], v[30:31] neg_lo:[0,1] neg_hi:[0,1]
	v_mov_b32_e32 v33, v12
	v_pk_add_f32 v[12:13], v[34:35], v[32:33] neg_lo:[0,1] neg_hi:[0,1]
	v_cmp_eq_f32_e32 vcc, s11, v44
	v_add_f32_e32 v13, v27, v13
	v_add_f32_e32 v12, v12, v13
	;; [unrolled: 1-line block ×3, first 2 shown]
	v_mul_f32_e32 v27, v39, v13
	v_mul_f32_e32 v30, v37, v27
	v_fma_f32 v32, v27, v37, -v30
	v_fmac_f32_e32 v32, v27, v38
	v_sub_f32_e32 v31, v31, v13
	v_add_f32_e32 v37, v12, v31
	v_add_f32_e32 v12, v30, v32
	v_sub_f32_e32 v31, v13, v12
	v_pk_add_f32 v[34:35], v[12:13], v[30:31] neg_lo:[0,1] neg_hi:[0,1]
	v_mov_b32_e32 v33, v12
	v_pk_add_f32 v[12:13], v[34:35], v[32:33] neg_lo:[0,1] neg_hi:[0,1]
	s_or_b64 vcc, s[60:61], vcc
	v_add_f32_e32 v13, v37, v13
	v_add_f32_e32 v12, v12, v13
	;; [unrolled: 1-line block ×4, first 2 shown]
	v_sub_f32_e32 v29, v13, v29
	v_mul_f32_e32 v12, v39, v12
	v_sub_f32_e32 v27, v27, v29
	v_add_f32_e32 v27, v27, v12
	v_add_f32_e32 v30, v13, v27
	v_mul_f32_e32 v32, v30, v30
	v_fmamk_f32 v12, v32, 0x3e9b6dac, v139
	v_fmaak_f32 v29, v32, v12, 0x3f2aaada
	v_cvt_f32_i32_e32 v12, v36
	v_sub_f32_e32 v13, v30, v13
	v_sub_f32_e32 v13, v27, v13
	v_ldexp_f32 v27, v13, 1
	v_mul_f32_e32 v13, v30, v32
	v_pk_mul_f32 v[32:33], v[12:13], v[28:29]
	v_ldexp_f32 v31, v30, 1
	v_fma_f32 v30, v12, s13, -v32
	v_fmac_f32_e32 v30, 0xb102e308, v12
	v_pk_add_f32 v[12:13], v[32:33], v[30:31]
	v_mov_b32_e32 v34, v32
	v_sub_f32_e32 v29, v13, v31
	v_sub_f32_e32 v29, v33, v29
	v_add_f32_e32 v35, v27, v29
	v_pk_add_f32 v[32:33], v[12:13], v[32:33] neg_lo:[0,1] neg_hi:[0,1]
	v_pk_add_f32 v[36:37], v[12:13], v[34:35]
	v_mov_b32_e32 v31, v12
	v_mov_b32_e32 v33, v37
	v_pk_add_f32 v[38:39], v[30:31], v[32:33] neg_lo:[0,1] neg_hi:[0,1]
	v_pk_add_f32 v[30:31], v[30:31], v[32:33]
	v_mov_b32_e32 v34, v35
	v_mov_b32_e32 v32, v31
	v_pk_add_f32 v[40:41], v[32:33], v[12:13] neg_lo:[0,1] neg_hi:[0,1]
	v_mov_b32_e32 v30, v37
	v_mov_b32_e32 v27, v40
	v_pk_add_f32 v[42:43], v[36:37], v[26:27] neg_lo:[0,1] neg_hi:[0,1]
	v_mov_b32_e32 v36, v13
	v_mov_b32_e32 v37, v40
	;; [unrolled: 1-line block ×3, first 2 shown]
	v_pk_add_f32 v[30:31], v[30:31], v[36:37] neg_lo:[0,1] neg_hi:[0,1]
	v_mov_b32_e32 v35, v12
	v_pk_add_f32 v[12:13], v[34:35], v[30:31] neg_lo:[0,1] neg_hi:[0,1]
	v_mov_b32_e32 v42, v38
	v_pk_add_f32 v[30:31], v[42:43], v[12:13]
	s_nop 0
	v_mov_b32_e32 v34, v31
	v_pk_add_f32 v[34:35], v[30:31], v[34:35]
	s_nop 0
	v_pk_add_f32 v[32:33], v[32:33], v[34:35]
	v_mov_b32_e32 v13, v34
	v_mov_b32_e32 v31, v32
	v_pk_add_f32 v[36:37], v[30:31], v[38:39] neg_lo:[0,1] neg_hi:[0,1]
	s_nop 0
	v_sub_f32_e32 v27, v30, v36
	v_pk_add_f32 v[12:13], v[12:13], v[36:37] neg_lo:[0,1] neg_hi:[0,1]
	v_sub_f32_e32 v27, v38, v27
	v_add_f32_e32 v12, v12, v27
	v_add_f32_e32 v12, v12, v13
	;; [unrolled: 1-line block ×3, first 2 shown]
	v_cndmask_b32_e32 v146, v12, v44, vcc
.LBB124_83:                             ;   in Loop: Header=BB124_13 Depth=1
	s_or_b64 exec, exec, s[4:5]
	v_cvt_f32_f16_e32 v12, v14
	v_readlane_b32 s2, v166, 2
	s_nop 1
	v_add_f32_e32 v147, s2, v12
	v_readlane_b32 s2, v166, 23
	v_cmp_ge_f32_e32 vcc, s6, v147
	v_readlane_b32 s3, v166, 24
	s_and_b64 s[2:3], s[2:3], vcc
	s_and_saveexec_b64 s[4:5], s[2:3]
	s_cbranch_execz .LBB124_85
; %bb.84:                               ;   in Loop: Header=BB124_13 Depth=1
	v_mul_f32_e32 v12, 0x3fb8aa3b, v147
	v_rndne_f32_e32 v13, v12
	v_sub_f32_e32 v27, v12, v13
	v_fma_f32 v12, v147, s8, -v12
	v_fmac_f32_e32 v12, 0x32a5705f, v147
	v_add_f32_e32 v12, v27, v12
	v_cvt_i32_f32_e32 v13, v13
	v_exp_f32_e32 v12, v12
	v_cmp_ngt_f32_e32 vcc, s9, v147
	v_ldexp_f32 v12, v12, v13
	s_nop 0
	v_cndmask_b32_e32 v12, 0, v12, vcc
	v_cmp_nlt_f32_e32 vcc, s10, v147
	s_nop 1
	v_cndmask_b32_e32 v44, v140, v12, vcc
	v_add_f32_e32 v27, 1.0, v44
	v_add_f32_e32 v12, -1.0, v27
	v_sub_f32_e32 v13, v12, v27
	v_add_f32_e32 v13, 1.0, v13
	v_sub_f32_e32 v12, v44, v12
	v_add_f32_e32 v29, v12, v13
	v_frexp_mant_f32_e32 v30, v27
	v_cvt_f64_f32_e32 v[12:13], v27
	v_frexp_exp_i32_f64_e32 v12, v[12:13]
	v_cmp_gt_f32_e32 vcc, s12, v30
	v_cmp_gt_f32_e64 s[60:61], s16, v44
	s_nop 0
	v_subbrev_co_u32_e32 v36, vcc, 0, v12, vcc
	v_sub_u32_e32 v12, 0, v36
	v_ldexp_f32 v13, v27, v12
	v_add_f32_e32 v27, -1.0, v13
	v_add_f32_e32 v30, 1.0, v13
	v_ldexp_f32 v12, v29, v12
	v_add_f32_e32 v29, 1.0, v27
	v_add_f32_e32 v31, -1.0, v30
	v_sub_f32_e32 v29, v13, v29
	v_sub_f32_e32 v13, v13, v31
	v_add_f32_e32 v29, v12, v29
	v_add_f32_e32 v12, v12, v13
	;; [unrolled: 1-line block ×3, first 2 shown]
	v_rcp_f32_e32 v39, v37
	v_sub_f32_e32 v13, v30, v37
	v_add_f32_e32 v38, v12, v13
	v_add_f32_e32 v13, v27, v29
	v_sub_f32_e32 v12, v27, v13
	v_add_f32_e32 v27, v29, v12
	v_mul_f32_e32 v29, v13, v39
	v_mul_f32_e32 v30, v37, v29
	v_fma_f32 v32, v29, v37, -v30
	v_fmac_f32_e32 v32, v29, v38
	v_add_f32_e32 v12, v30, v32
	v_sub_f32_e32 v31, v13, v12
	v_pk_add_f32 v[34:35], v[12:13], v[30:31] neg_lo:[0,1] neg_hi:[0,1]
	v_mov_b32_e32 v33, v12
	v_pk_add_f32 v[12:13], v[34:35], v[32:33] neg_lo:[0,1] neg_hi:[0,1]
	v_cmp_eq_f32_e32 vcc, s11, v44
	v_add_f32_e32 v13, v27, v13
	v_add_f32_e32 v12, v12, v13
	;; [unrolled: 1-line block ×3, first 2 shown]
	v_mul_f32_e32 v27, v39, v13
	v_mul_f32_e32 v30, v37, v27
	v_fma_f32 v32, v27, v37, -v30
	v_fmac_f32_e32 v32, v27, v38
	v_sub_f32_e32 v31, v31, v13
	v_add_f32_e32 v37, v12, v31
	v_add_f32_e32 v12, v30, v32
	v_sub_f32_e32 v31, v13, v12
	v_pk_add_f32 v[34:35], v[12:13], v[30:31] neg_lo:[0,1] neg_hi:[0,1]
	v_mov_b32_e32 v33, v12
	v_pk_add_f32 v[12:13], v[34:35], v[32:33] neg_lo:[0,1] neg_hi:[0,1]
	s_or_b64 vcc, s[60:61], vcc
	v_add_f32_e32 v13, v37, v13
	v_add_f32_e32 v12, v12, v13
	;; [unrolled: 1-line block ×4, first 2 shown]
	v_sub_f32_e32 v29, v13, v29
	v_mul_f32_e32 v12, v39, v12
	v_sub_f32_e32 v27, v27, v29
	v_add_f32_e32 v27, v27, v12
	v_add_f32_e32 v30, v13, v27
	v_mul_f32_e32 v32, v30, v30
	v_fmamk_f32 v12, v32, 0x3e9b6dac, v139
	v_fmaak_f32 v29, v32, v12, 0x3f2aaada
	v_cvt_f32_i32_e32 v12, v36
	v_sub_f32_e32 v13, v30, v13
	v_sub_f32_e32 v13, v27, v13
	v_ldexp_f32 v27, v13, 1
	v_mul_f32_e32 v13, v30, v32
	v_pk_mul_f32 v[32:33], v[12:13], v[28:29]
	v_ldexp_f32 v31, v30, 1
	v_fma_f32 v30, v12, s13, -v32
	v_fmac_f32_e32 v30, 0xb102e308, v12
	v_pk_add_f32 v[12:13], v[32:33], v[30:31]
	v_mov_b32_e32 v34, v32
	v_sub_f32_e32 v29, v13, v31
	v_sub_f32_e32 v29, v33, v29
	v_add_f32_e32 v35, v27, v29
	v_pk_add_f32 v[32:33], v[12:13], v[32:33] neg_lo:[0,1] neg_hi:[0,1]
	v_pk_add_f32 v[36:37], v[12:13], v[34:35]
	v_mov_b32_e32 v31, v12
	v_mov_b32_e32 v33, v37
	v_pk_add_f32 v[38:39], v[30:31], v[32:33] neg_lo:[0,1] neg_hi:[0,1]
	v_pk_add_f32 v[30:31], v[30:31], v[32:33]
	v_mov_b32_e32 v34, v35
	v_mov_b32_e32 v32, v31
	v_pk_add_f32 v[40:41], v[32:33], v[12:13] neg_lo:[0,1] neg_hi:[0,1]
	v_mov_b32_e32 v30, v37
	v_mov_b32_e32 v27, v40
	v_pk_add_f32 v[42:43], v[36:37], v[26:27] neg_lo:[0,1] neg_hi:[0,1]
	v_mov_b32_e32 v36, v13
	v_mov_b32_e32 v37, v40
	;; [unrolled: 1-line block ×3, first 2 shown]
	v_pk_add_f32 v[30:31], v[30:31], v[36:37] neg_lo:[0,1] neg_hi:[0,1]
	v_mov_b32_e32 v35, v12
	v_pk_add_f32 v[12:13], v[34:35], v[30:31] neg_lo:[0,1] neg_hi:[0,1]
	v_mov_b32_e32 v42, v38
	v_pk_add_f32 v[30:31], v[42:43], v[12:13]
	s_nop 0
	v_mov_b32_e32 v34, v31
	v_pk_add_f32 v[34:35], v[30:31], v[34:35]
	s_nop 0
	v_pk_add_f32 v[32:33], v[32:33], v[34:35]
	v_mov_b32_e32 v13, v34
	v_mov_b32_e32 v31, v32
	v_pk_add_f32 v[36:37], v[30:31], v[38:39] neg_lo:[0,1] neg_hi:[0,1]
	s_nop 0
	v_sub_f32_e32 v27, v30, v36
	v_pk_add_f32 v[12:13], v[12:13], v[36:37] neg_lo:[0,1] neg_hi:[0,1]
	v_sub_f32_e32 v27, v38, v27
	v_add_f32_e32 v12, v12, v27
	v_add_f32_e32 v12, v12, v13
	;; [unrolled: 1-line block ×3, first 2 shown]
	v_cndmask_b32_e32 v147, v12, v44, vcc
.LBB124_85:                             ;   in Loop: Header=BB124_13 Depth=1
	s_or_b64 exec, exec, s[4:5]
	v_cvt_f32_f16_sdwa v12, v14 dst_sel:DWORD dst_unused:UNUSED_PAD src0_sel:WORD_1
	v_readlane_b32 s2, v166, 2
	s_nop 1
	v_add_f32_e32 v148, s2, v12
	v_readlane_b32 s2, v166, 23
	v_cmp_ge_f32_e32 vcc, s6, v148
	v_readlane_b32 s3, v166, 24
	s_and_b64 s[2:3], s[2:3], vcc
	s_and_saveexec_b64 s[4:5], s[2:3]
	s_cbranch_execz .LBB124_87
; %bb.86:                               ;   in Loop: Header=BB124_13 Depth=1
	v_mul_f32_e32 v12, 0x3fb8aa3b, v148
	v_rndne_f32_e32 v13, v12
	v_sub_f32_e32 v14, v12, v13
	v_fma_f32 v12, v148, s8, -v12
	v_fmac_f32_e32 v12, 0x32a5705f, v148
	v_add_f32_e32 v12, v14, v12
	v_cvt_i32_f32_e32 v13, v13
	v_exp_f32_e32 v12, v12
	v_cmp_ngt_f32_e32 vcc, s9, v148
	v_ldexp_f32 v12, v12, v13
	s_nop 0
	v_cndmask_b32_e32 v12, 0, v12, vcc
	v_cmp_nlt_f32_e32 vcc, s10, v148
	s_nop 1
	v_cndmask_b32_e32 v42, v140, v12, vcc
	v_add_f32_e32 v14, 1.0, v42
	v_add_f32_e32 v12, -1.0, v14
	v_sub_f32_e32 v13, v12, v14
	v_add_f32_e32 v13, 1.0, v13
	v_sub_f32_e32 v12, v42, v12
	v_add_f32_e32 v27, v12, v13
	v_frexp_mant_f32_e32 v29, v14
	v_cvt_f64_f32_e32 v[12:13], v14
	v_frexp_exp_i32_f64_e32 v12, v[12:13]
	v_cmp_gt_f32_e32 vcc, s12, v29
	v_cmp_gt_f32_e64 s[60:61], s16, v42
	s_nop 0
	v_subbrev_co_u32_e32 v36, vcc, 0, v12, vcc
	v_sub_u32_e32 v12, 0, v36
	v_ldexp_f32 v13, v14, v12
	v_add_f32_e32 v14, -1.0, v13
	v_add_f32_e32 v29, 1.0, v13
	v_ldexp_f32 v12, v27, v12
	v_add_f32_e32 v27, 1.0, v14
	v_add_f32_e32 v30, -1.0, v29
	v_sub_f32_e32 v27, v13, v27
	v_sub_f32_e32 v13, v13, v30
	v_add_f32_e32 v27, v12, v27
	v_add_f32_e32 v12, v12, v13
	;; [unrolled: 1-line block ×3, first 2 shown]
	v_rcp_f32_e32 v38, v37
	v_sub_f32_e32 v13, v29, v37
	v_add_f32_e32 v29, v12, v13
	v_add_f32_e32 v13, v14, v27
	v_sub_f32_e32 v12, v14, v13
	v_add_f32_e32 v14, v27, v12
	v_mul_f32_e32 v27, v13, v38
	v_mul_f32_e32 v30, v37, v27
	v_fma_f32 v32, v27, v37, -v30
	v_fmac_f32_e32 v32, v27, v29
	v_add_f32_e32 v12, v30, v32
	v_sub_f32_e32 v31, v13, v12
	v_pk_add_f32 v[34:35], v[12:13], v[30:31] neg_lo:[0,1] neg_hi:[0,1]
	v_mov_b32_e32 v33, v12
	v_pk_add_f32 v[12:13], v[34:35], v[32:33] neg_lo:[0,1] neg_hi:[0,1]
	v_cmp_eq_f32_e32 vcc, s11, v42
	v_add_f32_e32 v13, v14, v13
	v_add_f32_e32 v12, v12, v13
	;; [unrolled: 1-line block ×3, first 2 shown]
	v_mul_f32_e32 v14, v38, v13
	v_mul_f32_e32 v30, v37, v14
	v_fma_f32 v32, v14, v37, -v30
	v_fmac_f32_e32 v32, v14, v29
	v_sub_f32_e32 v29, v31, v13
	v_add_f32_e32 v29, v12, v29
	v_add_f32_e32 v12, v30, v32
	v_sub_f32_e32 v31, v13, v12
	v_pk_add_f32 v[34:35], v[12:13], v[30:31] neg_lo:[0,1] neg_hi:[0,1]
	v_mov_b32_e32 v33, v12
	v_pk_add_f32 v[12:13], v[34:35], v[32:33] neg_lo:[0,1] neg_hi:[0,1]
	s_or_b64 vcc, s[60:61], vcc
	v_add_f32_e32 v13, v29, v13
	v_add_f32_e32 v12, v12, v13
	;; [unrolled: 1-line block ×4, first 2 shown]
	v_sub_f32_e32 v27, v13, v27
	v_mul_f32_e32 v12, v38, v12
	v_sub_f32_e32 v14, v14, v27
	v_add_f32_e32 v14, v14, v12
	v_add_f32_e32 v27, v13, v14
	v_mul_f32_e32 v30, v27, v27
	v_fmamk_f32 v12, v30, 0x3e9b6dac, v139
	v_fmaak_f32 v29, v30, v12, 0x3f2aaada
	v_cvt_f32_i32_e32 v12, v36
	v_sub_f32_e32 v13, v27, v13
	v_sub_f32_e32 v13, v14, v13
	v_ldexp_f32 v14, v13, 1
	v_mul_f32_e32 v13, v27, v30
	v_pk_mul_f32 v[32:33], v[12:13], v[28:29]
	v_ldexp_f32 v31, v27, 1
	v_fma_f32 v30, v12, s13, -v32
	v_fmac_f32_e32 v30, 0xb102e308, v12
	v_pk_add_f32 v[12:13], v[32:33], v[30:31]
	v_mov_b32_e32 v34, v32
	v_sub_f32_e32 v27, v13, v31
	v_sub_f32_e32 v27, v33, v27
	v_add_f32_e32 v35, v14, v27
	v_pk_add_f32 v[32:33], v[12:13], v[32:33] neg_lo:[0,1] neg_hi:[0,1]
	v_pk_add_f32 v[36:37], v[12:13], v[34:35]
	v_mov_b32_e32 v31, v12
	v_mov_b32_e32 v33, v37
	v_pk_add_f32 v[38:39], v[30:31], v[32:33] neg_lo:[0,1] neg_hi:[0,1]
	v_pk_add_f32 v[30:31], v[30:31], v[32:33]
	s_nop 0
	v_mov_b32_e32 v14, v31
	v_pk_add_f32 v[32:33], v[14:15], v[12:13] neg_lo:[0,1] neg_hi:[0,1]
	v_mov_b32_e32 v30, v37
	v_mov_b32_e32 v27, v32
	v_pk_add_f32 v[40:41], v[36:37], v[26:27] neg_lo:[0,1] neg_hi:[0,1]
	v_mov_b32_e32 v36, v13
	v_mov_b32_e32 v37, v32
	;; [unrolled: 1-line block ×3, first 2 shown]
	v_pk_add_f32 v[30:31], v[30:31], v[36:37] neg_lo:[0,1] neg_hi:[0,1]
	v_mov_b32_e32 v32, v35
	v_mov_b32_e32 v33, v12
	v_pk_add_f32 v[12:13], v[32:33], v[30:31] neg_lo:[0,1] neg_hi:[0,1]
	v_mov_b32_e32 v40, v38
	v_pk_add_f32 v[30:31], v[40:41], v[12:13]
	s_nop 0
	v_mov_b32_e32 v32, v31
	v_pk_add_f32 v[32:33], v[30:31], v[32:33]
	s_nop 0
	v_pk_add_f32 v[34:35], v[14:15], v[32:33]
	v_mov_b32_e32 v13, v32
	v_mov_b32_e32 v31, v34
	v_pk_add_f32 v[36:37], v[30:31], v[38:39] neg_lo:[0,1] neg_hi:[0,1]
	s_nop 0
	v_sub_f32_e32 v14, v30, v36
	v_pk_add_f32 v[12:13], v[12:13], v[36:37] neg_lo:[0,1] neg_hi:[0,1]
	v_sub_f32_e32 v14, v38, v14
	v_add_f32_e32 v12, v12, v14
	v_add_f32_e32 v12, v12, v13
	;; [unrolled: 1-line block ×3, first 2 shown]
	v_cndmask_b32_e32 v148, v12, v42, vcc
.LBB124_87:                             ;   in Loop: Header=BB124_13 Depth=1
	s_or_b64 exec, exec, s[4:5]
	v_cvt_f32_f16_e32 v12, v15
	v_readlane_b32 s2, v166, 2
	s_nop 1
	v_add_f32_e32 v149, s2, v12
	v_readlane_b32 s2, v166, 23
	v_cmp_ge_f32_e32 vcc, s6, v149
	v_readlane_b32 s3, v166, 24
	s_and_b64 s[2:3], s[2:3], vcc
	s_and_saveexec_b64 s[4:5], s[2:3]
	s_cbranch_execz .LBB124_89
; %bb.88:                               ;   in Loop: Header=BB124_13 Depth=1
	v_mul_f32_e32 v12, 0x3fb8aa3b, v149
	v_rndne_f32_e32 v13, v12
	v_sub_f32_e32 v14, v12, v13
	v_fma_f32 v12, v149, s8, -v12
	v_fmac_f32_e32 v12, 0x32a5705f, v149
	v_add_f32_e32 v12, v14, v12
	v_cvt_i32_f32_e32 v13, v13
	v_exp_f32_e32 v12, v12
	v_cmp_ngt_f32_e32 vcc, s9, v149
	v_ldexp_f32 v12, v12, v13
	s_nop 0
	v_cndmask_b32_e32 v12, 0, v12, vcc
	v_cmp_nlt_f32_e32 vcc, s10, v149
	s_nop 1
	v_cndmask_b32_e32 v42, v140, v12, vcc
	v_add_f32_e32 v14, 1.0, v42
	v_add_f32_e32 v12, -1.0, v14
	v_sub_f32_e32 v13, v12, v14
	v_add_f32_e32 v13, 1.0, v13
	v_sub_f32_e32 v12, v42, v12
	v_add_f32_e32 v27, v12, v13
	v_frexp_mant_f32_e32 v29, v14
	v_cvt_f64_f32_e32 v[12:13], v14
	v_frexp_exp_i32_f64_e32 v12, v[12:13]
	v_cmp_gt_f32_e32 vcc, s12, v29
	v_cmp_gt_f32_e64 s[60:61], s16, v42
	s_nop 0
	v_subbrev_co_u32_e32 v36, vcc, 0, v12, vcc
	v_sub_u32_e32 v12, 0, v36
	v_ldexp_f32 v13, v14, v12
	v_add_f32_e32 v14, -1.0, v13
	v_add_f32_e32 v29, 1.0, v13
	v_ldexp_f32 v12, v27, v12
	v_add_f32_e32 v27, 1.0, v14
	v_add_f32_e32 v30, -1.0, v29
	v_sub_f32_e32 v27, v13, v27
	v_sub_f32_e32 v13, v13, v30
	v_add_f32_e32 v27, v12, v27
	v_add_f32_e32 v12, v12, v13
	v_add_f32_e32 v37, v29, v12
	v_rcp_f32_e32 v38, v37
	v_sub_f32_e32 v13, v29, v37
	v_add_f32_e32 v29, v12, v13
	v_add_f32_e32 v13, v14, v27
	v_sub_f32_e32 v12, v14, v13
	v_add_f32_e32 v14, v27, v12
	v_mul_f32_e32 v27, v13, v38
	v_mul_f32_e32 v30, v37, v27
	v_fma_f32 v32, v27, v37, -v30
	v_fmac_f32_e32 v32, v27, v29
	v_add_f32_e32 v12, v30, v32
	v_sub_f32_e32 v31, v13, v12
	v_pk_add_f32 v[34:35], v[12:13], v[30:31] neg_lo:[0,1] neg_hi:[0,1]
	v_mov_b32_e32 v33, v12
	v_pk_add_f32 v[12:13], v[34:35], v[32:33] neg_lo:[0,1] neg_hi:[0,1]
	v_cmp_eq_f32_e32 vcc, s11, v42
	v_add_f32_e32 v13, v14, v13
	v_add_f32_e32 v12, v12, v13
	;; [unrolled: 1-line block ×3, first 2 shown]
	v_mul_f32_e32 v14, v38, v13
	v_mul_f32_e32 v30, v37, v14
	v_fma_f32 v32, v14, v37, -v30
	v_fmac_f32_e32 v32, v14, v29
	v_sub_f32_e32 v29, v31, v13
	v_add_f32_e32 v29, v12, v29
	v_add_f32_e32 v12, v30, v32
	v_sub_f32_e32 v31, v13, v12
	v_pk_add_f32 v[34:35], v[12:13], v[30:31] neg_lo:[0,1] neg_hi:[0,1]
	v_mov_b32_e32 v33, v12
	v_pk_add_f32 v[12:13], v[34:35], v[32:33] neg_lo:[0,1] neg_hi:[0,1]
	s_or_b64 vcc, s[60:61], vcc
	v_add_f32_e32 v13, v29, v13
	v_add_f32_e32 v12, v12, v13
	;; [unrolled: 1-line block ×4, first 2 shown]
	v_sub_f32_e32 v27, v13, v27
	v_mul_f32_e32 v12, v38, v12
	v_sub_f32_e32 v14, v14, v27
	v_add_f32_e32 v14, v14, v12
	v_add_f32_e32 v27, v13, v14
	v_mul_f32_e32 v30, v27, v27
	v_fmamk_f32 v12, v30, 0x3e9b6dac, v139
	v_fmaak_f32 v29, v30, v12, 0x3f2aaada
	v_cvt_f32_i32_e32 v12, v36
	v_sub_f32_e32 v13, v27, v13
	v_sub_f32_e32 v13, v14, v13
	v_ldexp_f32 v14, v13, 1
	v_mul_f32_e32 v13, v27, v30
	v_pk_mul_f32 v[32:33], v[12:13], v[28:29]
	v_ldexp_f32 v31, v27, 1
	v_fma_f32 v30, v12, s13, -v32
	v_fmac_f32_e32 v30, 0xb102e308, v12
	v_pk_add_f32 v[12:13], v[32:33], v[30:31]
	v_mov_b32_e32 v34, v32
	v_sub_f32_e32 v27, v13, v31
	v_sub_f32_e32 v27, v33, v27
	v_add_f32_e32 v35, v14, v27
	v_pk_add_f32 v[32:33], v[12:13], v[32:33] neg_lo:[0,1] neg_hi:[0,1]
	v_pk_add_f32 v[36:37], v[12:13], v[34:35]
	v_mov_b32_e32 v31, v12
	v_mov_b32_e32 v33, v37
	v_pk_add_f32 v[38:39], v[30:31], v[32:33] neg_lo:[0,1] neg_hi:[0,1]
	v_pk_add_f32 v[30:31], v[30:31], v[32:33]
	s_nop 0
	v_mov_b32_e32 v14, v31
	v_pk_add_f32 v[32:33], v[14:15], v[12:13] neg_lo:[0,1] neg_hi:[0,1]
	v_mov_b32_e32 v30, v37
	v_mov_b32_e32 v27, v32
	v_pk_add_f32 v[40:41], v[36:37], v[26:27] neg_lo:[0,1] neg_hi:[0,1]
	v_mov_b32_e32 v36, v13
	v_mov_b32_e32 v37, v32
	;; [unrolled: 1-line block ×3, first 2 shown]
	v_pk_add_f32 v[30:31], v[30:31], v[36:37] neg_lo:[0,1] neg_hi:[0,1]
	v_mov_b32_e32 v32, v35
	v_mov_b32_e32 v33, v12
	v_pk_add_f32 v[12:13], v[32:33], v[30:31] neg_lo:[0,1] neg_hi:[0,1]
	v_mov_b32_e32 v40, v38
	v_pk_add_f32 v[30:31], v[40:41], v[12:13]
	s_nop 0
	v_mov_b32_e32 v32, v31
	v_pk_add_f32 v[32:33], v[30:31], v[32:33]
	s_nop 0
	v_pk_add_f32 v[34:35], v[14:15], v[32:33]
	v_mov_b32_e32 v13, v32
	v_mov_b32_e32 v31, v34
	v_pk_add_f32 v[36:37], v[30:31], v[38:39] neg_lo:[0,1] neg_hi:[0,1]
	s_nop 0
	v_sub_f32_e32 v14, v30, v36
	v_pk_add_f32 v[12:13], v[12:13], v[36:37] neg_lo:[0,1] neg_hi:[0,1]
	v_sub_f32_e32 v14, v38, v14
	v_add_f32_e32 v12, v12, v14
	v_add_f32_e32 v12, v12, v13
	;; [unrolled: 1-line block ×3, first 2 shown]
	v_cndmask_b32_e32 v149, v12, v42, vcc
.LBB124_89:                             ;   in Loop: Header=BB124_13 Depth=1
	s_or_b64 exec, exec, s[4:5]
	v_cvt_f32_f16_sdwa v12, v15 dst_sel:DWORD dst_unused:UNUSED_PAD src0_sel:WORD_1
	v_readlane_b32 s2, v166, 2
	s_nop 1
	v_add_f32_e32 v150, s2, v12
	v_readlane_b32 s2, v166, 23
	v_cmp_ge_f32_e32 vcc, s6, v150
	v_readlane_b32 s3, v166, 24
	s_and_b64 s[2:3], s[2:3], vcc
	s_and_saveexec_b64 s[4:5], s[2:3]
	s_cbranch_execz .LBB124_91
; %bb.90:                               ;   in Loop: Header=BB124_13 Depth=1
	v_mul_f32_e32 v12, 0x3fb8aa3b, v150
	v_rndne_f32_e32 v13, v12
	v_sub_f32_e32 v14, v12, v13
	v_fma_f32 v12, v150, s8, -v12
	v_fmac_f32_e32 v12, 0x32a5705f, v150
	v_add_f32_e32 v12, v14, v12
	v_cvt_i32_f32_e32 v13, v13
	v_exp_f32_e32 v12, v12
	v_cmp_ngt_f32_e32 vcc, s9, v150
	v_ldexp_f32 v12, v12, v13
	s_nop 0
	v_cndmask_b32_e32 v12, 0, v12, vcc
	v_cmp_nlt_f32_e32 vcc, s10, v150
	s_nop 1
	v_cndmask_b32_e32 v42, v140, v12, vcc
	v_add_f32_e32 v14, 1.0, v42
	v_add_f32_e32 v12, -1.0, v14
	v_sub_f32_e32 v13, v12, v14
	v_add_f32_e32 v13, 1.0, v13
	v_sub_f32_e32 v12, v42, v12
	v_add_f32_e32 v15, v12, v13
	v_frexp_mant_f32_e32 v27, v14
	v_cvt_f64_f32_e32 v[12:13], v14
	v_frexp_exp_i32_f64_e32 v12, v[12:13]
	v_cmp_gt_f32_e32 vcc, s12, v27
	v_cmp_gt_f32_e64 s[60:61], s16, v42
	s_nop 0
	v_subbrev_co_u32_e32 v27, vcc, 0, v12, vcc
	v_sub_u32_e32 v12, 0, v27
	v_ldexp_f32 v13, v14, v12
	v_add_f32_e32 v14, -1.0, v13
	v_add_f32_e32 v29, 1.0, v13
	v_ldexp_f32 v12, v15, v12
	v_add_f32_e32 v15, 1.0, v14
	v_add_f32_e32 v30, -1.0, v29
	v_sub_f32_e32 v15, v13, v15
	v_sub_f32_e32 v13, v13, v30
	v_add_f32_e32 v15, v12, v15
	v_add_f32_e32 v12, v12, v13
	;; [unrolled: 1-line block ×3, first 2 shown]
	v_rcp_f32_e32 v35, v34
	v_sub_f32_e32 v13, v29, v34
	v_add_f32_e32 v29, v12, v13
	v_add_f32_e32 v13, v14, v15
	v_mul_f32_e32 v37, v13, v35
	v_sub_f32_e32 v12, v14, v13
	v_mul_f32_e32 v14, v34, v37
	v_fma_f32 v30, v37, v34, -v14
	v_fmac_f32_e32 v30, v37, v29
	v_add_f32_e32 v36, v15, v12
	v_add_f32_e32 v12, v14, v30
	v_sub_f32_e32 v15, v13, v12
	v_pk_add_f32 v[32:33], v[12:13], v[14:15] neg_lo:[0,1] neg_hi:[0,1]
	v_mov_b32_e32 v31, v12
	v_pk_add_f32 v[12:13], v[32:33], v[30:31] neg_lo:[0,1] neg_hi:[0,1]
	v_cmp_eq_f32_e32 vcc, s11, v42
	v_add_f32_e32 v13, v36, v13
	v_add_f32_e32 v12, v12, v13
	;; [unrolled: 1-line block ×3, first 2 shown]
	v_mul_f32_e32 v36, v35, v13
	v_mul_f32_e32 v14, v34, v36
	v_fma_f32 v30, v36, v34, -v14
	v_fmac_f32_e32 v30, v36, v29
	v_sub_f32_e32 v15, v15, v13
	v_add_f32_e32 v29, v12, v15
	v_add_f32_e32 v12, v14, v30
	v_sub_f32_e32 v15, v13, v12
	v_pk_add_f32 v[32:33], v[12:13], v[14:15] neg_lo:[0,1] neg_hi:[0,1]
	v_mov_b32_e32 v31, v12
	v_pk_add_f32 v[12:13], v[32:33], v[30:31] neg_lo:[0,1] neg_hi:[0,1]
	s_or_b64 vcc, s[60:61], vcc
	v_add_f32_e32 v13, v29, v13
	v_add_f32_e32 v12, v12, v13
	;; [unrolled: 1-line block ×4, first 2 shown]
	v_sub_f32_e32 v14, v13, v37
	v_mul_f32_e32 v12, v35, v12
	v_sub_f32_e32 v14, v36, v14
	v_add_f32_e32 v14, v14, v12
	v_add_f32_e32 v30, v13, v14
	v_mul_f32_e32 v31, v30, v30
	v_fmamk_f32 v12, v31, 0x3e9b6dac, v139
	v_fmaak_f32 v29, v31, v12, 0x3f2aaada
	v_cvt_f32_i32_e32 v12, v27
	v_sub_f32_e32 v13, v30, v13
	v_sub_f32_e32 v13, v14, v13
	v_ldexp_f32 v27, v13, 1
	v_mul_f32_e32 v13, v30, v31
	v_ldexp_f32 v15, v30, 1
	v_pk_mul_f32 v[30:31], v[12:13], v[28:29]
	s_nop 0
	v_fma_f32 v14, v12, s13, -v30
	v_fmac_f32_e32 v14, 0xb102e308, v12
	v_pk_add_f32 v[12:13], v[30:31], v[14:15]
	v_mov_b32_e32 v32, v30
	v_sub_f32_e32 v15, v13, v15
	v_sub_f32_e32 v15, v31, v15
	v_add_f32_e32 v33, v27, v15
	v_pk_add_f32 v[30:31], v[12:13], v[30:31] neg_lo:[0,1] neg_hi:[0,1]
	v_pk_add_f32 v[34:35], v[12:13], v[32:33]
	v_mov_b32_e32 v15, v12
	v_mov_b32_e32 v31, v35
	v_pk_add_f32 v[36:37], v[14:15], v[30:31] neg_lo:[0,1] neg_hi:[0,1]
	v_pk_add_f32 v[14:15], v[14:15], v[30:31]
	v_mov_b32_e32 v32, v33
	v_mov_b32_e32 v30, v15
	v_pk_add_f32 v[38:39], v[30:31], v[12:13] neg_lo:[0,1] neg_hi:[0,1]
	v_mov_b32_e32 v14, v35
	v_mov_b32_e32 v27, v38
	v_pk_add_f32 v[40:41], v[34:35], v[26:27] neg_lo:[0,1] neg_hi:[0,1]
	v_mov_b32_e32 v34, v13
	v_mov_b32_e32 v35, v38
	;; [unrolled: 1-line block ×3, first 2 shown]
	v_pk_add_f32 v[14:15], v[14:15], v[34:35] neg_lo:[0,1] neg_hi:[0,1]
	v_mov_b32_e32 v33, v12
	v_pk_add_f32 v[12:13], v[32:33], v[14:15] neg_lo:[0,1] neg_hi:[0,1]
	v_mov_b32_e32 v40, v36
	v_pk_add_f32 v[14:15], v[40:41], v[12:13]
	s_nop 0
	v_mov_b32_e32 v32, v15
	v_pk_add_f32 v[32:33], v[14:15], v[32:33]
	s_nop 0
	v_pk_add_f32 v[30:31], v[30:31], v[32:33]
	v_mov_b32_e32 v13, v32
	v_mov_b32_e32 v15, v30
	v_pk_add_f32 v[34:35], v[14:15], v[36:37] neg_lo:[0,1] neg_hi:[0,1]
	s_nop 0
	v_sub_f32_e32 v14, v14, v34
	v_pk_add_f32 v[12:13], v[12:13], v[34:35] neg_lo:[0,1] neg_hi:[0,1]
	v_sub_f32_e32 v14, v36, v14
	v_add_f32_e32 v12, v12, v14
	v_add_f32_e32 v12, v12, v13
	;; [unrolled: 1-line block ×3, first 2 shown]
	v_cndmask_b32_e32 v150, v12, v42, vcc
.LBB124_91:                             ;   in Loop: Header=BB124_13 Depth=1
	s_or_b64 exec, exec, s[4:5]
	s_waitcnt lgkmcnt(0)
	v_cvt_f32_f16_e32 v12, v8
	v_readlane_b32 s2, v166, 2
	s_nop 1
	v_add_f32_e32 v151, s2, v12
	v_readlane_b32 s2, v166, 23
	v_cmp_ge_f32_e32 vcc, s6, v151
	v_readlane_b32 s3, v166, 24
	s_and_b64 s[2:3], s[2:3], vcc
	s_and_saveexec_b64 s[4:5], s[2:3]
	s_cbranch_execz .LBB124_93
; %bb.92:                               ;   in Loop: Header=BB124_13 Depth=1
	v_mul_f32_e32 v12, 0x3fb8aa3b, v151
	v_rndne_f32_e32 v13, v12
	v_sub_f32_e32 v14, v12, v13
	v_fma_f32 v12, v151, s8, -v12
	v_fmac_f32_e32 v12, 0x32a5705f, v151
	v_add_f32_e32 v12, v14, v12
	v_cvt_i32_f32_e32 v13, v13
	v_exp_f32_e32 v12, v12
	v_cmp_ngt_f32_e32 vcc, s9, v151
	v_ldexp_f32 v12, v12, v13
	s_nop 0
	v_cndmask_b32_e32 v12, 0, v12, vcc
	v_cmp_nlt_f32_e32 vcc, s10, v151
	s_nop 1
	v_cndmask_b32_e32 v42, v140, v12, vcc
	v_add_f32_e32 v14, 1.0, v42
	v_add_f32_e32 v12, -1.0, v14
	v_sub_f32_e32 v13, v12, v14
	v_add_f32_e32 v13, 1.0, v13
	v_sub_f32_e32 v12, v42, v12
	v_add_f32_e32 v15, v12, v13
	v_frexp_mant_f32_e32 v27, v14
	v_cvt_f64_f32_e32 v[12:13], v14
	v_frexp_exp_i32_f64_e32 v12, v[12:13]
	v_cmp_gt_f32_e32 vcc, s12, v27
	v_cmp_gt_f32_e64 s[60:61], s16, v42
	s_nop 0
	v_subbrev_co_u32_e32 v27, vcc, 0, v12, vcc
	v_sub_u32_e32 v12, 0, v27
	v_ldexp_f32 v13, v14, v12
	v_add_f32_e32 v14, -1.0, v13
	v_add_f32_e32 v29, 1.0, v13
	v_ldexp_f32 v12, v15, v12
	v_add_f32_e32 v15, 1.0, v14
	v_add_f32_e32 v30, -1.0, v29
	v_sub_f32_e32 v15, v13, v15
	v_sub_f32_e32 v13, v13, v30
	v_add_f32_e32 v15, v12, v15
	v_add_f32_e32 v12, v12, v13
	;; [unrolled: 1-line block ×3, first 2 shown]
	v_rcp_f32_e32 v35, v34
	v_sub_f32_e32 v13, v29, v34
	v_add_f32_e32 v29, v12, v13
	v_add_f32_e32 v13, v14, v15
	v_mul_f32_e32 v37, v13, v35
	v_sub_f32_e32 v12, v14, v13
	v_mul_f32_e32 v14, v34, v37
	v_fma_f32 v30, v37, v34, -v14
	v_fmac_f32_e32 v30, v37, v29
	v_add_f32_e32 v36, v15, v12
	v_add_f32_e32 v12, v14, v30
	v_sub_f32_e32 v15, v13, v12
	v_pk_add_f32 v[32:33], v[12:13], v[14:15] neg_lo:[0,1] neg_hi:[0,1]
	v_mov_b32_e32 v31, v12
	v_pk_add_f32 v[12:13], v[32:33], v[30:31] neg_lo:[0,1] neg_hi:[0,1]
	v_cmp_eq_f32_e32 vcc, s11, v42
	v_add_f32_e32 v13, v36, v13
	v_add_f32_e32 v12, v12, v13
	;; [unrolled: 1-line block ×3, first 2 shown]
	v_mul_f32_e32 v36, v35, v13
	v_mul_f32_e32 v14, v34, v36
	v_fma_f32 v30, v36, v34, -v14
	v_fmac_f32_e32 v30, v36, v29
	v_sub_f32_e32 v15, v15, v13
	v_add_f32_e32 v29, v12, v15
	v_add_f32_e32 v12, v14, v30
	v_sub_f32_e32 v15, v13, v12
	v_pk_add_f32 v[32:33], v[12:13], v[14:15] neg_lo:[0,1] neg_hi:[0,1]
	v_mov_b32_e32 v31, v12
	v_pk_add_f32 v[12:13], v[32:33], v[30:31] neg_lo:[0,1] neg_hi:[0,1]
	s_or_b64 vcc, s[60:61], vcc
	v_add_f32_e32 v13, v29, v13
	v_add_f32_e32 v12, v12, v13
	;; [unrolled: 1-line block ×4, first 2 shown]
	v_sub_f32_e32 v14, v13, v37
	v_mul_f32_e32 v12, v35, v12
	v_sub_f32_e32 v14, v36, v14
	v_add_f32_e32 v14, v14, v12
	v_add_f32_e32 v30, v13, v14
	v_mul_f32_e32 v31, v30, v30
	v_fmamk_f32 v12, v31, 0x3e9b6dac, v139
	v_fmaak_f32 v29, v31, v12, 0x3f2aaada
	v_cvt_f32_i32_e32 v12, v27
	v_sub_f32_e32 v13, v30, v13
	v_sub_f32_e32 v13, v14, v13
	v_ldexp_f32 v27, v13, 1
	v_mul_f32_e32 v13, v30, v31
	v_ldexp_f32 v15, v30, 1
	v_pk_mul_f32 v[30:31], v[12:13], v[28:29]
	s_nop 0
	v_fma_f32 v14, v12, s13, -v30
	v_fmac_f32_e32 v14, 0xb102e308, v12
	v_pk_add_f32 v[12:13], v[30:31], v[14:15]
	v_mov_b32_e32 v32, v30
	v_sub_f32_e32 v15, v13, v15
	v_sub_f32_e32 v15, v31, v15
	v_add_f32_e32 v33, v27, v15
	v_pk_add_f32 v[30:31], v[12:13], v[30:31] neg_lo:[0,1] neg_hi:[0,1]
	v_pk_add_f32 v[34:35], v[12:13], v[32:33]
	v_mov_b32_e32 v15, v12
	v_mov_b32_e32 v31, v35
	v_pk_add_f32 v[36:37], v[14:15], v[30:31] neg_lo:[0,1] neg_hi:[0,1]
	v_pk_add_f32 v[14:15], v[14:15], v[30:31]
	v_mov_b32_e32 v32, v33
	v_mov_b32_e32 v30, v15
	v_pk_add_f32 v[38:39], v[30:31], v[12:13] neg_lo:[0,1] neg_hi:[0,1]
	v_mov_b32_e32 v14, v35
	v_mov_b32_e32 v27, v38
	v_pk_add_f32 v[40:41], v[34:35], v[26:27] neg_lo:[0,1] neg_hi:[0,1]
	v_mov_b32_e32 v34, v13
	v_mov_b32_e32 v35, v38
	;; [unrolled: 1-line block ×3, first 2 shown]
	v_pk_add_f32 v[14:15], v[14:15], v[34:35] neg_lo:[0,1] neg_hi:[0,1]
	v_mov_b32_e32 v33, v12
	v_pk_add_f32 v[12:13], v[32:33], v[14:15] neg_lo:[0,1] neg_hi:[0,1]
	v_mov_b32_e32 v40, v36
	v_pk_add_f32 v[14:15], v[40:41], v[12:13]
	s_nop 0
	v_mov_b32_e32 v32, v15
	v_pk_add_f32 v[32:33], v[14:15], v[32:33]
	s_nop 0
	v_pk_add_f32 v[30:31], v[30:31], v[32:33]
	v_mov_b32_e32 v13, v32
	v_mov_b32_e32 v15, v30
	v_pk_add_f32 v[34:35], v[14:15], v[36:37] neg_lo:[0,1] neg_hi:[0,1]
	s_nop 0
	v_sub_f32_e32 v14, v14, v34
	v_pk_add_f32 v[12:13], v[12:13], v[34:35] neg_lo:[0,1] neg_hi:[0,1]
	v_sub_f32_e32 v14, v36, v14
	v_add_f32_e32 v12, v12, v14
	v_add_f32_e32 v12, v12, v13
	;; [unrolled: 1-line block ×3, first 2 shown]
	v_cndmask_b32_e32 v151, v12, v42, vcc
.LBB124_93:                             ;   in Loop: Header=BB124_13 Depth=1
	s_or_b64 exec, exec, s[4:5]
	v_cvt_f32_f16_sdwa v8, v8 dst_sel:DWORD dst_unused:UNUSED_PAD src0_sel:WORD_1
	v_readlane_b32 s2, v166, 2
	s_nop 1
	v_add_f32_e32 v152, s2, v8
	v_readlane_b32 s2, v166, 23
	v_cmp_ge_f32_e32 vcc, s6, v152
	v_readlane_b32 s3, v166, 24
	s_and_b64 s[2:3], s[2:3], vcc
	s_and_saveexec_b64 s[4:5], s[2:3]
	s_cbranch_execz .LBB124_95
; %bb.94:                               ;   in Loop: Header=BB124_13 Depth=1
	v_mul_f32_e32 v8, 0x3fb8aa3b, v152
	v_rndne_f32_e32 v12, v8
	v_sub_f32_e32 v13, v8, v12
	v_fma_f32 v8, v152, s8, -v8
	v_fmac_f32_e32 v8, 0x32a5705f, v152
	v_add_f32_e32 v8, v13, v8
	v_cvt_i32_f32_e32 v12, v12
	v_exp_f32_e32 v8, v8
	v_cmp_ngt_f32_e32 vcc, s9, v152
	v_ldexp_f32 v8, v8, v12
	s_nop 0
	v_cndmask_b32_e32 v8, 0, v8, vcc
	v_cmp_nlt_f32_e32 vcc, s10, v152
	s_nop 1
	v_cndmask_b32_e32 v40, v140, v8, vcc
	v_add_f32_e32 v8, 1.0, v40
	v_add_f32_e32 v12, -1.0, v8
	v_sub_f32_e32 v13, v12, v8
	v_add_f32_e32 v13, 1.0, v13
	v_sub_f32_e32 v12, v40, v12
	v_add_f32_e32 v14, v12, v13
	v_frexp_mant_f32_e32 v15, v8
	v_cvt_f64_f32_e32 v[12:13], v8
	v_frexp_exp_i32_f64_e32 v12, v[12:13]
	v_cmp_gt_f32_e32 vcc, s12, v15
	v_cmp_gt_f32_e64 s[60:61], s16, v40
	s_nop 0
	v_subbrev_co_u32_e32 v27, vcc, 0, v12, vcc
	v_sub_u32_e32 v12, 0, v27
	v_ldexp_f32 v8, v8, v12
	v_ldexp_f32 v12, v14, v12
	v_add_f32_e32 v14, -1.0, v8
	v_add_f32_e32 v13, 1.0, v14
	v_sub_f32_e32 v13, v8, v13
	v_add_f32_e32 v15, v12, v13
	v_add_f32_e32 v13, 1.0, v8
	v_add_f32_e32 v29, -1.0, v13
	v_sub_f32_e32 v8, v8, v29
	v_add_f32_e32 v8, v12, v8
	v_add_f32_e32 v29, v13, v8
	v_rcp_f32_e32 v34, v29
	v_sub_f32_e32 v12, v13, v29
	v_add_f32_e32 v13, v14, v15
	v_add_f32_e32 v8, v8, v12
	v_mul_f32_e32 v36, v13, v34
	v_sub_f32_e32 v12, v14, v13
	v_mul_f32_e32 v14, v29, v36
	v_fma_f32 v30, v36, v29, -v14
	v_fmac_f32_e32 v30, v36, v8
	v_add_f32_e32 v35, v15, v12
	v_add_f32_e32 v12, v14, v30
	v_sub_f32_e32 v15, v13, v12
	v_pk_add_f32 v[32:33], v[12:13], v[14:15] neg_lo:[0,1] neg_hi:[0,1]
	v_mov_b32_e32 v31, v12
	v_pk_add_f32 v[12:13], v[32:33], v[30:31] neg_lo:[0,1] neg_hi:[0,1]
	v_cmp_eq_f32_e32 vcc, s11, v40
	v_add_f32_e32 v13, v35, v13
	v_add_f32_e32 v12, v12, v13
	;; [unrolled: 1-line block ×3, first 2 shown]
	v_mul_f32_e32 v35, v34, v13
	v_mul_f32_e32 v14, v29, v35
	v_fma_f32 v30, v35, v29, -v14
	v_fmac_f32_e32 v30, v35, v8
	v_sub_f32_e32 v8, v15, v13
	v_add_f32_e32 v8, v12, v8
	v_add_f32_e32 v12, v14, v30
	v_sub_f32_e32 v15, v13, v12
	v_pk_add_f32 v[32:33], v[12:13], v[14:15] neg_lo:[0,1] neg_hi:[0,1]
	v_mov_b32_e32 v31, v12
	v_pk_add_f32 v[12:13], v[32:33], v[30:31] neg_lo:[0,1] neg_hi:[0,1]
	s_or_b64 vcc, s[60:61], vcc
	v_add_f32_e32 v8, v8, v13
	v_add_f32_e32 v8, v12, v8
	;; [unrolled: 1-line block ×4, first 2 shown]
	v_sub_f32_e32 v12, v13, v36
	v_mul_f32_e32 v8, v34, v8
	v_sub_f32_e32 v12, v35, v12
	v_add_f32_e32 v8, v12, v8
	v_add_f32_e32 v14, v13, v8
	v_mul_f32_e32 v30, v14, v14
	v_fmamk_f32 v12, v30, 0x3e9b6dac, v139
	v_fmaak_f32 v29, v30, v12, 0x3f2aaada
	v_cvt_f32_i32_e32 v12, v27
	v_sub_f32_e32 v13, v14, v13
	v_sub_f32_e32 v8, v8, v13
	v_mul_f32_e32 v13, v14, v30
	v_pk_mul_f32 v[30:31], v[12:13], v[28:29]
	v_ldexp_f32 v15, v14, 1
	v_fma_f32 v14, v12, s13, -v30
	v_fmac_f32_e32 v14, 0xb102e308, v12
	v_pk_add_f32 v[12:13], v[30:31], v[14:15]
	v_ldexp_f32 v8, v8, 1
	v_sub_f32_e32 v15, v13, v15
	v_sub_f32_e32 v15, v31, v15
	v_add_f32_e32 v33, v8, v15
	v_mov_b32_e32 v32, v30
	v_pk_add_f32 v[30:31], v[12:13], v[30:31] neg_lo:[0,1] neg_hi:[0,1]
	v_pk_add_f32 v[34:35], v[12:13], v[32:33]
	v_mov_b32_e32 v15, v12
	v_mov_b32_e32 v31, v35
	v_pk_add_f32 v[36:37], v[14:15], v[30:31] neg_lo:[0,1] neg_hi:[0,1]
	v_pk_add_f32 v[14:15], v[14:15], v[30:31]
	s_nop 0
	v_mov_b32_e32 v8, v15
	v_pk_add_f32 v[30:31], v[8:9], v[12:13] neg_lo:[0,1] neg_hi:[0,1]
	v_mov_b32_e32 v14, v35
	v_mov_b32_e32 v27, v30
	v_pk_add_f32 v[38:39], v[34:35], v[26:27] neg_lo:[0,1] neg_hi:[0,1]
	v_mov_b32_e32 v34, v13
	v_mov_b32_e32 v35, v30
	;; [unrolled: 1-line block ×3, first 2 shown]
	v_pk_add_f32 v[14:15], v[14:15], v[34:35] neg_lo:[0,1] neg_hi:[0,1]
	v_mov_b32_e32 v30, v33
	v_mov_b32_e32 v31, v12
	v_pk_add_f32 v[12:13], v[30:31], v[14:15] neg_lo:[0,1] neg_hi:[0,1]
	v_mov_b32_e32 v38, v36
	v_pk_add_f32 v[14:15], v[38:39], v[12:13]
	s_nop 0
	v_mov_b32_e32 v30, v15
	v_pk_add_f32 v[30:31], v[14:15], v[30:31]
	s_nop 0
	v_pk_add_f32 v[32:33], v[8:9], v[30:31]
	v_mov_b32_e32 v13, v30
	v_mov_b32_e32 v15, v32
	v_pk_add_f32 v[34:35], v[14:15], v[36:37] neg_lo:[0,1] neg_hi:[0,1]
	s_nop 0
	v_sub_f32_e32 v8, v14, v34
	v_pk_add_f32 v[12:13], v[12:13], v[34:35] neg_lo:[0,1] neg_hi:[0,1]
	v_sub_f32_e32 v8, v36, v8
	v_add_f32_e32 v8, v12, v8
	v_add_f32_e32 v8, v8, v13
	;; [unrolled: 1-line block ×3, first 2 shown]
	v_cndmask_b32_e32 v152, v8, v40, vcc
.LBB124_95:                             ;   in Loop: Header=BB124_13 Depth=1
	s_or_b64 exec, exec, s[4:5]
	v_cvt_f32_f16_e32 v8, v9
	v_readlane_b32 s2, v166, 2
	s_nop 1
	v_add_f32_e32 v153, s2, v8
	v_readlane_b32 s2, v166, 23
	v_cmp_ge_f32_e32 vcc, s6, v153
	v_readlane_b32 s3, v166, 24
	s_and_b64 s[2:3], s[2:3], vcc
	s_and_saveexec_b64 s[4:5], s[2:3]
	s_cbranch_execz .LBB124_97
; %bb.96:                               ;   in Loop: Header=BB124_13 Depth=1
	v_mul_f32_e32 v8, 0x3fb8aa3b, v153
	v_rndne_f32_e32 v12, v8
	v_sub_f32_e32 v13, v8, v12
	v_fma_f32 v8, v153, s8, -v8
	v_fmac_f32_e32 v8, 0x32a5705f, v153
	v_add_f32_e32 v8, v13, v8
	v_cvt_i32_f32_e32 v12, v12
	v_exp_f32_e32 v8, v8
	v_cmp_ngt_f32_e32 vcc, s9, v153
	v_ldexp_f32 v8, v8, v12
	s_nop 0
	v_cndmask_b32_e32 v8, 0, v8, vcc
	v_cmp_nlt_f32_e32 vcc, s10, v153
	s_nop 1
	v_cndmask_b32_e32 v40, v140, v8, vcc
	v_add_f32_e32 v8, 1.0, v40
	v_add_f32_e32 v12, -1.0, v8
	v_sub_f32_e32 v13, v12, v8
	v_add_f32_e32 v13, 1.0, v13
	v_sub_f32_e32 v12, v40, v12
	v_add_f32_e32 v14, v12, v13
	v_frexp_mant_f32_e32 v15, v8
	v_cvt_f64_f32_e32 v[12:13], v8
	v_frexp_exp_i32_f64_e32 v12, v[12:13]
	v_cmp_gt_f32_e32 vcc, s12, v15
	v_cmp_gt_f32_e64 s[60:61], s16, v40
	s_nop 0
	v_subbrev_co_u32_e32 v27, vcc, 0, v12, vcc
	v_sub_u32_e32 v12, 0, v27
	v_ldexp_f32 v8, v8, v12
	v_ldexp_f32 v12, v14, v12
	v_add_f32_e32 v14, -1.0, v8
	v_add_f32_e32 v13, 1.0, v14
	v_sub_f32_e32 v13, v8, v13
	v_add_f32_e32 v15, v12, v13
	v_add_f32_e32 v13, 1.0, v8
	v_add_f32_e32 v29, -1.0, v13
	v_sub_f32_e32 v8, v8, v29
	v_add_f32_e32 v8, v12, v8
	v_add_f32_e32 v29, v13, v8
	v_rcp_f32_e32 v34, v29
	v_sub_f32_e32 v12, v13, v29
	v_add_f32_e32 v13, v14, v15
	v_add_f32_e32 v8, v8, v12
	v_mul_f32_e32 v36, v13, v34
	v_sub_f32_e32 v12, v14, v13
	v_mul_f32_e32 v14, v29, v36
	v_fma_f32 v30, v36, v29, -v14
	v_fmac_f32_e32 v30, v36, v8
	v_add_f32_e32 v35, v15, v12
	v_add_f32_e32 v12, v14, v30
	v_sub_f32_e32 v15, v13, v12
	v_pk_add_f32 v[32:33], v[12:13], v[14:15] neg_lo:[0,1] neg_hi:[0,1]
	v_mov_b32_e32 v31, v12
	v_pk_add_f32 v[12:13], v[32:33], v[30:31] neg_lo:[0,1] neg_hi:[0,1]
	v_cmp_eq_f32_e32 vcc, s11, v40
	v_add_f32_e32 v13, v35, v13
	v_add_f32_e32 v12, v12, v13
	;; [unrolled: 1-line block ×3, first 2 shown]
	v_mul_f32_e32 v35, v34, v13
	v_mul_f32_e32 v14, v29, v35
	v_fma_f32 v30, v35, v29, -v14
	v_fmac_f32_e32 v30, v35, v8
	v_sub_f32_e32 v8, v15, v13
	v_add_f32_e32 v8, v12, v8
	v_add_f32_e32 v12, v14, v30
	v_sub_f32_e32 v15, v13, v12
	v_pk_add_f32 v[32:33], v[12:13], v[14:15] neg_lo:[0,1] neg_hi:[0,1]
	v_mov_b32_e32 v31, v12
	v_pk_add_f32 v[12:13], v[32:33], v[30:31] neg_lo:[0,1] neg_hi:[0,1]
	s_or_b64 vcc, s[60:61], vcc
	v_add_f32_e32 v8, v8, v13
	v_add_f32_e32 v8, v12, v8
	;; [unrolled: 1-line block ×4, first 2 shown]
	v_sub_f32_e32 v12, v13, v36
	v_mul_f32_e32 v8, v34, v8
	v_sub_f32_e32 v12, v35, v12
	v_add_f32_e32 v8, v12, v8
	v_add_f32_e32 v14, v13, v8
	v_mul_f32_e32 v30, v14, v14
	v_fmamk_f32 v12, v30, 0x3e9b6dac, v139
	v_fmaak_f32 v29, v30, v12, 0x3f2aaada
	v_cvt_f32_i32_e32 v12, v27
	v_sub_f32_e32 v13, v14, v13
	v_sub_f32_e32 v8, v8, v13
	v_mul_f32_e32 v13, v14, v30
	v_pk_mul_f32 v[30:31], v[12:13], v[28:29]
	v_ldexp_f32 v15, v14, 1
	v_fma_f32 v14, v12, s13, -v30
	v_fmac_f32_e32 v14, 0xb102e308, v12
	v_pk_add_f32 v[12:13], v[30:31], v[14:15]
	v_ldexp_f32 v8, v8, 1
	v_sub_f32_e32 v15, v13, v15
	v_sub_f32_e32 v15, v31, v15
	v_add_f32_e32 v33, v8, v15
	v_mov_b32_e32 v32, v30
	v_pk_add_f32 v[30:31], v[12:13], v[30:31] neg_lo:[0,1] neg_hi:[0,1]
	v_pk_add_f32 v[34:35], v[12:13], v[32:33]
	v_mov_b32_e32 v15, v12
	v_mov_b32_e32 v31, v35
	v_pk_add_f32 v[36:37], v[14:15], v[30:31] neg_lo:[0,1] neg_hi:[0,1]
	v_pk_add_f32 v[14:15], v[14:15], v[30:31]
	s_nop 0
	v_mov_b32_e32 v8, v15
	v_pk_add_f32 v[30:31], v[8:9], v[12:13] neg_lo:[0,1] neg_hi:[0,1]
	v_mov_b32_e32 v14, v35
	v_mov_b32_e32 v27, v30
	v_pk_add_f32 v[38:39], v[34:35], v[26:27] neg_lo:[0,1] neg_hi:[0,1]
	v_mov_b32_e32 v34, v13
	v_mov_b32_e32 v35, v30
	;; [unrolled: 1-line block ×3, first 2 shown]
	v_pk_add_f32 v[14:15], v[14:15], v[34:35] neg_lo:[0,1] neg_hi:[0,1]
	v_mov_b32_e32 v30, v33
	v_mov_b32_e32 v31, v12
	v_pk_add_f32 v[12:13], v[30:31], v[14:15] neg_lo:[0,1] neg_hi:[0,1]
	v_mov_b32_e32 v38, v36
	v_pk_add_f32 v[14:15], v[38:39], v[12:13]
	s_nop 0
	v_mov_b32_e32 v30, v15
	v_pk_add_f32 v[30:31], v[14:15], v[30:31]
	s_nop 0
	v_pk_add_f32 v[32:33], v[8:9], v[30:31]
	v_mov_b32_e32 v13, v30
	v_mov_b32_e32 v15, v32
	v_pk_add_f32 v[34:35], v[14:15], v[36:37] neg_lo:[0,1] neg_hi:[0,1]
	s_nop 0
	v_sub_f32_e32 v8, v14, v34
	v_pk_add_f32 v[12:13], v[12:13], v[34:35] neg_lo:[0,1] neg_hi:[0,1]
	v_sub_f32_e32 v8, v36, v8
	v_add_f32_e32 v8, v12, v8
	v_add_f32_e32 v8, v8, v13
	;; [unrolled: 1-line block ×3, first 2 shown]
	v_cndmask_b32_e32 v153, v8, v40, vcc
.LBB124_97:                             ;   in Loop: Header=BB124_13 Depth=1
	s_or_b64 exec, exec, s[4:5]
	v_cvt_f32_f16_sdwa v8, v9 dst_sel:DWORD dst_unused:UNUSED_PAD src0_sel:WORD_1
	v_readlane_b32 s2, v166, 2
	s_nop 1
	v_add_f32_e32 v154, s2, v8
	v_readlane_b32 s2, v166, 23
	v_cmp_ge_f32_e32 vcc, s6, v154
	v_readlane_b32 s3, v166, 24
	s_and_b64 s[2:3], s[2:3], vcc
	s_and_saveexec_b64 s[4:5], s[2:3]
	s_cbranch_execz .LBB124_99
; %bb.98:                               ;   in Loop: Header=BB124_13 Depth=1
	v_mul_f32_e32 v8, 0x3fb8aa3b, v154
	v_rndne_f32_e32 v9, v8
	v_sub_f32_e32 v12, v8, v9
	v_fma_f32 v8, v154, s8, -v8
	v_fmac_f32_e32 v8, 0x32a5705f, v154
	v_add_f32_e32 v8, v12, v8
	v_cvt_i32_f32_e32 v9, v9
	v_exp_f32_e32 v8, v8
	v_cmp_ngt_f32_e32 vcc, s9, v154
	v_ldexp_f32 v8, v8, v9
	s_nop 0
	v_cndmask_b32_e32 v8, 0, v8, vcc
	v_cmp_nlt_f32_e32 vcc, s10, v154
	s_nop 1
	v_cndmask_b32_e32 v27, v140, v8, vcc
	v_add_f32_e32 v12, 1.0, v27
	v_add_f32_e32 v8, -1.0, v12
	v_sub_f32_e32 v9, v8, v12
	v_add_f32_e32 v9, 1.0, v9
	v_sub_f32_e32 v8, v27, v8
	v_add_f32_e32 v13, v8, v9
	v_frexp_mant_f32_e32 v14, v12
	v_cvt_f64_f32_e32 v[8:9], v12
	v_frexp_exp_i32_f64_e32 v8, v[8:9]
	v_cmp_gt_f32_e32 vcc, s12, v14
	v_cmp_gt_f32_e64 s[60:61], s16, v27
	s_nop 0
	v_subbrev_co_u32_e32 v32, vcc, 0, v8, vcc
	v_sub_u32_e32 v8, 0, v32
	v_ldexp_f32 v9, v12, v8
	v_add_f32_e32 v12, -1.0, v9
	v_add_f32_e32 v14, 1.0, v9
	v_ldexp_f32 v8, v13, v8
	v_add_f32_e32 v13, 1.0, v12
	v_add_f32_e32 v15, -1.0, v14
	v_sub_f32_e32 v13, v9, v13
	v_sub_f32_e32 v9, v9, v15
	v_add_f32_e32 v13, v8, v13
	v_add_f32_e32 v8, v8, v9
	;; [unrolled: 1-line block ×3, first 2 shown]
	v_rcp_f32_e32 v34, v29
	v_sub_f32_e32 v9, v14, v29
	v_add_f32_e32 v33, v8, v9
	v_add_f32_e32 v9, v12, v13
	v_mul_f32_e32 v36, v9, v34
	v_sub_f32_e32 v8, v12, v9
	v_mul_f32_e32 v12, v29, v36
	v_fma_f32 v14, v36, v29, -v12
	v_fmac_f32_e32 v14, v36, v33
	v_add_f32_e32 v35, v13, v8
	v_add_f32_e32 v8, v12, v14
	v_sub_f32_e32 v13, v9, v8
	v_pk_add_f32 v[30:31], v[8:9], v[12:13] neg_lo:[0,1] neg_hi:[0,1]
	v_mov_b32_e32 v15, v8
	v_pk_add_f32 v[8:9], v[30:31], v[14:15] neg_lo:[0,1] neg_hi:[0,1]
	v_cmp_eq_f32_e32 vcc, s11, v27
	v_add_f32_e32 v9, v35, v9
	v_add_f32_e32 v8, v8, v9
	;; [unrolled: 1-line block ×3, first 2 shown]
	v_mul_f32_e32 v35, v34, v9
	v_mul_f32_e32 v12, v29, v35
	v_fma_f32 v14, v35, v29, -v12
	v_fmac_f32_e32 v14, v35, v33
	v_sub_f32_e32 v13, v13, v9
	v_add_f32_e32 v29, v8, v13
	v_add_f32_e32 v8, v12, v14
	v_sub_f32_e32 v13, v9, v8
	v_pk_add_f32 v[30:31], v[8:9], v[12:13] neg_lo:[0,1] neg_hi:[0,1]
	v_mov_b32_e32 v15, v8
	v_pk_add_f32 v[8:9], v[30:31], v[14:15] neg_lo:[0,1] neg_hi:[0,1]
	s_or_b64 vcc, s[60:61], vcc
	v_add_f32_e32 v9, v29, v9
	v_add_f32_e32 v8, v8, v9
	;; [unrolled: 1-line block ×4, first 2 shown]
	v_sub_f32_e32 v12, v9, v36
	v_mul_f32_e32 v8, v34, v8
	v_sub_f32_e32 v12, v35, v12
	v_add_f32_e32 v12, v12, v8
	v_add_f32_e32 v14, v9, v12
	v_mul_f32_e32 v15, v14, v14
	v_fmamk_f32 v8, v15, 0x3e9b6dac, v139
	v_fmaak_f32 v29, v15, v8, 0x3f2aaada
	v_cvt_f32_i32_e32 v8, v32
	v_sub_f32_e32 v9, v14, v9
	v_sub_f32_e32 v9, v12, v9
	v_ldexp_f32 v30, v9, 1
	v_mul_f32_e32 v9, v14, v15
	v_ldexp_f32 v13, v14, 1
	v_pk_mul_f32 v[14:15], v[8:9], v[28:29]
	s_nop 0
	v_fma_f32 v12, v8, s13, -v14
	v_fmac_f32_e32 v12, 0xb102e308, v8
	v_pk_add_f32 v[8:9], v[14:15], v[12:13]
	s_nop 0
	v_sub_f32_e32 v13, v9, v13
	v_sub_f32_e32 v13, v15, v13
	v_add_f32_e32 v31, v30, v13
	v_mov_b32_e32 v30, v14
	v_pk_add_f32 v[14:15], v[8:9], v[14:15] neg_lo:[0,1] neg_hi:[0,1]
	v_pk_add_f32 v[32:33], v[8:9], v[30:31]
	v_mov_b32_e32 v13, v8
	v_mov_b32_e32 v15, v33
	v_pk_add_f32 v[34:35], v[12:13], v[14:15] neg_lo:[0,1] neg_hi:[0,1]
	v_pk_add_f32 v[12:13], v[12:13], v[14:15]
	v_mov_b32_e32 v30, v31
	v_mov_b32_e32 v14, v13
	v_pk_add_f32 v[36:37], v[14:15], v[8:9] neg_lo:[0,1] neg_hi:[0,1]
	v_mov_b32_e32 v12, v33
	v_mov_b32_e32 v15, v36
	v_pk_add_f32 v[38:39], v[32:33], v[14:15] neg_lo:[0,1] neg_hi:[0,1]
	v_mov_b32_e32 v32, v9
	v_mov_b32_e32 v33, v36
	;; [unrolled: 1-line block ×3, first 2 shown]
	v_pk_add_f32 v[12:13], v[12:13], v[32:33] neg_lo:[0,1] neg_hi:[0,1]
	v_mov_b32_e32 v31, v8
	v_pk_add_f32 v[8:9], v[30:31], v[12:13] neg_lo:[0,1] neg_hi:[0,1]
	v_mov_b32_e32 v38, v34
	v_pk_add_f32 v[12:13], v[38:39], v[8:9]
	s_nop 0
	v_mov_b32_e32 v30, v13
	v_pk_add_f32 v[30:31], v[12:13], v[30:31]
	s_nop 0
	v_pk_add_f32 v[14:15], v[14:15], v[30:31]
	v_mov_b32_e32 v9, v30
	v_mov_b32_e32 v13, v14
	v_pk_add_f32 v[32:33], v[12:13], v[34:35] neg_lo:[0,1] neg_hi:[0,1]
	s_nop 0
	v_sub_f32_e32 v12, v12, v32
	v_pk_add_f32 v[8:9], v[8:9], v[32:33] neg_lo:[0,1] neg_hi:[0,1]
	v_sub_f32_e32 v12, v34, v12
	v_add_f32_e32 v8, v8, v12
	v_add_f32_e32 v8, v8, v9
	;; [unrolled: 1-line block ×3, first 2 shown]
	v_cndmask_b32_e32 v154, v8, v27, vcc
.LBB124_99:                             ;   in Loop: Header=BB124_13 Depth=1
	s_or_b64 exec, exec, s[4:5]
	v_cvt_f32_f16_e32 v8, v10
	v_readlane_b32 s2, v166, 2
	s_nop 1
	v_add_f32_e32 v155, s2, v8
	v_readlane_b32 s2, v166, 23
	v_cmp_ge_f32_e32 vcc, s6, v155
	v_readlane_b32 s3, v166, 24
	s_and_b64 s[2:3], s[2:3], vcc
	s_and_saveexec_b64 s[4:5], s[2:3]
	s_cbranch_execz .LBB124_101
; %bb.100:                              ;   in Loop: Header=BB124_13 Depth=1
	v_mul_f32_e32 v8, 0x3fb8aa3b, v155
	v_rndne_f32_e32 v9, v8
	v_sub_f32_e32 v12, v8, v9
	v_fma_f32 v8, v155, s8, -v8
	v_fmac_f32_e32 v8, 0x32a5705f, v155
	v_add_f32_e32 v8, v12, v8
	v_cvt_i32_f32_e32 v9, v9
	v_exp_f32_e32 v8, v8
	v_cmp_ngt_f32_e32 vcc, s9, v155
	v_ldexp_f32 v8, v8, v9
	s_nop 0
	v_cndmask_b32_e32 v8, 0, v8, vcc
	v_cmp_nlt_f32_e32 vcc, s10, v155
	s_nop 1
	v_cndmask_b32_e32 v27, v140, v8, vcc
	v_add_f32_e32 v12, 1.0, v27
	v_add_f32_e32 v8, -1.0, v12
	v_sub_f32_e32 v9, v8, v12
	v_add_f32_e32 v9, 1.0, v9
	v_sub_f32_e32 v8, v27, v8
	v_add_f32_e32 v13, v8, v9
	v_frexp_mant_f32_e32 v14, v12
	v_cvt_f64_f32_e32 v[8:9], v12
	v_frexp_exp_i32_f64_e32 v8, v[8:9]
	v_cmp_gt_f32_e32 vcc, s12, v14
	v_cmp_gt_f32_e64 s[60:61], s16, v27
	s_nop 0
	v_subbrev_co_u32_e32 v32, vcc, 0, v8, vcc
	v_sub_u32_e32 v8, 0, v32
	v_ldexp_f32 v9, v12, v8
	v_add_f32_e32 v12, -1.0, v9
	v_add_f32_e32 v14, 1.0, v9
	v_ldexp_f32 v8, v13, v8
	v_add_f32_e32 v13, 1.0, v12
	v_add_f32_e32 v15, -1.0, v14
	v_sub_f32_e32 v13, v9, v13
	v_sub_f32_e32 v9, v9, v15
	v_add_f32_e32 v13, v8, v13
	v_add_f32_e32 v8, v8, v9
	;; [unrolled: 1-line block ×3, first 2 shown]
	v_rcp_f32_e32 v34, v29
	v_sub_f32_e32 v9, v14, v29
	v_add_f32_e32 v33, v8, v9
	v_add_f32_e32 v9, v12, v13
	v_mul_f32_e32 v36, v9, v34
	v_sub_f32_e32 v8, v12, v9
	v_mul_f32_e32 v12, v29, v36
	v_fma_f32 v14, v36, v29, -v12
	v_fmac_f32_e32 v14, v36, v33
	v_add_f32_e32 v35, v13, v8
	v_add_f32_e32 v8, v12, v14
	v_sub_f32_e32 v13, v9, v8
	v_pk_add_f32 v[30:31], v[8:9], v[12:13] neg_lo:[0,1] neg_hi:[0,1]
	v_mov_b32_e32 v15, v8
	v_pk_add_f32 v[8:9], v[30:31], v[14:15] neg_lo:[0,1] neg_hi:[0,1]
	v_cmp_eq_f32_e32 vcc, s11, v27
	v_add_f32_e32 v9, v35, v9
	v_add_f32_e32 v8, v8, v9
	;; [unrolled: 1-line block ×3, first 2 shown]
	v_mul_f32_e32 v35, v34, v9
	v_mul_f32_e32 v12, v29, v35
	v_fma_f32 v14, v35, v29, -v12
	v_fmac_f32_e32 v14, v35, v33
	v_sub_f32_e32 v13, v13, v9
	v_add_f32_e32 v29, v8, v13
	v_add_f32_e32 v8, v12, v14
	v_sub_f32_e32 v13, v9, v8
	v_pk_add_f32 v[30:31], v[8:9], v[12:13] neg_lo:[0,1] neg_hi:[0,1]
	v_mov_b32_e32 v15, v8
	v_pk_add_f32 v[8:9], v[30:31], v[14:15] neg_lo:[0,1] neg_hi:[0,1]
	s_or_b64 vcc, s[60:61], vcc
	v_add_f32_e32 v9, v29, v9
	v_add_f32_e32 v8, v8, v9
	;; [unrolled: 1-line block ×4, first 2 shown]
	v_sub_f32_e32 v12, v9, v36
	v_mul_f32_e32 v8, v34, v8
	v_sub_f32_e32 v12, v35, v12
	v_add_f32_e32 v12, v12, v8
	v_add_f32_e32 v14, v9, v12
	v_mul_f32_e32 v15, v14, v14
	v_fmamk_f32 v8, v15, 0x3e9b6dac, v139
	v_fmaak_f32 v29, v15, v8, 0x3f2aaada
	v_cvt_f32_i32_e32 v8, v32
	v_sub_f32_e32 v9, v14, v9
	v_sub_f32_e32 v9, v12, v9
	v_ldexp_f32 v30, v9, 1
	v_mul_f32_e32 v9, v14, v15
	v_ldexp_f32 v13, v14, 1
	v_pk_mul_f32 v[14:15], v[8:9], v[28:29]
	s_nop 0
	v_fma_f32 v12, v8, s13, -v14
	v_fmac_f32_e32 v12, 0xb102e308, v8
	v_pk_add_f32 v[8:9], v[14:15], v[12:13]
	s_nop 0
	v_sub_f32_e32 v13, v9, v13
	v_sub_f32_e32 v13, v15, v13
	v_add_f32_e32 v31, v30, v13
	v_mov_b32_e32 v30, v14
	v_pk_add_f32 v[14:15], v[8:9], v[14:15] neg_lo:[0,1] neg_hi:[0,1]
	v_pk_add_f32 v[32:33], v[8:9], v[30:31]
	v_mov_b32_e32 v13, v8
	v_mov_b32_e32 v15, v33
	v_pk_add_f32 v[34:35], v[12:13], v[14:15] neg_lo:[0,1] neg_hi:[0,1]
	v_pk_add_f32 v[12:13], v[12:13], v[14:15]
	v_mov_b32_e32 v30, v31
	v_mov_b32_e32 v14, v13
	v_pk_add_f32 v[36:37], v[14:15], v[8:9] neg_lo:[0,1] neg_hi:[0,1]
	v_mov_b32_e32 v12, v33
	v_mov_b32_e32 v15, v36
	v_pk_add_f32 v[38:39], v[32:33], v[14:15] neg_lo:[0,1] neg_hi:[0,1]
	v_mov_b32_e32 v32, v9
	v_mov_b32_e32 v33, v36
	;; [unrolled: 1-line block ×3, first 2 shown]
	v_pk_add_f32 v[12:13], v[12:13], v[32:33] neg_lo:[0,1] neg_hi:[0,1]
	v_mov_b32_e32 v31, v8
	v_pk_add_f32 v[8:9], v[30:31], v[12:13] neg_lo:[0,1] neg_hi:[0,1]
	v_mov_b32_e32 v38, v34
	v_pk_add_f32 v[12:13], v[38:39], v[8:9]
	s_nop 0
	v_mov_b32_e32 v30, v13
	v_pk_add_f32 v[30:31], v[12:13], v[30:31]
	s_nop 0
	v_pk_add_f32 v[14:15], v[14:15], v[30:31]
	v_mov_b32_e32 v9, v30
	v_mov_b32_e32 v13, v14
	v_pk_add_f32 v[32:33], v[12:13], v[34:35] neg_lo:[0,1] neg_hi:[0,1]
	s_nop 0
	v_sub_f32_e32 v12, v12, v32
	v_pk_add_f32 v[8:9], v[8:9], v[32:33] neg_lo:[0,1] neg_hi:[0,1]
	v_sub_f32_e32 v12, v34, v12
	v_add_f32_e32 v8, v8, v12
	v_add_f32_e32 v8, v8, v9
	;; [unrolled: 1-line block ×3, first 2 shown]
	v_cndmask_b32_e32 v155, v8, v27, vcc
.LBB124_101:                            ;   in Loop: Header=BB124_13 Depth=1
	s_or_b64 exec, exec, s[4:5]
	v_cvt_f32_f16_sdwa v8, v10 dst_sel:DWORD dst_unused:UNUSED_PAD src0_sel:WORD_1
	v_readlane_b32 s2, v166, 2
	s_nop 1
	v_add_f32_e32 v156, s2, v8
	v_readlane_b32 s2, v166, 23
	v_cmp_ge_f32_e32 vcc, s6, v156
	v_readlane_b32 s3, v166, 24
	s_and_b64 s[2:3], s[2:3], vcc
	s_and_saveexec_b64 s[4:5], s[2:3]
	s_cbranch_execz .LBB124_103
; %bb.102:                              ;   in Loop: Header=BB124_13 Depth=1
	v_mul_f32_e32 v8, 0x3fb8aa3b, v156
	v_rndne_f32_e32 v9, v8
	v_sub_f32_e32 v10, v8, v9
	v_fma_f32 v8, v156, s8, -v8
	v_fmac_f32_e32 v8, 0x32a5705f, v156
	v_add_f32_e32 v8, v10, v8
	v_cvt_i32_f32_e32 v9, v9
	v_exp_f32_e32 v8, v8
	v_cmp_ngt_f32_e32 vcc, s9, v156
	v_ldexp_f32 v8, v8, v9
	s_nop 0
	v_cndmask_b32_e32 v8, 0, v8, vcc
	v_cmp_nlt_f32_e32 vcc, s10, v156
	s_nop 1
	v_cndmask_b32_e32 v27, v140, v8, vcc
	v_add_f32_e32 v10, 1.0, v27
	v_add_f32_e32 v8, -1.0, v10
	v_sub_f32_e32 v9, v8, v10
	v_add_f32_e32 v9, 1.0, v9
	v_sub_f32_e32 v8, v27, v8
	v_add_f32_e32 v12, v8, v9
	v_frexp_mant_f32_e32 v13, v10
	v_cvt_f64_f32_e32 v[8:9], v10
	v_frexp_exp_i32_f64_e32 v8, v[8:9]
	v_cmp_gt_f32_e32 vcc, s12, v13
	v_cmp_gt_f32_e64 s[60:61], s16, v27
	s_nop 0
	v_subbrev_co_u32_e32 v32, vcc, 0, v8, vcc
	v_sub_u32_e32 v8, 0, v32
	v_ldexp_f32 v9, v10, v8
	v_add_f32_e32 v10, -1.0, v9
	v_add_f32_e32 v13, 1.0, v9
	v_ldexp_f32 v8, v12, v8
	v_add_f32_e32 v12, 1.0, v10
	v_add_f32_e32 v14, -1.0, v13
	v_sub_f32_e32 v12, v9, v12
	v_sub_f32_e32 v9, v9, v14
	v_add_f32_e32 v12, v8, v12
	v_add_f32_e32 v8, v8, v9
	;; [unrolled: 1-line block ×3, first 2 shown]
	v_rcp_f32_e32 v34, v29
	v_sub_f32_e32 v9, v13, v29
	v_add_f32_e32 v33, v8, v9
	v_add_f32_e32 v9, v10, v12
	v_sub_f32_e32 v8, v10, v9
	v_mul_f32_e32 v35, v9, v34
	v_add_f32_e32 v10, v12, v8
	v_mul_f32_e32 v12, v29, v35
	v_fma_f32 v14, v35, v29, -v12
	v_fmac_f32_e32 v14, v35, v33
	v_add_f32_e32 v8, v12, v14
	v_sub_f32_e32 v13, v9, v8
	v_pk_add_f32 v[30:31], v[8:9], v[12:13] neg_lo:[0,1] neg_hi:[0,1]
	v_mov_b32_e32 v15, v8
	v_pk_add_f32 v[8:9], v[30:31], v[14:15] neg_lo:[0,1] neg_hi:[0,1]
	v_cmp_eq_f32_e32 vcc, s11, v27
	v_add_f32_e32 v9, v10, v9
	v_add_f32_e32 v8, v8, v9
	;; [unrolled: 1-line block ×3, first 2 shown]
	v_mul_f32_e32 v10, v34, v9
	v_mul_f32_e32 v12, v29, v10
	v_fma_f32 v14, v10, v29, -v12
	v_fmac_f32_e32 v14, v10, v33
	v_sub_f32_e32 v13, v13, v9
	v_add_f32_e32 v29, v8, v13
	v_add_f32_e32 v8, v12, v14
	v_sub_f32_e32 v13, v9, v8
	v_pk_add_f32 v[30:31], v[8:9], v[12:13] neg_lo:[0,1] neg_hi:[0,1]
	v_mov_b32_e32 v15, v8
	v_pk_add_f32 v[8:9], v[30:31], v[14:15] neg_lo:[0,1] neg_hi:[0,1]
	s_or_b64 vcc, s[60:61], vcc
	v_add_f32_e32 v9, v29, v9
	v_add_f32_e32 v8, v8, v9
	;; [unrolled: 1-line block ×4, first 2 shown]
	v_sub_f32_e32 v12, v9, v35
	v_mul_f32_e32 v8, v34, v8
	v_sub_f32_e32 v10, v10, v12
	v_add_f32_e32 v10, v10, v8
	v_add_f32_e32 v12, v9, v10
	v_mul_f32_e32 v14, v12, v12
	v_fmamk_f32 v8, v14, 0x3e9b6dac, v139
	v_fmaak_f32 v29, v14, v8, 0x3f2aaada
	v_cvt_f32_i32_e32 v8, v32
	v_sub_f32_e32 v9, v12, v9
	v_sub_f32_e32 v9, v10, v9
	v_ldexp_f32 v10, v9, 1
	v_mul_f32_e32 v9, v12, v14
	v_pk_mul_f32 v[14:15], v[8:9], v[28:29]
	v_ldexp_f32 v13, v12, 1
	v_fma_f32 v12, v8, s13, -v14
	v_fmac_f32_e32 v12, 0xb102e308, v8
	v_pk_add_f32 v[8:9], v[14:15], v[12:13]
	v_mov_b32_e32 v30, v14
	v_sub_f32_e32 v13, v9, v13
	v_sub_f32_e32 v13, v15, v13
	v_add_f32_e32 v31, v10, v13
	v_pk_add_f32 v[14:15], v[8:9], v[14:15] neg_lo:[0,1] neg_hi:[0,1]
	v_pk_add_f32 v[32:33], v[8:9], v[30:31]
	v_mov_b32_e32 v13, v8
	v_mov_b32_e32 v15, v33
	v_pk_add_f32 v[34:35], v[12:13], v[14:15] neg_lo:[0,1] neg_hi:[0,1]
	v_pk_add_f32 v[12:13], v[12:13], v[14:15]
	s_nop 0
	v_mov_b32_e32 v10, v13
	v_pk_add_f32 v[14:15], v[10:11], v[8:9] neg_lo:[0,1] neg_hi:[0,1]
	v_mov_b32_e32 v12, v33
	v_mov_b32_e32 v15, v14
	v_pk_add_f32 v[36:37], v[32:33], v[14:15] neg_lo:[0,1] neg_hi:[0,1]
	v_mov_b32_e32 v32, v9
	v_mov_b32_e32 v33, v14
	;; [unrolled: 1-line block ×3, first 2 shown]
	v_pk_add_f32 v[12:13], v[12:13], v[32:33] neg_lo:[0,1] neg_hi:[0,1]
	v_mov_b32_e32 v14, v31
	v_mov_b32_e32 v15, v8
	v_pk_add_f32 v[8:9], v[14:15], v[12:13] neg_lo:[0,1] neg_hi:[0,1]
	v_mov_b32_e32 v36, v34
	v_pk_add_f32 v[12:13], v[36:37], v[8:9]
	s_nop 0
	v_mov_b32_e32 v14, v13
	v_pk_add_f32 v[14:15], v[12:13], v[14:15]
	s_nop 0
	v_pk_add_f32 v[30:31], v[10:11], v[14:15]
	v_mov_b32_e32 v9, v14
	v_mov_b32_e32 v13, v30
	v_pk_add_f32 v[32:33], v[12:13], v[34:35] neg_lo:[0,1] neg_hi:[0,1]
	s_nop 0
	v_sub_f32_e32 v10, v12, v32
	v_pk_add_f32 v[8:9], v[8:9], v[32:33] neg_lo:[0,1] neg_hi:[0,1]
	v_sub_f32_e32 v10, v34, v10
	v_add_f32_e32 v8, v8, v10
	v_add_f32_e32 v8, v8, v9
	;; [unrolled: 1-line block ×3, first 2 shown]
	v_cndmask_b32_e32 v156, v8, v27, vcc
.LBB124_103:                            ;   in Loop: Header=BB124_13 Depth=1
	s_or_b64 exec, exec, s[4:5]
	v_cvt_f32_f16_e32 v8, v11
	v_readlane_b32 s2, v166, 2
	s_nop 1
	v_add_f32_e32 v46, s2, v8
	v_readlane_b32 s2, v166, 23
	v_cmp_ge_f32_e32 vcc, s6, v46
	v_readlane_b32 s3, v166, 24
	s_and_b64 s[2:3], s[2:3], vcc
	s_and_saveexec_b64 s[4:5], s[2:3]
	s_cbranch_execz .LBB124_105
; %bb.104:                              ;   in Loop: Header=BB124_13 Depth=1
	v_mul_f32_e32 v8, 0x3fb8aa3b, v46
	v_rndne_f32_e32 v9, v8
	v_sub_f32_e32 v10, v8, v9
	v_fma_f32 v8, v46, s8, -v8
	v_fmac_f32_e32 v8, 0x32a5705f, v46
	v_add_f32_e32 v8, v10, v8
	v_cvt_i32_f32_e32 v9, v9
	v_exp_f32_e32 v8, v8
	v_cmp_ngt_f32_e32 vcc, s9, v46
	v_ldexp_f32 v8, v8, v9
	s_nop 0
	v_cndmask_b32_e32 v8, 0, v8, vcc
	v_cmp_nlt_f32_e32 vcc, s10, v46
	s_nop 1
	v_cndmask_b32_e32 v27, v140, v8, vcc
	v_add_f32_e32 v10, 1.0, v27
	v_add_f32_e32 v8, -1.0, v10
	v_sub_f32_e32 v9, v8, v10
	v_add_f32_e32 v9, 1.0, v9
	v_sub_f32_e32 v8, v27, v8
	v_add_f32_e32 v12, v8, v9
	v_frexp_mant_f32_e32 v13, v10
	v_cvt_f64_f32_e32 v[8:9], v10
	v_frexp_exp_i32_f64_e32 v8, v[8:9]
	v_cmp_gt_f32_e32 vcc, s12, v13
	v_cmp_gt_f32_e64 s[60:61], s16, v27
	s_nop 0
	v_subbrev_co_u32_e32 v32, vcc, 0, v8, vcc
	v_sub_u32_e32 v8, 0, v32
	v_ldexp_f32 v9, v10, v8
	v_add_f32_e32 v10, -1.0, v9
	v_add_f32_e32 v13, 1.0, v9
	v_ldexp_f32 v8, v12, v8
	v_add_f32_e32 v12, 1.0, v10
	v_add_f32_e32 v14, -1.0, v13
	v_sub_f32_e32 v12, v9, v12
	v_sub_f32_e32 v9, v9, v14
	v_add_f32_e32 v12, v8, v12
	v_add_f32_e32 v8, v8, v9
	;; [unrolled: 1-line block ×3, first 2 shown]
	v_rcp_f32_e32 v34, v29
	v_sub_f32_e32 v9, v13, v29
	v_add_f32_e32 v33, v8, v9
	v_add_f32_e32 v9, v10, v12
	v_sub_f32_e32 v8, v10, v9
	v_mul_f32_e32 v35, v9, v34
	v_add_f32_e32 v10, v12, v8
	v_mul_f32_e32 v12, v29, v35
	v_fma_f32 v14, v35, v29, -v12
	v_fmac_f32_e32 v14, v35, v33
	v_add_f32_e32 v8, v12, v14
	v_sub_f32_e32 v13, v9, v8
	v_pk_add_f32 v[30:31], v[8:9], v[12:13] neg_lo:[0,1] neg_hi:[0,1]
	v_mov_b32_e32 v15, v8
	v_pk_add_f32 v[8:9], v[30:31], v[14:15] neg_lo:[0,1] neg_hi:[0,1]
	v_cmp_eq_f32_e32 vcc, s11, v27
	v_add_f32_e32 v9, v10, v9
	v_add_f32_e32 v8, v8, v9
	;; [unrolled: 1-line block ×3, first 2 shown]
	v_mul_f32_e32 v10, v34, v9
	v_mul_f32_e32 v12, v29, v10
	v_fma_f32 v14, v10, v29, -v12
	v_fmac_f32_e32 v14, v10, v33
	v_sub_f32_e32 v13, v13, v9
	v_add_f32_e32 v29, v8, v13
	v_add_f32_e32 v8, v12, v14
	v_sub_f32_e32 v13, v9, v8
	v_pk_add_f32 v[30:31], v[8:9], v[12:13] neg_lo:[0,1] neg_hi:[0,1]
	v_mov_b32_e32 v15, v8
	v_pk_add_f32 v[8:9], v[30:31], v[14:15] neg_lo:[0,1] neg_hi:[0,1]
	s_or_b64 vcc, s[60:61], vcc
	v_add_f32_e32 v9, v29, v9
	v_add_f32_e32 v8, v8, v9
	;; [unrolled: 1-line block ×4, first 2 shown]
	v_sub_f32_e32 v12, v9, v35
	v_mul_f32_e32 v8, v34, v8
	v_sub_f32_e32 v10, v10, v12
	v_add_f32_e32 v10, v10, v8
	v_add_f32_e32 v12, v9, v10
	v_mul_f32_e32 v14, v12, v12
	v_fmamk_f32 v8, v14, 0x3e9b6dac, v139
	v_fmaak_f32 v29, v14, v8, 0x3f2aaada
	v_cvt_f32_i32_e32 v8, v32
	v_sub_f32_e32 v9, v12, v9
	v_sub_f32_e32 v9, v10, v9
	v_ldexp_f32 v10, v9, 1
	v_mul_f32_e32 v9, v12, v14
	v_pk_mul_f32 v[14:15], v[8:9], v[28:29]
	v_ldexp_f32 v13, v12, 1
	v_fma_f32 v12, v8, s13, -v14
	v_fmac_f32_e32 v12, 0xb102e308, v8
	v_pk_add_f32 v[8:9], v[14:15], v[12:13]
	v_mov_b32_e32 v30, v14
	v_sub_f32_e32 v13, v9, v13
	v_sub_f32_e32 v13, v15, v13
	v_add_f32_e32 v31, v10, v13
	v_pk_add_f32 v[14:15], v[8:9], v[14:15] neg_lo:[0,1] neg_hi:[0,1]
	v_pk_add_f32 v[32:33], v[8:9], v[30:31]
	v_mov_b32_e32 v13, v8
	v_mov_b32_e32 v15, v33
	v_pk_add_f32 v[34:35], v[12:13], v[14:15] neg_lo:[0,1] neg_hi:[0,1]
	v_pk_add_f32 v[12:13], v[12:13], v[14:15]
	s_nop 0
	v_mov_b32_e32 v10, v13
	v_pk_add_f32 v[14:15], v[10:11], v[8:9] neg_lo:[0,1] neg_hi:[0,1]
	v_mov_b32_e32 v12, v33
	v_mov_b32_e32 v15, v14
	v_pk_add_f32 v[36:37], v[32:33], v[14:15] neg_lo:[0,1] neg_hi:[0,1]
	v_mov_b32_e32 v32, v9
	v_mov_b32_e32 v33, v14
	;; [unrolled: 1-line block ×3, first 2 shown]
	v_pk_add_f32 v[12:13], v[12:13], v[32:33] neg_lo:[0,1] neg_hi:[0,1]
	v_mov_b32_e32 v14, v31
	v_mov_b32_e32 v15, v8
	v_pk_add_f32 v[8:9], v[14:15], v[12:13] neg_lo:[0,1] neg_hi:[0,1]
	v_mov_b32_e32 v36, v34
	v_pk_add_f32 v[12:13], v[36:37], v[8:9]
	s_nop 0
	v_mov_b32_e32 v14, v13
	v_pk_add_f32 v[14:15], v[12:13], v[14:15]
	s_nop 0
	v_pk_add_f32 v[30:31], v[10:11], v[14:15]
	v_mov_b32_e32 v9, v14
	v_mov_b32_e32 v13, v30
	v_pk_add_f32 v[32:33], v[12:13], v[34:35] neg_lo:[0,1] neg_hi:[0,1]
	s_nop 0
	v_sub_f32_e32 v10, v12, v32
	v_pk_add_f32 v[8:9], v[8:9], v[32:33] neg_lo:[0,1] neg_hi:[0,1]
	v_sub_f32_e32 v10, v34, v10
	v_add_f32_e32 v8, v8, v10
	v_add_f32_e32 v8, v8, v9
	v_add_f32_e32 v8, v30, v8
	v_cndmask_b32_e32 v46, v8, v27, vcc
.LBB124_105:                            ;   in Loop: Header=BB124_13 Depth=1
	s_or_b64 exec, exec, s[4:5]
	v_cvt_f32_f16_sdwa v8, v11 dst_sel:DWORD dst_unused:UNUSED_PAD src0_sel:WORD_1
	v_readlane_b32 s2, v166, 2
	s_nop 1
	v_add_f32_e32 v47, s2, v8
	v_readlane_b32 s2, v166, 23
	v_cmp_ge_f32_e32 vcc, s6, v47
	v_readlane_b32 s3, v166, 24
	s_and_b64 s[2:3], s[2:3], vcc
	s_and_saveexec_b64 s[4:5], s[2:3]
	s_cbranch_execz .LBB124_107
; %bb.106:                              ;   in Loop: Header=BB124_13 Depth=1
	v_mul_f32_e32 v8, 0x3fb8aa3b, v47
	v_rndne_f32_e32 v9, v8
	v_sub_f32_e32 v10, v8, v9
	v_fma_f32 v8, v47, s8, -v8
	v_fmac_f32_e32 v8, 0x32a5705f, v47
	v_add_f32_e32 v8, v10, v8
	v_cvt_i32_f32_e32 v9, v9
	v_exp_f32_e32 v8, v8
	v_cmp_ngt_f32_e32 vcc, s9, v47
	v_ldexp_f32 v8, v8, v9
	s_nop 0
	v_cndmask_b32_e32 v8, 0, v8, vcc
	v_cmp_nlt_f32_e32 vcc, s10, v47
	s_nop 1
	v_cndmask_b32_e32 v27, v140, v8, vcc
	v_add_f32_e32 v10, 1.0, v27
	v_add_f32_e32 v8, -1.0, v10
	v_sub_f32_e32 v9, v8, v10
	v_add_f32_e32 v9, 1.0, v9
	v_sub_f32_e32 v8, v27, v8
	v_add_f32_e32 v11, v8, v9
	v_frexp_mant_f32_e32 v12, v10
	v_cvt_f64_f32_e32 v[8:9], v10
	v_frexp_exp_i32_f64_e32 v8, v[8:9]
	v_cmp_gt_f32_e32 vcc, s12, v12
	v_cmp_gt_f32_e64 s[60:61], s16, v27
	s_nop 0
	v_subbrev_co_u32_e32 v30, vcc, 0, v8, vcc
	v_sub_u32_e32 v8, 0, v30
	v_ldexp_f32 v9, v10, v8
	v_add_f32_e32 v10, -1.0, v9
	v_add_f32_e32 v12, 1.0, v9
	v_ldexp_f32 v8, v11, v8
	v_add_f32_e32 v11, 1.0, v10
	v_add_f32_e32 v13, -1.0, v12
	v_sub_f32_e32 v11, v9, v11
	v_sub_f32_e32 v9, v9, v13
	v_add_f32_e32 v11, v8, v11
	v_add_f32_e32 v8, v8, v9
	;; [unrolled: 1-line block ×3, first 2 shown]
	v_rcp_f32_e32 v32, v29
	v_sub_f32_e32 v9, v12, v29
	v_add_f32_e32 v31, v8, v9
	v_add_f32_e32 v9, v10, v11
	v_mul_f32_e32 v34, v9, v32
	v_sub_f32_e32 v8, v10, v9
	v_mul_f32_e32 v10, v29, v34
	v_fma_f32 v12, v34, v29, -v10
	v_fmac_f32_e32 v12, v34, v31
	v_add_f32_e32 v33, v11, v8
	v_add_f32_e32 v8, v10, v12
	v_sub_f32_e32 v11, v9, v8
	v_pk_add_f32 v[14:15], v[8:9], v[10:11] neg_lo:[0,1] neg_hi:[0,1]
	v_mov_b32_e32 v13, v8
	v_pk_add_f32 v[8:9], v[14:15], v[12:13] neg_lo:[0,1] neg_hi:[0,1]
	v_cmp_eq_f32_e32 vcc, s11, v27
	v_add_f32_e32 v9, v33, v9
	v_add_f32_e32 v8, v8, v9
	;; [unrolled: 1-line block ×3, first 2 shown]
	v_mul_f32_e32 v33, v32, v9
	v_mul_f32_e32 v10, v29, v33
	v_fma_f32 v12, v33, v29, -v10
	v_fmac_f32_e32 v12, v33, v31
	v_sub_f32_e32 v11, v11, v9
	v_add_f32_e32 v29, v8, v11
	v_add_f32_e32 v8, v10, v12
	v_sub_f32_e32 v11, v9, v8
	v_pk_add_f32 v[14:15], v[8:9], v[10:11] neg_lo:[0,1] neg_hi:[0,1]
	v_mov_b32_e32 v13, v8
	v_pk_add_f32 v[8:9], v[14:15], v[12:13] neg_lo:[0,1] neg_hi:[0,1]
	s_or_b64 vcc, s[60:61], vcc
	v_add_f32_e32 v9, v29, v9
	v_add_f32_e32 v8, v8, v9
	;; [unrolled: 1-line block ×4, first 2 shown]
	v_sub_f32_e32 v10, v9, v34
	v_mul_f32_e32 v8, v32, v8
	v_sub_f32_e32 v10, v33, v10
	v_add_f32_e32 v10, v10, v8
	v_add_f32_e32 v12, v9, v10
	v_mul_f32_e32 v13, v12, v12
	v_fmamk_f32 v8, v13, 0x3e9b6dac, v139
	v_fmaak_f32 v29, v13, v8, 0x3f2aaada
	v_cvt_f32_i32_e32 v8, v30
	v_sub_f32_e32 v9, v12, v9
	v_sub_f32_e32 v9, v10, v9
	v_ldexp_f32 v14, v9, 1
	v_mul_f32_e32 v9, v12, v13
	v_ldexp_f32 v11, v12, 1
	v_pk_mul_f32 v[12:13], v[8:9], v[28:29]
	s_nop 0
	v_fma_f32 v10, v8, s13, -v12
	v_fmac_f32_e32 v10, 0xb102e308, v8
	v_pk_add_f32 v[8:9], v[12:13], v[10:11]
	s_nop 0
	v_sub_f32_e32 v11, v9, v11
	v_sub_f32_e32 v11, v13, v11
	v_add_f32_e32 v15, v14, v11
	v_mov_b32_e32 v14, v12
	v_pk_add_f32 v[12:13], v[8:9], v[12:13] neg_lo:[0,1] neg_hi:[0,1]
	v_pk_add_f32 v[30:31], v[8:9], v[14:15]
	v_mov_b32_e32 v11, v8
	v_mov_b32_e32 v13, v31
	v_pk_add_f32 v[32:33], v[10:11], v[12:13] neg_lo:[0,1] neg_hi:[0,1]
	v_pk_add_f32 v[10:11], v[10:11], v[12:13]
	v_mov_b32_e32 v14, v15
	v_mov_b32_e32 v12, v11
	v_pk_add_f32 v[34:35], v[12:13], v[8:9] neg_lo:[0,1] neg_hi:[0,1]
	v_mov_b32_e32 v10, v31
	v_mov_b32_e32 v13, v34
	v_pk_add_f32 v[36:37], v[30:31], v[12:13] neg_lo:[0,1] neg_hi:[0,1]
	v_mov_b32_e32 v30, v9
	v_mov_b32_e32 v31, v34
	;; [unrolled: 1-line block ×3, first 2 shown]
	v_pk_add_f32 v[10:11], v[10:11], v[30:31] neg_lo:[0,1] neg_hi:[0,1]
	v_mov_b32_e32 v15, v8
	v_pk_add_f32 v[8:9], v[14:15], v[10:11] neg_lo:[0,1] neg_hi:[0,1]
	v_mov_b32_e32 v36, v32
	v_pk_add_f32 v[10:11], v[36:37], v[8:9]
	s_nop 0
	v_mov_b32_e32 v14, v11
	v_pk_add_f32 v[14:15], v[10:11], v[14:15]
	s_nop 0
	v_pk_add_f32 v[12:13], v[12:13], v[14:15]
	v_mov_b32_e32 v9, v14
	v_mov_b32_e32 v11, v12
	v_pk_add_f32 v[30:31], v[10:11], v[32:33] neg_lo:[0,1] neg_hi:[0,1]
	s_nop 0
	v_sub_f32_e32 v10, v10, v30
	v_pk_add_f32 v[8:9], v[8:9], v[30:31] neg_lo:[0,1] neg_hi:[0,1]
	v_sub_f32_e32 v10, v32, v10
	v_add_f32_e32 v8, v8, v10
	v_add_f32_e32 v8, v8, v9
	;; [unrolled: 1-line block ×3, first 2 shown]
	v_cndmask_b32_e32 v47, v8, v27, vcc
.LBB124_107:                            ;   in Loop: Header=BB124_13 Depth=1
	s_or_b64 exec, exec, s[4:5]
	v_cvt_f32_f16_e32 v8, v7
	v_cvt_f32_f16_sdwa v9, v6 dst_sel:DWORD dst_unused:UNUSED_PAD src0_sel:WORD_1
	v_cvt_f32_f16_e32 v6, v6
	v_cvt_f32_f16_sdwa v13, v7 dst_sel:DWORD dst_unused:UNUSED_PAD src0_sel:WORD_1
	v_cvt_f32_f16_sdwa v7, v5 dst_sel:DWORD dst_unused:UNUSED_PAD src0_sel:WORD_1
	v_cvt_f32_f16_e32 v5, v5
	v_cvt_f32_f16_sdwa v10, v4 dst_sel:DWORD dst_unused:UNUSED_PAD src0_sel:WORD_1
	v_cvt_f32_f16_e32 v4, v4
	;; [unrolled: 2-line block ×6, first 2 shown]
	v_readlane_b32 s2, v166, 3
	s_barrier
	s_nop 0
	v_mul_f32_e32 v32, s2, v8
	v_mul_f32_e32 v31, s2, v9
	;; [unrolled: 1-line block ×16, first 2 shown]
	v_readlane_b32 s2, v166, 26
	v_readlane_b32 s3, v166, 27
	s_and_b64 vcc, exec, s[2:3]
	s_cbranch_vccz .LBB124_204
; %bb.108:                              ;   in Loop: Header=BB124_13 Depth=1
	v_readlane_b32 s2, v166, 9
	v_readlane_b32 s3, v166, 10
	v_mul_f32_e32 v127, v143, v0
	v_cmp_gt_u32_e32 vcc, s88, v19
	v_lshl_add_u64 v[48:49], s[2:3], 0, v[16:17]
	v_readlane_b32 s2, v166, 19
	v_readlane_b32 s3, v166, 20
	v_or_b32_e32 v0, 1, v19
	v_mov_b32_e32 v27, v17
	v_lshl_add_u64 v[50:51], s[2:3], 0, v[16:17]
	v_readlane_b32 s3, v166, 60
	s_cmp_lg_u32 s3, 0
	v_readlane_b32 s2, v166, 30
	s_cselect_b64 s[94:95], -1, 0
	s_cmp_eq_u32 s3, s2
	v_readlane_b32 s2, v166, 51
	v_readlane_b32 s3, v166, 52
	s_cselect_b64 s[96:97], -1, 0
	s_or_b64 s[60:61], s[2:3], vcc
	v_cmp_gt_u32_e32 vcc, s88, v0
	v_or_b32_e32 v0, 2, v19
	s_or_b64 s[62:63], s[2:3], vcc
	v_cmp_gt_u32_e32 vcc, s88, v0
	v_or_b32_e32 v0, 3, v19
	;; [unrolled: 3-line block ×14, first 2 shown]
	s_mov_b32 s6, 0
	v_cmp_gt_u32_e64 s[88:89], s88, v0
	v_mul_f32_e32 v29, v47, v13
	v_lshl_add_u64 v[48:49], v[48:49], 0, v[26:27]
	v_lshl_add_u64 v[50:51], v[50:51], 0, v[26:27]
	v_mul_f32_e32 v16, v46, v8
	v_mul_f32_e32 v27, v156, v9
	v_mul_f32_e32 v157, v155, v6
	v_mul_f32_e32 v158, v154, v7
	v_mul_f32_e32 v159, v153, v5
	v_mul_f32_e32 v160, v152, v10
	v_mul_f32_e32 v161, v151, v4
	v_mul_f32_e32 v162, v150, v11
	v_mul_f32_e32 v163, v149, v3
	v_mul_f32_e32 v164, v148, v12
	v_mul_f32_e32 v165, v147, v2
	v_mul_f32_e32 v124, v146, v14
	v_mul_f32_e32 v125, v145, v1
	v_mul_f32_e32 v126, v144, v15
	s_or_b64 s[88:89], s[2:3], s[88:89]
	s_or_b64 s[90:91], s[2:3], vcc
	s_mov_b32 s92, s6
	s_mov_b32 s98, s6
	;; [unrolled: 1-line block ×3, first 2 shown]
	v_readlane_b32 s8, v166, 25
	v_readlane_b32 s9, v166, 59
	s_branch .LBB124_110
.LBB124_109:                            ;   in Loop: Header=BB124_110 Depth=2
	s_or_b64 exec, exec, s[2:3]
	v_cndmask_b32_e64 v8, v8, v71, s[24:25]
	v_cndmask_b32_e64 v52, v62, v70, s[24:25]
	v_mul_f32_e32 v52, v52, v129
	v_fma_f32 v8, v8, v129, v128
	v_cndmask_b32_e64 v8, v8, v128, s[22:23]
	v_cndmask_b32_e64 v52, v52, v129, s[22:23]
	s_waitcnt lgkmcnt(0)
	v_fmac_f32_e32 v8, v65, v52
	v_fmac_f32_e32 v9, v8, v130
	;; [unrolled: 1-line block ×15, first 2 shown]
	v_readlane_b32 s12, v166, 31
	v_fmac_f32_e32 v63, v61, v67
	v_cvt_f32_f16_sdwa v53, v4 dst_sel:DWORD dst_unused:UNUSED_PAD src0_sel:WORD_1
	v_cvt_f32_f16_sdwa v65, v5 dst_sel:DWORD dst_unused:UNUSED_PAD src0_sel:WORD_1
	v_cvt_f32_f16_e32 v52, v4
	v_cvt_f32_f16_e32 v64, v5
	v_cvt_f32_f16_sdwa v5, v6 dst_sel:DWORD dst_unused:UNUSED_PAD src0_sel:WORD_1
	v_cvt_f32_f16_sdwa v67, v7 dst_sel:DWORD dst_unused:UNUSED_PAD src0_sel:WORD_1
	v_cvt_f32_f16_e32 v4, v6
	v_cvt_f32_f16_e32 v66, v7
	;; [unrolled: 4-line block ×4, first 2 shown]
	v_readlane_b32 s13, v166, 32
	v_readlane_b32 s14, v166, 33
	;; [unrolled: 1-line block ×7, first 2 shown]
	s_add_i32 s98, s98, s12
	v_readlane_b32 s12, v166, 11
	v_readlane_b32 s2, v166, 4
	v_readlane_b32 s13, v166, 12
	v_readlane_b32 s16, v166, 15
	v_mov_b32_e32 v62, v61
	s_add_i32 s9, s9, 8
	s_add_i32 s8, s8, -1
	s_add_i32 s4, s4, s2
	s_add_i32 s92, s92, s16
	;; [unrolled: 1-line block ×3, first 2 shown]
	v_pk_fma_f32 v[44:45], v[10:11], v[64:65], v[44:45]
	v_pk_fma_f32 v[42:43], v[8:9], v[52:53], v[42:43]
	v_pk_fma_f32 v[40:41], v[14:15], v[66:67], v[40:41]
	v_pk_fma_f32 v[38:39], v[12:13], v[4:5], v[38:39]
	v_pk_fma_f32 v[36:37], v[58:59], v[68:69], v[36:37]
	v_pk_fma_f32 v[34:35], v[54:55], v[6:7], v[34:35]
	v_pk_fma_f32 v[32:33], v[62:63], v[70:71], v[32:33]
	s_cmp_eq_u32 s8, 0
	v_pk_fma_f32 v[30:31], v[56:57], v[0:1], v[30:31]
	v_readlane_b32 s14, v166, 13
	v_readlane_b32 s15, v166, 14
	;; [unrolled: 1-line block ×5, first 2 shown]
	s_cbranch_scc1 .LBB124_203
.LBB124_110:                            ;   Parent Loop BB124_13 Depth=1
                                        ; =>  This Inner Loop Header: Depth=2
	s_lshl_b64 s[2:3], s[6:7], 2
	v_readlane_b32 s5, v166, 7
	s_add_u32 s2, s5, s2
	v_readlane_b32 s5, v166, 8
	s_addc_u32 s3, s5, s3
	global_load_dword v54, v17, s[2:3]
	s_mov_b32 s93, s7
	v_lshl_add_u64 v[0:1], s[92:93], 1, v[48:49]
	v_mov_b32_e32 v2, 0
	v_mov_b32_e32 v3, 0
	s_and_saveexec_b64 s[2:3], s[26:27]
	s_cbranch_execnz .LBB124_146
; %bb.111:                              ;   in Loop: Header=BB124_110 Depth=2
	s_or_b64 exec, exec, s[2:3]
	s_and_saveexec_b64 s[2:3], s[28:29]
	s_cbranch_execnz .LBB124_147
.LBB124_112:                            ;   in Loop: Header=BB124_110 Depth=2
	s_or_b64 exec, exec, s[2:3]
	v_mov_b32_e32 v4, 0
	s_and_saveexec_b64 s[2:3], s[30:31]
	s_cbranch_execnz .LBB124_148
.LBB124_113:                            ;   in Loop: Header=BB124_110 Depth=2
	s_or_b64 exec, exec, s[2:3]
	s_and_saveexec_b64 s[2:3], s[34:35]
	s_cbranch_execnz .LBB124_149
.LBB124_114:                            ;   in Loop: Header=BB124_110 Depth=2
	s_or_b64 exec, exec, s[2:3]
	v_mov_b32_e32 v5, 0
	s_and_saveexec_b64 s[2:3], s[36:37]
	s_cbranch_execnz .LBB124_150
.LBB124_115:                            ;   in Loop: Header=BB124_110 Depth=2
	s_or_b64 exec, exec, s[2:3]
	s_and_saveexec_b64 s[2:3], s[38:39]
	s_cbranch_execnz .LBB124_151
.LBB124_116:                            ;   in Loop: Header=BB124_110 Depth=2
	s_or_b64 exec, exec, s[2:3]
	v_mov_b32_e32 v6, 0
	s_and_saveexec_b64 s[2:3], s[40:41]
	s_cbranch_execnz .LBB124_152
.LBB124_117:                            ;   in Loop: Header=BB124_110 Depth=2
	s_or_b64 exec, exec, s[2:3]
	s_and_saveexec_b64 s[2:3], s[42:43]
	s_cbranch_execnz .LBB124_153
.LBB124_118:                            ;   in Loop: Header=BB124_110 Depth=2
	s_or_b64 exec, exec, s[2:3]
	v_mov_b32_e32 v7, 0
	s_and_saveexec_b64 s[2:3], s[44:45]
	s_cbranch_execnz .LBB124_154
.LBB124_119:                            ;   in Loop: Header=BB124_110 Depth=2
	s_or_b64 exec, exec, s[2:3]
	s_and_saveexec_b64 s[2:3], s[46:47]
	s_cbranch_execnz .LBB124_155
.LBB124_120:                            ;   in Loop: Header=BB124_110 Depth=2
	s_or_b64 exec, exec, s[2:3]
	v_mov_b32_e32 v8, 0
	s_and_saveexec_b64 s[2:3], s[48:49]
	s_cbranch_execnz .LBB124_156
.LBB124_121:                            ;   in Loop: Header=BB124_110 Depth=2
	s_or_b64 exec, exec, s[2:3]
	s_and_saveexec_b64 s[2:3], s[50:51]
	s_cbranch_execnz .LBB124_157
.LBB124_122:                            ;   in Loop: Header=BB124_110 Depth=2
	s_or_b64 exec, exec, s[2:3]
	v_mov_b32_e32 v9, 0
	s_and_saveexec_b64 s[2:3], s[52:53]
	s_cbranch_execnz .LBB124_158
.LBB124_123:                            ;   in Loop: Header=BB124_110 Depth=2
	s_or_b64 exec, exec, s[2:3]
	s_and_saveexec_b64 s[2:3], s[54:55]
	s_cbranch_execnz .LBB124_159
.LBB124_124:                            ;   in Loop: Header=BB124_110 Depth=2
	s_or_b64 exec, exec, s[2:3]
	v_mov_b32_e32 v10, 0
	s_and_saveexec_b64 s[2:3], s[56:57]
	s_cbranch_execnz .LBB124_160
.LBB124_125:                            ;   in Loop: Header=BB124_110 Depth=2
	s_or_b64 exec, exec, s[2:3]
	s_and_saveexec_b64 s[2:3], s[58:59]
	s_cbranch_execz .LBB124_127
.LBB124_126:                            ;   in Loop: Header=BB124_110 Depth=2
	global_load_ushort v0, v[0:1], off offset:1920
	s_waitcnt vmcnt(0)
	v_lshl_or_b32 v10, v0, 16, v10
.LBB124_127:                            ;   in Loop: Header=BB124_110 Depth=2
	s_or_b64 exec, exec, s[2:3]
	s_waitcnt vmcnt(0)
	ds_write_b16 v88, v3
	ds_write_b16 v89, v2 offset:128
	ds_write_b16 v90, v4 offset:256
	ds_write_b16_d16_hi v91, v4 offset:384
	ds_write_b16 v92, v5 offset:512
	ds_write_b16_d16_hi v93, v5 offset:640
	;; [unrolled: 2-line block ×7, first 2 shown]
	; wave barrier
	ds_read_b128 v[12:15], v119
	ds_read_b128 v[8:11], v119 offset:16
	s_mov_b32 s99, s7
	v_lshl_add_u64 v[0:1], s[98:99], 1, v[50:51]
	v_mov_b32_e32 v2, 0
	v_mov_b32_e32 v3, 0
	s_and_saveexec_b64 s[2:3], s[26:27]
	s_cbranch_execnz .LBB124_161
; %bb.128:                              ;   in Loop: Header=BB124_110 Depth=2
	s_or_b64 exec, exec, s[2:3]
	s_and_saveexec_b64 s[2:3], s[28:29]
	s_cbranch_execnz .LBB124_162
.LBB124_129:                            ;   in Loop: Header=BB124_110 Depth=2
	s_or_b64 exec, exec, s[2:3]
	v_mov_b32_e32 v4, 0
	s_and_saveexec_b64 s[2:3], s[30:31]
	s_cbranch_execnz .LBB124_163
.LBB124_130:                            ;   in Loop: Header=BB124_110 Depth=2
	s_or_b64 exec, exec, s[2:3]
	s_and_saveexec_b64 s[2:3], s[34:35]
	s_cbranch_execnz .LBB124_164
.LBB124_131:                            ;   in Loop: Header=BB124_110 Depth=2
	s_or_b64 exec, exec, s[2:3]
	v_mov_b32_e32 v5, 0
	s_and_saveexec_b64 s[2:3], s[36:37]
	s_cbranch_execnz .LBB124_165
.LBB124_132:                            ;   in Loop: Header=BB124_110 Depth=2
	s_or_b64 exec, exec, s[2:3]
	s_and_saveexec_b64 s[2:3], s[38:39]
	s_cbranch_execnz .LBB124_166
.LBB124_133:                            ;   in Loop: Header=BB124_110 Depth=2
	s_or_b64 exec, exec, s[2:3]
	v_mov_b32_e32 v6, 0
	s_and_saveexec_b64 s[2:3], s[40:41]
	s_cbranch_execnz .LBB124_167
.LBB124_134:                            ;   in Loop: Header=BB124_110 Depth=2
	s_or_b64 exec, exec, s[2:3]
	s_and_saveexec_b64 s[2:3], s[42:43]
	s_cbranch_execnz .LBB124_168
.LBB124_135:                            ;   in Loop: Header=BB124_110 Depth=2
	s_or_b64 exec, exec, s[2:3]
	v_mov_b32_e32 v7, 0
	s_and_saveexec_b64 s[2:3], s[44:45]
	s_cbranch_execnz .LBB124_169
.LBB124_136:                            ;   in Loop: Header=BB124_110 Depth=2
	s_or_b64 exec, exec, s[2:3]
	s_and_saveexec_b64 s[2:3], s[46:47]
	s_cbranch_execnz .LBB124_170
.LBB124_137:                            ;   in Loop: Header=BB124_110 Depth=2
	s_or_b64 exec, exec, s[2:3]
	v_mov_b32_e32 v52, 0
	s_and_saveexec_b64 s[2:3], s[48:49]
	s_cbranch_execnz .LBB124_171
.LBB124_138:                            ;   in Loop: Header=BB124_110 Depth=2
	s_or_b64 exec, exec, s[2:3]
	s_and_saveexec_b64 s[2:3], s[50:51]
	s_cbranch_execnz .LBB124_172
.LBB124_139:                            ;   in Loop: Header=BB124_110 Depth=2
	s_or_b64 exec, exec, s[2:3]
	v_mov_b32_e32 v53, 0
	s_and_saveexec_b64 s[2:3], s[52:53]
	s_cbranch_execnz .LBB124_173
.LBB124_140:                            ;   in Loop: Header=BB124_110 Depth=2
	s_or_b64 exec, exec, s[2:3]
	s_and_saveexec_b64 s[2:3], s[54:55]
	s_cbranch_execnz .LBB124_174
.LBB124_141:                            ;   in Loop: Header=BB124_110 Depth=2
	s_or_b64 exec, exec, s[2:3]
	v_mov_b32_e32 v55, 0
	s_and_saveexec_b64 s[2:3], s[56:57]
	s_cbranch_execnz .LBB124_175
.LBB124_142:                            ;   in Loop: Header=BB124_110 Depth=2
	s_or_b64 exec, exec, s[2:3]
	s_and_saveexec_b64 s[2:3], s[58:59]
	s_cbranch_execz .LBB124_144
.LBB124_143:                            ;   in Loop: Header=BB124_110 Depth=2
	global_load_ushort v0, v[0:1], off offset:1920
	s_waitcnt vmcnt(0)
	v_lshl_or_b32 v55, v0, 16, v55
.LBB124_144:                            ;   in Loop: Header=BB124_110 Depth=2
	s_or_b64 exec, exec, s[2:3]
	s_waitcnt vmcnt(0)
	ds_write_b16 v88, v3 offset:4224
	ds_write_b16 v101, v2 offset:128
	;; [unrolled: 1-line block ×3, first 2 shown]
	ds_write_b16_d16_hi v103, v4 offset:384
	ds_write_b16 v104, v5 offset:512
	ds_write_b16_d16_hi v105, v5 offset:640
	ds_write_b16 v106, v6 offset:768
	;; [unrolled: 2-line block ×6, first 2 shown]
	ds_write_b16_d16_hi v118, v55 offset:1920
	; wave barrier
	ds_read_b128 v[4:7], v119 offset:4224
	ds_read_b128 v[0:3], v120 offset:16
	s_andn2_b64 vcc, exec, s[94:95]
	s_cbranch_vccnz .LBB124_176
; %bb.145:                              ;   in Loop: Header=BB124_110 Depth=2
	v_mov_b32_e32 v52, s9
	ds_read_b64 v[52:53], v52
	s_cbranch_execz .LBB124_177
	s_branch .LBB124_180
.LBB124_146:                            ;   in Loop: Header=BB124_110 Depth=2
	global_load_ushort v3, v[0:1], off
	s_or_b64 exec, exec, s[2:3]
	s_and_saveexec_b64 s[2:3], s[28:29]
	s_cbranch_execz .LBB124_112
.LBB124_147:                            ;   in Loop: Header=BB124_110 Depth=2
	global_load_ushort v2, v[0:1], off offset:128
	s_or_b64 exec, exec, s[2:3]
	v_mov_b32_e32 v4, 0
	s_and_saveexec_b64 s[2:3], s[30:31]
	s_cbranch_execz .LBB124_113
.LBB124_148:                            ;   in Loop: Header=BB124_110 Depth=2
	global_load_ushort v4, v[0:1], off offset:256
	s_or_b64 exec, exec, s[2:3]
	s_and_saveexec_b64 s[2:3], s[34:35]
	s_cbranch_execz .LBB124_114
.LBB124_149:                            ;   in Loop: Header=BB124_110 Depth=2
	global_load_ushort v5, v[0:1], off offset:384
	s_waitcnt vmcnt(0)
	v_lshl_or_b32 v4, v5, 16, v4
	s_or_b64 exec, exec, s[2:3]
	v_mov_b32_e32 v5, 0
	s_and_saveexec_b64 s[2:3], s[36:37]
	s_cbranch_execz .LBB124_115
.LBB124_150:                            ;   in Loop: Header=BB124_110 Depth=2
	global_load_ushort v5, v[0:1], off offset:512
	s_or_b64 exec, exec, s[2:3]
	s_and_saveexec_b64 s[2:3], s[38:39]
	s_cbranch_execz .LBB124_116
.LBB124_151:                            ;   in Loop: Header=BB124_110 Depth=2
	global_load_ushort v6, v[0:1], off offset:640
	s_waitcnt vmcnt(0)
	v_lshl_or_b32 v5, v6, 16, v5
	s_or_b64 exec, exec, s[2:3]
	v_mov_b32_e32 v6, 0
	s_and_saveexec_b64 s[2:3], s[40:41]
	s_cbranch_execz .LBB124_117
.LBB124_152:                            ;   in Loop: Header=BB124_110 Depth=2
	global_load_ushort v6, v[0:1], off offset:768
	s_or_b64 exec, exec, s[2:3]
	s_and_saveexec_b64 s[2:3], s[42:43]
	s_cbranch_execz .LBB124_118
.LBB124_153:                            ;   in Loop: Header=BB124_110 Depth=2
	global_load_ushort v7, v[0:1], off offset:896
	s_waitcnt vmcnt(0)
	v_lshl_or_b32 v6, v7, 16, v6
	s_or_b64 exec, exec, s[2:3]
	v_mov_b32_e32 v7, 0
	s_and_saveexec_b64 s[2:3], s[44:45]
	s_cbranch_execz .LBB124_119
.LBB124_154:                            ;   in Loop: Header=BB124_110 Depth=2
	global_load_ushort v7, v[0:1], off offset:1024
	s_or_b64 exec, exec, s[2:3]
	s_and_saveexec_b64 s[2:3], s[46:47]
	s_cbranch_execz .LBB124_120
.LBB124_155:                            ;   in Loop: Header=BB124_110 Depth=2
	global_load_ushort v8, v[0:1], off offset:1152
	s_waitcnt vmcnt(0)
	v_lshl_or_b32 v7, v8, 16, v7
	s_or_b64 exec, exec, s[2:3]
	v_mov_b32_e32 v8, 0
	s_and_saveexec_b64 s[2:3], s[48:49]
	s_cbranch_execz .LBB124_121
.LBB124_156:                            ;   in Loop: Header=BB124_110 Depth=2
	global_load_ushort v8, v[0:1], off offset:1280
	s_or_b64 exec, exec, s[2:3]
	s_and_saveexec_b64 s[2:3], s[50:51]
	s_cbranch_execz .LBB124_122
.LBB124_157:                            ;   in Loop: Header=BB124_110 Depth=2
	global_load_ushort v9, v[0:1], off offset:1408
	s_waitcnt vmcnt(0)
	v_lshl_or_b32 v8, v9, 16, v8
	s_or_b64 exec, exec, s[2:3]
	v_mov_b32_e32 v9, 0
	s_and_saveexec_b64 s[2:3], s[52:53]
	s_cbranch_execz .LBB124_123
.LBB124_158:                            ;   in Loop: Header=BB124_110 Depth=2
	global_load_ushort v9, v[0:1], off offset:1536
	s_or_b64 exec, exec, s[2:3]
	s_and_saveexec_b64 s[2:3], s[54:55]
	s_cbranch_execz .LBB124_124
.LBB124_159:                            ;   in Loop: Header=BB124_110 Depth=2
	global_load_ushort v10, v[0:1], off offset:1664
	s_waitcnt vmcnt(0)
	v_lshl_or_b32 v9, v10, 16, v9
	s_or_b64 exec, exec, s[2:3]
	v_mov_b32_e32 v10, 0
	s_and_saveexec_b64 s[2:3], s[56:57]
	s_cbranch_execz .LBB124_125
.LBB124_160:                            ;   in Loop: Header=BB124_110 Depth=2
	global_load_ushort v10, v[0:1], off offset:1792
	s_or_b64 exec, exec, s[2:3]
	s_and_saveexec_b64 s[2:3], s[58:59]
	s_cbranch_execnz .LBB124_126
	s_branch .LBB124_127
.LBB124_161:                            ;   in Loop: Header=BB124_110 Depth=2
	global_load_ushort v3, v[0:1], off
	s_or_b64 exec, exec, s[2:3]
	s_and_saveexec_b64 s[2:3], s[28:29]
	s_cbranch_execz .LBB124_129
.LBB124_162:                            ;   in Loop: Header=BB124_110 Depth=2
	global_load_ushort v2, v[0:1], off offset:128
	s_or_b64 exec, exec, s[2:3]
	v_mov_b32_e32 v4, 0
	s_and_saveexec_b64 s[2:3], s[30:31]
	s_cbranch_execz .LBB124_130
.LBB124_163:                            ;   in Loop: Header=BB124_110 Depth=2
	global_load_ushort v4, v[0:1], off offset:256
	s_or_b64 exec, exec, s[2:3]
	s_and_saveexec_b64 s[2:3], s[34:35]
	s_cbranch_execz .LBB124_131
.LBB124_164:                            ;   in Loop: Header=BB124_110 Depth=2
	global_load_ushort v5, v[0:1], off offset:384
	s_waitcnt vmcnt(0)
	v_lshl_or_b32 v4, v5, 16, v4
	s_or_b64 exec, exec, s[2:3]
	v_mov_b32_e32 v5, 0
	s_and_saveexec_b64 s[2:3], s[36:37]
	s_cbranch_execz .LBB124_132
.LBB124_165:                            ;   in Loop: Header=BB124_110 Depth=2
	global_load_ushort v5, v[0:1], off offset:512
	s_or_b64 exec, exec, s[2:3]
	s_and_saveexec_b64 s[2:3], s[38:39]
	s_cbranch_execz .LBB124_133
.LBB124_166:                            ;   in Loop: Header=BB124_110 Depth=2
	global_load_ushort v6, v[0:1], off offset:640
	s_waitcnt vmcnt(0)
	v_lshl_or_b32 v5, v6, 16, v5
	s_or_b64 exec, exec, s[2:3]
	v_mov_b32_e32 v6, 0
	s_and_saveexec_b64 s[2:3], s[40:41]
	s_cbranch_execz .LBB124_134
.LBB124_167:                            ;   in Loop: Header=BB124_110 Depth=2
	global_load_ushort v6, v[0:1], off offset:768
	s_or_b64 exec, exec, s[2:3]
	s_and_saveexec_b64 s[2:3], s[42:43]
	s_cbranch_execz .LBB124_135
.LBB124_168:                            ;   in Loop: Header=BB124_110 Depth=2
	global_load_ushort v7, v[0:1], off offset:896
	s_waitcnt vmcnt(0)
	v_lshl_or_b32 v6, v7, 16, v6
	s_or_b64 exec, exec, s[2:3]
	v_mov_b32_e32 v7, 0
	s_and_saveexec_b64 s[2:3], s[44:45]
	s_cbranch_execz .LBB124_136
.LBB124_169:                            ;   in Loop: Header=BB124_110 Depth=2
	global_load_ushort v7, v[0:1], off offset:1024
	s_or_b64 exec, exec, s[2:3]
	s_and_saveexec_b64 s[2:3], s[46:47]
	s_cbranch_execz .LBB124_137
.LBB124_170:                            ;   in Loop: Header=BB124_110 Depth=2
	global_load_ushort v52, v[0:1], off offset:1152
	s_waitcnt vmcnt(0)
	v_lshl_or_b32 v7, v52, 16, v7
	s_or_b64 exec, exec, s[2:3]
	v_mov_b32_e32 v52, 0
	s_and_saveexec_b64 s[2:3], s[48:49]
	s_cbranch_execz .LBB124_138
.LBB124_171:                            ;   in Loop: Header=BB124_110 Depth=2
	global_load_ushort v52, v[0:1], off offset:1280
	s_or_b64 exec, exec, s[2:3]
	s_and_saveexec_b64 s[2:3], s[50:51]
	s_cbranch_execz .LBB124_139
.LBB124_172:                            ;   in Loop: Header=BB124_110 Depth=2
	global_load_ushort v53, v[0:1], off offset:1408
	s_waitcnt vmcnt(0)
	v_lshl_or_b32 v52, v53, 16, v52
	s_or_b64 exec, exec, s[2:3]
	v_mov_b32_e32 v53, 0
	s_and_saveexec_b64 s[2:3], s[52:53]
	s_cbranch_execz .LBB124_140
.LBB124_173:                            ;   in Loop: Header=BB124_110 Depth=2
	global_load_ushort v53, v[0:1], off offset:1536
	s_or_b64 exec, exec, s[2:3]
	s_and_saveexec_b64 s[2:3], s[54:55]
	s_cbranch_execz .LBB124_141
.LBB124_174:                            ;   in Loop: Header=BB124_110 Depth=2
	global_load_ushort v55, v[0:1], off offset:1664
	s_waitcnt vmcnt(0)
	v_lshl_or_b32 v53, v55, 16, v53
	s_or_b64 exec, exec, s[2:3]
	v_mov_b32_e32 v55, 0
	s_and_saveexec_b64 s[2:3], s[56:57]
	s_cbranch_execz .LBB124_142
.LBB124_175:                            ;   in Loop: Header=BB124_110 Depth=2
	global_load_ushort v55, v[0:1], off offset:1792
	s_or_b64 exec, exec, s[2:3]
	s_and_saveexec_b64 s[2:3], s[58:59]
	s_cbranch_execnz .LBB124_143
	s_branch .LBB124_144
.LBB124_176:                            ;   in Loop: Header=BB124_110 Depth=2
                                        ; implicit-def: $vgpr53
.LBB124_177:                            ;   in Loop: Header=BB124_110 Depth=2
	v_readlane_b32 s2, v166, 0
	v_readlane_b32 s3, v166, 1
	s_andn2_b64 vcc, exec, s[2:3]
	s_waitcnt lgkmcnt(0)
	v_mov_b32_e32 v53, 0
	s_cbranch_vccnz .LBB124_179
; %bb.178:                              ;   in Loop: Header=BB124_110 Depth=2
	s_mov_b32 s5, s7
	s_lshl_b64 s[2:3], s[4:5], 2
	v_readlane_b32 s5, v166, 21
	s_add_u32 s2, s5, s2
	v_readlane_b32 s5, v166, 22
	s_addc_u32 s3, s5, s3
	global_load_dword v53, v17, s[2:3]
.LBB124_179:                            ;   in Loop: Header=BB124_110 Depth=2
	v_mov_b32_e32 v52, 1.0
.LBB124_180:                            ;   in Loop: Header=BB124_110 Depth=2
	s_waitcnt lgkmcnt(14)
	v_cvt_f32_f16_e32 v59, v8
	v_cvt_f32_f16_sdwa v60, v8 dst_sel:DWORD dst_unused:UNUSED_PAD src0_sel:WORD_1
	v_mul_f32_e32 v8, 0x3fb8aa3b, v54
	v_cvt_f32_f16_e32 v61, v9
	v_cvt_f32_f16_sdwa v63, v9 dst_sel:DWORD dst_unused:UNUSED_PAD src0_sel:WORD_1
	v_mul_f32_e32 v9, v8, v143
	v_cmp_gt_f32_e32 vcc, s33, v9
	v_cvt_f32_f16_e32 v64, v10
	v_cvt_f32_f16_sdwa v65, v10 dst_sel:DWORD dst_unused:UNUSED_PAD src0_sel:WORD_1
	v_cndmask_b32_e32 v9, 0, v141, vcc
	v_fmac_f32_e32 v9, v8, v143
	v_exp_f32_e32 v9, v9
	v_cndmask_b32_e32 v10, 1.0, v142, vcc
	v_cvt_f32_f16_e32 v55, v12
	v_cvt_f32_f16_e32 v68, v11
	v_mul_f32_e32 v9, v9, v10
	v_cndmask_b32_e64 v129, 1.0, v9, s[60:61]
	v_mul_f32_e32 v9, v8, v144
	v_cmp_gt_f32_e32 vcc, s33, v9
	v_mul_f32_e32 v10, v127, v55
	v_cndmask_b32_e64 v128, 0, v10, s[60:61]
	v_cndmask_b32_e32 v9, 0, v141, vcc
	v_fmac_f32_e32 v9, v8, v144
	v_exp_f32_e32 v9, v9
	v_cndmask_b32_e32 v10, 1.0, v142, vcc
	v_cvt_f32_f16_sdwa v62, v11 dst_sel:DWORD dst_unused:UNUSED_PAD src0_sel:WORD_1
	v_cvt_f32_f16_sdwa v12, v12 dst_sel:DWORD dst_unused:UNUSED_PAD src0_sel:WORD_1
	v_mul_f32_e32 v10, v9, v10
	v_cndmask_b32_e64 v130, 1.0, v10, s[62:63]
	v_mul_f32_e32 v10, v8, v145
	v_cmp_gt_f32_e32 vcc, s33, v10
	v_mul_f32_e32 v9, v126, v12
	v_cvt_f32_f16_e32 v56, v13
	v_cndmask_b32_e32 v10, 0, v141, vcc
	v_fmac_f32_e32 v10, v8, v145
	v_exp_f32_e32 v10, v10
	v_cndmask_b32_e32 v11, 1.0, v142, vcc
	v_cvt_f32_f16_sdwa v13, v13 dst_sel:DWORD dst_unused:UNUSED_PAD src0_sel:WORD_1
	v_cvt_f32_f16_e32 v57, v14
	v_mul_f32_e32 v11, v10, v11
	v_cndmask_b32_e64 v131, 1.0, v11, s[64:65]
	v_mul_f32_e32 v11, v8, v146
	v_cmp_gt_f32_e32 vcc, s33, v11
	v_cvt_f32_f16_sdwa v14, v14 dst_sel:DWORD dst_unused:UNUSED_PAD src0_sel:WORD_1
	v_mul_f32_e32 v10, v125, v56
	v_cndmask_b32_e32 v11, 0, v141, vcc
	v_fmac_f32_e32 v11, v8, v146
	v_exp_f32_e32 v11, v11
	v_cndmask_b32_e32 v12, 1.0, v142, vcc
	v_cvt_f32_f16_e32 v58, v15
	v_cndmask_b32_e64 v9, 0, v9, s[62:63]
	v_mul_f32_e32 v12, v11, v12
	v_cndmask_b32_e64 v132, 1.0, v12, s[66:67]
	v_mul_f32_e32 v12, v8, v147
	v_cmp_gt_f32_e32 vcc, s33, v12
	v_mul_f32_e32 v11, v124, v13
	v_pk_mul_f32 v[66:67], v[8:9], v[46:47] op_sel_hi:[0,1]
	v_cndmask_b32_e32 v12, 0, v141, vcc
	v_fmac_f32_e32 v12, v8, v147
	v_exp_f32_e32 v12, v12
	v_cndmask_b32_e32 v13, 1.0, v142, vcc
	v_mul_f32_e32 v62, v29, v62
	v_cvt_f32_f16_sdwa v15, v15 dst_sel:DWORD dst_unused:UNUSED_PAD src0_sel:WORD_1
	v_mul_f32_e32 v13, v12, v13
	v_cndmask_b32_e64 v133, 1.0, v13, s[68:69]
	v_mul_f32_e32 v13, v8, v148
	v_cmp_gt_f32_e32 vcc, s33, v13
	v_mul_f32_e32 v12, v165, v57
	v_cndmask_b32_e64 v10, 0, v10, s[64:65]
	v_cndmask_b32_e32 v13, 0, v141, vcc
	v_fmac_f32_e32 v13, v8, v148
	v_exp_f32_e32 v13, v13
	v_cndmask_b32_e32 v54, 1.0, v142, vcc
	v_cndmask_b32_e64 v11, 0, v11, s[66:67]
	v_cndmask_b32_e64 v12, 0, v12, s[68:69]
	v_mul_f32_e32 v54, v13, v54
	v_mul_f32_e32 v13, v164, v14
	;; [unrolled: 1-line block ×3, first 2 shown]
	v_cmp_gt_f32_e32 vcc, s33, v14
	v_cndmask_b32_e64 v134, 1.0, v54, s[70:71]
	v_cndmask_b32_e64 v13, 0, v13, s[70:71]
	v_cndmask_b32_e32 v14, 0, v141, vcc
	v_fmac_f32_e32 v14, v8, v149
	v_exp_f32_e32 v14, v14
	v_cndmask_b32_e32 v54, 1.0, v142, vcc
	v_mul_f32_e32 v15, v162, v15
	v_cndmask_b32_e64 v15, 0, v15, s[74:75]
	v_mul_f32_e32 v54, v14, v54
	v_cndmask_b32_e64 v135, 1.0, v54, s[72:73]
	v_mul_f32_e32 v54, v8, v150
	v_cmp_gt_f32_e32 vcc, s33, v54
	v_mul_f32_e32 v14, v163, v58
	v_cndmask_b32_e64 v14, 0, v14, s[72:73]
	v_cndmask_b32_e32 v54, 0, v141, vcc
	v_fmac_f32_e32 v54, v8, v150
	v_exp_f32_e32 v54, v54
	v_cndmask_b32_e32 v55, 1.0, v142, vcc
	v_readlane_b32 s10, v166, 39
	v_readlane_b32 s11, v166, 40
	v_mul_f32_e32 v54, v54, v55
	v_cndmask_b32_e64 v136, 1.0, v54, s[74:75]
	v_mul_f32_e32 v54, v8, v151
	v_cmp_gt_f32_e32 vcc, s33, v54
	s_nop 1
	v_cndmask_b32_e32 v54, 0, v141, vcc
	v_fmac_f32_e32 v54, v8, v151
	v_exp_f32_e32 v54, v54
	v_cndmask_b32_e32 v55, 1.0, v142, vcc
	v_mul_f32_e32 v55, v54, v55
	v_cndmask_b32_e64 v137, 1.0, v55, s[76:77]
	v_mul_f32_e32 v55, v8, v152
	v_cmp_gt_f32_e32 vcc, s33, v55
	v_mul_f32_e32 v54, v161, v59
	v_cndmask_b32_e64 v54, 0, v54, s[76:77]
	v_cndmask_b32_e32 v55, 0, v141, vcc
	v_fmac_f32_e32 v55, v8, v152
	v_exp_f32_e32 v55, v55
	v_cndmask_b32_e32 v56, 1.0, v142, vcc
	v_mul_f32_e32 v56, v55, v56
	v_cndmask_b32_e64 v138, 1.0, v56, s[78:79]
	v_mul_f32_e32 v56, v8, v153
	v_cmp_gt_f32_e32 vcc, s33, v56
	v_mul_f32_e32 v55, v160, v60
	v_cndmask_b32_e64 v55, 0, v55, s[78:79]
	;; [unrolled: 10-line block ×4, first 2 shown]
	v_cndmask_b32_e32 v56, 0, v141, vcc
	v_fmac_f32_e32 v56, v8, v155
	v_exp_f32_e32 v56, v56
	v_cndmask_b32_e32 v57, 1.0, v142, vcc
	v_mul_f32_e32 v57, v56, v57
	v_mul_f32_e32 v56, v157, v64
	v_cndmask_b32_e64 v64, 1.0, v57, s[84:85]
	v_mul_f32_e32 v57, v8, v156
	v_cmp_gt_f32_e32 vcc, s33, v57
	v_cndmask_b32_e64 v56, 0, v56, s[84:85]
	s_nop 0
	v_cndmask_b32_e32 v57, 0, v141, vcc
	v_fmac_f32_e32 v57, v8, v156
	v_cndmask_b32_e32 v60, 1.0, v142, vcc
	v_mul_f32_e32 v8, v16, v68
	v_cmp_gt_f32_e32 vcc, s33, v66
	v_cndmask_b32_e64 v61, 0, v8, s[90:91]
	v_exp_f32_e32 v57, v57
	v_cndmask_b32_e32 v8, 0, v141, vcc
	v_add_f32_e32 v8, v66, v8
	v_exp_f32_e32 v8, v8
	v_cndmask_b32_e32 v63, 1.0, v142, vcc
	v_cmp_gt_f32_e32 vcc, s33, v67
	v_mul_f32_e32 v60, v57, v60
	v_mul_f32_e32 v8, v8, v63
	v_cndmask_b32_e32 v63, 0, v141, vcc
	v_add_f32_e32 v63, v67, v63
	v_exp_f32_e32 v63, v63
	v_mul_f32_e32 v57, v27, v65
	v_cndmask_b32_e32 v65, 1.0, v142, vcc
	v_cndmask_b32_e64 v66, 1.0, v8, s[90:91]
	v_mul_f32_e32 v65, v63, v65
	v_cndmask_b32_e64 v63, 0, v62, s[88:89]
	v_mul_f32_e32 v8, v130, v129
	v_fma_f32 v62, v130, v128, v9
	v_mul_f32_e32 v8, v8, v131
	v_fma_f32 v62, v62, v131, v10
	;; [unrolled: 2-line block ×11, first 2 shown]
	v_cndmask_b32_e64 v57, 0, v57, s[86:87]
	v_cndmask_b32_e64 v60, 1.0, v60, s[86:87]
	v_fma_f32 v8, v8, v64, v56
	v_cndmask_b32_e64 v67, 1.0, v65, s[88:89]
	v_fma_f32 v69, v8, v60, v57
	v_mov_b32_e32 v65, v66
	v_pk_mul_f32 v[76:77], v[68:69], v[64:65]
	v_pk_fma_f32 v[68:69], v[68:69], v[64:65], v[60:61]
	v_pk_mul_f32 v[76:77], v[76:77], v[60:61]
	v_mov_b32_e32 v70, v67
	v_mov_b32_e32 v77, v69
	;; [unrolled: 1-line block ×3, first 2 shown]
	v_pk_mul_f32 v[68:69], v[76:77], v[66:67]
	v_mov_b32_e32 v62, v67
	v_pk_mul_f32 v[70:71], v[68:69], v[70:71]
	v_pk_fma_f32 v[68:69], v[76:77], v[66:67], v[62:63]
	s_nop 0
	v_mov_b32_dpp v8, v70 row_shr:1 row_mask:0xf bank_mask:0xf
	v_mov_b32_dpp v62, v69 row_shr:1 row_mask:0xf bank_mask:0xf
	v_mul_f32_e32 v65, v70, v8
	v_fma_f32 v62, v70, v62, v69
	v_cndmask_b32_e64 v68, v65, v70, s[0:1]
	v_cndmask_b32_e64 v71, v62, v69, s[0:1]
	;; [unrolled: 1-line block ×4, first 2 shown]
	v_mov_b32_dpp v65, v71 row_shr:2 row_mask:0xf bank_mask:0xf
	v_mov_b32_dpp v62, v70 row_shr:2 row_mask:0xf bank_mask:0xf
	s_and_saveexec_b64 s[2:3], s[10:11]
; %bb.181:                              ;   in Loop: Header=BB124_110 Depth=2
	v_fmac_f32_e32 v71, v70, v65
	v_mul_f32_e32 v70, v70, v62
	v_mov_b32_e32 v68, v70
	v_mov_b32_e32 v8, v71
; %bb.182:                              ;   in Loop: Header=BB124_110 Depth=2
	s_or_b64 exec, exec, s[2:3]
	v_readlane_b32 s10, v166, 41
	v_mov_b32_dpp v62, v70 row_shr:4 row_mask:0xf bank_mask:0xf
	v_mov_b32_dpp v65, v71 row_shr:4 row_mask:0xf bank_mask:0xf
	v_readlane_b32 s11, v166, 42
	s_and_saveexec_b64 s[2:3], s[10:11]
; %bb.183:                              ;   in Loop: Header=BB124_110 Depth=2
	v_fmac_f32_e32 v71, v70, v65
	v_mul_f32_e32 v70, v70, v62
	v_mov_b32_e32 v68, v70
	v_mov_b32_e32 v8, v71
; %bb.184:                              ;   in Loop: Header=BB124_110 Depth=2
	s_or_b64 exec, exec, s[2:3]
	v_readlane_b32 s10, v166, 43
	v_mov_b32_dpp v62, v70 row_shr:8 row_mask:0xf bank_mask:0xf
	v_mov_b32_dpp v65, v71 row_shr:8 row_mask:0xf bank_mask:0xf
	v_readlane_b32 s11, v166, 44
	s_and_saveexec_b64 s[2:3], s[10:11]
; %bb.185:                              ;   in Loop: Header=BB124_110 Depth=2
	v_fmac_f32_e32 v71, v70, v65
	v_mul_f32_e32 v70, v70, v62
	v_mov_b32_e32 v68, v70
	v_mov_b32_e32 v8, v71
; %bb.186:                              ;   in Loop: Header=BB124_110 Depth=2
	s_or_b64 exec, exec, s[2:3]
	v_readlane_b32 s10, v166, 45
	v_mov_b32_dpp v62, v70 row_bcast:15 row_mask:0xf bank_mask:0xf
	v_mov_b32_dpp v65, v71 row_bcast:15 row_mask:0xf bank_mask:0xf
	v_readlane_b32 s11, v166, 46
	s_and_saveexec_b64 s[2:3], s[10:11]
; %bb.187:                              ;   in Loop: Header=BB124_110 Depth=2
	v_fmac_f32_e32 v71, v70, v65
	v_mul_f32_e32 v70, v70, v62
	v_mov_b32_e32 v68, v70
	v_mov_b32_e32 v8, v71
; %bb.188:                              ;   in Loop: Header=BB124_110 Depth=2
	s_or_b64 exec, exec, s[2:3]
	v_readlane_b32 s10, v166, 53
	v_mov_b32_dpp v65, v70 row_bcast:31 row_mask:0xf bank_mask:0xf
	v_mov_b32_dpp v62, v71 row_bcast:31 row_mask:0xf bank_mask:0xf
	v_readlane_b32 s11, v166, 54
	s_and_saveexec_b64 s[2:3], s[10:11]
; %bb.189:                              ;   in Loop: Header=BB124_110 Depth=2
	v_fmac_f32_e32 v71, v70, v62
	v_mul_f32_e32 v68, v70, v65
	v_mov_b32_e32 v69, v71
	v_mov_b32_e32 v8, v71
	v_mov_b64_e32 v[70:71], v[68:69]
; %bb.190:                              ;   in Loop: Header=BB124_110 Depth=2
	s_or_b64 exec, exec, s[2:3]
	v_readlane_b32 s10, v166, 47
	v_readlane_b32 s11, v166, 48
	s_and_saveexec_b64 s[2:3], s[10:11]
	s_cbranch_execz .LBB124_192
; %bb.191:                              ;   in Loop: Header=BB124_110 Depth=2
	ds_write_b64 v121, v[70:71] offset:8448
.LBB124_192:                            ;   in Loop: Header=BB124_110 Depth=2
	s_or_b64 exec, exec, s[2:3]
	v_readlane_b32 s10, v166, 55
	v_readlane_b32 s11, v166, 56
	s_waitcnt lgkmcnt(0)
	s_barrier
	s_and_saveexec_b64 s[2:3], s[10:11]
	s_cbranch_execz .LBB124_194
; %bb.193:                              ;   in Loop: Header=BB124_110 Depth=2
	ds_read_b64 v[70:71], v122 offset:8448
	v_readlane_b32 s10, v166, 49
	v_readlane_b32 s11, v166, 50
	s_waitcnt lgkmcnt(0)
	v_mov_b32_dpp v62, v70 row_shr:1 row_mask:0xf bank_mask:0xf
	v_mov_b32_dpp v65, v71 row_shr:1 row_mask:0xf bank_mask:0xf
	v_fma_f32 v65, v70, v65, v71
	v_mul_f32_e32 v62, v70, v62
	v_cndmask_b32_e64 v70, v62, v70, s[10:11]
	v_cndmask_b32_e64 v71, v65, v71, s[10:11]
	ds_write_b64 v122, v[70:71] offset:8448
.LBB124_194:                            ;   in Loop: Header=BB124_110 Depth=2
	s_or_b64 exec, exec, s[2:3]
	s_waitcnt lgkmcnt(0)
	s_barrier
	s_waitcnt lgkmcnt(0)
                                        ; implicit-def: $vgpr70
	s_and_saveexec_b64 s[2:3], s[20:21]
	s_cbranch_execz .LBB124_196
; %bb.195:                              ;   in Loop: Header=BB124_110 Depth=2
	ds_read_b64 v[70:71], v121 offset:8440
	s_waitcnt lgkmcnt(0)
	v_mul_f32_e32 v62, v68, v70
	v_fmac_f32_e32 v8, v68, v71
	v_mov_b32_e32 v68, v62
.LBB124_196:                            ;   in Loop: Header=BB124_110 Depth=2
	s_or_b64 exec, exec, s[2:3]
	ds_bpermute_b32 v62, v123, v68
	ds_bpermute_b32 v8, v123, v8
	v_readlane_b32 s10, v166, 57
	s_waitcnt vmcnt(0)
	v_mov_b32_e32 v69, v53
	v_readlane_b32 s11, v166, 58
	s_and_saveexec_b64 s[2:3], s[10:11]
	s_cbranch_execz .LBB124_200
; %bb.197:                              ;   in Loop: Header=BB124_110 Depth=2
	ds_read_b64 v[68:69], v17 offset:8456
	s_and_saveexec_b64 vcc, s[22:23]
	s_cbranch_execz .LBB124_199
; %bb.198:                              ;   in Loop: Header=BB124_110 Depth=2
	ds_write_b64 v17, v[52:53] offset:8456
.LBB124_199:                            ;   in Loop: Header=BB124_110 Depth=2
	s_or_b64 exec, exec, vcc
	s_waitcnt lgkmcnt(0)
	v_fmac_f32_e32 v69, v53, v68
	v_mul_f32_e32 v52, v52, v68
	v_mov_b32_e32 v53, v69
.LBB124_200:                            ;   in Loop: Header=BB124_110 Depth=2
	s_or_b64 exec, exec, s[2:3]
	s_waitcnt lgkmcnt(0)
	s_barrier
	ds_read_b32 v65, v17 offset:8460
	s_and_saveexec_b64 s[2:3], s[22:23]
	s_cbranch_execz .LBB124_109
; %bb.201:                              ;   in Loop: Header=BB124_110 Depth=2
	v_mov_b32_e32 v68, s9
	s_andn2_b64 vcc, exec, s[96:97]
	ds_write_b64 v68, v[52:53]
	s_cbranch_vccnz .LBB124_109
; %bb.202:                              ;   in Loop: Header=BB124_110 Depth=2
	s_mov_b32 s5, s7
	s_lshl_b64 s[10:11], s[4:5], 2
	v_readlane_b32 s5, v166, 21
	s_add_u32 s10, s5, s10
	v_readlane_b32 s5, v166, 22
	s_addc_u32 s11, s5, s11
	global_store_dword v17, v69, s[10:11]
	s_branch .LBB124_109
.LBB124_203:                            ;   in Loop: Header=BB124_13 Depth=1
	s_mov_b32 s6, 0x41a00000
	s_mov_b32 s8, 0x3fb8aa3b
	;; [unrolled: 1-line block ×8, first 2 shown]
.LBB124_204:                            ;   in Loop: Header=BB124_13 Depth=1
	v_cvt_f16_f32_e32 v0, v42
	v_cvt_f16_f32_e32 v4, v43
	;; [unrolled: 1-line block ×16, first 2 shown]
	v_pack_b32_f16 v3, v3, v7
	v_pack_b32_f16 v2, v2, v6
	;; [unrolled: 1-line block ×4, first 2 shown]
	s_barrier
	ds_write_b128 v119, v[0:3]
	v_pack_b32_f16 v3, v14, v15
	v_pack_b32_f16 v2, v12, v13
	;; [unrolled: 1-line block ×4, first 2 shown]
	ds_write_b128 v119, v[0:3] offset:16
	; wave barrier
	ds_read_u16 v16, v89 offset:128
	ds_read_u16 v15, v90 offset:256
	;; [unrolled: 1-line block ×15, first 2 shown]
	v_readlane_b32 s2, v166, 61
	v_readlane_b32 s3, v166, 62
	s_mov_b32 s3, s7
	s_mov_b64 s[18:19], s[2:3]
	v_lshl_add_u64 v[0:1], s[2:3], 1, v[20:21]
	s_and_saveexec_b64 s[2:3], s[26:27]
	s_cbranch_execnz .LBB124_271
; %bb.205:                              ;   in Loop: Header=BB124_13 Depth=1
	s_or_b64 exec, exec, s[2:3]
	s_and_saveexec_b64 s[2:3], s[28:29]
	s_cbranch_execnz .LBB124_272
.LBB124_206:                            ;   in Loop: Header=BB124_13 Depth=1
	s_or_b64 exec, exec, s[2:3]
	s_and_saveexec_b64 s[2:3], s[30:31]
	s_cbranch_execnz .LBB124_273
.LBB124_207:                            ;   in Loop: Header=BB124_13 Depth=1
	s_or_b64 exec, exec, s[2:3]
	s_and_saveexec_b64 s[2:3], s[34:35]
	s_cbranch_execnz .LBB124_274
.LBB124_208:                            ;   in Loop: Header=BB124_13 Depth=1
	s_or_b64 exec, exec, s[2:3]
	s_and_saveexec_b64 s[2:3], s[36:37]
	s_cbranch_execnz .LBB124_275
.LBB124_209:                            ;   in Loop: Header=BB124_13 Depth=1
	s_or_b64 exec, exec, s[2:3]
	s_and_saveexec_b64 s[2:3], s[38:39]
	s_cbranch_execnz .LBB124_276
.LBB124_210:                            ;   in Loop: Header=BB124_13 Depth=1
	s_or_b64 exec, exec, s[2:3]
	s_and_saveexec_b64 s[2:3], s[40:41]
	s_cbranch_execnz .LBB124_277
.LBB124_211:                            ;   in Loop: Header=BB124_13 Depth=1
	s_or_b64 exec, exec, s[2:3]
	s_and_saveexec_b64 s[2:3], s[42:43]
	s_cbranch_execnz .LBB124_278
.LBB124_212:                            ;   in Loop: Header=BB124_13 Depth=1
	s_or_b64 exec, exec, s[2:3]
	s_and_saveexec_b64 s[2:3], s[44:45]
	s_cbranch_execnz .LBB124_279
.LBB124_213:                            ;   in Loop: Header=BB124_13 Depth=1
	s_or_b64 exec, exec, s[2:3]
	s_and_saveexec_b64 s[2:3], s[46:47]
	s_cbranch_execnz .LBB124_280
.LBB124_214:                            ;   in Loop: Header=BB124_13 Depth=1
	s_or_b64 exec, exec, s[2:3]
	s_and_saveexec_b64 s[2:3], s[48:49]
	s_cbranch_execnz .LBB124_281
.LBB124_215:                            ;   in Loop: Header=BB124_13 Depth=1
	s_or_b64 exec, exec, s[2:3]
	s_and_saveexec_b64 s[2:3], s[50:51]
	s_cbranch_execnz .LBB124_282
.LBB124_216:                            ;   in Loop: Header=BB124_13 Depth=1
	s_or_b64 exec, exec, s[2:3]
	s_and_saveexec_b64 s[2:3], s[52:53]
	s_cbranch_execnz .LBB124_283
.LBB124_217:                            ;   in Loop: Header=BB124_13 Depth=1
	s_or_b64 exec, exec, s[2:3]
	s_and_saveexec_b64 s[2:3], s[54:55]
	s_cbranch_execnz .LBB124_284
.LBB124_218:                            ;   in Loop: Header=BB124_13 Depth=1
	s_or_b64 exec, exec, s[2:3]
	s_and_saveexec_b64 s[2:3], s[56:57]
	s_cbranch_execnz .LBB124_285
.LBB124_219:                            ;   in Loop: Header=BB124_13 Depth=1
	s_or_b64 exec, exec, s[2:3]
	s_and_saveexec_b64 s[2:3], s[58:59]
	s_cbranch_execz .LBB124_221
.LBB124_220:                            ;   in Loop: Header=BB124_13 Depth=1
	s_waitcnt lgkmcnt(0)
	global_store_short v[0:1], v2, off offset:1920
.LBB124_221:                            ;   in Loop: Header=BB124_13 Depth=1
	s_or_b64 exec, exec, s[2:3]
	v_lshl_add_u64 v[0:1], s[18:19], 1, v[22:23]
	s_waitcnt lgkmcnt(0)
	v_mov_b32_e32 v2, 0
	v_mov_b32_e32 v3, 0
	s_barrier
	s_and_saveexec_b64 s[2:3], s[26:27]
	s_cbranch_execz .LBB124_223
; %bb.222:                              ;   in Loop: Header=BB124_13 Depth=1
	global_load_ushort v3, v[0:1], off
.LBB124_223:                            ;   in Loop: Header=BB124_13 Depth=1
	s_or_b64 exec, exec, s[2:3]
	s_and_saveexec_b64 s[2:3], s[28:29]
	s_cbranch_execz .LBB124_225
; %bb.224:                              ;   in Loop: Header=BB124_13 Depth=1
	global_load_ushort v2, v[0:1], off offset:128
.LBB124_225:                            ;   in Loop: Header=BB124_13 Depth=1
	s_or_b64 exec, exec, s[2:3]
	v_mov_b32_e32 v4, 0
	v_mov_b32_e32 v5, 0
	s_and_saveexec_b64 s[2:3], s[30:31]
	s_cbranch_execz .LBB124_227
; %bb.226:                              ;   in Loop: Header=BB124_13 Depth=1
	global_load_ushort v5, v[0:1], off offset:256
.LBB124_227:                            ;   in Loop: Header=BB124_13 Depth=1
	s_or_b64 exec, exec, s[2:3]
	s_and_saveexec_b64 s[2:3], s[34:35]
	s_cbranch_execz .LBB124_229
; %bb.228:                              ;   in Loop: Header=BB124_13 Depth=1
	global_load_ushort v4, v[0:1], off offset:384
.LBB124_229:                            ;   in Loop: Header=BB124_13 Depth=1
	s_or_b64 exec, exec, s[2:3]
	v_mov_b32_e32 v6, 0
	v_mov_b32_e32 v7, 0
	s_and_saveexec_b64 s[2:3], s[36:37]
	s_cbranch_execz .LBB124_231
; %bb.230:                              ;   in Loop: Header=BB124_13 Depth=1
	global_load_ushort v7, v[0:1], off offset:512
.LBB124_231:                            ;   in Loop: Header=BB124_13 Depth=1
	;; [unrolled: 14-line block ×7, first 2 shown]
	s_or_b64 exec, exec, s[2:3]
	s_and_saveexec_b64 s[2:3], s[58:59]
	s_cbranch_execz .LBB124_253
; %bb.252:                              ;   in Loop: Header=BB124_13 Depth=1
	global_load_ushort v16, v[0:1], off offset:1920
.LBB124_253:                            ;   in Loop: Header=BB124_13 Depth=1
	s_or_b64 exec, exec, s[2:3]
	s_waitcnt vmcnt(0)
	ds_write_b16 v88, v3
	ds_write_b16 v89, v2 offset:128
	ds_write_b16 v90, v5 offset:256
	;; [unrolled: 1-line block ×15, first 2 shown]
	; wave barrier
	ds_read_b128 v[4:7], v119
	ds_read_b128 v[0:3], v119 offset:16
	s_mov_b32 s4, 0xbfb8aa3b
	s_mov_b32 s5, 0xb2a5705f
	;; [unrolled: 1-line block ×3, first 2 shown]
	s_waitcnt lgkmcnt(1)
	v_cvt_f32_f16_e32 v13, v4
	v_cvt_f32_f16_sdwa v11, v4 dst_sel:DWORD dst_unused:UNUSED_PAD src0_sel:WORD_1
	v_cvt_f32_f16_e32 v12, v5
	s_mov_b32 s15, 0xc2b17218
	v_mul_f32_e32 v8, 0xbfb8aa3b, v13
	v_rndne_f32_e32 v9, v8
	v_sub_f32_e32 v14, v8, v9
	v_fma_mix_f32 v8, v4, s4, -v8 op_sel_hi:[1,0,0]
	v_cvt_i32_f32_e32 v9, v9
	v_fma_mix_f32 v8, v4, s5, v8 op_sel_hi:[1,0,0]
	v_cmp_nlt_f32_e32 vcc, s14, v13
	v_add_f32_e32 v8, v14, v8
	v_exp_f32_e32 v8, v8
	v_cvt_f32_f16_sdwa v10, v5 dst_sel:DWORD dst_unused:UNUSED_PAD src0_sel:WORD_1
	s_waitcnt lgkmcnt(0)
	s_barrier
	v_ldexp_f32 v8, v8, v9
	v_mul_f32_e32 v9, 0xbfb8aa3b, v11
	v_rndne_f32_e32 v14, v9
	v_sub_f32_e32 v15, v9, v14
	v_fma_mix_f32 v9, v4, s4, -v9 op_sel:[1,0,0] op_sel_hi:[1,0,0]
	v_cndmask_b32_e32 v8, 0, v8, vcc
	v_fma_mix_f32 v4, v4, s5, v9 op_sel:[1,0,0] op_sel_hi:[1,0,0]
	v_cvt_i32_f32_e32 v9, v14
	v_add_f32_e32 v4, v15, v4
	v_exp_f32_e32 v4, v4
	v_cmp_ngt_f32_e32 vcc, s15, v13
	v_ldexp_f32 v4, v4, v9
	s_nop 0
	v_cndmask_b32_e32 v8, v140, v8, vcc
	v_cmp_nlt_f32_e32 vcc, s14, v11
	s_nop 1
	v_cndmask_b32_e32 v4, 0, v4, vcc
	v_cmp_ngt_f32_e32 vcc, s15, v11
	s_nop 1
	v_cndmask_b32_e32 v9, v140, v4, vcc
	v_mul_f32_e32 v4, 0xbfb8aa3b, v12
	v_rndne_f32_e32 v14, v4
	v_sub_f32_e32 v15, v4, v14
	v_fma_mix_f32 v4, v5, s4, -v4 op_sel_hi:[1,0,0]
	v_cvt_i32_f32_e32 v14, v14
	v_fma_mix_f32 v4, v5, s5, v4 op_sel_hi:[1,0,0]
	v_pk_add_f32 v[8:9], v[8:9], 1.0 op_sel_hi:[1,0]
	v_add_f32_e32 v4, v15, v4
	v_exp_f32_e32 v4, v4
	v_cmp_nlt_f32_e32 vcc, s14, v12
	v_ldexp_f32 v4, v4, v14
	v_mul_f32_e32 v14, 0xbfb8aa3b, v10
	v_rndne_f32_e32 v15, v14
	v_sub_f32_e32 v16, v14, v15
	v_fma_mix_f32 v14, v5, s4, -v14 op_sel:[1,0,0] op_sel_hi:[1,0,0]
	v_cndmask_b32_e32 v4, 0, v4, vcc
	v_fma_mix_f32 v5, v5, s5, v14 op_sel:[1,0,0] op_sel_hi:[1,0,0]
	v_cvt_i32_f32_e32 v14, v15
	v_add_f32_e32 v5, v16, v5
	v_exp_f32_e32 v5, v5
	v_cmp_ngt_f32_e32 vcc, s15, v12
	v_ldexp_f32 v5, v5, v14
	v_div_scale_f32 v14, s[2:3], v9, v9, v11
	v_rcp_f32_e32 v15, v14
	v_cndmask_b32_e32 v4, v140, v4, vcc
	v_cmp_nlt_f32_e32 vcc, s14, v10
	v_fma_f32 v16, -v14, v15, 1.0
	s_nop 0
	v_cndmask_b32_e32 v5, 0, v5, vcc
	v_cmp_ngt_f32_e32 vcc, s15, v10
	v_fmac_f32_e32 v15, v16, v15
	s_nop 0
	v_cndmask_b32_e32 v5, v140, v5, vcc
	v_div_scale_f32 v16, vcc, v11, v9, v11
	v_mul_f32_e32 v27, v16, v15
	v_fma_f32 v29, -v14, v27, v16
	v_fmac_f32_e32 v27, v29, v15
	v_fma_f32 v14, -v14, v27, v16
	v_div_fmas_f32 v14, v14, v15, v27
	v_div_fixup_f32 v9, v14, v9, v11
	v_div_scale_f32 v11, s[2:3], v8, v8, v13
	v_rcp_f32_e32 v14, v11
	v_pk_add_f32 v[4:5], v[4:5], 1.0 op_sel_hi:[1,0]
	v_fma_f32 v15, -v11, v14, 1.0
	v_fmac_f32_e32 v14, v15, v14
	v_div_scale_f32 v15, vcc, v13, v8, v13
	v_mul_f32_e32 v16, v15, v14
	v_fma_f32 v27, -v11, v16, v15
	v_fmac_f32_e32 v16, v27, v14
	v_fma_f32 v11, -v11, v16, v15
	v_div_fmas_f32 v11, v11, v14, v16
	v_div_fixup_f32 v8, v11, v8, v13
	v_div_scale_f32 v11, s[2:3], v5, v5, v10
	v_rcp_f32_e32 v13, v11
	v_pk_mul_f32 v[8:9], v[42:43], v[8:9]
	v_fma_f32 v14, -v11, v13, 1.0
	v_fmac_f32_e32 v13, v14, v13
	v_div_scale_f32 v14, vcc, v10, v5, v10
	v_mul_f32_e32 v15, v14, v13
	v_fma_f32 v16, -v11, v15, v14
	v_fmac_f32_e32 v15, v16, v13
	v_fma_f32 v11, -v11, v15, v14
	v_div_fmas_f32 v11, v11, v13, v15
	v_div_fixup_f32 v5, v11, v5, v10
	v_div_scale_f32 v10, s[2:3], v4, v4, v12
	v_rcp_f32_e32 v11, v10
	s_nop 0
	v_fma_f32 v13, -v10, v11, 1.0
	v_fmac_f32_e32 v11, v13, v11
	v_div_scale_f32 v13, vcc, v12, v4, v12
	v_mul_f32_e32 v14, v13, v11
	v_fma_f32 v15, -v10, v14, v13
	v_fmac_f32_e32 v14, v15, v11
	v_fma_f32 v10, -v10, v14, v13
	v_cvt_f32_f16_e32 v15, v6
	v_div_fmas_f32 v10, v10, v11, v14
	v_div_fixup_f32 v4, v10, v4, v12
	v_pk_mul_f32 v[10:11], v[44:45], v[4:5]
	v_cvt_f16_f32_e32 v4, v9
	v_cvt_f16_f32_e32 v9, v10
	v_mul_f32_e32 v10, 0xbfb8aa3b, v15
	v_cvt_f16_f32_e32 v5, v8
	v_cvt_f16_f32_e32 v8, v11
	v_rndne_f32_e32 v11, v10
	v_sub_f32_e32 v16, v10, v11
	v_fma_mix_f32 v10, v6, s4, -v10 op_sel_hi:[1,0,0]
	v_cvt_f32_f16_sdwa v13, v6 dst_sel:DWORD dst_unused:UNUSED_PAD src0_sel:WORD_1
	v_fma_mix_f32 v10, v6, s5, v10 op_sel_hi:[1,0,0]
	v_cvt_i32_f32_e32 v11, v11
	v_add_f32_e32 v10, v16, v10
	v_exp_f32_e32 v10, v10
	v_cvt_f32_f16_e32 v14, v7
	v_cmp_nlt_f32_e32 vcc, s14, v15
	v_cvt_f32_f16_sdwa v12, v7 dst_sel:DWORD dst_unused:UNUSED_PAD src0_sel:WORD_1
	v_ldexp_f32 v10, v10, v11
	v_mul_f32_e32 v11, 0xbfb8aa3b, v13
	v_rndne_f32_e32 v16, v11
	v_sub_f32_e32 v27, v11, v16
	v_fma_mix_f32 v11, v6, s4, -v11 op_sel:[1,0,0] op_sel_hi:[1,0,0]
	v_cndmask_b32_e32 v10, 0, v10, vcc
	v_fma_mix_f32 v6, v6, s5, v11 op_sel:[1,0,0] op_sel_hi:[1,0,0]
	v_cvt_i32_f32_e32 v11, v16
	v_add_f32_e32 v6, v27, v6
	v_exp_f32_e32 v6, v6
	v_cmp_ngt_f32_e32 vcc, s15, v15
	v_ldexp_f32 v6, v6, v11
	s_nop 0
	v_cndmask_b32_e32 v10, v140, v10, vcc
	v_cmp_nlt_f32_e32 vcc, s14, v13
	s_nop 1
	v_cndmask_b32_e32 v6, 0, v6, vcc
	v_cmp_ngt_f32_e32 vcc, s15, v13
	s_nop 1
	v_cndmask_b32_e32 v11, v140, v6, vcc
	v_mul_f32_e32 v6, 0xbfb8aa3b, v14
	v_rndne_f32_e32 v16, v6
	v_sub_f32_e32 v27, v6, v16
	v_fma_mix_f32 v6, v7, s4, -v6 op_sel_hi:[1,0,0]
	v_cvt_i32_f32_e32 v16, v16
	v_fma_mix_f32 v6, v7, s5, v6 op_sel_hi:[1,0,0]
	v_pk_add_f32 v[10:11], v[10:11], 1.0 op_sel_hi:[1,0]
	v_add_f32_e32 v6, v27, v6
	v_exp_f32_e32 v6, v6
	v_cmp_nlt_f32_e32 vcc, s14, v14
	v_ldexp_f32 v6, v6, v16
	v_mul_f32_e32 v16, 0xbfb8aa3b, v12
	v_rndne_f32_e32 v27, v16
	v_sub_f32_e32 v29, v16, v27
	v_fma_mix_f32 v16, v7, s4, -v16 op_sel:[1,0,0] op_sel_hi:[1,0,0]
	v_cndmask_b32_e32 v6, 0, v6, vcc
	v_fma_mix_f32 v7, v7, s5, v16 op_sel:[1,0,0] op_sel_hi:[1,0,0]
	v_cvt_i32_f32_e32 v16, v27
	v_add_f32_e32 v7, v29, v7
	v_exp_f32_e32 v7, v7
	v_cmp_ngt_f32_e32 vcc, s15, v14
	v_ldexp_f32 v7, v7, v16
	v_div_scale_f32 v16, s[2:3], v11, v11, v13
	v_rcp_f32_e32 v27, v16
	v_cndmask_b32_e32 v6, v140, v6, vcc
	v_cmp_nlt_f32_e32 vcc, s14, v12
	v_fma_f32 v29, -v16, v27, 1.0
	s_nop 0
	v_cndmask_b32_e32 v7, 0, v7, vcc
	v_cmp_ngt_f32_e32 vcc, s15, v12
	v_fmac_f32_e32 v27, v29, v27
	s_nop 0
	v_cndmask_b32_e32 v7, v140, v7, vcc
	v_div_scale_f32 v29, vcc, v13, v11, v13
	v_mul_f32_e32 v42, v29, v27
	v_fma_f32 v43, -v16, v42, v29
	v_fmac_f32_e32 v42, v43, v27
	v_fma_f32 v16, -v16, v42, v29
	v_div_fmas_f32 v16, v16, v27, v42
	v_div_fixup_f32 v11, v16, v11, v13
	v_div_scale_f32 v13, s[2:3], v10, v10, v15
	v_rcp_f32_e32 v16, v13
	v_pk_add_f32 v[6:7], v[6:7], 1.0 op_sel_hi:[1,0]
	v_fma_f32 v27, -v13, v16, 1.0
	v_fmac_f32_e32 v16, v27, v16
	v_div_scale_f32 v27, vcc, v15, v10, v15
	v_mul_f32_e32 v29, v27, v16
	v_fma_f32 v42, -v13, v29, v27
	v_fmac_f32_e32 v29, v42, v16
	v_fma_f32 v13, -v13, v29, v27
	v_div_fmas_f32 v13, v13, v16, v29
	v_div_fixup_f32 v10, v13, v10, v15
	v_div_scale_f32 v13, s[2:3], v7, v7, v12
	v_rcp_f32_e32 v15, v13
	v_pk_mul_f32 v[10:11], v[38:39], v[10:11]
	v_fma_f32 v16, -v13, v15, 1.0
	v_fmac_f32_e32 v15, v16, v15
	v_div_scale_f32 v16, vcc, v12, v7, v12
	v_mul_f32_e32 v27, v16, v15
	v_fma_f32 v29, -v13, v27, v16
	v_fmac_f32_e32 v27, v29, v15
	v_fma_f32 v13, -v13, v27, v16
	v_div_fmas_f32 v13, v13, v15, v27
	v_div_fixup_f32 v7, v13, v7, v12
	v_div_scale_f32 v12, s[2:3], v6, v6, v14
	v_rcp_f32_e32 v13, v12
	s_nop 0
	v_fma_f32 v15, -v12, v13, 1.0
	v_fmac_f32_e32 v13, v15, v13
	v_div_scale_f32 v15, vcc, v14, v6, v14
	v_mul_f32_e32 v16, v15, v13
	v_fma_f32 v27, -v12, v16, v15
	v_fmac_f32_e32 v16, v27, v13
	v_fma_f32 v12, -v12, v16, v15
	v_cvt_f32_f16_e32 v27, v0
	v_div_fmas_f32 v12, v12, v13, v16
	v_div_fixup_f32 v6, v12, v6, v14
	v_pk_mul_f32 v[12:13], v[40:41], v[6:7]
	v_cvt_f16_f32_e32 v6, v11
	v_cvt_f16_f32_e32 v11, v12
	v_mul_f32_e32 v12, 0xbfb8aa3b, v27
	v_cvt_f16_f32_e32 v7, v10
	v_cvt_f16_f32_e32 v10, v13
	v_rndne_f32_e32 v13, v12
	v_sub_f32_e32 v29, v12, v13
	v_fma_mix_f32 v12, v0, s4, -v12 op_sel_hi:[1,0,0]
	v_cvt_f32_f16_sdwa v15, v0 dst_sel:DWORD dst_unused:UNUSED_PAD src0_sel:WORD_1
	v_fma_mix_f32 v12, v0, s5, v12 op_sel_hi:[1,0,0]
	v_cvt_i32_f32_e32 v13, v13
	v_add_f32_e32 v12, v29, v12
	v_exp_f32_e32 v12, v12
	v_cvt_f32_f16_e32 v16, v1
	v_cmp_nlt_f32_e32 vcc, s14, v27
	v_cvt_f32_f16_sdwa v14, v1 dst_sel:DWORD dst_unused:UNUSED_PAD src0_sel:WORD_1
	v_ldexp_f32 v12, v12, v13
	v_mul_f32_e32 v13, 0xbfb8aa3b, v15
	v_rndne_f32_e32 v29, v13
	v_sub_f32_e32 v38, v13, v29
	v_fma_mix_f32 v13, v0, s4, -v13 op_sel:[1,0,0] op_sel_hi:[1,0,0]
	v_cndmask_b32_e32 v12, 0, v12, vcc
	v_fma_mix_f32 v0, v0, s5, v13 op_sel:[1,0,0] op_sel_hi:[1,0,0]
	v_cvt_i32_f32_e32 v13, v29
	v_add_f32_e32 v0, v38, v0
	v_exp_f32_e32 v0, v0
	v_cmp_ngt_f32_e32 vcc, s15, v27
	v_ldexp_f32 v0, v0, v13
	s_nop 0
	v_cndmask_b32_e32 v12, v140, v12, vcc
	v_cmp_nlt_f32_e32 vcc, s14, v15
	s_nop 1
	v_cndmask_b32_e32 v0, 0, v0, vcc
	v_cmp_ngt_f32_e32 vcc, s15, v15
	s_nop 1
	v_cndmask_b32_e32 v13, v140, v0, vcc
	v_mul_f32_e32 v0, 0xbfb8aa3b, v16
	v_rndne_f32_e32 v29, v0
	v_sub_f32_e32 v38, v0, v29
	v_fma_mix_f32 v0, v1, s4, -v0 op_sel_hi:[1,0,0]
	v_cvt_i32_f32_e32 v29, v29
	v_fma_mix_f32 v0, v1, s5, v0 op_sel_hi:[1,0,0]
	v_pk_add_f32 v[12:13], v[12:13], 1.0 op_sel_hi:[1,0]
	v_add_f32_e32 v0, v38, v0
	v_exp_f32_e32 v0, v0
	v_cmp_nlt_f32_e32 vcc, s14, v16
	v_ldexp_f32 v0, v0, v29
	v_mul_f32_e32 v29, 0xbfb8aa3b, v14
	v_rndne_f32_e32 v38, v29
	v_sub_f32_e32 v39, v29, v38
	v_fma_mix_f32 v29, v1, s4, -v29 op_sel:[1,0,0] op_sel_hi:[1,0,0]
	v_cndmask_b32_e32 v0, 0, v0, vcc
	v_fma_mix_f32 v1, v1, s5, v29 op_sel:[1,0,0] op_sel_hi:[1,0,0]
	v_cvt_i32_f32_e32 v29, v38
	v_add_f32_e32 v1, v39, v1
	v_exp_f32_e32 v1, v1
	v_cmp_ngt_f32_e32 vcc, s15, v16
	v_ldexp_f32 v1, v1, v29
	v_div_scale_f32 v29, s[2:3], v13, v13, v15
	v_rcp_f32_e32 v38, v29
	v_cndmask_b32_e32 v0, v140, v0, vcc
	v_cmp_nlt_f32_e32 vcc, s14, v14
	v_fma_f32 v39, -v29, v38, 1.0
	s_nop 0
	v_cndmask_b32_e32 v1, 0, v1, vcc
	v_cmp_ngt_f32_e32 vcc, s15, v14
	v_fmac_f32_e32 v38, v39, v38
	s_nop 0
	v_cndmask_b32_e32 v1, v140, v1, vcc
	v_div_scale_f32 v39, vcc, v15, v13, v15
	v_mul_f32_e32 v40, v39, v38
	v_fma_f32 v41, -v29, v40, v39
	v_fmac_f32_e32 v40, v41, v38
	v_fma_f32 v29, -v29, v40, v39
	v_div_fmas_f32 v29, v29, v38, v40
	v_div_fixup_f32 v13, v29, v13, v15
	v_div_scale_f32 v15, s[2:3], v12, v12, v27
	v_rcp_f32_e32 v29, v15
	v_pk_add_f32 v[0:1], v[0:1], 1.0 op_sel_hi:[1,0]
	v_fma_f32 v38, -v15, v29, 1.0
	v_fmac_f32_e32 v29, v38, v29
	v_div_scale_f32 v38, vcc, v27, v12, v27
	v_mul_f32_e32 v39, v38, v29
	v_fma_f32 v40, -v15, v39, v38
	v_fmac_f32_e32 v39, v40, v29
	v_fma_f32 v15, -v15, v39, v38
	v_div_fmas_f32 v15, v15, v29, v39
	v_div_fixup_f32 v12, v15, v12, v27
	v_div_scale_f32 v15, s[2:3], v1, v1, v14
	v_rcp_f32_e32 v27, v15
	v_pk_mul_f32 v[12:13], v[34:35], v[12:13]
	v_cvt_f32_f16_e32 v34, v2
	v_cvt_f16_f32_e32 v13, v13
	v_fma_f32 v29, -v15, v27, 1.0
	v_fmac_f32_e32 v27, v29, v27
	v_div_scale_f32 v29, vcc, v14, v1, v14
	v_mul_f32_e32 v38, v29, v27
	v_fma_f32 v39, -v15, v38, v29
	v_fmac_f32_e32 v38, v39, v27
	v_fma_f32 v15, -v15, v38, v29
	v_div_fmas_f32 v15, v15, v27, v38
	v_div_fixup_f32 v1, v15, v1, v14
	v_div_scale_f32 v14, s[2:3], v0, v0, v16
	v_rcp_f32_e32 v15, v14
	v_cvt_f16_f32_e32 v12, v12
	v_fma_f32 v27, -v14, v15, 1.0
	v_fmac_f32_e32 v15, v27, v15
	v_div_scale_f32 v27, vcc, v16, v0, v16
	v_mul_f32_e32 v29, v27, v15
	v_fma_f32 v38, -v14, v29, v27
	v_fmac_f32_e32 v29, v38, v15
	v_fma_f32 v14, -v14, v29, v27
	v_div_fmas_f32 v14, v14, v15, v29
	v_div_fixup_f32 v0, v14, v0, v16
	v_pk_mul_f32 v[0:1], v[36:37], v[0:1]
	v_cvt_f32_f16_sdwa v27, v2 dst_sel:DWORD dst_unused:UNUSED_PAD src0_sel:WORD_1
	v_cvt_f16_f32_e32 v15, v0
	v_mul_f32_e32 v0, 0xbfb8aa3b, v34
	v_cvt_f16_f32_e32 v14, v1
	v_rndne_f32_e32 v1, v0
	v_sub_f32_e32 v35, v0, v1
	v_fma_mix_f32 v0, v2, s4, -v0 op_sel_hi:[1,0,0]
	v_cvt_i32_f32_e32 v1, v1
	v_fma_mix_f32 v0, v2, s5, v0 op_sel_hi:[1,0,0]
	v_cvt_f32_f16_e32 v29, v3
	v_add_f32_e32 v0, v35, v0
	v_exp_f32_e32 v0, v0
	v_cvt_f32_f16_sdwa v16, v3 dst_sel:DWORD dst_unused:UNUSED_PAD src0_sel:WORD_1
	v_cmp_nlt_f32_e32 vcc, s14, v34
	v_ldexp_f32 v0, v0, v1
	v_mul_f32_e32 v1, 0xbfb8aa3b, v27
	v_rndne_f32_e32 v35, v1
	v_sub_f32_e32 v36, v1, v35
	v_fma_mix_f32 v1, v2, s4, -v1 op_sel:[1,0,0] op_sel_hi:[1,0,0]
	v_cndmask_b32_e32 v0, 0, v0, vcc
	v_fma_mix_f32 v1, v2, s5, v1 op_sel:[1,0,0] op_sel_hi:[1,0,0]
	v_cvt_i32_f32_e32 v2, v35
	v_add_f32_e32 v1, v36, v1
	v_exp_f32_e32 v1, v1
	v_cmp_ngt_f32_e32 vcc, s15, v34
	v_ldexp_f32 v1, v1, v2
	v_mul_f32_e32 v2, 0xbfb8aa3b, v29
	v_rndne_f32_e32 v35, v2
	v_sub_f32_e32 v36, v2, v35
	v_fma_mix_f32 v2, v3, s4, -v2 op_sel_hi:[1,0,0]
	v_cvt_i32_f32_e32 v35, v35
	v_fma_mix_f32 v2, v3, s5, v2 op_sel_hi:[1,0,0]
	v_cndmask_b32_e32 v0, v140, v0, vcc
	v_add_f32_e32 v2, v36, v2
	v_exp_f32_e32 v2, v2
	v_cmp_nlt_f32_e32 vcc, s14, v27
	v_ldexp_f32 v2, v2, v35
	v_mul_f32_e32 v35, 0xbfb8aa3b, v16
	v_rndne_f32_e32 v36, v35
	v_sub_f32_e32 v37, v35, v36
	v_fma_mix_f32 v35, v3, s4, -v35 op_sel:[1,0,0] op_sel_hi:[1,0,0]
	v_cndmask_b32_e32 v1, 0, v1, vcc
	v_fma_mix_f32 v3, v3, s5, v35 op_sel:[1,0,0] op_sel_hi:[1,0,0]
	v_cvt_i32_f32_e32 v35, v36
	v_add_f32_e32 v3, v37, v3
	v_exp_f32_e32 v3, v3
	v_cmp_ngt_f32_e32 vcc, s15, v27
	v_ldexp_f32 v3, v3, v35
	s_nop 0
	v_cndmask_b32_e32 v1, v140, v1, vcc
	v_pk_add_f32 v[0:1], v[0:1], 1.0 op_sel_hi:[1,0]
	v_cmp_nlt_f32_e32 vcc, s14, v29
	v_div_scale_f32 v35, s[2:3], v1, v1, v27
	v_rcp_f32_e32 v36, v35
	v_cndmask_b32_e32 v2, 0, v2, vcc
	v_cmp_ngt_f32_e32 vcc, s15, v29
	v_fma_f32 v37, -v35, v36, 1.0
	s_nop 0
	v_cndmask_b32_e32 v2, v140, v2, vcc
	v_cmp_nlt_f32_e32 vcc, s14, v16
	v_fmac_f32_e32 v36, v37, v36
	s_nop 0
	v_cndmask_b32_e32 v3, 0, v3, vcc
	v_cmp_ngt_f32_e32 vcc, s15, v16
	s_nop 1
	v_cndmask_b32_e32 v3, v140, v3, vcc
	v_div_scale_f32 v37, vcc, v27, v1, v27
	v_mul_f32_e32 v38, v37, v36
	v_fma_f32 v39, -v35, v38, v37
	v_fmac_f32_e32 v38, v39, v36
	v_fma_f32 v35, -v35, v38, v37
	v_div_fmas_f32 v35, v35, v36, v38
	v_div_fixup_f32 v1, v35, v1, v27
	v_div_scale_f32 v27, s[2:3], v0, v0, v34
	v_rcp_f32_e32 v35, v27
	v_pk_add_f32 v[2:3], v[2:3], 1.0 op_sel_hi:[1,0]
	v_fma_f32 v36, -v27, v35, 1.0
	v_fmac_f32_e32 v35, v36, v35
	v_div_scale_f32 v36, vcc, v34, v0, v34
	v_mul_f32_e32 v37, v36, v35
	v_fma_f32 v38, -v27, v37, v36
	v_fmac_f32_e32 v37, v38, v35
	v_fma_f32 v27, -v27, v37, v36
	v_div_fmas_f32 v27, v27, v35, v37
	v_div_fixup_f32 v0, v27, v0, v34
	v_div_scale_f32 v27, s[2:3], v3, v3, v16
	v_rcp_f32_e32 v34, v27
	v_pk_mul_f32 v[0:1], v[30:31], v[0:1]
	v_fma_f32 v35, -v27, v34, 1.0
	v_fmac_f32_e32 v34, v35, v34
	v_div_scale_f32 v35, vcc, v16, v3, v16
	v_mul_f32_e32 v36, v35, v34
	v_fma_f32 v37, -v27, v36, v35
	v_fmac_f32_e32 v36, v37, v34
	v_fma_f32 v27, -v27, v36, v35
	v_div_fmas_f32 v27, v27, v34, v36
	v_div_fixup_f32 v3, v27, v3, v16
	v_div_scale_f32 v16, s[2:3], v2, v2, v29
	v_rcp_f32_e32 v27, v16
	s_nop 0
	v_fma_f32 v34, -v16, v27, 1.0
	v_fmac_f32_e32 v27, v34, v27
	v_div_scale_f32 v34, vcc, v29, v2, v29
	v_mul_f32_e32 v35, v34, v27
	v_fma_f32 v36, -v16, v35, v34
	v_fmac_f32_e32 v35, v36, v27
	v_fma_f32 v16, -v16, v35, v34
	v_div_fmas_f32 v16, v16, v27, v35
	v_div_fixup_f32 v2, v16, v2, v29
	v_pk_mul_f32 v[2:3], v[32:33], v[2:3]
	v_cvt_f16_f32_e32 v16, v1
	v_cvt_f16_f32_e32 v27, v0
	;; [unrolled: 1-line block ×4, first 2 shown]
	v_pack_b32_f16 v3, v11, v10
	v_pack_b32_f16 v2, v7, v6
	;; [unrolled: 1-line block ×4, first 2 shown]
	ds_write_b128 v119, v[0:3]
	v_pack_b32_f16 v3, v30, v29
	v_pack_b32_f16 v2, v27, v16
	;; [unrolled: 1-line block ×4, first 2 shown]
	ds_write_b128 v119, v[0:3] offset:16
	; wave barrier
	ds_read_u16 v16, v89 offset:128
	ds_read_u16 v15, v90 offset:256
	;; [unrolled: 1-line block ×15, first 2 shown]
	v_lshl_add_u64 v[0:1], s[18:19], 1, v[24:25]
	s_and_saveexec_b64 s[2:3], s[26:27]
	s_cbranch_execnz .LBB124_286
; %bb.254:                              ;   in Loop: Header=BB124_13 Depth=1
	s_or_b64 exec, exec, s[2:3]
	s_and_saveexec_b64 s[2:3], s[28:29]
	s_cbranch_execnz .LBB124_287
.LBB124_255:                            ;   in Loop: Header=BB124_13 Depth=1
	s_or_b64 exec, exec, s[2:3]
	s_and_saveexec_b64 s[2:3], s[30:31]
	s_cbranch_execnz .LBB124_288
.LBB124_256:                            ;   in Loop: Header=BB124_13 Depth=1
	s_or_b64 exec, exec, s[2:3]
	s_and_saveexec_b64 s[2:3], s[34:35]
	s_cbranch_execnz .LBB124_289
.LBB124_257:                            ;   in Loop: Header=BB124_13 Depth=1
	s_or_b64 exec, exec, s[2:3]
	s_and_saveexec_b64 s[2:3], s[36:37]
	s_cbranch_execnz .LBB124_290
.LBB124_258:                            ;   in Loop: Header=BB124_13 Depth=1
	s_or_b64 exec, exec, s[2:3]
	s_and_saveexec_b64 s[2:3], s[38:39]
	s_cbranch_execnz .LBB124_291
.LBB124_259:                            ;   in Loop: Header=BB124_13 Depth=1
	s_or_b64 exec, exec, s[2:3]
	s_and_saveexec_b64 s[2:3], s[40:41]
	s_cbranch_execnz .LBB124_292
.LBB124_260:                            ;   in Loop: Header=BB124_13 Depth=1
	s_or_b64 exec, exec, s[2:3]
	s_and_saveexec_b64 s[2:3], s[42:43]
	s_cbranch_execnz .LBB124_293
.LBB124_261:                            ;   in Loop: Header=BB124_13 Depth=1
	s_or_b64 exec, exec, s[2:3]
	s_and_saveexec_b64 s[2:3], s[44:45]
	s_cbranch_execnz .LBB124_294
.LBB124_262:                            ;   in Loop: Header=BB124_13 Depth=1
	s_or_b64 exec, exec, s[2:3]
	s_and_saveexec_b64 s[2:3], s[46:47]
	s_cbranch_execnz .LBB124_295
.LBB124_263:                            ;   in Loop: Header=BB124_13 Depth=1
	s_or_b64 exec, exec, s[2:3]
	s_and_saveexec_b64 s[2:3], s[48:49]
	s_cbranch_execnz .LBB124_296
.LBB124_264:                            ;   in Loop: Header=BB124_13 Depth=1
	s_or_b64 exec, exec, s[2:3]
	s_and_saveexec_b64 s[2:3], s[50:51]
	s_cbranch_execnz .LBB124_297
.LBB124_265:                            ;   in Loop: Header=BB124_13 Depth=1
	s_or_b64 exec, exec, s[2:3]
	s_and_saveexec_b64 s[2:3], s[52:53]
	s_cbranch_execnz .LBB124_298
.LBB124_266:                            ;   in Loop: Header=BB124_13 Depth=1
	s_or_b64 exec, exec, s[2:3]
	s_and_saveexec_b64 s[2:3], s[54:55]
	s_cbranch_execnz .LBB124_299
.LBB124_267:                            ;   in Loop: Header=BB124_13 Depth=1
	s_or_b64 exec, exec, s[2:3]
	s_and_saveexec_b64 s[2:3], s[56:57]
	s_cbranch_execnz .LBB124_300
.LBB124_268:                            ;   in Loop: Header=BB124_13 Depth=1
	s_or_b64 exec, exec, s[2:3]
	s_and_saveexec_b64 s[2:3], s[58:59]
	s_cbranch_execz .LBB124_12
	s_branch .LBB124_301
.LBB124_269:                            ;   in Loop: Header=BB124_13 Depth=1
	global_load_ushort v36, v[8:9], off offset:1664
	s_or_b64 exec, exec, s[2:3]
	s_and_saveexec_b64 s[2:3], s[56:57]
	s_cbranch_execz .LBB124_73
.LBB124_270:                            ;   in Loop: Header=BB124_13 Depth=1
	global_load_ushort v35, v[8:9], off offset:1792
	s_or_b64 exec, exec, s[2:3]
	v_mov_b32_e32 v37, 0
	s_and_saveexec_b64 s[2:3], s[58:59]
	s_cbranch_execnz .LBB124_74
	s_branch .LBB124_75
.LBB124_271:                            ;   in Loop: Header=BB124_13 Depth=1
	ds_read_u16 v27, v88
	s_waitcnt lgkmcnt(0)
	global_store_short v[0:1], v27, off
	s_or_b64 exec, exec, s[2:3]
	s_and_saveexec_b64 s[2:3], s[28:29]
	s_cbranch_execz .LBB124_206
.LBB124_272:                            ;   in Loop: Header=BB124_13 Depth=1
	s_waitcnt lgkmcnt(14)
	global_store_short v[0:1], v16, off offset:128
	s_or_b64 exec, exec, s[2:3]
	s_and_saveexec_b64 s[2:3], s[30:31]
	s_cbranch_execz .LBB124_207
.LBB124_273:                            ;   in Loop: Header=BB124_13 Depth=1
	s_waitcnt lgkmcnt(13)
	global_store_short v[0:1], v15, off offset:256
	s_or_b64 exec, exec, s[2:3]
	s_and_saveexec_b64 s[2:3], s[34:35]
	s_cbranch_execz .LBB124_208
.LBB124_274:                            ;   in Loop: Header=BB124_13 Depth=1
	s_waitcnt lgkmcnt(12)
	global_store_short v[0:1], v14, off offset:384
	s_or_b64 exec, exec, s[2:3]
	s_and_saveexec_b64 s[2:3], s[36:37]
	s_cbranch_execz .LBB124_209
.LBB124_275:                            ;   in Loop: Header=BB124_13 Depth=1
	s_waitcnt lgkmcnt(11)
	global_store_short v[0:1], v13, off offset:512
	s_or_b64 exec, exec, s[2:3]
	s_and_saveexec_b64 s[2:3], s[38:39]
	s_cbranch_execz .LBB124_210
.LBB124_276:                            ;   in Loop: Header=BB124_13 Depth=1
	s_waitcnt lgkmcnt(10)
	global_store_short v[0:1], v12, off offset:640
	s_or_b64 exec, exec, s[2:3]
	s_and_saveexec_b64 s[2:3], s[40:41]
	s_cbranch_execz .LBB124_211
.LBB124_277:                            ;   in Loop: Header=BB124_13 Depth=1
	s_waitcnt lgkmcnt(9)
	global_store_short v[0:1], v11, off offset:768
	s_or_b64 exec, exec, s[2:3]
	s_and_saveexec_b64 s[2:3], s[42:43]
	s_cbranch_execz .LBB124_212
.LBB124_278:                            ;   in Loop: Header=BB124_13 Depth=1
	s_waitcnt lgkmcnt(8)
	global_store_short v[0:1], v10, off offset:896
	s_or_b64 exec, exec, s[2:3]
	s_and_saveexec_b64 s[2:3], s[44:45]
	s_cbranch_execz .LBB124_213
.LBB124_279:                            ;   in Loop: Header=BB124_13 Depth=1
	s_waitcnt lgkmcnt(7)
	global_store_short v[0:1], v9, off offset:1024
	s_or_b64 exec, exec, s[2:3]
	s_and_saveexec_b64 s[2:3], s[46:47]
	s_cbranch_execz .LBB124_214
.LBB124_280:                            ;   in Loop: Header=BB124_13 Depth=1
	s_waitcnt lgkmcnt(6)
	global_store_short v[0:1], v8, off offset:1152
	s_or_b64 exec, exec, s[2:3]
	s_and_saveexec_b64 s[2:3], s[48:49]
	s_cbranch_execz .LBB124_215
.LBB124_281:                            ;   in Loop: Header=BB124_13 Depth=1
	s_waitcnt lgkmcnt(5)
	global_store_short v[0:1], v7, off offset:1280
	s_or_b64 exec, exec, s[2:3]
	s_and_saveexec_b64 s[2:3], s[50:51]
	s_cbranch_execz .LBB124_216
.LBB124_282:                            ;   in Loop: Header=BB124_13 Depth=1
	s_waitcnt lgkmcnt(4)
	global_store_short v[0:1], v6, off offset:1408
	s_or_b64 exec, exec, s[2:3]
	s_and_saveexec_b64 s[2:3], s[52:53]
	s_cbranch_execz .LBB124_217
.LBB124_283:                            ;   in Loop: Header=BB124_13 Depth=1
	s_waitcnt lgkmcnt(3)
	global_store_short v[0:1], v5, off offset:1536
	s_or_b64 exec, exec, s[2:3]
	s_and_saveexec_b64 s[2:3], s[54:55]
	s_cbranch_execz .LBB124_218
.LBB124_284:                            ;   in Loop: Header=BB124_13 Depth=1
	s_waitcnt lgkmcnt(2)
	global_store_short v[0:1], v4, off offset:1664
	s_or_b64 exec, exec, s[2:3]
	s_and_saveexec_b64 s[2:3], s[56:57]
	s_cbranch_execz .LBB124_219
.LBB124_285:                            ;   in Loop: Header=BB124_13 Depth=1
	s_waitcnt lgkmcnt(1)
	global_store_short v[0:1], v3, off offset:1792
	s_or_b64 exec, exec, s[2:3]
	s_and_saveexec_b64 s[2:3], s[58:59]
	s_cbranch_execnz .LBB124_220
	s_branch .LBB124_221
.LBB124_286:                            ;   in Loop: Header=BB124_13 Depth=1
	ds_read_u16 v27, v88
	s_waitcnt lgkmcnt(0)
	global_store_short v[0:1], v27, off
	s_or_b64 exec, exec, s[2:3]
	s_and_saveexec_b64 s[2:3], s[28:29]
	s_cbranch_execz .LBB124_255
.LBB124_287:                            ;   in Loop: Header=BB124_13 Depth=1
	s_waitcnt lgkmcnt(14)
	global_store_short v[0:1], v16, off offset:128
	s_or_b64 exec, exec, s[2:3]
	s_and_saveexec_b64 s[2:3], s[30:31]
	s_cbranch_execz .LBB124_256
.LBB124_288:                            ;   in Loop: Header=BB124_13 Depth=1
	s_waitcnt lgkmcnt(13)
	global_store_short v[0:1], v15, off offset:256
	s_or_b64 exec, exec, s[2:3]
	s_and_saveexec_b64 s[2:3], s[34:35]
	s_cbranch_execz .LBB124_257
.LBB124_289:                            ;   in Loop: Header=BB124_13 Depth=1
	s_waitcnt lgkmcnt(12)
	global_store_short v[0:1], v14, off offset:384
	s_or_b64 exec, exec, s[2:3]
	s_and_saveexec_b64 s[2:3], s[36:37]
	s_cbranch_execz .LBB124_258
.LBB124_290:                            ;   in Loop: Header=BB124_13 Depth=1
	s_waitcnt lgkmcnt(11)
	global_store_short v[0:1], v13, off offset:512
	s_or_b64 exec, exec, s[2:3]
	s_and_saveexec_b64 s[2:3], s[38:39]
	s_cbranch_execz .LBB124_259
.LBB124_291:                            ;   in Loop: Header=BB124_13 Depth=1
	s_waitcnt lgkmcnt(10)
	global_store_short v[0:1], v12, off offset:640
	s_or_b64 exec, exec, s[2:3]
	s_and_saveexec_b64 s[2:3], s[40:41]
	s_cbranch_execz .LBB124_260
.LBB124_292:                            ;   in Loop: Header=BB124_13 Depth=1
	s_waitcnt lgkmcnt(9)
	global_store_short v[0:1], v11, off offset:768
	s_or_b64 exec, exec, s[2:3]
	s_and_saveexec_b64 s[2:3], s[42:43]
	s_cbranch_execz .LBB124_261
.LBB124_293:                            ;   in Loop: Header=BB124_13 Depth=1
	s_waitcnt lgkmcnt(8)
	global_store_short v[0:1], v10, off offset:896
	s_or_b64 exec, exec, s[2:3]
	s_and_saveexec_b64 s[2:3], s[44:45]
	s_cbranch_execz .LBB124_262
.LBB124_294:                            ;   in Loop: Header=BB124_13 Depth=1
	s_waitcnt lgkmcnt(7)
	global_store_short v[0:1], v9, off offset:1024
	s_or_b64 exec, exec, s[2:3]
	s_and_saveexec_b64 s[2:3], s[46:47]
	s_cbranch_execz .LBB124_263
.LBB124_295:                            ;   in Loop: Header=BB124_13 Depth=1
	s_waitcnt lgkmcnt(6)
	global_store_short v[0:1], v8, off offset:1152
	s_or_b64 exec, exec, s[2:3]
	s_and_saveexec_b64 s[2:3], s[48:49]
	s_cbranch_execz .LBB124_264
.LBB124_296:                            ;   in Loop: Header=BB124_13 Depth=1
	s_waitcnt lgkmcnt(5)
	global_store_short v[0:1], v7, off offset:1280
	s_or_b64 exec, exec, s[2:3]
	s_and_saveexec_b64 s[2:3], s[50:51]
	s_cbranch_execz .LBB124_265
.LBB124_297:                            ;   in Loop: Header=BB124_13 Depth=1
	s_waitcnt lgkmcnt(4)
	global_store_short v[0:1], v6, off offset:1408
	s_or_b64 exec, exec, s[2:3]
	s_and_saveexec_b64 s[2:3], s[52:53]
	s_cbranch_execz .LBB124_266
.LBB124_298:                            ;   in Loop: Header=BB124_13 Depth=1
	s_waitcnt lgkmcnt(3)
	global_store_short v[0:1], v5, off offset:1536
	s_or_b64 exec, exec, s[2:3]
	s_and_saveexec_b64 s[2:3], s[54:55]
	s_cbranch_execz .LBB124_267
.LBB124_299:                            ;   in Loop: Header=BB124_13 Depth=1
	s_waitcnt lgkmcnt(2)
	global_store_short v[0:1], v4, off offset:1664
	s_or_b64 exec, exec, s[2:3]
	s_and_saveexec_b64 s[2:3], s[56:57]
	s_cbranch_execz .LBB124_268
.LBB124_300:                            ;   in Loop: Header=BB124_13 Depth=1
	s_waitcnt lgkmcnt(1)
	global_store_short v[0:1], v3, off offset:1792
	s_or_b64 exec, exec, s[2:3]
	s_and_saveexec_b64 s[2:3], s[58:59]
	s_cbranch_execz .LBB124_12
.LBB124_301:                            ;   in Loop: Header=BB124_13 Depth=1
	s_waitcnt lgkmcnt(0)
	global_store_short v[0:1], v2, off offset:1920
	s_branch .LBB124_12
.LBB124_302:
	s_endpgm
	.section	.rodata,"a",@progbits
	.p2align	6, 0x0
	.amdhsa_kernel _Z25selective_scan_fwd_kernelI32Selective_Scan_fwd_kernel_traitsILi128ELi16ELi1ELb0ELb1ELb1ELb1ELb1EN3c104HalfEffEEv13SSMParamsBase
		.amdhsa_group_segment_fixed_size 0
		.amdhsa_private_segment_fixed_size 0
		.amdhsa_kernarg_size 248
		.amdhsa_user_sgpr_count 2
		.amdhsa_user_sgpr_dispatch_ptr 0
		.amdhsa_user_sgpr_queue_ptr 0
		.amdhsa_user_sgpr_kernarg_segment_ptr 1
		.amdhsa_user_sgpr_dispatch_id 0
		.amdhsa_user_sgpr_kernarg_preload_length 0
		.amdhsa_user_sgpr_kernarg_preload_offset 0
		.amdhsa_user_sgpr_private_segment_size 0
		.amdhsa_uses_dynamic_stack 0
		.amdhsa_enable_private_segment 0
		.amdhsa_system_sgpr_workgroup_id_x 1
		.amdhsa_system_sgpr_workgroup_id_y 1
		.amdhsa_system_sgpr_workgroup_id_z 0
		.amdhsa_system_sgpr_workgroup_info 0
		.amdhsa_system_vgpr_workitem_id 0
		.amdhsa_next_free_vgpr 168
		.amdhsa_next_free_sgpr 100
		.amdhsa_accum_offset 168
		.amdhsa_reserve_vcc 1
		.amdhsa_float_round_mode_32 0
		.amdhsa_float_round_mode_16_64 0
		.amdhsa_float_denorm_mode_32 3
		.amdhsa_float_denorm_mode_16_64 3
		.amdhsa_dx10_clamp 1
		.amdhsa_ieee_mode 1
		.amdhsa_fp16_overflow 0
		.amdhsa_tg_split 0
		.amdhsa_exception_fp_ieee_invalid_op 0
		.amdhsa_exception_fp_denorm_src 0
		.amdhsa_exception_fp_ieee_div_zero 0
		.amdhsa_exception_fp_ieee_overflow 0
		.amdhsa_exception_fp_ieee_underflow 0
		.amdhsa_exception_fp_ieee_inexact 0
		.amdhsa_exception_int_div_zero 0
	.end_amdhsa_kernel
	.section	.text._Z25selective_scan_fwd_kernelI32Selective_Scan_fwd_kernel_traitsILi128ELi16ELi1ELb0ELb1ELb1ELb1ELb1EN3c104HalfEffEEv13SSMParamsBase,"axG",@progbits,_Z25selective_scan_fwd_kernelI32Selective_Scan_fwd_kernel_traitsILi128ELi16ELi1ELb0ELb1ELb1ELb1ELb1EN3c104HalfEffEEv13SSMParamsBase,comdat
.Lfunc_end124:
	.size	_Z25selective_scan_fwd_kernelI32Selective_Scan_fwd_kernel_traitsILi128ELi16ELi1ELb0ELb1ELb1ELb1ELb1EN3c104HalfEffEEv13SSMParamsBase, .Lfunc_end124-_Z25selective_scan_fwd_kernelI32Selective_Scan_fwd_kernel_traitsILi128ELi16ELi1ELb0ELb1ELb1ELb1ELb1EN3c104HalfEffEEv13SSMParamsBase
                                        ; -- End function
	.section	.AMDGPU.csdata,"",@progbits
; Kernel info:
; codeLenInByte = 25080
; NumSgprs: 106
; NumVgprs: 168
; NumAgprs: 0
; TotalNumVgprs: 168
; ScratchSize: 0
; MemoryBound: 0
; FloatMode: 240
; IeeeMode: 1
; LDSByteSize: 0 bytes/workgroup (compile time only)
; SGPRBlocks: 13
; VGPRBlocks: 20
; NumSGPRsForWavesPerEU: 106
; NumVGPRsForWavesPerEU: 168
; AccumOffset: 168
; Occupancy: 3
; WaveLimiterHint : 1
; COMPUTE_PGM_RSRC2:SCRATCH_EN: 0
; COMPUTE_PGM_RSRC2:USER_SGPR: 2
; COMPUTE_PGM_RSRC2:TRAP_HANDLER: 0
; COMPUTE_PGM_RSRC2:TGID_X_EN: 1
; COMPUTE_PGM_RSRC2:TGID_Y_EN: 1
; COMPUTE_PGM_RSRC2:TGID_Z_EN: 0
; COMPUTE_PGM_RSRC2:TIDIG_COMP_CNT: 0
; COMPUTE_PGM_RSRC3_GFX90A:ACCUM_OFFSET: 41
; COMPUTE_PGM_RSRC3_GFX90A:TG_SPLIT: 0
	.section	.text._Z25selective_scan_fwd_kernelI32Selective_Scan_fwd_kernel_traitsILi128ELi16ELi1ELb0ELb1ELb1ELb1ELb0EN3c104HalfEffEEv13SSMParamsBase,"axG",@progbits,_Z25selective_scan_fwd_kernelI32Selective_Scan_fwd_kernel_traitsILi128ELi16ELi1ELb0ELb1ELb1ELb1ELb0EN3c104HalfEffEEv13SSMParamsBase,comdat
	.protected	_Z25selective_scan_fwd_kernelI32Selective_Scan_fwd_kernel_traitsILi128ELi16ELi1ELb0ELb1ELb1ELb1ELb0EN3c104HalfEffEEv13SSMParamsBase ; -- Begin function _Z25selective_scan_fwd_kernelI32Selective_Scan_fwd_kernel_traitsILi128ELi16ELi1ELb0ELb1ELb1ELb1ELb0EN3c104HalfEffEEv13SSMParamsBase
	.globl	_Z25selective_scan_fwd_kernelI32Selective_Scan_fwd_kernel_traitsILi128ELi16ELi1ELb0ELb1ELb1ELb1ELb0EN3c104HalfEffEEv13SSMParamsBase
	.p2align	8
	.type	_Z25selective_scan_fwd_kernelI32Selective_Scan_fwd_kernel_traitsILi128ELi16ELi1ELb0ELb1ELb1ELb1ELb0EN3c104HalfEffEEv13SSMParamsBase,@function
_Z25selective_scan_fwd_kernelI32Selective_Scan_fwd_kernel_traitsILi128ELi16ELi1ELb0ELb1ELb1ELb1ELb0EN3c104HalfEffEEv13SSMParamsBase: ; @_Z25selective_scan_fwd_kernelI32Selective_Scan_fwd_kernel_traitsILi128ELi16ELi1ELb0ELb1ELb1ELb1ELb0EN3c104HalfEffEEv13SSMParamsBase
; %bb.0:
	s_load_dword s13, s[0:1], 0x18
	s_load_dwordx4 s[4:7], s[0:1], 0xe8
	s_mov_b32 s8, s3
                                        ; implicit-def: $vgpr166 : SGPR spill to VGPR lane
	s_waitcnt lgkmcnt(0)
	s_abs_i32 s12, s13
	v_cvt_f32_u32_e32 v1, s12
	s_cmp_eq_u64 s[6:7], 0
	v_rcp_iflag_f32_e32 v1, v1
	s_nop 0
	v_mul_f32_e32 v1, 0x4f7ffffe, v1
	v_cvt_u32_f32_e32 v1, v1
	s_nop 0
	v_readfirstlane_b32 s14, v1
	s_cbranch_scc1 .LBB125_2
; %bb.1:
	s_ashr_i32 s3, s2, 31
	s_add_u32 s6, s6, s2
	s_addc_u32 s7, s7, s3
	v_mov_b32_e32 v1, 0
	global_load_ubyte v1, v1, s[6:7]
	s_waitcnt vmcnt(0)
	v_and_b32_e32 v1, 1, v1
	v_cmp_eq_u32_e64 s[6:7], 1, v1
	s_branch .LBB125_3
.LBB125_2:
	s_mov_b64 s[6:7], 0
.LBB125_3:
	s_nop 0
	v_writelane_b32 v166, s6, 0
	s_cmp_eq_u64 s[4:5], 0
	s_nop 0
	v_writelane_b32 v166, s7, 1
	s_load_dwordx2 s[6:7], s[0:1], 0x20
	s_cbranch_scc1 .LBB125_5
; %bb.4:
	s_ashr_i32 s3, s2, 31
	s_lshl_b64 s[10:11], s[2:3], 2
	s_add_u32 s4, s4, s10
	s_addc_u32 s5, s5, s11
	s_load_dword s10, s[4:5], 0x0
	s_waitcnt lgkmcnt(0)
	s_ashr_i32 s11, s10, 31
	s_cmp_eq_u64 s[6:7], s[10:11]
	s_cbranch_scc0 .LBB125_6
	s_branch .LBB125_302
.LBB125_5:
	s_mov_b32 s10, s2
	s_ashr_i32 s11, s10, 31
	s_waitcnt lgkmcnt(0)
	s_cmp_eq_u64 s[6:7], s[10:11]
	s_cbranch_scc1 .LBB125_302
.LBB125_6:
	s_load_dwordx16 s[36:51], s[0:1], 0x88
	s_load_dwordx2 s[18:19], s[0:1], 0x8
	s_mov_b32 s3, 0
	v_writelane_b32 v166, s3, 2
	v_writelane_b32 v166, s3, 3
	s_waitcnt lgkmcnt(0)
	s_cmp_eq_u64 s[42:43], 0
	s_cbranch_scc1 .LBB125_8
; %bb.7:
	s_ashr_i32 s9, s8, 31
	s_lshl_b64 s[4:5], s[8:9], 2
	s_add_u32 s4, s42, s4
	s_addc_u32 s5, s43, s5
	s_load_dword s3, s[4:5], 0x0
	s_waitcnt lgkmcnt(0)
	v_writelane_b32 v166, s3, 3
.LBB125_8:
	s_cmp_eq_u64 s[48:49], 0
	s_cbranch_scc1 .LBB125_10
; %bb.9:
	s_ashr_i32 s9, s8, 31
	s_lshl_b64 s[4:5], s[8:9], 2
	s_add_u32 s4, s48, s4
	s_addc_u32 s5, s49, s5
	s_load_dword s3, s[4:5], 0x0
	s_waitcnt lgkmcnt(0)
	v_writelane_b32 v166, s3, 2
.LBB125_10:
	s_cmp_lt_i32 s18, 1
	s_cbranch_scc1 .LBB125_302
; %bb.11:
	s_sub_i32 s3, 0, s12
	s_mul_i32 s3, s3, s14
	s_mul_hi_u32 s3, s14, s3
	s_load_dwordx8 s[52:59], s[0:1], 0x2c
	s_load_dwordx2 s[16:17], s[0:1], 0x7c
	s_load_dwordx4 s[20:23], s[0:1], 0x6c
	s_load_dwordx8 s[60:67], s[0:1], 0x4c
	s_load_dwordx2 s[4:5], s[0:1], 0xd8
	s_add_i32 s14, s14, s3
	s_load_dwordx4 s[24:27], s[0:1], 0xc8
	s_load_dword s3, s[0:1], 0x84
	s_abs_i32 s6, s8
	s_load_dword s9, s[0:1], 0x28
	s_ashr_i32 s0, s8, 31
	s_ashr_i32 s1, s13, 31
	s_waitcnt lgkmcnt(0)
	v_writelane_b32 v166, s3, 4
	s_mul_hi_u32 s3, s6, s14
	s_xor_b32 s0, s0, s1
	s_mul_i32 s1, s3, s12
	s_sub_i32 s1, s6, s1
	s_add_i32 s6, s3, 1
	s_sub_i32 s7, s1, s12
	s_cmp_ge_u32 s1, s12
	s_cselect_b32 s3, s6, s3
	s_cselect_b32 s1, s7, s1
	s_add_i32 s6, s3, 1
	s_cmp_ge_u32 s1, s12
	s_cselect_b32 s1, s6, s3
	s_xor_b32 s1, s1, s0
	s_mul_i32 s6, s62, s2
	s_mov_b32 s7, 0
	s_sub_i32 s3, s1, s0
	s_lshl_b64 s[0:1], s[6:7], 1
	s_add_u32 s11, s44, s0
	s_mul_i32 s6, s63, s8
	s_addc_u32 s12, s45, s1
	s_lshl_b64 s[0:1], s[6:7], 1
	s_add_u32 s28, s11, s0
	s_mul_i32 s6, s64, s2
	s_addc_u32 s29, s12, s1
	;; [unrolled: 4-line block ×3, first 2 shown]
	s_lshl_b64 s[0:1], s[6:7], 1
	s_add_u32 s0, s11, s0
	s_addc_u32 s1, s12, s1
	v_writelane_b32 v166, s0, 5
	s_mul_i32 s6, s52, s8
	v_mbcnt_lo_u32_b32 v1, -1, 0
	v_writelane_b32 v166, s1, 6
	s_lshl_b64 s[0:1], s[6:7], 2
	s_add_u32 s0, s36, s0
	v_writelane_b32 v166, s0, 7
	s_addc_u32 s0, s37, s1
	s_mul_i32 s6, s54, s2
	v_writelane_b32 v166, s0, 8
	s_lshl_b64 s[0:1], s[6:7], 1
	s_add_u32 s11, s38, s0
	s_mul_i32 s6, s3, s57
	s_addc_u32 s12, s39, s1
	s_lshl_b64 s[0:1], s[6:7], 1
	s_add_u32 s0, s11, s0
	s_addc_u32 s1, s12, s1
	v_writelane_b32 v166, s0, 9
	v_lshlrev_b32_e32 v19, 4, v0
	v_mbcnt_hi_u32_b32 v18, -1, v1
	v_writelane_b32 v166, s1, 10
	v_writelane_b32 v166, s52, 11
	v_and_b32_e32 v2, 0x400, v19
	s_mul_i32 s6, s58, s2
	v_writelane_b32 v166, s53, 12
	v_writelane_b32 v166, s54, 13
	v_or_b32_e32 v72, v18, v2
	v_writelane_b32 v166, s55, 14
	s_lshl_b64 s[0:1], s[6:7], 1
	v_lshrrev_b32_e32 v1, 5, v72
	v_writelane_b32 v166, s56, 15
	s_add_u32 s11, s40, s0
	s_mul_i32 s6, s3, s61
	v_and_b32_e32 v1, 34, v1
	v_writelane_b32 v166, s57, 16
	s_addc_u32 s12, s41, s1
	s_lshl_b64 s[0:1], s[6:7], 1
	v_add_u32_e32 v3, 64, v72
	v_or_b32_e32 v4, 0x80, v72
	v_add_u32_e32 v5, 0xc0, v72
	v_add_u32_e32 v1, v1, v72
	v_writelane_b32 v166, s58, 17
	s_add_u32 s0, s11, s0
	v_lshl_add_u32 v88, v1, 1, 0
	v_lshrrev_b32_e32 v1, 5, v3
	v_lshrrev_b32_e32 v3, 5, v4
	;; [unrolled: 1-line block ×3, first 2 shown]
	v_writelane_b32 v166, s59, 18
	s_addc_u32 s1, s12, s1
	v_or_b32_e32 v75, 0x100, v72
	v_and_b32_e32 v4, 46, v4
	v_writelane_b32 v166, s0, 19
	s_mul_i32 s6, s10, s16
	v_add_lshl_u32 v8, v4, v72, 1
	v_lshrrev_b32_e32 v4, 5, v75
	v_writelane_b32 v166, s1, 20
	s_lshl_b64 s[0:1], s[6:7], 2
	v_add_u32_e32 v6, 0x140, v72
	v_and_b32_e32 v4, 42, v4
	s_add_u32 s3, s24, s0
	s_mul_i32 s6, s17, s8
	v_add_lshl_u32 v9, v4, v72, 1
	v_lshrrev_b32_e32 v4, 5, v6
	s_addc_u32 s10, s25, s1
	s_lshl_b64 s[0:1], s[6:7], 2
	v_or_b32_e32 v78, 0x180, v72
	v_and_b32_e32 v4, 46, v4
	s_add_u32 s0, s3, s0
	v_add_lshl_u32 v10, v4, v72, 1
	v_lshrrev_b32_e32 v4, 5, v78
	v_writelane_b32 v166, s0, 21
	s_addc_u32 s0, s10, s1
	v_add_u32_e32 v79, 0x1c0, v72
	v_and_b32_e32 v4, 46, v4
	v_writelane_b32 v166, s0, 22
	s_add_i32 s0, s18, 0x7ff
	v_add_lshl_u32 v11, v4, v72, 1
	v_lshrrev_b32_e32 v4, 5, v79
	s_lshr_b32 s0, s0, 11
	v_or_b32_e32 v80, 0x200, v72
	v_and_b32_e32 v4, 62, v4
	v_add_lshl_u32 v12, v4, v72, 1
	v_lshrrev_b32_e32 v4, 5, v80
	s_bitcmp1_b32 s9, 0
	v_add_u32_e32 v81, 0x240, v72
	v_and_b32_e32 v4, 50, v4
	s_cselect_b64 s[10:11], -1, 0
	v_add_lshl_u32 v13, v4, v72, 1
	v_lshrrev_b32_e32 v4, 5, v81
	v_writelane_b32 v166, s10, 23
	s_cmp_gt_i32 s19, 0
	v_or_b32_e32 v82, 0x280, v72
	v_and_b32_e32 v4, 54, v4
	v_writelane_b32 v166, s11, 24
	s_cselect_b64 s[10:11], -1, 0
	v_add_lshl_u32 v14, v4, v72, 1
	v_lshrrev_b32_e32 v4, 5, v82
	v_writelane_b32 v166, s10, 25
	v_add_u32_e32 v83, 0x2c0, v72
	v_and_b32_e32 v4, 54, v4
	v_writelane_b32 v166, s11, 26
	v_add_lshl_u32 v15, v4, v72, 1
	v_lshrrev_b32_e32 v4, 5, v83
	v_writelane_b32 v166, s18, 27
	v_or_b32_e32 v84, 0x300, v72
	v_and_b32_e32 v4, 62, v4
	v_writelane_b32 v166, s19, 28
	v_add_lshl_u32 v26, v4, v72, 1
	v_lshrrev_b32_e32 v4, 5, v84
	v_writelane_b32 v166, s0, 29
	s_add_i32 s0, s0, -1
	s_mul_i32 s6, s20, s2
	v_add_u32_e32 v85, 0x340, v72
	v_and_b32_e32 v4, 58, v4
	s_add_i32 s9, 0, 0x1080
	s_and_b32 s10, s18, 0x7ff
	v_writelane_b32 v166, s0, 30
	s_lshl_b64 s[0:1], s[6:7], 1
	v_add_lshl_u32 v27, v4, v72, 1
	v_lshrrev_b32_e32 v4, 5, v85
	s_add_u32 s3, s50, s0
	s_mul_i32 s6, s21, s8
	v_or_b32_e32 v86, 0x380, v72
	v_and_b32_e32 v4, 62, v4
	s_addc_u32 s11, s51, s1
	s_lshl_b64 s[0:1], s[6:7], 1
	v_add_lshl_u32 v28, v4, v72, 1
	v_lshrrev_b32_e32 v4, 5, v86
	s_add_u32 s12, s3, s0
	s_mul_i32 s6, s66, s2
	v_writelane_b32 v166, s60, 31
	v_and_b32_e32 v4, 62, v4
	s_addc_u32 s13, s11, s1
	s_lshl_b64 s[0:1], s[6:7], 1
	v_writelane_b32 v166, s61, 32
	v_add_lshl_u32 v29, v4, v72, 1
	v_and_b32_e32 v4, 64, v0
	s_add_u32 s3, s26, s0
	v_writelane_b32 v166, s62, 33
	s_mul_i32 s6, s67, s8
	v_add_u16_e32 v6, v18, v4
	s_addc_u32 s11, s27, s1
	v_writelane_b32 v166, s63, 34
	s_lshl_b64 s[0:1], s[6:7], 1
	v_lshrrev_b16_e32 v6, 1, v6
	v_writelane_b32 v166, s64, 35
	s_add_u32 s14, s3, s0
	s_mul_i32 s6, s22, s2
	v_add_lshl_u32 v5, v18, v4, 4
	v_and_b32_e32 v6, 0x7e, v6
	v_writelane_b32 v166, s65, 36
	s_addc_u32 s15, s11, s1
	s_lshl_b64 s[0:1], s[6:7], 1
	v_add_lshl_u32 v30, v6, v5, 1
	v_writelane_b32 v166, s66, 37
	s_add_u32 s2, s4, s0
	v_and_b32_e32 v5, 15, v18
	v_writelane_b32 v166, s67, 38
	s_addc_u32 s3, s5, s1
	v_cmp_lt_u32_e64 s[4:5], 1, v5
	s_mul_i32 s6, s23, s8
	s_lshl_b64 s[0:1], s[6:7], 1
	v_writelane_b32 v166, s4, 39
	s_add_u32 s2, s2, s0
	s_addc_u32 s3, s3, s1
	v_writelane_b32 v166, s5, 40
	v_cmp_lt_u32_e64 s[4:5], 3, v5
	v_cmp_eq_u32_e64 s[0:1], 0, v5
	v_or_b32_e32 v4, 63, v4
	v_writelane_b32 v166, s4, 41
	v_mov_b32_e32 v17, 0
	v_lshlrev_b32_e32 v16, 1, v18
	v_writelane_b32 v166, s5, 42
	v_cmp_lt_u32_e64 s[4:5], 7, v5
	v_and_b32_e32 v5, 16, v18
	v_lshlrev_b32_e32 v6, 1, v2
	v_writelane_b32 v166, s4, 43
	v_mov_b32_e32 v7, v17
	s_cmp_eq_u32 s10, 0
	v_writelane_b32 v166, s5, 44
	v_cmp_ne_u32_e64 s[4:5], 0, v5
	v_add_u32_e32 v87, 0x3c0, v72
	v_and_b32_e32 v1, 38, v1
	v_writelane_b32 v166, s4, 45
	v_add_lshl_u32 v1, v1, v72, 1
	v_add_u32_e32 v89, 0, v1
	v_writelane_b32 v166, s5, 46
	v_cmp_eq_u32_e64 s[4:5], v4, v0
	v_and_b32_e32 v4, 1, v18
	v_and_b32_e32 v3, 38, v3
	v_writelane_b32 v166, s4, 47
	v_add_u32_e32 v101, s9, v1
	v_lshrrev_b32_e32 v1, 3, v0
	v_writelane_b32 v166, s5, 48
	v_cmp_eq_u32_e64 s[4:5], 0, v4
	v_lshl_add_u64 v[4:5], s[12:13], 0, v[16:17]
	v_lshl_add_u64 v[20:21], v[4:5], 0, v[6:7]
	v_writelane_b32 v166, s4, 49
	v_lshl_add_u64 v[4:5], s[14:15], 0, v[16:17]
	v_lshl_add_u64 v[22:23], v[4:5], 0, v[6:7]
	v_writelane_b32 v166, s5, 50
	v_lshl_add_u64 v[4:5], s[2:3], 0, v[16:17]
	s_cselect_b64 s[2:3], -1, 0
	v_writelane_b32 v166, s2, 51
	v_lshl_add_u64 v[24:25], v[4:5], 0, v[6:7]
	v_add_u32_e32 v4, -1, v18
	v_writelane_b32 v166, s3, 52
	v_cmp_lt_u32_e64 s[2:3], 31, v18
	v_and_b32_e32 v5, 64, v18
	v_lshrrev_b32_e32 v6, 5, v87
	v_writelane_b32 v166, s2, 53
	v_and_b32_e32 v6, 0x7e, v6
	v_cmp_lt_i32_e32 vcc, v4, v5
	v_writelane_b32 v166, s3, 54
	v_cmp_gt_u32_e64 s[2:3], 2, v0
	v_add_lshl_u32 v3, v3, v72, 1
	v_add_lshl_u32 v6, v6, v72, 1
	v_writelane_b32 v166, s2, 55
	v_and_b32_e32 v1, 8, v1
	v_cmp_lt_u32_e64 s[20:21], 63, v0
	v_writelane_b32 v166, s3, 56
	v_cmp_gt_u32_e64 s[2:3], 64, v0
	v_cmp_eq_u32_e64 s[22:23], 0, v0
	v_lshl_add_u32 v122, v0, 3, 0
	v_writelane_b32 v166, s2, 57
	v_cndmask_b32_e32 v0, v4, v18, vcc
	v_add_u32_e32 v90, 0, v3
	v_writelane_b32 v166, s3, 58
	s_add_i32 s2, 0, 0x2110
	v_add_u32_e32 v91, 0, v8
	v_add_u32_e32 v92, 0, v9
	;; [unrolled: 1-line block ×30, first 2 shown]
	v_lshlrev_b32_e32 v123, 2, v0
	v_cmp_eq_u32_e64 s[24:25], 0, v18
	v_lshlrev_b32_e32 v26, 1, v2
	s_mov_b32 s6, 0x41a00000
	s_mov_b32 s8, 0x3fb8aa3b
	;; [unrolled: 1-line block ×8, first 2 shown]
	v_writelane_b32 v166, s2, 59
	s_mov_b32 s33, 0xc2fc0000
	s_mov_b32 s3, 0
	v_mov_b32_e32 v139, 0x3ecc95a3
	v_mov_b32_e32 v140, 0x7f800000
	;; [unrolled: 1-line block ×5, first 2 shown]
                                        ; implicit-def: $vgpr0
	s_branch .LBB125_13
.LBB125_12:                             ;   in Loop: Header=BB125_13 Depth=1
	s_or_b64 exec, exec, s[2:3]
	v_readlane_b32 s2, v166, 5
	v_readlane_b32 s3, v166, 6
	s_add_u32 s2, s2, 0x1000
	s_addc_u32 s3, s3, 0
	v_writelane_b32 v166, s2, 5
	s_nop 1
	v_writelane_b32 v166, s3, 6
	s_nop 0
	v_readlane_b32 s28, v166, 63
	v_readlane_b32 s29, v167, 0
	s_add_u32 s28, s28, 0x1000
	s_addc_u32 s29, s29, 0
	v_readlane_b32 s2, v166, 9
	v_readlane_b32 s3, v166, 10
	s_add_u32 s2, s2, 0x1000
	s_addc_u32 s3, s3, 0
	v_writelane_b32 v166, s2, 9
	s_nop 1
	v_writelane_b32 v166, s3, 10
	s_nop 0
	v_readlane_b32 s2, v166, 19
	v_readlane_b32 s3, v166, 20
	s_add_u32 s2, s2, 0x1000
	s_addc_u32 s3, s3, 0
	v_writelane_b32 v166, s2, 19
	s_nop 1
	v_writelane_b32 v166, s3, 20
	s_nop 0
	v_readlane_b32 s3, v166, 60
	s_add_i32 s3, s3, 1
	v_readlane_b32 s2, v166, 29
	s_cmp_lg_u32 s3, s2
	s_cbranch_scc0 .LBB125_302
.LBB125_13:                             ; =>This Loop Header: Depth=1
                                        ;     Child Loop BB125_110 Depth 2
	v_writelane_b32 v166, s3, 60
	s_lshl_b32 s16, s3, 11
	v_readlane_b32 s2, v166, 27
	s_mov_b32 s4, s16
	v_readlane_b32 s3, v166, 28
	v_writelane_b32 v166, s4, 61
	s_waitcnt lgkmcnt(14)
	v_lshlrev_b32_e32 v16, 1, v18
	s_sub_i32 s88, s2, s16
	v_writelane_b32 v166, s5, 62
                                        ; implicit-def: $vgpr167 : SGPR spill to VGPR lane
	v_writelane_b32 v166, s28, 63
	v_mov_b32_e32 v27, v17
	v_cmp_gt_u32_e64 s[26:27], s88, v72
	v_lshl_add_u64 v[0:1], s[28:29], 0, v[16:17]
	v_writelane_b32 v167, s29, 0
	v_lshl_add_u64 v[0:1], v[0:1], 0, v[26:27]
	s_waitcnt lgkmcnt(0)
	v_mov_b32_e32 v2, 0
	s_barrier
	s_and_saveexec_b64 s[2:3], s[26:27]
	s_cbranch_execz .LBB125_15
; %bb.14:                               ;   in Loop: Header=BB125_13 Depth=1
	global_load_ushort v2, v[0:1], off
.LBB125_15:                             ;   in Loop: Header=BB125_13 Depth=1
	s_or_b64 exec, exec, s[2:3]
	v_add_u32_e32 v3, 64, v72
	v_cmp_gt_u32_e64 s[28:29], s88, v3
	v_mov_b32_e32 v3, 0
	v_mov_b32_e32 v4, 0
	s_and_saveexec_b64 s[2:3], s[28:29]
	s_cbranch_execz .LBB125_17
; %bb.16:                               ;   in Loop: Header=BB125_13 Depth=1
	global_load_ushort v4, v[0:1], off offset:128
.LBB125_17:                             ;   in Loop: Header=BB125_13 Depth=1
	s_or_b64 exec, exec, s[2:3]
	v_or_b32_e32 v5, 0x80, v72
	v_cmp_gt_u32_e64 s[30:31], s88, v5
	s_and_saveexec_b64 s[2:3], s[30:31]
	s_cbranch_execz .LBB125_19
; %bb.18:                               ;   in Loop: Header=BB125_13 Depth=1
	global_load_ushort v3, v[0:1], off offset:256
.LBB125_19:                             ;   in Loop: Header=BB125_13 Depth=1
	s_or_b64 exec, exec, s[2:3]
	v_add_u32_e32 v5, 0xc0, v72
	v_cmp_gt_u32_e64 s[34:35], s88, v5
	v_mov_b32_e32 v5, 0
	v_mov_b32_e32 v6, 0
	s_and_saveexec_b64 s[2:3], s[34:35]
	s_cbranch_execz .LBB125_21
; %bb.20:                               ;   in Loop: Header=BB125_13 Depth=1
	global_load_ushort v6, v[0:1], off offset:384
.LBB125_21:                             ;   in Loop: Header=BB125_13 Depth=1
	s_or_b64 exec, exec, s[2:3]
	v_cmp_gt_u32_e64 s[36:37], s88, v75
	s_and_saveexec_b64 s[2:3], s[36:37]
	s_cbranch_execz .LBB125_23
; %bb.22:                               ;   in Loop: Header=BB125_13 Depth=1
	global_load_ushort v5, v[0:1], off offset:512
.LBB125_23:                             ;   in Loop: Header=BB125_13 Depth=1
	s_or_b64 exec, exec, s[2:3]
	v_add_u32_e32 v7, 0x140, v72
	v_cmp_gt_u32_e64 s[38:39], s88, v7
	v_mov_b32_e32 v7, 0
	v_mov_b32_e32 v8, 0
	s_and_saveexec_b64 s[2:3], s[38:39]
	s_cbranch_execz .LBB125_25
; %bb.24:                               ;   in Loop: Header=BB125_13 Depth=1
	global_load_ushort v8, v[0:1], off offset:640
.LBB125_25:                             ;   in Loop: Header=BB125_13 Depth=1
	s_or_b64 exec, exec, s[2:3]
	v_cmp_gt_u32_e64 s[40:41], s88, v78
	s_and_saveexec_b64 s[2:3], s[40:41]
	s_cbranch_execz .LBB125_27
; %bb.26:                               ;   in Loop: Header=BB125_13 Depth=1
	global_load_ushort v7, v[0:1], off offset:768
.LBB125_27:                             ;   in Loop: Header=BB125_13 Depth=1
	s_or_b64 exec, exec, s[2:3]
	v_cmp_gt_u32_e64 s[42:43], s88, v79
	v_mov_b32_e32 v9, 0
	v_mov_b32_e32 v11, 0
	s_and_saveexec_b64 s[2:3], s[42:43]
	s_cbranch_execz .LBB125_29
; %bb.28:                               ;   in Loop: Header=BB125_13 Depth=1
	global_load_ushort v11, v[0:1], off offset:896
.LBB125_29:                             ;   in Loop: Header=BB125_13 Depth=1
	s_or_b64 exec, exec, s[2:3]
	v_cmp_gt_u32_e64 s[44:45], s88, v80
	s_and_saveexec_b64 s[2:3], s[44:45]
	s_cbranch_execz .LBB125_31
; %bb.30:                               ;   in Loop: Header=BB125_13 Depth=1
	global_load_ushort v9, v[0:1], off offset:1024
.LBB125_31:                             ;   in Loop: Header=BB125_13 Depth=1
	s_or_b64 exec, exec, s[2:3]
	;; [unrolled: 16-line block ×5, first 2 shown]
	v_cmp_gt_u32_e64 s[58:59], s88, v87
	v_mov_b32_e32 v10, 0
	v_mov_b32_e32 v30, 0
	s_and_saveexec_b64 s[2:3], s[58:59]
	s_cbranch_execz .LBB125_45
; %bb.44:                               ;   in Loop: Header=BB125_13 Depth=1
	global_load_ushort v30, v[0:1], off offset:1920
.LBB125_45:                             ;   in Loop: Header=BB125_13 Depth=1
	s_or_b64 exec, exec, s[2:3]
	s_waitcnt vmcnt(0)
	ds_write_b16 v88, v2
	ds_write_b16 v89, v4 offset:128
	ds_write_b16 v90, v3 offset:256
	;; [unrolled: 1-line block ×15, first 2 shown]
	; wave barrier
	ds_read_b128 v[0:3], v119
	ds_read_b128 v[4:7], v119 offset:16
	v_readlane_b32 s2, v166, 5
	v_readlane_b32 s3, v166, 6
	v_mov_b32_e32 v27, v17
	s_waitcnt lgkmcnt(0)
	v_lshl_add_u64 v[8:9], s[2:3], 0, v[16:17]
	v_lshl_add_u64 v[8:9], v[8:9], 0, v[26:27]
	s_barrier
	s_and_saveexec_b64 s[2:3], s[26:27]
	s_cbranch_execz .LBB125_47
; %bb.46:                               ;   in Loop: Header=BB125_13 Depth=1
	global_load_ushort v10, v[8:9], off
.LBB125_47:                             ;   in Loop: Header=BB125_13 Depth=1
	s_or_b64 exec, exec, s[2:3]
	v_mov_b32_e32 v11, 0
	v_mov_b32_e32 v12, 0
	s_and_saveexec_b64 s[2:3], s[28:29]
	s_cbranch_execz .LBB125_49
; %bb.48:                               ;   in Loop: Header=BB125_13 Depth=1
	global_load_ushort v12, v[8:9], off offset:128
.LBB125_49:                             ;   in Loop: Header=BB125_13 Depth=1
	s_or_b64 exec, exec, s[2:3]
	s_and_saveexec_b64 s[2:3], s[30:31]
	s_cbranch_execz .LBB125_51
; %bb.50:                               ;   in Loop: Header=BB125_13 Depth=1
	global_load_ushort v11, v[8:9], off offset:256
.LBB125_51:                             ;   in Loop: Header=BB125_13 Depth=1
	s_or_b64 exec, exec, s[2:3]
	v_mov_b32_e32 v13, 0
	v_mov_b32_e32 v14, 0
	s_and_saveexec_b64 s[2:3], s[34:35]
	s_cbranch_execz .LBB125_53
; %bb.52:                               ;   in Loop: Header=BB125_13 Depth=1
	global_load_ushort v14, v[8:9], off offset:384
.LBB125_53:                             ;   in Loop: Header=BB125_13 Depth=1
	s_or_b64 exec, exec, s[2:3]
	s_and_saveexec_b64 s[2:3], s[36:37]
	s_cbranch_execz .LBB125_55
; %bb.54:                               ;   in Loop: Header=BB125_13 Depth=1
	global_load_ushort v13, v[8:9], off offset:512
.LBB125_55:                             ;   in Loop: Header=BB125_13 Depth=1
	;; [unrolled: 14-line block ×6, first 2 shown]
	s_or_b64 exec, exec, s[2:3]
	v_mov_b32_e32 v35, 0
	v_mov_b32_e32 v36, 0
	s_and_saveexec_b64 s[2:3], s[54:55]
	s_cbranch_execnz .LBB125_269
; %bb.72:                               ;   in Loop: Header=BB125_13 Depth=1
	s_or_b64 exec, exec, s[2:3]
	s_and_saveexec_b64 s[2:3], s[56:57]
	s_cbranch_execnz .LBB125_270
.LBB125_73:                             ;   in Loop: Header=BB125_13 Depth=1
	s_or_b64 exec, exec, s[2:3]
	v_mov_b32_e32 v37, 0
	s_and_saveexec_b64 s[2:3], s[58:59]
	s_cbranch_execz .LBB125_75
.LBB125_74:                             ;   in Loop: Header=BB125_13 Depth=1
	global_load_ushort v37, v[8:9], off offset:1920
.LBB125_75:                             ;   in Loop: Header=BB125_13 Depth=1
	s_or_b64 exec, exec, s[2:3]
	s_waitcnt vmcnt(0)
	ds_write_b16 v88, v10
	ds_write_b16 v89, v12 offset:128
	ds_write_b16 v90, v11 offset:256
	;; [unrolled: 1-line block ×15, first 2 shown]
	; wave barrier
	ds_read_b128 v[12:15], v119
	ds_read_b128 v[8:11], v119 offset:16
	v_readlane_b32 s2, v166, 2
	s_waitcnt lgkmcnt(1)
	v_cvt_f32_f16_e32 v27, v12
	v_add_f32_e32 v143, s2, v27
	v_readlane_b32 s2, v166, 23
	v_cmp_ge_f32_e32 vcc, s6, v143
	v_readlane_b32 s3, v166, 24
	s_and_b64 s[2:3], s[2:3], vcc
	s_and_saveexec_b64 s[4:5], s[2:3]
	s_cbranch_execz .LBB125_77
; %bb.76:                               ;   in Loop: Header=BB125_13 Depth=1
	v_mul_f32_e32 v27, 0x3fb8aa3b, v143
	v_rndne_f32_e32 v29, v27
	v_sub_f32_e32 v30, v27, v29
	v_fma_f32 v27, v143, s8, -v27
	v_fmac_f32_e32 v27, 0x32a5705f, v143
	v_add_f32_e32 v27, v30, v27
	v_cvt_i32_f32_e32 v29, v29
	v_exp_f32_e32 v27, v27
	v_cmp_ngt_f32_e32 vcc, s9, v143
	v_ldexp_f32 v27, v27, v29
	s_nop 0
	v_cndmask_b32_e32 v27, 0, v27, vcc
	v_cmp_nlt_f32_e32 vcc, s10, v143
	s_nop 1
	v_cndmask_b32_e32 v46, v140, v27, vcc
	v_add_f32_e32 v27, 1.0, v46
	v_add_f32_e32 v29, -1.0, v27
	v_sub_f32_e32 v30, v29, v27
	v_add_f32_e32 v30, 1.0, v30
	v_sub_f32_e32 v29, v46, v29
	v_add_f32_e32 v29, v29, v30
	v_frexp_mant_f32_e32 v32, v27
	v_cvt_f64_f32_e32 v[30:31], v27
	v_frexp_exp_i32_f64_e32 v30, v[30:31]
	v_cmp_gt_f32_e32 vcc, s12, v32
	v_cmp_gt_f32_e64 s[60:61], s14, v46
	s_nop 0
	v_subbrev_co_u32_e32 v38, vcc, 0, v30, vcc
	v_sub_u32_e32 v30, 0, v38
	v_ldexp_f32 v27, v27, v30
	v_ldexp_f32 v29, v29, v30
	v_add_f32_e32 v30, -1.0, v27
	v_add_f32_e32 v31, 1.0, v30
	v_sub_f32_e32 v31, v27, v31
	v_add_f32_e32 v32, v29, v31
	v_add_f32_e32 v31, 1.0, v27
	v_add_f32_e32 v33, -1.0, v31
	v_sub_f32_e32 v27, v27, v33
	v_add_f32_e32 v27, v29, v27
	v_add_f32_e32 v29, v31, v27
	v_rcp_f32_e32 v39, v29
	v_sub_f32_e32 v31, v31, v29
	v_add_f32_e32 v27, v27, v31
	v_add_f32_e32 v31, v30, v32
	v_sub_f32_e32 v30, v30, v31
	v_mul_f32_e32 v41, v31, v39
	v_add_f32_e32 v40, v32, v30
	v_mul_f32_e32 v32, v29, v41
	v_fma_f32 v34, v41, v29, -v32
	v_fmac_f32_e32 v34, v41, v27
	v_add_f32_e32 v30, v32, v34
	v_sub_f32_e32 v33, v31, v30
	v_pk_add_f32 v[36:37], v[30:31], v[32:33] neg_lo:[0,1] neg_hi:[0,1]
	v_mov_b32_e32 v35, v30
	v_pk_add_f32 v[30:31], v[36:37], v[34:35] neg_lo:[0,1] neg_hi:[0,1]
	v_cmp_eq_f32_e32 vcc, s11, v46
	v_add_f32_e32 v31, v40, v31
	v_add_f32_e32 v30, v30, v31
	;; [unrolled: 1-line block ×3, first 2 shown]
	v_mul_f32_e32 v40, v39, v31
	v_mul_f32_e32 v32, v29, v40
	v_fma_f32 v34, v40, v29, -v32
	v_fmac_f32_e32 v34, v40, v27
	v_sub_f32_e32 v27, v33, v31
	v_add_f32_e32 v27, v30, v27
	v_add_f32_e32 v30, v32, v34
	v_sub_f32_e32 v33, v31, v30
	v_pk_add_f32 v[36:37], v[30:31], v[32:33] neg_lo:[0,1] neg_hi:[0,1]
	v_mov_b32_e32 v35, v30
	v_pk_add_f32 v[30:31], v[36:37], v[34:35] neg_lo:[0,1] neg_hi:[0,1]
	s_or_b64 vcc, s[60:61], vcc
	v_add_f32_e32 v27, v27, v31
	v_add_f32_e32 v27, v30, v27
	;; [unrolled: 1-line block ×4, first 2 shown]
	v_sub_f32_e32 v29, v31, v41
	v_mul_f32_e32 v27, v39, v27
	v_sub_f32_e32 v29, v40, v29
	v_add_f32_e32 v27, v29, v27
	v_add_f32_e32 v32, v31, v27
	v_cvt_f32_i32_e32 v30, v38
	v_mul_f32_e32 v34, v32, v32
	v_fmamk_f32 v29, v34, 0x3e9b6dac, v139
	v_sub_f32_e32 v31, v32, v31
	v_fmaak_f32 v29, v34, v29, 0x3f2aaada
	v_sub_f32_e32 v27, v27, v31
	v_mul_f32_e32 v31, v32, v34
	v_pk_mul_f32 v[34:35], v[30:31], v[28:29]
	v_ldexp_f32 v33, v32, 1
	v_fma_f32 v32, v30, s13, -v34
	v_fmac_f32_e32 v32, 0xb102e308, v30
	v_pk_add_f32 v[30:31], v[34:35], v[32:33]
	v_ldexp_f32 v27, v27, 1
	v_sub_f32_e32 v29, v31, v33
	v_sub_f32_e32 v29, v35, v29
	v_add_f32_e32 v37, v27, v29
	v_mov_b32_e32 v36, v34
	v_pk_add_f32 v[34:35], v[30:31], v[34:35] neg_lo:[0,1] neg_hi:[0,1]
	v_pk_add_f32 v[38:39], v[30:31], v[36:37]
	v_mov_b32_e32 v33, v30
	v_mov_b32_e32 v35, v39
	v_pk_add_f32 v[40:41], v[32:33], v[34:35] neg_lo:[0,1] neg_hi:[0,1]
	v_pk_add_f32 v[32:33], v[32:33], v[34:35]
	v_mov_b32_e32 v36, v37
	v_mov_b32_e32 v34, v33
	v_pk_add_f32 v[42:43], v[34:35], v[30:31] neg_lo:[0,1] neg_hi:[0,1]
	v_mov_b32_e32 v32, v39
	v_mov_b32_e32 v27, v42
	v_pk_add_f32 v[44:45], v[38:39], v[26:27] neg_lo:[0,1] neg_hi:[0,1]
	v_mov_b32_e32 v38, v31
	v_mov_b32_e32 v39, v42
	;; [unrolled: 1-line block ×3, first 2 shown]
	v_pk_add_f32 v[32:33], v[32:33], v[38:39] neg_lo:[0,1] neg_hi:[0,1]
	v_mov_b32_e32 v37, v30
	v_pk_add_f32 v[30:31], v[36:37], v[32:33] neg_lo:[0,1] neg_hi:[0,1]
	v_mov_b32_e32 v44, v40
	v_pk_add_f32 v[32:33], v[44:45], v[30:31]
	s_nop 0
	v_mov_b32_e32 v36, v33
	v_pk_add_f32 v[36:37], v[32:33], v[36:37]
	s_nop 0
	v_pk_add_f32 v[34:35], v[34:35], v[36:37]
	v_mov_b32_e32 v31, v36
	v_mov_b32_e32 v33, v34
	v_pk_add_f32 v[38:39], v[32:33], v[40:41] neg_lo:[0,1] neg_hi:[0,1]
	s_nop 0
	v_sub_f32_e32 v27, v32, v38
	v_pk_add_f32 v[30:31], v[30:31], v[38:39] neg_lo:[0,1] neg_hi:[0,1]
	v_sub_f32_e32 v27, v40, v27
	v_add_f32_e32 v27, v30, v27
	v_add_f32_e32 v27, v27, v31
	;; [unrolled: 1-line block ×3, first 2 shown]
	v_cndmask_b32_e32 v143, v27, v46, vcc
.LBB125_77:                             ;   in Loop: Header=BB125_13 Depth=1
	s_or_b64 exec, exec, s[4:5]
	v_cvt_f32_f16_sdwa v12, v12 dst_sel:DWORD dst_unused:UNUSED_PAD src0_sel:WORD_1
	v_readlane_b32 s2, v166, 2
	s_nop 1
	v_add_f32_e32 v144, s2, v12
	v_readlane_b32 s2, v166, 23
	v_cmp_ge_f32_e32 vcc, s6, v144
	v_readlane_b32 s3, v166, 24
	s_and_b64 s[2:3], s[2:3], vcc
	s_and_saveexec_b64 s[4:5], s[2:3]
	s_cbranch_execz .LBB125_79
; %bb.78:                               ;   in Loop: Header=BB125_13 Depth=1
	v_mul_f32_e32 v12, 0x3fb8aa3b, v144
	v_rndne_f32_e32 v27, v12
	v_sub_f32_e32 v29, v12, v27
	v_fma_f32 v12, v144, s8, -v12
	v_fmac_f32_e32 v12, 0x32a5705f, v144
	v_add_f32_e32 v12, v29, v12
	v_cvt_i32_f32_e32 v27, v27
	v_exp_f32_e32 v12, v12
	v_cmp_ngt_f32_e32 vcc, s9, v144
	v_ldexp_f32 v12, v12, v27
	s_nop 0
	v_cndmask_b32_e32 v12, 0, v12, vcc
	v_cmp_nlt_f32_e32 vcc, s10, v144
	s_nop 1
	v_cndmask_b32_e32 v44, v140, v12, vcc
	v_add_f32_e32 v12, 1.0, v44
	v_add_f32_e32 v27, -1.0, v12
	v_sub_f32_e32 v29, v27, v12
	v_add_f32_e32 v29, 1.0, v29
	v_sub_f32_e32 v27, v44, v27
	v_add_f32_e32 v27, v27, v29
	v_frexp_mant_f32_e32 v29, v12
	v_cvt_f64_f32_e32 v[30:31], v12
	v_frexp_exp_i32_f64_e32 v30, v[30:31]
	v_cmp_gt_f32_e32 vcc, s12, v29
	v_cmp_gt_f32_e64 s[60:61], s14, v44
	s_nop 0
	v_subbrev_co_u32_e32 v38, vcc, 0, v30, vcc
	v_sub_u32_e32 v29, 0, v38
	v_ldexp_f32 v12, v12, v29
	v_ldexp_f32 v27, v27, v29
	v_add_f32_e32 v29, -1.0, v12
	v_add_f32_e32 v31, 1.0, v12
	v_add_f32_e32 v30, 1.0, v29
	v_add_f32_e32 v32, -1.0, v31
	v_sub_f32_e32 v30, v12, v30
	v_sub_f32_e32 v12, v12, v32
	v_add_f32_e32 v12, v27, v12
	v_add_f32_e32 v30, v27, v30
	;; [unrolled: 1-line block ×3, first 2 shown]
	v_rcp_f32_e32 v39, v27
	v_sub_f32_e32 v31, v31, v27
	v_add_f32_e32 v12, v12, v31
	v_add_f32_e32 v31, v29, v30
	v_mul_f32_e32 v40, v31, v39
	v_mul_f32_e32 v32, v27, v40
	v_fma_f32 v34, v40, v27, -v32
	v_sub_f32_e32 v29, v29, v31
	v_fmac_f32_e32 v34, v40, v12
	v_add_f32_e32 v29, v30, v29
	v_add_f32_e32 v30, v32, v34
	v_sub_f32_e32 v33, v31, v30
	v_pk_add_f32 v[36:37], v[30:31], v[32:33] neg_lo:[0,1] neg_hi:[0,1]
	v_mov_b32_e32 v35, v30
	v_pk_add_f32 v[30:31], v[36:37], v[34:35] neg_lo:[0,1] neg_hi:[0,1]
	v_cmp_eq_f32_e32 vcc, s11, v44
	v_add_f32_e32 v29, v29, v31
	v_add_f32_e32 v29, v30, v29
	;; [unrolled: 1-line block ×3, first 2 shown]
	v_mul_f32_e32 v41, v39, v31
	v_mul_f32_e32 v32, v27, v41
	v_fma_f32 v34, v41, v27, -v32
	v_fmac_f32_e32 v34, v41, v12
	v_add_f32_e32 v30, v32, v34
	v_sub_f32_e32 v12, v33, v31
	v_sub_f32_e32 v33, v31, v30
	v_pk_add_f32 v[36:37], v[30:31], v[32:33] neg_lo:[0,1] neg_hi:[0,1]
	v_mov_b32_e32 v35, v30
	v_add_f32_e32 v12, v29, v12
	v_pk_add_f32 v[30:31], v[36:37], v[34:35] neg_lo:[0,1] neg_hi:[0,1]
	v_add_f32_e32 v27, v40, v41
	v_add_f32_e32 v12, v12, v31
	;; [unrolled: 1-line block ×4, first 2 shown]
	v_sub_f32_e32 v29, v27, v40
	v_mul_f32_e32 v12, v39, v12
	v_sub_f32_e32 v29, v41, v29
	v_add_f32_e32 v12, v29, v12
	v_add_f32_e32 v31, v27, v12
	v_cvt_f32_i32_e32 v30, v38
	v_mul_f32_e32 v32, v31, v31
	v_fmamk_f32 v29, v32, 0x3e9b6dac, v139
	v_fmaak_f32 v29, v32, v29, 0x3f2aaada
	v_sub_f32_e32 v27, v31, v27
	v_ldexp_f32 v33, v31, 1
	v_mul_f32_e32 v31, v31, v32
	v_pk_mul_f32 v[34:35], v[30:31], v[28:29]
	v_sub_f32_e32 v12, v12, v27
	v_fma_f32 v32, v30, s13, -v34
	v_fmac_f32_e32 v32, 0xb102e308, v30
	v_pk_add_f32 v[30:31], v[34:35], v[32:33]
	v_ldexp_f32 v12, v12, 1
	v_sub_f32_e32 v27, v31, v33
	v_sub_f32_e32 v27, v35, v27
	v_add_f32_e32 v37, v12, v27
	v_mov_b32_e32 v36, v34
	v_pk_add_f32 v[34:35], v[30:31], v[34:35] neg_lo:[0,1] neg_hi:[0,1]
	v_pk_add_f32 v[38:39], v[30:31], v[36:37]
	v_mov_b32_e32 v33, v30
	v_mov_b32_e32 v35, v39
	v_pk_add_f32 v[40:41], v[32:33], v[34:35] neg_lo:[0,1] neg_hi:[0,1]
	v_pk_add_f32 v[32:33], v[32:33], v[34:35]
	s_or_b64 vcc, s[60:61], vcc
	v_mov_b32_e32 v12, v33
	v_pk_add_f32 v[34:35], v[12:13], v[30:31] neg_lo:[0,1] neg_hi:[0,1]
	v_mov_b32_e32 v32, v39
	v_mov_b32_e32 v27, v34
	v_pk_add_f32 v[42:43], v[38:39], v[26:27] neg_lo:[0,1] neg_hi:[0,1]
	v_mov_b32_e32 v38, v31
	v_mov_b32_e32 v39, v34
	;; [unrolled: 1-line block ×3, first 2 shown]
	v_pk_add_f32 v[32:33], v[32:33], v[38:39] neg_lo:[0,1] neg_hi:[0,1]
	v_mov_b32_e32 v34, v37
	v_mov_b32_e32 v35, v30
	v_pk_add_f32 v[30:31], v[34:35], v[32:33] neg_lo:[0,1] neg_hi:[0,1]
	v_mov_b32_e32 v42, v40
	v_pk_add_f32 v[32:33], v[42:43], v[30:31]
	s_nop 0
	v_mov_b32_e32 v34, v33
	v_pk_add_f32 v[34:35], v[32:33], v[34:35]
	s_nop 0
	v_pk_add_f32 v[36:37], v[12:13], v[34:35]
	v_mov_b32_e32 v31, v34
	v_mov_b32_e32 v33, v36
	v_pk_add_f32 v[38:39], v[32:33], v[40:41] neg_lo:[0,1] neg_hi:[0,1]
	s_nop 0
	v_sub_f32_e32 v12, v32, v38
	v_pk_add_f32 v[30:31], v[30:31], v[38:39] neg_lo:[0,1] neg_hi:[0,1]
	v_sub_f32_e32 v12, v40, v12
	v_add_f32_e32 v12, v30, v12
	v_add_f32_e32 v12, v12, v31
	;; [unrolled: 1-line block ×3, first 2 shown]
	v_cndmask_b32_e32 v144, v12, v44, vcc
.LBB125_79:                             ;   in Loop: Header=BB125_13 Depth=1
	s_or_b64 exec, exec, s[4:5]
	v_cvt_f32_f16_e32 v12, v13
	v_readlane_b32 s2, v166, 2
	s_nop 1
	v_add_f32_e32 v145, s2, v12
	v_readlane_b32 s2, v166, 23
	v_cmp_ge_f32_e32 vcc, s6, v145
	v_readlane_b32 s3, v166, 24
	s_and_b64 s[2:3], s[2:3], vcc
	s_and_saveexec_b64 s[4:5], s[2:3]
	s_cbranch_execz .LBB125_81
; %bb.80:                               ;   in Loop: Header=BB125_13 Depth=1
	v_mul_f32_e32 v12, 0x3fb8aa3b, v145
	v_rndne_f32_e32 v27, v12
	v_sub_f32_e32 v29, v12, v27
	v_fma_f32 v12, v145, s8, -v12
	v_fmac_f32_e32 v12, 0x32a5705f, v145
	v_add_f32_e32 v12, v29, v12
	v_cvt_i32_f32_e32 v27, v27
	v_exp_f32_e32 v12, v12
	v_cmp_ngt_f32_e32 vcc, s9, v145
	v_ldexp_f32 v12, v12, v27
	s_nop 0
	v_cndmask_b32_e32 v12, 0, v12, vcc
	v_cmp_nlt_f32_e32 vcc, s10, v145
	s_nop 1
	v_cndmask_b32_e32 v44, v140, v12, vcc
	v_add_f32_e32 v12, 1.0, v44
	v_add_f32_e32 v27, -1.0, v12
	v_sub_f32_e32 v29, v27, v12
	v_add_f32_e32 v29, 1.0, v29
	v_sub_f32_e32 v27, v44, v27
	v_add_f32_e32 v27, v27, v29
	v_frexp_mant_f32_e32 v29, v12
	v_cvt_f64_f32_e32 v[30:31], v12
	v_frexp_exp_i32_f64_e32 v30, v[30:31]
	v_cmp_gt_f32_e32 vcc, s12, v29
	v_cmp_gt_f32_e64 s[60:61], s14, v44
	s_nop 0
	v_subbrev_co_u32_e32 v38, vcc, 0, v30, vcc
	v_sub_u32_e32 v29, 0, v38
	v_ldexp_f32 v12, v12, v29
	v_ldexp_f32 v27, v27, v29
	v_add_f32_e32 v29, -1.0, v12
	v_add_f32_e32 v31, 1.0, v12
	v_add_f32_e32 v30, 1.0, v29
	v_add_f32_e32 v32, -1.0, v31
	v_sub_f32_e32 v30, v12, v30
	v_sub_f32_e32 v12, v12, v32
	v_add_f32_e32 v12, v27, v12
	v_add_f32_e32 v30, v27, v30
	;; [unrolled: 1-line block ×3, first 2 shown]
	v_rcp_f32_e32 v39, v27
	v_sub_f32_e32 v31, v31, v27
	v_add_f32_e32 v12, v12, v31
	v_add_f32_e32 v31, v29, v30
	v_mul_f32_e32 v40, v31, v39
	v_mul_f32_e32 v32, v27, v40
	v_fma_f32 v34, v40, v27, -v32
	v_sub_f32_e32 v29, v29, v31
	v_fmac_f32_e32 v34, v40, v12
	v_add_f32_e32 v29, v30, v29
	v_add_f32_e32 v30, v32, v34
	v_sub_f32_e32 v33, v31, v30
	v_pk_add_f32 v[36:37], v[30:31], v[32:33] neg_lo:[0,1] neg_hi:[0,1]
	v_mov_b32_e32 v35, v30
	v_pk_add_f32 v[30:31], v[36:37], v[34:35] neg_lo:[0,1] neg_hi:[0,1]
	v_cmp_eq_f32_e32 vcc, s11, v44
	v_add_f32_e32 v29, v29, v31
	v_add_f32_e32 v29, v30, v29
	;; [unrolled: 1-line block ×3, first 2 shown]
	v_mul_f32_e32 v41, v39, v31
	v_mul_f32_e32 v32, v27, v41
	v_fma_f32 v34, v41, v27, -v32
	v_fmac_f32_e32 v34, v41, v12
	v_add_f32_e32 v30, v32, v34
	v_sub_f32_e32 v12, v33, v31
	v_sub_f32_e32 v33, v31, v30
	v_pk_add_f32 v[36:37], v[30:31], v[32:33] neg_lo:[0,1] neg_hi:[0,1]
	v_mov_b32_e32 v35, v30
	v_add_f32_e32 v12, v29, v12
	v_pk_add_f32 v[30:31], v[36:37], v[34:35] neg_lo:[0,1] neg_hi:[0,1]
	v_add_f32_e32 v27, v40, v41
	v_add_f32_e32 v12, v12, v31
	v_add_f32_e32 v12, v30, v12
	v_add_f32_e32 v12, v33, v12
	v_sub_f32_e32 v29, v27, v40
	v_mul_f32_e32 v12, v39, v12
	v_sub_f32_e32 v29, v41, v29
	v_add_f32_e32 v12, v29, v12
	v_add_f32_e32 v31, v27, v12
	v_cvt_f32_i32_e32 v30, v38
	v_mul_f32_e32 v32, v31, v31
	v_fmamk_f32 v29, v32, 0x3e9b6dac, v139
	v_fmaak_f32 v29, v32, v29, 0x3f2aaada
	v_sub_f32_e32 v27, v31, v27
	v_ldexp_f32 v33, v31, 1
	v_mul_f32_e32 v31, v31, v32
	v_pk_mul_f32 v[34:35], v[30:31], v[28:29]
	v_sub_f32_e32 v12, v12, v27
	v_fma_f32 v32, v30, s13, -v34
	v_fmac_f32_e32 v32, 0xb102e308, v30
	v_pk_add_f32 v[30:31], v[34:35], v[32:33]
	v_ldexp_f32 v12, v12, 1
	v_sub_f32_e32 v27, v31, v33
	v_sub_f32_e32 v27, v35, v27
	v_add_f32_e32 v37, v12, v27
	v_mov_b32_e32 v36, v34
	v_pk_add_f32 v[34:35], v[30:31], v[34:35] neg_lo:[0,1] neg_hi:[0,1]
	v_pk_add_f32 v[38:39], v[30:31], v[36:37]
	v_mov_b32_e32 v33, v30
	v_mov_b32_e32 v35, v39
	v_pk_add_f32 v[40:41], v[32:33], v[34:35] neg_lo:[0,1] neg_hi:[0,1]
	v_pk_add_f32 v[32:33], v[32:33], v[34:35]
	s_or_b64 vcc, s[60:61], vcc
	v_mov_b32_e32 v12, v33
	v_pk_add_f32 v[34:35], v[12:13], v[30:31] neg_lo:[0,1] neg_hi:[0,1]
	v_mov_b32_e32 v32, v39
	v_mov_b32_e32 v27, v34
	v_pk_add_f32 v[42:43], v[38:39], v[26:27] neg_lo:[0,1] neg_hi:[0,1]
	v_mov_b32_e32 v38, v31
	v_mov_b32_e32 v39, v34
	;; [unrolled: 1-line block ×3, first 2 shown]
	v_pk_add_f32 v[32:33], v[32:33], v[38:39] neg_lo:[0,1] neg_hi:[0,1]
	v_mov_b32_e32 v34, v37
	v_mov_b32_e32 v35, v30
	v_pk_add_f32 v[30:31], v[34:35], v[32:33] neg_lo:[0,1] neg_hi:[0,1]
	v_mov_b32_e32 v42, v40
	v_pk_add_f32 v[32:33], v[42:43], v[30:31]
	s_nop 0
	v_mov_b32_e32 v34, v33
	v_pk_add_f32 v[34:35], v[32:33], v[34:35]
	s_nop 0
	v_pk_add_f32 v[36:37], v[12:13], v[34:35]
	v_mov_b32_e32 v31, v34
	v_mov_b32_e32 v33, v36
	v_pk_add_f32 v[38:39], v[32:33], v[40:41] neg_lo:[0,1] neg_hi:[0,1]
	s_nop 0
	v_sub_f32_e32 v12, v32, v38
	v_pk_add_f32 v[30:31], v[30:31], v[38:39] neg_lo:[0,1] neg_hi:[0,1]
	v_sub_f32_e32 v12, v40, v12
	v_add_f32_e32 v12, v30, v12
	v_add_f32_e32 v12, v12, v31
	;; [unrolled: 1-line block ×3, first 2 shown]
	v_cndmask_b32_e32 v145, v12, v44, vcc
.LBB125_81:                             ;   in Loop: Header=BB125_13 Depth=1
	s_or_b64 exec, exec, s[4:5]
	v_cvt_f32_f16_sdwa v12, v13 dst_sel:DWORD dst_unused:UNUSED_PAD src0_sel:WORD_1
	v_readlane_b32 s2, v166, 2
	s_nop 1
	v_add_f32_e32 v146, s2, v12
	v_readlane_b32 s2, v166, 23
	v_cmp_ge_f32_e32 vcc, s6, v146
	v_readlane_b32 s3, v166, 24
	s_and_b64 s[2:3], s[2:3], vcc
	s_and_saveexec_b64 s[4:5], s[2:3]
	s_cbranch_execz .LBB125_83
; %bb.82:                               ;   in Loop: Header=BB125_13 Depth=1
	v_mul_f32_e32 v12, 0x3fb8aa3b, v146
	v_rndne_f32_e32 v13, v12
	v_sub_f32_e32 v27, v12, v13
	v_fma_f32 v12, v146, s8, -v12
	v_fmac_f32_e32 v12, 0x32a5705f, v146
	v_add_f32_e32 v12, v27, v12
	v_cvt_i32_f32_e32 v13, v13
	v_exp_f32_e32 v12, v12
	v_cmp_ngt_f32_e32 vcc, s9, v146
	v_ldexp_f32 v12, v12, v13
	s_nop 0
	v_cndmask_b32_e32 v12, 0, v12, vcc
	v_cmp_nlt_f32_e32 vcc, s10, v146
	s_nop 1
	v_cndmask_b32_e32 v44, v140, v12, vcc
	v_add_f32_e32 v27, 1.0, v44
	v_add_f32_e32 v12, -1.0, v27
	v_sub_f32_e32 v13, v12, v27
	v_add_f32_e32 v13, 1.0, v13
	v_sub_f32_e32 v12, v44, v12
	v_add_f32_e32 v29, v12, v13
	v_frexp_mant_f32_e32 v30, v27
	v_cvt_f64_f32_e32 v[12:13], v27
	v_frexp_exp_i32_f64_e32 v12, v[12:13]
	v_cmp_gt_f32_e32 vcc, s12, v30
	v_cmp_gt_f32_e64 s[60:61], s14, v44
	s_nop 0
	v_subbrev_co_u32_e32 v36, vcc, 0, v12, vcc
	v_sub_u32_e32 v12, 0, v36
	v_ldexp_f32 v13, v27, v12
	v_add_f32_e32 v27, -1.0, v13
	v_add_f32_e32 v30, 1.0, v13
	v_ldexp_f32 v12, v29, v12
	v_add_f32_e32 v29, 1.0, v27
	v_add_f32_e32 v31, -1.0, v30
	v_sub_f32_e32 v29, v13, v29
	v_sub_f32_e32 v13, v13, v31
	v_add_f32_e32 v29, v12, v29
	v_add_f32_e32 v12, v12, v13
	;; [unrolled: 1-line block ×3, first 2 shown]
	v_rcp_f32_e32 v39, v37
	v_sub_f32_e32 v13, v30, v37
	v_add_f32_e32 v38, v12, v13
	v_add_f32_e32 v13, v27, v29
	v_sub_f32_e32 v12, v27, v13
	v_add_f32_e32 v27, v29, v12
	v_mul_f32_e32 v29, v13, v39
	v_mul_f32_e32 v30, v37, v29
	v_fma_f32 v32, v29, v37, -v30
	v_fmac_f32_e32 v32, v29, v38
	v_add_f32_e32 v12, v30, v32
	v_sub_f32_e32 v31, v13, v12
	v_pk_add_f32 v[34:35], v[12:13], v[30:31] neg_lo:[0,1] neg_hi:[0,1]
	v_mov_b32_e32 v33, v12
	v_pk_add_f32 v[12:13], v[34:35], v[32:33] neg_lo:[0,1] neg_hi:[0,1]
	v_cmp_eq_f32_e32 vcc, s11, v44
	v_add_f32_e32 v13, v27, v13
	v_add_f32_e32 v12, v12, v13
	v_add_f32_e32 v13, v31, v12
	v_mul_f32_e32 v27, v39, v13
	v_mul_f32_e32 v30, v37, v27
	v_fma_f32 v32, v27, v37, -v30
	v_fmac_f32_e32 v32, v27, v38
	v_sub_f32_e32 v31, v31, v13
	v_add_f32_e32 v37, v12, v31
	v_add_f32_e32 v12, v30, v32
	v_sub_f32_e32 v31, v13, v12
	v_pk_add_f32 v[34:35], v[12:13], v[30:31] neg_lo:[0,1] neg_hi:[0,1]
	v_mov_b32_e32 v33, v12
	v_pk_add_f32 v[12:13], v[34:35], v[32:33] neg_lo:[0,1] neg_hi:[0,1]
	s_or_b64 vcc, s[60:61], vcc
	v_add_f32_e32 v13, v37, v13
	v_add_f32_e32 v12, v12, v13
	;; [unrolled: 1-line block ×4, first 2 shown]
	v_sub_f32_e32 v29, v13, v29
	v_mul_f32_e32 v12, v39, v12
	v_sub_f32_e32 v27, v27, v29
	v_add_f32_e32 v27, v27, v12
	v_add_f32_e32 v30, v13, v27
	v_mul_f32_e32 v32, v30, v30
	v_fmamk_f32 v12, v32, 0x3e9b6dac, v139
	v_fmaak_f32 v29, v32, v12, 0x3f2aaada
	v_cvt_f32_i32_e32 v12, v36
	v_sub_f32_e32 v13, v30, v13
	v_sub_f32_e32 v13, v27, v13
	v_ldexp_f32 v27, v13, 1
	v_mul_f32_e32 v13, v30, v32
	v_pk_mul_f32 v[32:33], v[12:13], v[28:29]
	v_ldexp_f32 v31, v30, 1
	v_fma_f32 v30, v12, s13, -v32
	v_fmac_f32_e32 v30, 0xb102e308, v12
	v_pk_add_f32 v[12:13], v[32:33], v[30:31]
	v_mov_b32_e32 v34, v32
	v_sub_f32_e32 v29, v13, v31
	v_sub_f32_e32 v29, v33, v29
	v_add_f32_e32 v35, v27, v29
	v_pk_add_f32 v[32:33], v[12:13], v[32:33] neg_lo:[0,1] neg_hi:[0,1]
	v_pk_add_f32 v[36:37], v[12:13], v[34:35]
	v_mov_b32_e32 v31, v12
	v_mov_b32_e32 v33, v37
	v_pk_add_f32 v[38:39], v[30:31], v[32:33] neg_lo:[0,1] neg_hi:[0,1]
	v_pk_add_f32 v[30:31], v[30:31], v[32:33]
	v_mov_b32_e32 v34, v35
	v_mov_b32_e32 v32, v31
	v_pk_add_f32 v[40:41], v[32:33], v[12:13] neg_lo:[0,1] neg_hi:[0,1]
	v_mov_b32_e32 v30, v37
	v_mov_b32_e32 v27, v40
	v_pk_add_f32 v[42:43], v[36:37], v[26:27] neg_lo:[0,1] neg_hi:[0,1]
	v_mov_b32_e32 v36, v13
	v_mov_b32_e32 v37, v40
	;; [unrolled: 1-line block ×3, first 2 shown]
	v_pk_add_f32 v[30:31], v[30:31], v[36:37] neg_lo:[0,1] neg_hi:[0,1]
	v_mov_b32_e32 v35, v12
	v_pk_add_f32 v[12:13], v[34:35], v[30:31] neg_lo:[0,1] neg_hi:[0,1]
	v_mov_b32_e32 v42, v38
	v_pk_add_f32 v[30:31], v[42:43], v[12:13]
	s_nop 0
	v_mov_b32_e32 v34, v31
	v_pk_add_f32 v[34:35], v[30:31], v[34:35]
	s_nop 0
	v_pk_add_f32 v[32:33], v[32:33], v[34:35]
	v_mov_b32_e32 v13, v34
	v_mov_b32_e32 v31, v32
	v_pk_add_f32 v[36:37], v[30:31], v[38:39] neg_lo:[0,1] neg_hi:[0,1]
	s_nop 0
	v_sub_f32_e32 v27, v30, v36
	v_pk_add_f32 v[12:13], v[12:13], v[36:37] neg_lo:[0,1] neg_hi:[0,1]
	v_sub_f32_e32 v27, v38, v27
	v_add_f32_e32 v12, v12, v27
	v_add_f32_e32 v12, v12, v13
	;; [unrolled: 1-line block ×3, first 2 shown]
	v_cndmask_b32_e32 v146, v12, v44, vcc
.LBB125_83:                             ;   in Loop: Header=BB125_13 Depth=1
	s_or_b64 exec, exec, s[4:5]
	v_cvt_f32_f16_e32 v12, v14
	v_readlane_b32 s2, v166, 2
	s_nop 1
	v_add_f32_e32 v147, s2, v12
	v_readlane_b32 s2, v166, 23
	v_cmp_ge_f32_e32 vcc, s6, v147
	v_readlane_b32 s3, v166, 24
	s_and_b64 s[2:3], s[2:3], vcc
	s_and_saveexec_b64 s[4:5], s[2:3]
	s_cbranch_execz .LBB125_85
; %bb.84:                               ;   in Loop: Header=BB125_13 Depth=1
	v_mul_f32_e32 v12, 0x3fb8aa3b, v147
	v_rndne_f32_e32 v13, v12
	v_sub_f32_e32 v27, v12, v13
	v_fma_f32 v12, v147, s8, -v12
	v_fmac_f32_e32 v12, 0x32a5705f, v147
	v_add_f32_e32 v12, v27, v12
	v_cvt_i32_f32_e32 v13, v13
	v_exp_f32_e32 v12, v12
	v_cmp_ngt_f32_e32 vcc, s9, v147
	v_ldexp_f32 v12, v12, v13
	s_nop 0
	v_cndmask_b32_e32 v12, 0, v12, vcc
	v_cmp_nlt_f32_e32 vcc, s10, v147
	s_nop 1
	v_cndmask_b32_e32 v44, v140, v12, vcc
	v_add_f32_e32 v27, 1.0, v44
	v_add_f32_e32 v12, -1.0, v27
	v_sub_f32_e32 v13, v12, v27
	v_add_f32_e32 v13, 1.0, v13
	v_sub_f32_e32 v12, v44, v12
	v_add_f32_e32 v29, v12, v13
	v_frexp_mant_f32_e32 v30, v27
	v_cvt_f64_f32_e32 v[12:13], v27
	v_frexp_exp_i32_f64_e32 v12, v[12:13]
	v_cmp_gt_f32_e32 vcc, s12, v30
	v_cmp_gt_f32_e64 s[60:61], s14, v44
	s_nop 0
	v_subbrev_co_u32_e32 v36, vcc, 0, v12, vcc
	v_sub_u32_e32 v12, 0, v36
	v_ldexp_f32 v13, v27, v12
	v_add_f32_e32 v27, -1.0, v13
	v_add_f32_e32 v30, 1.0, v13
	v_ldexp_f32 v12, v29, v12
	v_add_f32_e32 v29, 1.0, v27
	v_add_f32_e32 v31, -1.0, v30
	v_sub_f32_e32 v29, v13, v29
	v_sub_f32_e32 v13, v13, v31
	v_add_f32_e32 v29, v12, v29
	v_add_f32_e32 v12, v12, v13
	;; [unrolled: 1-line block ×3, first 2 shown]
	v_rcp_f32_e32 v39, v37
	v_sub_f32_e32 v13, v30, v37
	v_add_f32_e32 v38, v12, v13
	v_add_f32_e32 v13, v27, v29
	v_sub_f32_e32 v12, v27, v13
	v_add_f32_e32 v27, v29, v12
	v_mul_f32_e32 v29, v13, v39
	v_mul_f32_e32 v30, v37, v29
	v_fma_f32 v32, v29, v37, -v30
	v_fmac_f32_e32 v32, v29, v38
	v_add_f32_e32 v12, v30, v32
	v_sub_f32_e32 v31, v13, v12
	v_pk_add_f32 v[34:35], v[12:13], v[30:31] neg_lo:[0,1] neg_hi:[0,1]
	v_mov_b32_e32 v33, v12
	v_pk_add_f32 v[12:13], v[34:35], v[32:33] neg_lo:[0,1] neg_hi:[0,1]
	v_cmp_eq_f32_e32 vcc, s11, v44
	v_add_f32_e32 v13, v27, v13
	v_add_f32_e32 v12, v12, v13
	;; [unrolled: 1-line block ×3, first 2 shown]
	v_mul_f32_e32 v27, v39, v13
	v_mul_f32_e32 v30, v37, v27
	v_fma_f32 v32, v27, v37, -v30
	v_fmac_f32_e32 v32, v27, v38
	v_sub_f32_e32 v31, v31, v13
	v_add_f32_e32 v37, v12, v31
	v_add_f32_e32 v12, v30, v32
	v_sub_f32_e32 v31, v13, v12
	v_pk_add_f32 v[34:35], v[12:13], v[30:31] neg_lo:[0,1] neg_hi:[0,1]
	v_mov_b32_e32 v33, v12
	v_pk_add_f32 v[12:13], v[34:35], v[32:33] neg_lo:[0,1] neg_hi:[0,1]
	s_or_b64 vcc, s[60:61], vcc
	v_add_f32_e32 v13, v37, v13
	v_add_f32_e32 v12, v12, v13
	;; [unrolled: 1-line block ×4, first 2 shown]
	v_sub_f32_e32 v29, v13, v29
	v_mul_f32_e32 v12, v39, v12
	v_sub_f32_e32 v27, v27, v29
	v_add_f32_e32 v27, v27, v12
	v_add_f32_e32 v30, v13, v27
	v_mul_f32_e32 v32, v30, v30
	v_fmamk_f32 v12, v32, 0x3e9b6dac, v139
	v_fmaak_f32 v29, v32, v12, 0x3f2aaada
	v_cvt_f32_i32_e32 v12, v36
	v_sub_f32_e32 v13, v30, v13
	v_sub_f32_e32 v13, v27, v13
	v_ldexp_f32 v27, v13, 1
	v_mul_f32_e32 v13, v30, v32
	v_pk_mul_f32 v[32:33], v[12:13], v[28:29]
	v_ldexp_f32 v31, v30, 1
	v_fma_f32 v30, v12, s13, -v32
	v_fmac_f32_e32 v30, 0xb102e308, v12
	v_pk_add_f32 v[12:13], v[32:33], v[30:31]
	v_mov_b32_e32 v34, v32
	v_sub_f32_e32 v29, v13, v31
	v_sub_f32_e32 v29, v33, v29
	v_add_f32_e32 v35, v27, v29
	v_pk_add_f32 v[32:33], v[12:13], v[32:33] neg_lo:[0,1] neg_hi:[0,1]
	v_pk_add_f32 v[36:37], v[12:13], v[34:35]
	v_mov_b32_e32 v31, v12
	v_mov_b32_e32 v33, v37
	v_pk_add_f32 v[38:39], v[30:31], v[32:33] neg_lo:[0,1] neg_hi:[0,1]
	v_pk_add_f32 v[30:31], v[30:31], v[32:33]
	v_mov_b32_e32 v34, v35
	v_mov_b32_e32 v32, v31
	v_pk_add_f32 v[40:41], v[32:33], v[12:13] neg_lo:[0,1] neg_hi:[0,1]
	v_mov_b32_e32 v30, v37
	v_mov_b32_e32 v27, v40
	v_pk_add_f32 v[42:43], v[36:37], v[26:27] neg_lo:[0,1] neg_hi:[0,1]
	v_mov_b32_e32 v36, v13
	v_mov_b32_e32 v37, v40
	;; [unrolled: 1-line block ×3, first 2 shown]
	v_pk_add_f32 v[30:31], v[30:31], v[36:37] neg_lo:[0,1] neg_hi:[0,1]
	v_mov_b32_e32 v35, v12
	v_pk_add_f32 v[12:13], v[34:35], v[30:31] neg_lo:[0,1] neg_hi:[0,1]
	v_mov_b32_e32 v42, v38
	v_pk_add_f32 v[30:31], v[42:43], v[12:13]
	s_nop 0
	v_mov_b32_e32 v34, v31
	v_pk_add_f32 v[34:35], v[30:31], v[34:35]
	s_nop 0
	v_pk_add_f32 v[32:33], v[32:33], v[34:35]
	v_mov_b32_e32 v13, v34
	v_mov_b32_e32 v31, v32
	v_pk_add_f32 v[36:37], v[30:31], v[38:39] neg_lo:[0,1] neg_hi:[0,1]
	s_nop 0
	v_sub_f32_e32 v27, v30, v36
	v_pk_add_f32 v[12:13], v[12:13], v[36:37] neg_lo:[0,1] neg_hi:[0,1]
	v_sub_f32_e32 v27, v38, v27
	v_add_f32_e32 v12, v12, v27
	v_add_f32_e32 v12, v12, v13
	;; [unrolled: 1-line block ×3, first 2 shown]
	v_cndmask_b32_e32 v147, v12, v44, vcc
.LBB125_85:                             ;   in Loop: Header=BB125_13 Depth=1
	s_or_b64 exec, exec, s[4:5]
	v_cvt_f32_f16_sdwa v12, v14 dst_sel:DWORD dst_unused:UNUSED_PAD src0_sel:WORD_1
	v_readlane_b32 s2, v166, 2
	s_nop 1
	v_add_f32_e32 v148, s2, v12
	v_readlane_b32 s2, v166, 23
	v_cmp_ge_f32_e32 vcc, s6, v148
	v_readlane_b32 s3, v166, 24
	s_and_b64 s[2:3], s[2:3], vcc
	s_and_saveexec_b64 s[4:5], s[2:3]
	s_cbranch_execz .LBB125_87
; %bb.86:                               ;   in Loop: Header=BB125_13 Depth=1
	v_mul_f32_e32 v12, 0x3fb8aa3b, v148
	v_rndne_f32_e32 v13, v12
	v_sub_f32_e32 v14, v12, v13
	v_fma_f32 v12, v148, s8, -v12
	v_fmac_f32_e32 v12, 0x32a5705f, v148
	v_add_f32_e32 v12, v14, v12
	v_cvt_i32_f32_e32 v13, v13
	v_exp_f32_e32 v12, v12
	v_cmp_ngt_f32_e32 vcc, s9, v148
	v_ldexp_f32 v12, v12, v13
	s_nop 0
	v_cndmask_b32_e32 v12, 0, v12, vcc
	v_cmp_nlt_f32_e32 vcc, s10, v148
	s_nop 1
	v_cndmask_b32_e32 v42, v140, v12, vcc
	v_add_f32_e32 v14, 1.0, v42
	v_add_f32_e32 v12, -1.0, v14
	v_sub_f32_e32 v13, v12, v14
	v_add_f32_e32 v13, 1.0, v13
	v_sub_f32_e32 v12, v42, v12
	v_add_f32_e32 v27, v12, v13
	v_frexp_mant_f32_e32 v29, v14
	v_cvt_f64_f32_e32 v[12:13], v14
	v_frexp_exp_i32_f64_e32 v12, v[12:13]
	v_cmp_gt_f32_e32 vcc, s12, v29
	v_cmp_gt_f32_e64 s[60:61], s14, v42
	s_nop 0
	v_subbrev_co_u32_e32 v36, vcc, 0, v12, vcc
	v_sub_u32_e32 v12, 0, v36
	v_ldexp_f32 v13, v14, v12
	v_add_f32_e32 v14, -1.0, v13
	v_add_f32_e32 v29, 1.0, v13
	v_ldexp_f32 v12, v27, v12
	v_add_f32_e32 v27, 1.0, v14
	v_add_f32_e32 v30, -1.0, v29
	v_sub_f32_e32 v27, v13, v27
	v_sub_f32_e32 v13, v13, v30
	v_add_f32_e32 v27, v12, v27
	v_add_f32_e32 v12, v12, v13
	;; [unrolled: 1-line block ×3, first 2 shown]
	v_rcp_f32_e32 v38, v37
	v_sub_f32_e32 v13, v29, v37
	v_add_f32_e32 v29, v12, v13
	v_add_f32_e32 v13, v14, v27
	v_sub_f32_e32 v12, v14, v13
	v_add_f32_e32 v14, v27, v12
	v_mul_f32_e32 v27, v13, v38
	v_mul_f32_e32 v30, v37, v27
	v_fma_f32 v32, v27, v37, -v30
	v_fmac_f32_e32 v32, v27, v29
	v_add_f32_e32 v12, v30, v32
	v_sub_f32_e32 v31, v13, v12
	v_pk_add_f32 v[34:35], v[12:13], v[30:31] neg_lo:[0,1] neg_hi:[0,1]
	v_mov_b32_e32 v33, v12
	v_pk_add_f32 v[12:13], v[34:35], v[32:33] neg_lo:[0,1] neg_hi:[0,1]
	v_cmp_eq_f32_e32 vcc, s11, v42
	v_add_f32_e32 v13, v14, v13
	v_add_f32_e32 v12, v12, v13
	;; [unrolled: 1-line block ×3, first 2 shown]
	v_mul_f32_e32 v14, v38, v13
	v_mul_f32_e32 v30, v37, v14
	v_fma_f32 v32, v14, v37, -v30
	v_fmac_f32_e32 v32, v14, v29
	v_sub_f32_e32 v29, v31, v13
	v_add_f32_e32 v29, v12, v29
	v_add_f32_e32 v12, v30, v32
	v_sub_f32_e32 v31, v13, v12
	v_pk_add_f32 v[34:35], v[12:13], v[30:31] neg_lo:[0,1] neg_hi:[0,1]
	v_mov_b32_e32 v33, v12
	v_pk_add_f32 v[12:13], v[34:35], v[32:33] neg_lo:[0,1] neg_hi:[0,1]
	s_or_b64 vcc, s[60:61], vcc
	v_add_f32_e32 v13, v29, v13
	v_add_f32_e32 v12, v12, v13
	;; [unrolled: 1-line block ×4, first 2 shown]
	v_sub_f32_e32 v27, v13, v27
	v_mul_f32_e32 v12, v38, v12
	v_sub_f32_e32 v14, v14, v27
	v_add_f32_e32 v14, v14, v12
	v_add_f32_e32 v27, v13, v14
	v_mul_f32_e32 v30, v27, v27
	v_fmamk_f32 v12, v30, 0x3e9b6dac, v139
	v_fmaak_f32 v29, v30, v12, 0x3f2aaada
	v_cvt_f32_i32_e32 v12, v36
	v_sub_f32_e32 v13, v27, v13
	v_sub_f32_e32 v13, v14, v13
	v_ldexp_f32 v14, v13, 1
	v_mul_f32_e32 v13, v27, v30
	v_pk_mul_f32 v[32:33], v[12:13], v[28:29]
	v_ldexp_f32 v31, v27, 1
	v_fma_f32 v30, v12, s13, -v32
	v_fmac_f32_e32 v30, 0xb102e308, v12
	v_pk_add_f32 v[12:13], v[32:33], v[30:31]
	v_mov_b32_e32 v34, v32
	v_sub_f32_e32 v27, v13, v31
	v_sub_f32_e32 v27, v33, v27
	v_add_f32_e32 v35, v14, v27
	v_pk_add_f32 v[32:33], v[12:13], v[32:33] neg_lo:[0,1] neg_hi:[0,1]
	v_pk_add_f32 v[36:37], v[12:13], v[34:35]
	v_mov_b32_e32 v31, v12
	v_mov_b32_e32 v33, v37
	v_pk_add_f32 v[38:39], v[30:31], v[32:33] neg_lo:[0,1] neg_hi:[0,1]
	v_pk_add_f32 v[30:31], v[30:31], v[32:33]
	s_nop 0
	v_mov_b32_e32 v14, v31
	v_pk_add_f32 v[32:33], v[14:15], v[12:13] neg_lo:[0,1] neg_hi:[0,1]
	v_mov_b32_e32 v30, v37
	v_mov_b32_e32 v27, v32
	v_pk_add_f32 v[40:41], v[36:37], v[26:27] neg_lo:[0,1] neg_hi:[0,1]
	v_mov_b32_e32 v36, v13
	v_mov_b32_e32 v37, v32
	;; [unrolled: 1-line block ×3, first 2 shown]
	v_pk_add_f32 v[30:31], v[30:31], v[36:37] neg_lo:[0,1] neg_hi:[0,1]
	v_mov_b32_e32 v32, v35
	v_mov_b32_e32 v33, v12
	v_pk_add_f32 v[12:13], v[32:33], v[30:31] neg_lo:[0,1] neg_hi:[0,1]
	v_mov_b32_e32 v40, v38
	v_pk_add_f32 v[30:31], v[40:41], v[12:13]
	s_nop 0
	v_mov_b32_e32 v32, v31
	v_pk_add_f32 v[32:33], v[30:31], v[32:33]
	s_nop 0
	v_pk_add_f32 v[34:35], v[14:15], v[32:33]
	v_mov_b32_e32 v13, v32
	v_mov_b32_e32 v31, v34
	v_pk_add_f32 v[36:37], v[30:31], v[38:39] neg_lo:[0,1] neg_hi:[0,1]
	s_nop 0
	v_sub_f32_e32 v14, v30, v36
	v_pk_add_f32 v[12:13], v[12:13], v[36:37] neg_lo:[0,1] neg_hi:[0,1]
	v_sub_f32_e32 v14, v38, v14
	v_add_f32_e32 v12, v12, v14
	v_add_f32_e32 v12, v12, v13
	;; [unrolled: 1-line block ×3, first 2 shown]
	v_cndmask_b32_e32 v148, v12, v42, vcc
.LBB125_87:                             ;   in Loop: Header=BB125_13 Depth=1
	s_or_b64 exec, exec, s[4:5]
	v_cvt_f32_f16_e32 v12, v15
	v_readlane_b32 s2, v166, 2
	s_nop 1
	v_add_f32_e32 v149, s2, v12
	v_readlane_b32 s2, v166, 23
	v_cmp_ge_f32_e32 vcc, s6, v149
	v_readlane_b32 s3, v166, 24
	s_and_b64 s[2:3], s[2:3], vcc
	s_and_saveexec_b64 s[4:5], s[2:3]
	s_cbranch_execz .LBB125_89
; %bb.88:                               ;   in Loop: Header=BB125_13 Depth=1
	v_mul_f32_e32 v12, 0x3fb8aa3b, v149
	v_rndne_f32_e32 v13, v12
	v_sub_f32_e32 v14, v12, v13
	v_fma_f32 v12, v149, s8, -v12
	v_fmac_f32_e32 v12, 0x32a5705f, v149
	v_add_f32_e32 v12, v14, v12
	v_cvt_i32_f32_e32 v13, v13
	v_exp_f32_e32 v12, v12
	v_cmp_ngt_f32_e32 vcc, s9, v149
	v_ldexp_f32 v12, v12, v13
	s_nop 0
	v_cndmask_b32_e32 v12, 0, v12, vcc
	v_cmp_nlt_f32_e32 vcc, s10, v149
	s_nop 1
	v_cndmask_b32_e32 v42, v140, v12, vcc
	v_add_f32_e32 v14, 1.0, v42
	v_add_f32_e32 v12, -1.0, v14
	v_sub_f32_e32 v13, v12, v14
	v_add_f32_e32 v13, 1.0, v13
	v_sub_f32_e32 v12, v42, v12
	v_add_f32_e32 v27, v12, v13
	v_frexp_mant_f32_e32 v29, v14
	v_cvt_f64_f32_e32 v[12:13], v14
	v_frexp_exp_i32_f64_e32 v12, v[12:13]
	v_cmp_gt_f32_e32 vcc, s12, v29
	v_cmp_gt_f32_e64 s[60:61], s14, v42
	s_nop 0
	v_subbrev_co_u32_e32 v36, vcc, 0, v12, vcc
	v_sub_u32_e32 v12, 0, v36
	v_ldexp_f32 v13, v14, v12
	v_add_f32_e32 v14, -1.0, v13
	v_add_f32_e32 v29, 1.0, v13
	v_ldexp_f32 v12, v27, v12
	v_add_f32_e32 v27, 1.0, v14
	v_add_f32_e32 v30, -1.0, v29
	v_sub_f32_e32 v27, v13, v27
	v_sub_f32_e32 v13, v13, v30
	v_add_f32_e32 v27, v12, v27
	v_add_f32_e32 v12, v12, v13
	;; [unrolled: 1-line block ×3, first 2 shown]
	v_rcp_f32_e32 v38, v37
	v_sub_f32_e32 v13, v29, v37
	v_add_f32_e32 v29, v12, v13
	v_add_f32_e32 v13, v14, v27
	v_sub_f32_e32 v12, v14, v13
	v_add_f32_e32 v14, v27, v12
	v_mul_f32_e32 v27, v13, v38
	v_mul_f32_e32 v30, v37, v27
	v_fma_f32 v32, v27, v37, -v30
	v_fmac_f32_e32 v32, v27, v29
	v_add_f32_e32 v12, v30, v32
	v_sub_f32_e32 v31, v13, v12
	v_pk_add_f32 v[34:35], v[12:13], v[30:31] neg_lo:[0,1] neg_hi:[0,1]
	v_mov_b32_e32 v33, v12
	v_pk_add_f32 v[12:13], v[34:35], v[32:33] neg_lo:[0,1] neg_hi:[0,1]
	v_cmp_eq_f32_e32 vcc, s11, v42
	v_add_f32_e32 v13, v14, v13
	v_add_f32_e32 v12, v12, v13
	;; [unrolled: 1-line block ×3, first 2 shown]
	v_mul_f32_e32 v14, v38, v13
	v_mul_f32_e32 v30, v37, v14
	v_fma_f32 v32, v14, v37, -v30
	v_fmac_f32_e32 v32, v14, v29
	v_sub_f32_e32 v29, v31, v13
	v_add_f32_e32 v29, v12, v29
	v_add_f32_e32 v12, v30, v32
	v_sub_f32_e32 v31, v13, v12
	v_pk_add_f32 v[34:35], v[12:13], v[30:31] neg_lo:[0,1] neg_hi:[0,1]
	v_mov_b32_e32 v33, v12
	v_pk_add_f32 v[12:13], v[34:35], v[32:33] neg_lo:[0,1] neg_hi:[0,1]
	s_or_b64 vcc, s[60:61], vcc
	v_add_f32_e32 v13, v29, v13
	v_add_f32_e32 v12, v12, v13
	;; [unrolled: 1-line block ×4, first 2 shown]
	v_sub_f32_e32 v27, v13, v27
	v_mul_f32_e32 v12, v38, v12
	v_sub_f32_e32 v14, v14, v27
	v_add_f32_e32 v14, v14, v12
	v_add_f32_e32 v27, v13, v14
	v_mul_f32_e32 v30, v27, v27
	v_fmamk_f32 v12, v30, 0x3e9b6dac, v139
	v_fmaak_f32 v29, v30, v12, 0x3f2aaada
	v_cvt_f32_i32_e32 v12, v36
	v_sub_f32_e32 v13, v27, v13
	v_sub_f32_e32 v13, v14, v13
	v_ldexp_f32 v14, v13, 1
	v_mul_f32_e32 v13, v27, v30
	v_pk_mul_f32 v[32:33], v[12:13], v[28:29]
	v_ldexp_f32 v31, v27, 1
	v_fma_f32 v30, v12, s13, -v32
	v_fmac_f32_e32 v30, 0xb102e308, v12
	v_pk_add_f32 v[12:13], v[32:33], v[30:31]
	v_mov_b32_e32 v34, v32
	v_sub_f32_e32 v27, v13, v31
	v_sub_f32_e32 v27, v33, v27
	v_add_f32_e32 v35, v14, v27
	v_pk_add_f32 v[32:33], v[12:13], v[32:33] neg_lo:[0,1] neg_hi:[0,1]
	v_pk_add_f32 v[36:37], v[12:13], v[34:35]
	v_mov_b32_e32 v31, v12
	v_mov_b32_e32 v33, v37
	v_pk_add_f32 v[38:39], v[30:31], v[32:33] neg_lo:[0,1] neg_hi:[0,1]
	v_pk_add_f32 v[30:31], v[30:31], v[32:33]
	s_nop 0
	v_mov_b32_e32 v14, v31
	v_pk_add_f32 v[32:33], v[14:15], v[12:13] neg_lo:[0,1] neg_hi:[0,1]
	v_mov_b32_e32 v30, v37
	v_mov_b32_e32 v27, v32
	v_pk_add_f32 v[40:41], v[36:37], v[26:27] neg_lo:[0,1] neg_hi:[0,1]
	v_mov_b32_e32 v36, v13
	v_mov_b32_e32 v37, v32
	;; [unrolled: 1-line block ×3, first 2 shown]
	v_pk_add_f32 v[30:31], v[30:31], v[36:37] neg_lo:[0,1] neg_hi:[0,1]
	v_mov_b32_e32 v32, v35
	v_mov_b32_e32 v33, v12
	v_pk_add_f32 v[12:13], v[32:33], v[30:31] neg_lo:[0,1] neg_hi:[0,1]
	v_mov_b32_e32 v40, v38
	v_pk_add_f32 v[30:31], v[40:41], v[12:13]
	s_nop 0
	v_mov_b32_e32 v32, v31
	v_pk_add_f32 v[32:33], v[30:31], v[32:33]
	s_nop 0
	v_pk_add_f32 v[34:35], v[14:15], v[32:33]
	v_mov_b32_e32 v13, v32
	v_mov_b32_e32 v31, v34
	v_pk_add_f32 v[36:37], v[30:31], v[38:39] neg_lo:[0,1] neg_hi:[0,1]
	s_nop 0
	v_sub_f32_e32 v14, v30, v36
	v_pk_add_f32 v[12:13], v[12:13], v[36:37] neg_lo:[0,1] neg_hi:[0,1]
	v_sub_f32_e32 v14, v38, v14
	v_add_f32_e32 v12, v12, v14
	v_add_f32_e32 v12, v12, v13
	;; [unrolled: 1-line block ×3, first 2 shown]
	v_cndmask_b32_e32 v149, v12, v42, vcc
.LBB125_89:                             ;   in Loop: Header=BB125_13 Depth=1
	s_or_b64 exec, exec, s[4:5]
	v_cvt_f32_f16_sdwa v12, v15 dst_sel:DWORD dst_unused:UNUSED_PAD src0_sel:WORD_1
	v_readlane_b32 s2, v166, 2
	s_nop 1
	v_add_f32_e32 v150, s2, v12
	v_readlane_b32 s2, v166, 23
	v_cmp_ge_f32_e32 vcc, s6, v150
	v_readlane_b32 s3, v166, 24
	s_and_b64 s[2:3], s[2:3], vcc
	s_and_saveexec_b64 s[4:5], s[2:3]
	s_cbranch_execz .LBB125_91
; %bb.90:                               ;   in Loop: Header=BB125_13 Depth=1
	v_mul_f32_e32 v12, 0x3fb8aa3b, v150
	v_rndne_f32_e32 v13, v12
	v_sub_f32_e32 v14, v12, v13
	v_fma_f32 v12, v150, s8, -v12
	v_fmac_f32_e32 v12, 0x32a5705f, v150
	v_add_f32_e32 v12, v14, v12
	v_cvt_i32_f32_e32 v13, v13
	v_exp_f32_e32 v12, v12
	v_cmp_ngt_f32_e32 vcc, s9, v150
	v_ldexp_f32 v12, v12, v13
	s_nop 0
	v_cndmask_b32_e32 v12, 0, v12, vcc
	v_cmp_nlt_f32_e32 vcc, s10, v150
	s_nop 1
	v_cndmask_b32_e32 v42, v140, v12, vcc
	v_add_f32_e32 v14, 1.0, v42
	v_add_f32_e32 v12, -1.0, v14
	v_sub_f32_e32 v13, v12, v14
	v_add_f32_e32 v13, 1.0, v13
	v_sub_f32_e32 v12, v42, v12
	v_add_f32_e32 v15, v12, v13
	v_frexp_mant_f32_e32 v27, v14
	v_cvt_f64_f32_e32 v[12:13], v14
	v_frexp_exp_i32_f64_e32 v12, v[12:13]
	v_cmp_gt_f32_e32 vcc, s12, v27
	v_cmp_gt_f32_e64 s[60:61], s14, v42
	s_nop 0
	v_subbrev_co_u32_e32 v27, vcc, 0, v12, vcc
	v_sub_u32_e32 v12, 0, v27
	v_ldexp_f32 v13, v14, v12
	v_add_f32_e32 v14, -1.0, v13
	v_add_f32_e32 v29, 1.0, v13
	v_ldexp_f32 v12, v15, v12
	v_add_f32_e32 v15, 1.0, v14
	v_add_f32_e32 v30, -1.0, v29
	v_sub_f32_e32 v15, v13, v15
	v_sub_f32_e32 v13, v13, v30
	v_add_f32_e32 v15, v12, v15
	v_add_f32_e32 v12, v12, v13
	;; [unrolled: 1-line block ×3, first 2 shown]
	v_rcp_f32_e32 v35, v34
	v_sub_f32_e32 v13, v29, v34
	v_add_f32_e32 v29, v12, v13
	v_add_f32_e32 v13, v14, v15
	v_mul_f32_e32 v37, v13, v35
	v_sub_f32_e32 v12, v14, v13
	v_mul_f32_e32 v14, v34, v37
	v_fma_f32 v30, v37, v34, -v14
	v_fmac_f32_e32 v30, v37, v29
	v_add_f32_e32 v36, v15, v12
	v_add_f32_e32 v12, v14, v30
	v_sub_f32_e32 v15, v13, v12
	v_pk_add_f32 v[32:33], v[12:13], v[14:15] neg_lo:[0,1] neg_hi:[0,1]
	v_mov_b32_e32 v31, v12
	v_pk_add_f32 v[12:13], v[32:33], v[30:31] neg_lo:[0,1] neg_hi:[0,1]
	v_cmp_eq_f32_e32 vcc, s11, v42
	v_add_f32_e32 v13, v36, v13
	v_add_f32_e32 v12, v12, v13
	;; [unrolled: 1-line block ×3, first 2 shown]
	v_mul_f32_e32 v36, v35, v13
	v_mul_f32_e32 v14, v34, v36
	v_fma_f32 v30, v36, v34, -v14
	v_fmac_f32_e32 v30, v36, v29
	v_sub_f32_e32 v15, v15, v13
	v_add_f32_e32 v29, v12, v15
	v_add_f32_e32 v12, v14, v30
	v_sub_f32_e32 v15, v13, v12
	v_pk_add_f32 v[32:33], v[12:13], v[14:15] neg_lo:[0,1] neg_hi:[0,1]
	v_mov_b32_e32 v31, v12
	v_pk_add_f32 v[12:13], v[32:33], v[30:31] neg_lo:[0,1] neg_hi:[0,1]
	s_or_b64 vcc, s[60:61], vcc
	v_add_f32_e32 v13, v29, v13
	v_add_f32_e32 v12, v12, v13
	;; [unrolled: 1-line block ×4, first 2 shown]
	v_sub_f32_e32 v14, v13, v37
	v_mul_f32_e32 v12, v35, v12
	v_sub_f32_e32 v14, v36, v14
	v_add_f32_e32 v14, v14, v12
	v_add_f32_e32 v30, v13, v14
	v_mul_f32_e32 v31, v30, v30
	v_fmamk_f32 v12, v31, 0x3e9b6dac, v139
	v_fmaak_f32 v29, v31, v12, 0x3f2aaada
	v_cvt_f32_i32_e32 v12, v27
	v_sub_f32_e32 v13, v30, v13
	v_sub_f32_e32 v13, v14, v13
	v_ldexp_f32 v27, v13, 1
	v_mul_f32_e32 v13, v30, v31
	v_ldexp_f32 v15, v30, 1
	v_pk_mul_f32 v[30:31], v[12:13], v[28:29]
	s_nop 0
	v_fma_f32 v14, v12, s13, -v30
	v_fmac_f32_e32 v14, 0xb102e308, v12
	v_pk_add_f32 v[12:13], v[30:31], v[14:15]
	v_mov_b32_e32 v32, v30
	v_sub_f32_e32 v15, v13, v15
	v_sub_f32_e32 v15, v31, v15
	v_add_f32_e32 v33, v27, v15
	v_pk_add_f32 v[30:31], v[12:13], v[30:31] neg_lo:[0,1] neg_hi:[0,1]
	v_pk_add_f32 v[34:35], v[12:13], v[32:33]
	v_mov_b32_e32 v15, v12
	v_mov_b32_e32 v31, v35
	v_pk_add_f32 v[36:37], v[14:15], v[30:31] neg_lo:[0,1] neg_hi:[0,1]
	v_pk_add_f32 v[14:15], v[14:15], v[30:31]
	v_mov_b32_e32 v32, v33
	v_mov_b32_e32 v30, v15
	v_pk_add_f32 v[38:39], v[30:31], v[12:13] neg_lo:[0,1] neg_hi:[0,1]
	v_mov_b32_e32 v14, v35
	v_mov_b32_e32 v27, v38
	v_pk_add_f32 v[40:41], v[34:35], v[26:27] neg_lo:[0,1] neg_hi:[0,1]
	v_mov_b32_e32 v34, v13
	v_mov_b32_e32 v35, v38
	;; [unrolled: 1-line block ×3, first 2 shown]
	v_pk_add_f32 v[14:15], v[14:15], v[34:35] neg_lo:[0,1] neg_hi:[0,1]
	v_mov_b32_e32 v33, v12
	v_pk_add_f32 v[12:13], v[32:33], v[14:15] neg_lo:[0,1] neg_hi:[0,1]
	v_mov_b32_e32 v40, v36
	v_pk_add_f32 v[14:15], v[40:41], v[12:13]
	s_nop 0
	v_mov_b32_e32 v32, v15
	v_pk_add_f32 v[32:33], v[14:15], v[32:33]
	s_nop 0
	v_pk_add_f32 v[30:31], v[30:31], v[32:33]
	v_mov_b32_e32 v13, v32
	v_mov_b32_e32 v15, v30
	v_pk_add_f32 v[34:35], v[14:15], v[36:37] neg_lo:[0,1] neg_hi:[0,1]
	s_nop 0
	v_sub_f32_e32 v14, v14, v34
	v_pk_add_f32 v[12:13], v[12:13], v[34:35] neg_lo:[0,1] neg_hi:[0,1]
	v_sub_f32_e32 v14, v36, v14
	v_add_f32_e32 v12, v12, v14
	v_add_f32_e32 v12, v12, v13
	;; [unrolled: 1-line block ×3, first 2 shown]
	v_cndmask_b32_e32 v150, v12, v42, vcc
.LBB125_91:                             ;   in Loop: Header=BB125_13 Depth=1
	s_or_b64 exec, exec, s[4:5]
	s_waitcnt lgkmcnt(0)
	v_cvt_f32_f16_e32 v12, v8
	v_readlane_b32 s2, v166, 2
	s_nop 1
	v_add_f32_e32 v151, s2, v12
	v_readlane_b32 s2, v166, 23
	v_cmp_ge_f32_e32 vcc, s6, v151
	v_readlane_b32 s3, v166, 24
	s_and_b64 s[2:3], s[2:3], vcc
	s_and_saveexec_b64 s[4:5], s[2:3]
	s_cbranch_execz .LBB125_93
; %bb.92:                               ;   in Loop: Header=BB125_13 Depth=1
	v_mul_f32_e32 v12, 0x3fb8aa3b, v151
	v_rndne_f32_e32 v13, v12
	v_sub_f32_e32 v14, v12, v13
	v_fma_f32 v12, v151, s8, -v12
	v_fmac_f32_e32 v12, 0x32a5705f, v151
	v_add_f32_e32 v12, v14, v12
	v_cvt_i32_f32_e32 v13, v13
	v_exp_f32_e32 v12, v12
	v_cmp_ngt_f32_e32 vcc, s9, v151
	v_ldexp_f32 v12, v12, v13
	s_nop 0
	v_cndmask_b32_e32 v12, 0, v12, vcc
	v_cmp_nlt_f32_e32 vcc, s10, v151
	s_nop 1
	v_cndmask_b32_e32 v42, v140, v12, vcc
	v_add_f32_e32 v14, 1.0, v42
	v_add_f32_e32 v12, -1.0, v14
	v_sub_f32_e32 v13, v12, v14
	v_add_f32_e32 v13, 1.0, v13
	v_sub_f32_e32 v12, v42, v12
	v_add_f32_e32 v15, v12, v13
	v_frexp_mant_f32_e32 v27, v14
	v_cvt_f64_f32_e32 v[12:13], v14
	v_frexp_exp_i32_f64_e32 v12, v[12:13]
	v_cmp_gt_f32_e32 vcc, s12, v27
	v_cmp_gt_f32_e64 s[60:61], s14, v42
	s_nop 0
	v_subbrev_co_u32_e32 v27, vcc, 0, v12, vcc
	v_sub_u32_e32 v12, 0, v27
	v_ldexp_f32 v13, v14, v12
	v_add_f32_e32 v14, -1.0, v13
	v_add_f32_e32 v29, 1.0, v13
	v_ldexp_f32 v12, v15, v12
	v_add_f32_e32 v15, 1.0, v14
	v_add_f32_e32 v30, -1.0, v29
	v_sub_f32_e32 v15, v13, v15
	v_sub_f32_e32 v13, v13, v30
	v_add_f32_e32 v15, v12, v15
	v_add_f32_e32 v12, v12, v13
	;; [unrolled: 1-line block ×3, first 2 shown]
	v_rcp_f32_e32 v35, v34
	v_sub_f32_e32 v13, v29, v34
	v_add_f32_e32 v29, v12, v13
	v_add_f32_e32 v13, v14, v15
	v_mul_f32_e32 v37, v13, v35
	v_sub_f32_e32 v12, v14, v13
	v_mul_f32_e32 v14, v34, v37
	v_fma_f32 v30, v37, v34, -v14
	v_fmac_f32_e32 v30, v37, v29
	v_add_f32_e32 v36, v15, v12
	v_add_f32_e32 v12, v14, v30
	v_sub_f32_e32 v15, v13, v12
	v_pk_add_f32 v[32:33], v[12:13], v[14:15] neg_lo:[0,1] neg_hi:[0,1]
	v_mov_b32_e32 v31, v12
	v_pk_add_f32 v[12:13], v[32:33], v[30:31] neg_lo:[0,1] neg_hi:[0,1]
	v_cmp_eq_f32_e32 vcc, s11, v42
	v_add_f32_e32 v13, v36, v13
	v_add_f32_e32 v12, v12, v13
	;; [unrolled: 1-line block ×3, first 2 shown]
	v_mul_f32_e32 v36, v35, v13
	v_mul_f32_e32 v14, v34, v36
	v_fma_f32 v30, v36, v34, -v14
	v_fmac_f32_e32 v30, v36, v29
	v_sub_f32_e32 v15, v15, v13
	v_add_f32_e32 v29, v12, v15
	v_add_f32_e32 v12, v14, v30
	v_sub_f32_e32 v15, v13, v12
	v_pk_add_f32 v[32:33], v[12:13], v[14:15] neg_lo:[0,1] neg_hi:[0,1]
	v_mov_b32_e32 v31, v12
	v_pk_add_f32 v[12:13], v[32:33], v[30:31] neg_lo:[0,1] neg_hi:[0,1]
	s_or_b64 vcc, s[60:61], vcc
	v_add_f32_e32 v13, v29, v13
	v_add_f32_e32 v12, v12, v13
	;; [unrolled: 1-line block ×4, first 2 shown]
	v_sub_f32_e32 v14, v13, v37
	v_mul_f32_e32 v12, v35, v12
	v_sub_f32_e32 v14, v36, v14
	v_add_f32_e32 v14, v14, v12
	v_add_f32_e32 v30, v13, v14
	v_mul_f32_e32 v31, v30, v30
	v_fmamk_f32 v12, v31, 0x3e9b6dac, v139
	v_fmaak_f32 v29, v31, v12, 0x3f2aaada
	v_cvt_f32_i32_e32 v12, v27
	v_sub_f32_e32 v13, v30, v13
	v_sub_f32_e32 v13, v14, v13
	v_ldexp_f32 v27, v13, 1
	v_mul_f32_e32 v13, v30, v31
	v_ldexp_f32 v15, v30, 1
	v_pk_mul_f32 v[30:31], v[12:13], v[28:29]
	s_nop 0
	v_fma_f32 v14, v12, s13, -v30
	v_fmac_f32_e32 v14, 0xb102e308, v12
	v_pk_add_f32 v[12:13], v[30:31], v[14:15]
	v_mov_b32_e32 v32, v30
	v_sub_f32_e32 v15, v13, v15
	v_sub_f32_e32 v15, v31, v15
	v_add_f32_e32 v33, v27, v15
	v_pk_add_f32 v[30:31], v[12:13], v[30:31] neg_lo:[0,1] neg_hi:[0,1]
	v_pk_add_f32 v[34:35], v[12:13], v[32:33]
	v_mov_b32_e32 v15, v12
	v_mov_b32_e32 v31, v35
	v_pk_add_f32 v[36:37], v[14:15], v[30:31] neg_lo:[0,1] neg_hi:[0,1]
	v_pk_add_f32 v[14:15], v[14:15], v[30:31]
	v_mov_b32_e32 v32, v33
	v_mov_b32_e32 v30, v15
	v_pk_add_f32 v[38:39], v[30:31], v[12:13] neg_lo:[0,1] neg_hi:[0,1]
	v_mov_b32_e32 v14, v35
	v_mov_b32_e32 v27, v38
	v_pk_add_f32 v[40:41], v[34:35], v[26:27] neg_lo:[0,1] neg_hi:[0,1]
	v_mov_b32_e32 v34, v13
	v_mov_b32_e32 v35, v38
	;; [unrolled: 1-line block ×3, first 2 shown]
	v_pk_add_f32 v[14:15], v[14:15], v[34:35] neg_lo:[0,1] neg_hi:[0,1]
	v_mov_b32_e32 v33, v12
	v_pk_add_f32 v[12:13], v[32:33], v[14:15] neg_lo:[0,1] neg_hi:[0,1]
	v_mov_b32_e32 v40, v36
	v_pk_add_f32 v[14:15], v[40:41], v[12:13]
	s_nop 0
	v_mov_b32_e32 v32, v15
	v_pk_add_f32 v[32:33], v[14:15], v[32:33]
	s_nop 0
	v_pk_add_f32 v[30:31], v[30:31], v[32:33]
	v_mov_b32_e32 v13, v32
	v_mov_b32_e32 v15, v30
	v_pk_add_f32 v[34:35], v[14:15], v[36:37] neg_lo:[0,1] neg_hi:[0,1]
	s_nop 0
	v_sub_f32_e32 v14, v14, v34
	v_pk_add_f32 v[12:13], v[12:13], v[34:35] neg_lo:[0,1] neg_hi:[0,1]
	v_sub_f32_e32 v14, v36, v14
	v_add_f32_e32 v12, v12, v14
	v_add_f32_e32 v12, v12, v13
	;; [unrolled: 1-line block ×3, first 2 shown]
	v_cndmask_b32_e32 v151, v12, v42, vcc
.LBB125_93:                             ;   in Loop: Header=BB125_13 Depth=1
	s_or_b64 exec, exec, s[4:5]
	v_cvt_f32_f16_sdwa v8, v8 dst_sel:DWORD dst_unused:UNUSED_PAD src0_sel:WORD_1
	v_readlane_b32 s2, v166, 2
	s_nop 1
	v_add_f32_e32 v152, s2, v8
	v_readlane_b32 s2, v166, 23
	v_cmp_ge_f32_e32 vcc, s6, v152
	v_readlane_b32 s3, v166, 24
	s_and_b64 s[2:3], s[2:3], vcc
	s_and_saveexec_b64 s[4:5], s[2:3]
	s_cbranch_execz .LBB125_95
; %bb.94:                               ;   in Loop: Header=BB125_13 Depth=1
	v_mul_f32_e32 v8, 0x3fb8aa3b, v152
	v_rndne_f32_e32 v12, v8
	v_sub_f32_e32 v13, v8, v12
	v_fma_f32 v8, v152, s8, -v8
	v_fmac_f32_e32 v8, 0x32a5705f, v152
	v_add_f32_e32 v8, v13, v8
	v_cvt_i32_f32_e32 v12, v12
	v_exp_f32_e32 v8, v8
	v_cmp_ngt_f32_e32 vcc, s9, v152
	v_ldexp_f32 v8, v8, v12
	s_nop 0
	v_cndmask_b32_e32 v8, 0, v8, vcc
	v_cmp_nlt_f32_e32 vcc, s10, v152
	s_nop 1
	v_cndmask_b32_e32 v40, v140, v8, vcc
	v_add_f32_e32 v8, 1.0, v40
	v_add_f32_e32 v12, -1.0, v8
	v_sub_f32_e32 v13, v12, v8
	v_add_f32_e32 v13, 1.0, v13
	v_sub_f32_e32 v12, v40, v12
	v_add_f32_e32 v14, v12, v13
	v_frexp_mant_f32_e32 v15, v8
	v_cvt_f64_f32_e32 v[12:13], v8
	v_frexp_exp_i32_f64_e32 v12, v[12:13]
	v_cmp_gt_f32_e32 vcc, s12, v15
	v_cmp_gt_f32_e64 s[60:61], s14, v40
	s_nop 0
	v_subbrev_co_u32_e32 v27, vcc, 0, v12, vcc
	v_sub_u32_e32 v12, 0, v27
	v_ldexp_f32 v8, v8, v12
	v_ldexp_f32 v12, v14, v12
	v_add_f32_e32 v14, -1.0, v8
	v_add_f32_e32 v13, 1.0, v14
	v_sub_f32_e32 v13, v8, v13
	v_add_f32_e32 v15, v12, v13
	v_add_f32_e32 v13, 1.0, v8
	v_add_f32_e32 v29, -1.0, v13
	v_sub_f32_e32 v8, v8, v29
	v_add_f32_e32 v8, v12, v8
	v_add_f32_e32 v29, v13, v8
	v_rcp_f32_e32 v34, v29
	v_sub_f32_e32 v12, v13, v29
	v_add_f32_e32 v13, v14, v15
	v_add_f32_e32 v8, v8, v12
	v_mul_f32_e32 v36, v13, v34
	v_sub_f32_e32 v12, v14, v13
	v_mul_f32_e32 v14, v29, v36
	v_fma_f32 v30, v36, v29, -v14
	v_fmac_f32_e32 v30, v36, v8
	v_add_f32_e32 v35, v15, v12
	v_add_f32_e32 v12, v14, v30
	v_sub_f32_e32 v15, v13, v12
	v_pk_add_f32 v[32:33], v[12:13], v[14:15] neg_lo:[0,1] neg_hi:[0,1]
	v_mov_b32_e32 v31, v12
	v_pk_add_f32 v[12:13], v[32:33], v[30:31] neg_lo:[0,1] neg_hi:[0,1]
	v_cmp_eq_f32_e32 vcc, s11, v40
	v_add_f32_e32 v13, v35, v13
	v_add_f32_e32 v12, v12, v13
	;; [unrolled: 1-line block ×3, first 2 shown]
	v_mul_f32_e32 v35, v34, v13
	v_mul_f32_e32 v14, v29, v35
	v_fma_f32 v30, v35, v29, -v14
	v_fmac_f32_e32 v30, v35, v8
	v_sub_f32_e32 v8, v15, v13
	v_add_f32_e32 v8, v12, v8
	v_add_f32_e32 v12, v14, v30
	v_sub_f32_e32 v15, v13, v12
	v_pk_add_f32 v[32:33], v[12:13], v[14:15] neg_lo:[0,1] neg_hi:[0,1]
	v_mov_b32_e32 v31, v12
	v_pk_add_f32 v[12:13], v[32:33], v[30:31] neg_lo:[0,1] neg_hi:[0,1]
	s_or_b64 vcc, s[60:61], vcc
	v_add_f32_e32 v8, v8, v13
	v_add_f32_e32 v8, v12, v8
	;; [unrolled: 1-line block ×4, first 2 shown]
	v_sub_f32_e32 v12, v13, v36
	v_mul_f32_e32 v8, v34, v8
	v_sub_f32_e32 v12, v35, v12
	v_add_f32_e32 v8, v12, v8
	v_add_f32_e32 v14, v13, v8
	v_mul_f32_e32 v30, v14, v14
	v_fmamk_f32 v12, v30, 0x3e9b6dac, v139
	v_fmaak_f32 v29, v30, v12, 0x3f2aaada
	v_cvt_f32_i32_e32 v12, v27
	v_sub_f32_e32 v13, v14, v13
	v_sub_f32_e32 v8, v8, v13
	v_mul_f32_e32 v13, v14, v30
	v_pk_mul_f32 v[30:31], v[12:13], v[28:29]
	v_ldexp_f32 v15, v14, 1
	v_fma_f32 v14, v12, s13, -v30
	v_fmac_f32_e32 v14, 0xb102e308, v12
	v_pk_add_f32 v[12:13], v[30:31], v[14:15]
	v_ldexp_f32 v8, v8, 1
	v_sub_f32_e32 v15, v13, v15
	v_sub_f32_e32 v15, v31, v15
	v_add_f32_e32 v33, v8, v15
	v_mov_b32_e32 v32, v30
	v_pk_add_f32 v[30:31], v[12:13], v[30:31] neg_lo:[0,1] neg_hi:[0,1]
	v_pk_add_f32 v[34:35], v[12:13], v[32:33]
	v_mov_b32_e32 v15, v12
	v_mov_b32_e32 v31, v35
	v_pk_add_f32 v[36:37], v[14:15], v[30:31] neg_lo:[0,1] neg_hi:[0,1]
	v_pk_add_f32 v[14:15], v[14:15], v[30:31]
	s_nop 0
	v_mov_b32_e32 v8, v15
	v_pk_add_f32 v[30:31], v[8:9], v[12:13] neg_lo:[0,1] neg_hi:[0,1]
	v_mov_b32_e32 v14, v35
	v_mov_b32_e32 v27, v30
	v_pk_add_f32 v[38:39], v[34:35], v[26:27] neg_lo:[0,1] neg_hi:[0,1]
	v_mov_b32_e32 v34, v13
	v_mov_b32_e32 v35, v30
	v_mov_b32_e32 v37, v15
	v_pk_add_f32 v[14:15], v[14:15], v[34:35] neg_lo:[0,1] neg_hi:[0,1]
	v_mov_b32_e32 v30, v33
	v_mov_b32_e32 v31, v12
	v_pk_add_f32 v[12:13], v[30:31], v[14:15] neg_lo:[0,1] neg_hi:[0,1]
	v_mov_b32_e32 v38, v36
	v_pk_add_f32 v[14:15], v[38:39], v[12:13]
	s_nop 0
	v_mov_b32_e32 v30, v15
	v_pk_add_f32 v[30:31], v[14:15], v[30:31]
	s_nop 0
	v_pk_add_f32 v[32:33], v[8:9], v[30:31]
	v_mov_b32_e32 v13, v30
	v_mov_b32_e32 v15, v32
	v_pk_add_f32 v[34:35], v[14:15], v[36:37] neg_lo:[0,1] neg_hi:[0,1]
	s_nop 0
	v_sub_f32_e32 v8, v14, v34
	v_pk_add_f32 v[12:13], v[12:13], v[34:35] neg_lo:[0,1] neg_hi:[0,1]
	v_sub_f32_e32 v8, v36, v8
	v_add_f32_e32 v8, v12, v8
	v_add_f32_e32 v8, v8, v13
	;; [unrolled: 1-line block ×3, first 2 shown]
	v_cndmask_b32_e32 v152, v8, v40, vcc
.LBB125_95:                             ;   in Loop: Header=BB125_13 Depth=1
	s_or_b64 exec, exec, s[4:5]
	v_cvt_f32_f16_e32 v8, v9
	v_readlane_b32 s2, v166, 2
	s_nop 1
	v_add_f32_e32 v153, s2, v8
	v_readlane_b32 s2, v166, 23
	v_cmp_ge_f32_e32 vcc, s6, v153
	v_readlane_b32 s3, v166, 24
	s_and_b64 s[2:3], s[2:3], vcc
	s_and_saveexec_b64 s[4:5], s[2:3]
	s_cbranch_execz .LBB125_97
; %bb.96:                               ;   in Loop: Header=BB125_13 Depth=1
	v_mul_f32_e32 v8, 0x3fb8aa3b, v153
	v_rndne_f32_e32 v12, v8
	v_sub_f32_e32 v13, v8, v12
	v_fma_f32 v8, v153, s8, -v8
	v_fmac_f32_e32 v8, 0x32a5705f, v153
	v_add_f32_e32 v8, v13, v8
	v_cvt_i32_f32_e32 v12, v12
	v_exp_f32_e32 v8, v8
	v_cmp_ngt_f32_e32 vcc, s9, v153
	v_ldexp_f32 v8, v8, v12
	s_nop 0
	v_cndmask_b32_e32 v8, 0, v8, vcc
	v_cmp_nlt_f32_e32 vcc, s10, v153
	s_nop 1
	v_cndmask_b32_e32 v40, v140, v8, vcc
	v_add_f32_e32 v8, 1.0, v40
	v_add_f32_e32 v12, -1.0, v8
	v_sub_f32_e32 v13, v12, v8
	v_add_f32_e32 v13, 1.0, v13
	v_sub_f32_e32 v12, v40, v12
	v_add_f32_e32 v14, v12, v13
	v_frexp_mant_f32_e32 v15, v8
	v_cvt_f64_f32_e32 v[12:13], v8
	v_frexp_exp_i32_f64_e32 v12, v[12:13]
	v_cmp_gt_f32_e32 vcc, s12, v15
	v_cmp_gt_f32_e64 s[60:61], s14, v40
	s_nop 0
	v_subbrev_co_u32_e32 v27, vcc, 0, v12, vcc
	v_sub_u32_e32 v12, 0, v27
	v_ldexp_f32 v8, v8, v12
	v_ldexp_f32 v12, v14, v12
	v_add_f32_e32 v14, -1.0, v8
	v_add_f32_e32 v13, 1.0, v14
	v_sub_f32_e32 v13, v8, v13
	v_add_f32_e32 v15, v12, v13
	v_add_f32_e32 v13, 1.0, v8
	v_add_f32_e32 v29, -1.0, v13
	v_sub_f32_e32 v8, v8, v29
	v_add_f32_e32 v8, v12, v8
	v_add_f32_e32 v29, v13, v8
	v_rcp_f32_e32 v34, v29
	v_sub_f32_e32 v12, v13, v29
	v_add_f32_e32 v13, v14, v15
	v_add_f32_e32 v8, v8, v12
	v_mul_f32_e32 v36, v13, v34
	v_sub_f32_e32 v12, v14, v13
	v_mul_f32_e32 v14, v29, v36
	v_fma_f32 v30, v36, v29, -v14
	v_fmac_f32_e32 v30, v36, v8
	v_add_f32_e32 v35, v15, v12
	v_add_f32_e32 v12, v14, v30
	v_sub_f32_e32 v15, v13, v12
	v_pk_add_f32 v[32:33], v[12:13], v[14:15] neg_lo:[0,1] neg_hi:[0,1]
	v_mov_b32_e32 v31, v12
	v_pk_add_f32 v[12:13], v[32:33], v[30:31] neg_lo:[0,1] neg_hi:[0,1]
	v_cmp_eq_f32_e32 vcc, s11, v40
	v_add_f32_e32 v13, v35, v13
	v_add_f32_e32 v12, v12, v13
	;; [unrolled: 1-line block ×3, first 2 shown]
	v_mul_f32_e32 v35, v34, v13
	v_mul_f32_e32 v14, v29, v35
	v_fma_f32 v30, v35, v29, -v14
	v_fmac_f32_e32 v30, v35, v8
	v_sub_f32_e32 v8, v15, v13
	v_add_f32_e32 v8, v12, v8
	v_add_f32_e32 v12, v14, v30
	v_sub_f32_e32 v15, v13, v12
	v_pk_add_f32 v[32:33], v[12:13], v[14:15] neg_lo:[0,1] neg_hi:[0,1]
	v_mov_b32_e32 v31, v12
	v_pk_add_f32 v[12:13], v[32:33], v[30:31] neg_lo:[0,1] neg_hi:[0,1]
	s_or_b64 vcc, s[60:61], vcc
	v_add_f32_e32 v8, v8, v13
	v_add_f32_e32 v8, v12, v8
	;; [unrolled: 1-line block ×4, first 2 shown]
	v_sub_f32_e32 v12, v13, v36
	v_mul_f32_e32 v8, v34, v8
	v_sub_f32_e32 v12, v35, v12
	v_add_f32_e32 v8, v12, v8
	v_add_f32_e32 v14, v13, v8
	v_mul_f32_e32 v30, v14, v14
	v_fmamk_f32 v12, v30, 0x3e9b6dac, v139
	v_fmaak_f32 v29, v30, v12, 0x3f2aaada
	v_cvt_f32_i32_e32 v12, v27
	v_sub_f32_e32 v13, v14, v13
	v_sub_f32_e32 v8, v8, v13
	v_mul_f32_e32 v13, v14, v30
	v_pk_mul_f32 v[30:31], v[12:13], v[28:29]
	v_ldexp_f32 v15, v14, 1
	v_fma_f32 v14, v12, s13, -v30
	v_fmac_f32_e32 v14, 0xb102e308, v12
	v_pk_add_f32 v[12:13], v[30:31], v[14:15]
	v_ldexp_f32 v8, v8, 1
	v_sub_f32_e32 v15, v13, v15
	v_sub_f32_e32 v15, v31, v15
	v_add_f32_e32 v33, v8, v15
	v_mov_b32_e32 v32, v30
	v_pk_add_f32 v[30:31], v[12:13], v[30:31] neg_lo:[0,1] neg_hi:[0,1]
	v_pk_add_f32 v[34:35], v[12:13], v[32:33]
	v_mov_b32_e32 v15, v12
	v_mov_b32_e32 v31, v35
	v_pk_add_f32 v[36:37], v[14:15], v[30:31] neg_lo:[0,1] neg_hi:[0,1]
	v_pk_add_f32 v[14:15], v[14:15], v[30:31]
	s_nop 0
	v_mov_b32_e32 v8, v15
	v_pk_add_f32 v[30:31], v[8:9], v[12:13] neg_lo:[0,1] neg_hi:[0,1]
	v_mov_b32_e32 v14, v35
	v_mov_b32_e32 v27, v30
	v_pk_add_f32 v[38:39], v[34:35], v[26:27] neg_lo:[0,1] neg_hi:[0,1]
	v_mov_b32_e32 v34, v13
	v_mov_b32_e32 v35, v30
	;; [unrolled: 1-line block ×3, first 2 shown]
	v_pk_add_f32 v[14:15], v[14:15], v[34:35] neg_lo:[0,1] neg_hi:[0,1]
	v_mov_b32_e32 v30, v33
	v_mov_b32_e32 v31, v12
	v_pk_add_f32 v[12:13], v[30:31], v[14:15] neg_lo:[0,1] neg_hi:[0,1]
	v_mov_b32_e32 v38, v36
	v_pk_add_f32 v[14:15], v[38:39], v[12:13]
	s_nop 0
	v_mov_b32_e32 v30, v15
	v_pk_add_f32 v[30:31], v[14:15], v[30:31]
	s_nop 0
	v_pk_add_f32 v[32:33], v[8:9], v[30:31]
	v_mov_b32_e32 v13, v30
	v_mov_b32_e32 v15, v32
	v_pk_add_f32 v[34:35], v[14:15], v[36:37] neg_lo:[0,1] neg_hi:[0,1]
	s_nop 0
	v_sub_f32_e32 v8, v14, v34
	v_pk_add_f32 v[12:13], v[12:13], v[34:35] neg_lo:[0,1] neg_hi:[0,1]
	v_sub_f32_e32 v8, v36, v8
	v_add_f32_e32 v8, v12, v8
	v_add_f32_e32 v8, v8, v13
	;; [unrolled: 1-line block ×3, first 2 shown]
	v_cndmask_b32_e32 v153, v8, v40, vcc
.LBB125_97:                             ;   in Loop: Header=BB125_13 Depth=1
	s_or_b64 exec, exec, s[4:5]
	v_cvt_f32_f16_sdwa v8, v9 dst_sel:DWORD dst_unused:UNUSED_PAD src0_sel:WORD_1
	v_readlane_b32 s2, v166, 2
	s_nop 1
	v_add_f32_e32 v154, s2, v8
	v_readlane_b32 s2, v166, 23
	v_cmp_ge_f32_e32 vcc, s6, v154
	v_readlane_b32 s3, v166, 24
	s_and_b64 s[2:3], s[2:3], vcc
	s_and_saveexec_b64 s[4:5], s[2:3]
	s_cbranch_execz .LBB125_99
; %bb.98:                               ;   in Loop: Header=BB125_13 Depth=1
	v_mul_f32_e32 v8, 0x3fb8aa3b, v154
	v_rndne_f32_e32 v9, v8
	v_sub_f32_e32 v12, v8, v9
	v_fma_f32 v8, v154, s8, -v8
	v_fmac_f32_e32 v8, 0x32a5705f, v154
	v_add_f32_e32 v8, v12, v8
	v_cvt_i32_f32_e32 v9, v9
	v_exp_f32_e32 v8, v8
	v_cmp_ngt_f32_e32 vcc, s9, v154
	v_ldexp_f32 v8, v8, v9
	s_nop 0
	v_cndmask_b32_e32 v8, 0, v8, vcc
	v_cmp_nlt_f32_e32 vcc, s10, v154
	s_nop 1
	v_cndmask_b32_e32 v27, v140, v8, vcc
	v_add_f32_e32 v12, 1.0, v27
	v_add_f32_e32 v8, -1.0, v12
	v_sub_f32_e32 v9, v8, v12
	v_add_f32_e32 v9, 1.0, v9
	v_sub_f32_e32 v8, v27, v8
	v_add_f32_e32 v13, v8, v9
	v_frexp_mant_f32_e32 v14, v12
	v_cvt_f64_f32_e32 v[8:9], v12
	v_frexp_exp_i32_f64_e32 v8, v[8:9]
	v_cmp_gt_f32_e32 vcc, s12, v14
	v_cmp_gt_f32_e64 s[60:61], s14, v27
	s_nop 0
	v_subbrev_co_u32_e32 v32, vcc, 0, v8, vcc
	v_sub_u32_e32 v8, 0, v32
	v_ldexp_f32 v9, v12, v8
	v_add_f32_e32 v12, -1.0, v9
	v_add_f32_e32 v14, 1.0, v9
	v_ldexp_f32 v8, v13, v8
	v_add_f32_e32 v13, 1.0, v12
	v_add_f32_e32 v15, -1.0, v14
	v_sub_f32_e32 v13, v9, v13
	v_sub_f32_e32 v9, v9, v15
	v_add_f32_e32 v13, v8, v13
	v_add_f32_e32 v8, v8, v9
	;; [unrolled: 1-line block ×3, first 2 shown]
	v_rcp_f32_e32 v34, v29
	v_sub_f32_e32 v9, v14, v29
	v_add_f32_e32 v33, v8, v9
	v_add_f32_e32 v9, v12, v13
	v_mul_f32_e32 v36, v9, v34
	v_sub_f32_e32 v8, v12, v9
	v_mul_f32_e32 v12, v29, v36
	v_fma_f32 v14, v36, v29, -v12
	v_fmac_f32_e32 v14, v36, v33
	v_add_f32_e32 v35, v13, v8
	v_add_f32_e32 v8, v12, v14
	v_sub_f32_e32 v13, v9, v8
	v_pk_add_f32 v[30:31], v[8:9], v[12:13] neg_lo:[0,1] neg_hi:[0,1]
	v_mov_b32_e32 v15, v8
	v_pk_add_f32 v[8:9], v[30:31], v[14:15] neg_lo:[0,1] neg_hi:[0,1]
	v_cmp_eq_f32_e32 vcc, s11, v27
	v_add_f32_e32 v9, v35, v9
	v_add_f32_e32 v8, v8, v9
	;; [unrolled: 1-line block ×3, first 2 shown]
	v_mul_f32_e32 v35, v34, v9
	v_mul_f32_e32 v12, v29, v35
	v_fma_f32 v14, v35, v29, -v12
	v_fmac_f32_e32 v14, v35, v33
	v_sub_f32_e32 v13, v13, v9
	v_add_f32_e32 v29, v8, v13
	v_add_f32_e32 v8, v12, v14
	v_sub_f32_e32 v13, v9, v8
	v_pk_add_f32 v[30:31], v[8:9], v[12:13] neg_lo:[0,1] neg_hi:[0,1]
	v_mov_b32_e32 v15, v8
	v_pk_add_f32 v[8:9], v[30:31], v[14:15] neg_lo:[0,1] neg_hi:[0,1]
	s_or_b64 vcc, s[60:61], vcc
	v_add_f32_e32 v9, v29, v9
	v_add_f32_e32 v8, v8, v9
	;; [unrolled: 1-line block ×4, first 2 shown]
	v_sub_f32_e32 v12, v9, v36
	v_mul_f32_e32 v8, v34, v8
	v_sub_f32_e32 v12, v35, v12
	v_add_f32_e32 v12, v12, v8
	v_add_f32_e32 v14, v9, v12
	v_mul_f32_e32 v15, v14, v14
	v_fmamk_f32 v8, v15, 0x3e9b6dac, v139
	v_fmaak_f32 v29, v15, v8, 0x3f2aaada
	v_cvt_f32_i32_e32 v8, v32
	v_sub_f32_e32 v9, v14, v9
	v_sub_f32_e32 v9, v12, v9
	v_ldexp_f32 v30, v9, 1
	v_mul_f32_e32 v9, v14, v15
	v_ldexp_f32 v13, v14, 1
	v_pk_mul_f32 v[14:15], v[8:9], v[28:29]
	s_nop 0
	v_fma_f32 v12, v8, s13, -v14
	v_fmac_f32_e32 v12, 0xb102e308, v8
	v_pk_add_f32 v[8:9], v[14:15], v[12:13]
	s_nop 0
	v_sub_f32_e32 v13, v9, v13
	v_sub_f32_e32 v13, v15, v13
	v_add_f32_e32 v31, v30, v13
	v_mov_b32_e32 v30, v14
	v_pk_add_f32 v[14:15], v[8:9], v[14:15] neg_lo:[0,1] neg_hi:[0,1]
	v_pk_add_f32 v[32:33], v[8:9], v[30:31]
	v_mov_b32_e32 v13, v8
	v_mov_b32_e32 v15, v33
	v_pk_add_f32 v[34:35], v[12:13], v[14:15] neg_lo:[0,1] neg_hi:[0,1]
	v_pk_add_f32 v[12:13], v[12:13], v[14:15]
	v_mov_b32_e32 v30, v31
	v_mov_b32_e32 v14, v13
	v_pk_add_f32 v[36:37], v[14:15], v[8:9] neg_lo:[0,1] neg_hi:[0,1]
	v_mov_b32_e32 v12, v33
	v_mov_b32_e32 v15, v36
	v_pk_add_f32 v[38:39], v[32:33], v[14:15] neg_lo:[0,1] neg_hi:[0,1]
	v_mov_b32_e32 v32, v9
	v_mov_b32_e32 v33, v36
	;; [unrolled: 1-line block ×3, first 2 shown]
	v_pk_add_f32 v[12:13], v[12:13], v[32:33] neg_lo:[0,1] neg_hi:[0,1]
	v_mov_b32_e32 v31, v8
	v_pk_add_f32 v[8:9], v[30:31], v[12:13] neg_lo:[0,1] neg_hi:[0,1]
	v_mov_b32_e32 v38, v34
	v_pk_add_f32 v[12:13], v[38:39], v[8:9]
	s_nop 0
	v_mov_b32_e32 v30, v13
	v_pk_add_f32 v[30:31], v[12:13], v[30:31]
	s_nop 0
	v_pk_add_f32 v[14:15], v[14:15], v[30:31]
	v_mov_b32_e32 v9, v30
	v_mov_b32_e32 v13, v14
	v_pk_add_f32 v[32:33], v[12:13], v[34:35] neg_lo:[0,1] neg_hi:[0,1]
	s_nop 0
	v_sub_f32_e32 v12, v12, v32
	v_pk_add_f32 v[8:9], v[8:9], v[32:33] neg_lo:[0,1] neg_hi:[0,1]
	v_sub_f32_e32 v12, v34, v12
	v_add_f32_e32 v8, v8, v12
	v_add_f32_e32 v8, v8, v9
	;; [unrolled: 1-line block ×3, first 2 shown]
	v_cndmask_b32_e32 v154, v8, v27, vcc
.LBB125_99:                             ;   in Loop: Header=BB125_13 Depth=1
	s_or_b64 exec, exec, s[4:5]
	v_cvt_f32_f16_e32 v8, v10
	v_readlane_b32 s2, v166, 2
	s_nop 1
	v_add_f32_e32 v155, s2, v8
	v_readlane_b32 s2, v166, 23
	v_cmp_ge_f32_e32 vcc, s6, v155
	v_readlane_b32 s3, v166, 24
	s_and_b64 s[2:3], s[2:3], vcc
	s_and_saveexec_b64 s[4:5], s[2:3]
	s_cbranch_execz .LBB125_101
; %bb.100:                              ;   in Loop: Header=BB125_13 Depth=1
	v_mul_f32_e32 v8, 0x3fb8aa3b, v155
	v_rndne_f32_e32 v9, v8
	v_sub_f32_e32 v12, v8, v9
	v_fma_f32 v8, v155, s8, -v8
	v_fmac_f32_e32 v8, 0x32a5705f, v155
	v_add_f32_e32 v8, v12, v8
	v_cvt_i32_f32_e32 v9, v9
	v_exp_f32_e32 v8, v8
	v_cmp_ngt_f32_e32 vcc, s9, v155
	v_ldexp_f32 v8, v8, v9
	s_nop 0
	v_cndmask_b32_e32 v8, 0, v8, vcc
	v_cmp_nlt_f32_e32 vcc, s10, v155
	s_nop 1
	v_cndmask_b32_e32 v27, v140, v8, vcc
	v_add_f32_e32 v12, 1.0, v27
	v_add_f32_e32 v8, -1.0, v12
	v_sub_f32_e32 v9, v8, v12
	v_add_f32_e32 v9, 1.0, v9
	v_sub_f32_e32 v8, v27, v8
	v_add_f32_e32 v13, v8, v9
	v_frexp_mant_f32_e32 v14, v12
	v_cvt_f64_f32_e32 v[8:9], v12
	v_frexp_exp_i32_f64_e32 v8, v[8:9]
	v_cmp_gt_f32_e32 vcc, s12, v14
	v_cmp_gt_f32_e64 s[60:61], s14, v27
	s_nop 0
	v_subbrev_co_u32_e32 v32, vcc, 0, v8, vcc
	v_sub_u32_e32 v8, 0, v32
	v_ldexp_f32 v9, v12, v8
	v_add_f32_e32 v12, -1.0, v9
	v_add_f32_e32 v14, 1.0, v9
	v_ldexp_f32 v8, v13, v8
	v_add_f32_e32 v13, 1.0, v12
	v_add_f32_e32 v15, -1.0, v14
	v_sub_f32_e32 v13, v9, v13
	v_sub_f32_e32 v9, v9, v15
	v_add_f32_e32 v13, v8, v13
	v_add_f32_e32 v8, v8, v9
	;; [unrolled: 1-line block ×3, first 2 shown]
	v_rcp_f32_e32 v34, v29
	v_sub_f32_e32 v9, v14, v29
	v_add_f32_e32 v33, v8, v9
	v_add_f32_e32 v9, v12, v13
	v_mul_f32_e32 v36, v9, v34
	v_sub_f32_e32 v8, v12, v9
	v_mul_f32_e32 v12, v29, v36
	v_fma_f32 v14, v36, v29, -v12
	v_fmac_f32_e32 v14, v36, v33
	v_add_f32_e32 v35, v13, v8
	v_add_f32_e32 v8, v12, v14
	v_sub_f32_e32 v13, v9, v8
	v_pk_add_f32 v[30:31], v[8:9], v[12:13] neg_lo:[0,1] neg_hi:[0,1]
	v_mov_b32_e32 v15, v8
	v_pk_add_f32 v[8:9], v[30:31], v[14:15] neg_lo:[0,1] neg_hi:[0,1]
	v_cmp_eq_f32_e32 vcc, s11, v27
	v_add_f32_e32 v9, v35, v9
	v_add_f32_e32 v8, v8, v9
	;; [unrolled: 1-line block ×3, first 2 shown]
	v_mul_f32_e32 v35, v34, v9
	v_mul_f32_e32 v12, v29, v35
	v_fma_f32 v14, v35, v29, -v12
	v_fmac_f32_e32 v14, v35, v33
	v_sub_f32_e32 v13, v13, v9
	v_add_f32_e32 v29, v8, v13
	v_add_f32_e32 v8, v12, v14
	v_sub_f32_e32 v13, v9, v8
	v_pk_add_f32 v[30:31], v[8:9], v[12:13] neg_lo:[0,1] neg_hi:[0,1]
	v_mov_b32_e32 v15, v8
	v_pk_add_f32 v[8:9], v[30:31], v[14:15] neg_lo:[0,1] neg_hi:[0,1]
	s_or_b64 vcc, s[60:61], vcc
	v_add_f32_e32 v9, v29, v9
	v_add_f32_e32 v8, v8, v9
	;; [unrolled: 1-line block ×4, first 2 shown]
	v_sub_f32_e32 v12, v9, v36
	v_mul_f32_e32 v8, v34, v8
	v_sub_f32_e32 v12, v35, v12
	v_add_f32_e32 v12, v12, v8
	v_add_f32_e32 v14, v9, v12
	v_mul_f32_e32 v15, v14, v14
	v_fmamk_f32 v8, v15, 0x3e9b6dac, v139
	v_fmaak_f32 v29, v15, v8, 0x3f2aaada
	v_cvt_f32_i32_e32 v8, v32
	v_sub_f32_e32 v9, v14, v9
	v_sub_f32_e32 v9, v12, v9
	v_ldexp_f32 v30, v9, 1
	v_mul_f32_e32 v9, v14, v15
	v_ldexp_f32 v13, v14, 1
	v_pk_mul_f32 v[14:15], v[8:9], v[28:29]
	s_nop 0
	v_fma_f32 v12, v8, s13, -v14
	v_fmac_f32_e32 v12, 0xb102e308, v8
	v_pk_add_f32 v[8:9], v[14:15], v[12:13]
	s_nop 0
	v_sub_f32_e32 v13, v9, v13
	v_sub_f32_e32 v13, v15, v13
	v_add_f32_e32 v31, v30, v13
	v_mov_b32_e32 v30, v14
	v_pk_add_f32 v[14:15], v[8:9], v[14:15] neg_lo:[0,1] neg_hi:[0,1]
	v_pk_add_f32 v[32:33], v[8:9], v[30:31]
	v_mov_b32_e32 v13, v8
	v_mov_b32_e32 v15, v33
	v_pk_add_f32 v[34:35], v[12:13], v[14:15] neg_lo:[0,1] neg_hi:[0,1]
	v_pk_add_f32 v[12:13], v[12:13], v[14:15]
	v_mov_b32_e32 v30, v31
	v_mov_b32_e32 v14, v13
	v_pk_add_f32 v[36:37], v[14:15], v[8:9] neg_lo:[0,1] neg_hi:[0,1]
	v_mov_b32_e32 v12, v33
	v_mov_b32_e32 v15, v36
	v_pk_add_f32 v[38:39], v[32:33], v[14:15] neg_lo:[0,1] neg_hi:[0,1]
	v_mov_b32_e32 v32, v9
	v_mov_b32_e32 v33, v36
	;; [unrolled: 1-line block ×3, first 2 shown]
	v_pk_add_f32 v[12:13], v[12:13], v[32:33] neg_lo:[0,1] neg_hi:[0,1]
	v_mov_b32_e32 v31, v8
	v_pk_add_f32 v[8:9], v[30:31], v[12:13] neg_lo:[0,1] neg_hi:[0,1]
	v_mov_b32_e32 v38, v34
	v_pk_add_f32 v[12:13], v[38:39], v[8:9]
	s_nop 0
	v_mov_b32_e32 v30, v13
	v_pk_add_f32 v[30:31], v[12:13], v[30:31]
	s_nop 0
	v_pk_add_f32 v[14:15], v[14:15], v[30:31]
	v_mov_b32_e32 v9, v30
	v_mov_b32_e32 v13, v14
	v_pk_add_f32 v[32:33], v[12:13], v[34:35] neg_lo:[0,1] neg_hi:[0,1]
	s_nop 0
	v_sub_f32_e32 v12, v12, v32
	v_pk_add_f32 v[8:9], v[8:9], v[32:33] neg_lo:[0,1] neg_hi:[0,1]
	v_sub_f32_e32 v12, v34, v12
	v_add_f32_e32 v8, v8, v12
	v_add_f32_e32 v8, v8, v9
	;; [unrolled: 1-line block ×3, first 2 shown]
	v_cndmask_b32_e32 v155, v8, v27, vcc
.LBB125_101:                            ;   in Loop: Header=BB125_13 Depth=1
	s_or_b64 exec, exec, s[4:5]
	v_cvt_f32_f16_sdwa v8, v10 dst_sel:DWORD dst_unused:UNUSED_PAD src0_sel:WORD_1
	v_readlane_b32 s2, v166, 2
	s_nop 1
	v_add_f32_e32 v156, s2, v8
	v_readlane_b32 s2, v166, 23
	v_cmp_ge_f32_e32 vcc, s6, v156
	v_readlane_b32 s3, v166, 24
	s_and_b64 s[2:3], s[2:3], vcc
	s_and_saveexec_b64 s[4:5], s[2:3]
	s_cbranch_execz .LBB125_103
; %bb.102:                              ;   in Loop: Header=BB125_13 Depth=1
	v_mul_f32_e32 v8, 0x3fb8aa3b, v156
	v_rndne_f32_e32 v9, v8
	v_sub_f32_e32 v10, v8, v9
	v_fma_f32 v8, v156, s8, -v8
	v_fmac_f32_e32 v8, 0x32a5705f, v156
	v_add_f32_e32 v8, v10, v8
	v_cvt_i32_f32_e32 v9, v9
	v_exp_f32_e32 v8, v8
	v_cmp_ngt_f32_e32 vcc, s9, v156
	v_ldexp_f32 v8, v8, v9
	s_nop 0
	v_cndmask_b32_e32 v8, 0, v8, vcc
	v_cmp_nlt_f32_e32 vcc, s10, v156
	s_nop 1
	v_cndmask_b32_e32 v27, v140, v8, vcc
	v_add_f32_e32 v10, 1.0, v27
	v_add_f32_e32 v8, -1.0, v10
	v_sub_f32_e32 v9, v8, v10
	v_add_f32_e32 v9, 1.0, v9
	v_sub_f32_e32 v8, v27, v8
	v_add_f32_e32 v12, v8, v9
	v_frexp_mant_f32_e32 v13, v10
	v_cvt_f64_f32_e32 v[8:9], v10
	v_frexp_exp_i32_f64_e32 v8, v[8:9]
	v_cmp_gt_f32_e32 vcc, s12, v13
	v_cmp_gt_f32_e64 s[60:61], s14, v27
	s_nop 0
	v_subbrev_co_u32_e32 v32, vcc, 0, v8, vcc
	v_sub_u32_e32 v8, 0, v32
	v_ldexp_f32 v9, v10, v8
	v_add_f32_e32 v10, -1.0, v9
	v_add_f32_e32 v13, 1.0, v9
	v_ldexp_f32 v8, v12, v8
	v_add_f32_e32 v12, 1.0, v10
	v_add_f32_e32 v14, -1.0, v13
	v_sub_f32_e32 v12, v9, v12
	v_sub_f32_e32 v9, v9, v14
	v_add_f32_e32 v12, v8, v12
	v_add_f32_e32 v8, v8, v9
	v_add_f32_e32 v29, v13, v8
	v_rcp_f32_e32 v34, v29
	v_sub_f32_e32 v9, v13, v29
	v_add_f32_e32 v33, v8, v9
	v_add_f32_e32 v9, v10, v12
	v_sub_f32_e32 v8, v10, v9
	v_mul_f32_e32 v35, v9, v34
	v_add_f32_e32 v10, v12, v8
	v_mul_f32_e32 v12, v29, v35
	v_fma_f32 v14, v35, v29, -v12
	v_fmac_f32_e32 v14, v35, v33
	v_add_f32_e32 v8, v12, v14
	v_sub_f32_e32 v13, v9, v8
	v_pk_add_f32 v[30:31], v[8:9], v[12:13] neg_lo:[0,1] neg_hi:[0,1]
	v_mov_b32_e32 v15, v8
	v_pk_add_f32 v[8:9], v[30:31], v[14:15] neg_lo:[0,1] neg_hi:[0,1]
	v_cmp_eq_f32_e32 vcc, s11, v27
	v_add_f32_e32 v9, v10, v9
	v_add_f32_e32 v8, v8, v9
	;; [unrolled: 1-line block ×3, first 2 shown]
	v_mul_f32_e32 v10, v34, v9
	v_mul_f32_e32 v12, v29, v10
	v_fma_f32 v14, v10, v29, -v12
	v_fmac_f32_e32 v14, v10, v33
	v_sub_f32_e32 v13, v13, v9
	v_add_f32_e32 v29, v8, v13
	v_add_f32_e32 v8, v12, v14
	v_sub_f32_e32 v13, v9, v8
	v_pk_add_f32 v[30:31], v[8:9], v[12:13] neg_lo:[0,1] neg_hi:[0,1]
	v_mov_b32_e32 v15, v8
	v_pk_add_f32 v[8:9], v[30:31], v[14:15] neg_lo:[0,1] neg_hi:[0,1]
	s_or_b64 vcc, s[60:61], vcc
	v_add_f32_e32 v9, v29, v9
	v_add_f32_e32 v8, v8, v9
	;; [unrolled: 1-line block ×4, first 2 shown]
	v_sub_f32_e32 v12, v9, v35
	v_mul_f32_e32 v8, v34, v8
	v_sub_f32_e32 v10, v10, v12
	v_add_f32_e32 v10, v10, v8
	v_add_f32_e32 v12, v9, v10
	v_mul_f32_e32 v14, v12, v12
	v_fmamk_f32 v8, v14, 0x3e9b6dac, v139
	v_fmaak_f32 v29, v14, v8, 0x3f2aaada
	v_cvt_f32_i32_e32 v8, v32
	v_sub_f32_e32 v9, v12, v9
	v_sub_f32_e32 v9, v10, v9
	v_ldexp_f32 v10, v9, 1
	v_mul_f32_e32 v9, v12, v14
	v_pk_mul_f32 v[14:15], v[8:9], v[28:29]
	v_ldexp_f32 v13, v12, 1
	v_fma_f32 v12, v8, s13, -v14
	v_fmac_f32_e32 v12, 0xb102e308, v8
	v_pk_add_f32 v[8:9], v[14:15], v[12:13]
	v_mov_b32_e32 v30, v14
	v_sub_f32_e32 v13, v9, v13
	v_sub_f32_e32 v13, v15, v13
	v_add_f32_e32 v31, v10, v13
	v_pk_add_f32 v[14:15], v[8:9], v[14:15] neg_lo:[0,1] neg_hi:[0,1]
	v_pk_add_f32 v[32:33], v[8:9], v[30:31]
	v_mov_b32_e32 v13, v8
	v_mov_b32_e32 v15, v33
	v_pk_add_f32 v[34:35], v[12:13], v[14:15] neg_lo:[0,1] neg_hi:[0,1]
	v_pk_add_f32 v[12:13], v[12:13], v[14:15]
	s_nop 0
	v_mov_b32_e32 v10, v13
	v_pk_add_f32 v[14:15], v[10:11], v[8:9] neg_lo:[0,1] neg_hi:[0,1]
	v_mov_b32_e32 v12, v33
	v_mov_b32_e32 v15, v14
	v_pk_add_f32 v[36:37], v[32:33], v[14:15] neg_lo:[0,1] neg_hi:[0,1]
	v_mov_b32_e32 v32, v9
	v_mov_b32_e32 v33, v14
	;; [unrolled: 1-line block ×3, first 2 shown]
	v_pk_add_f32 v[12:13], v[12:13], v[32:33] neg_lo:[0,1] neg_hi:[0,1]
	v_mov_b32_e32 v14, v31
	v_mov_b32_e32 v15, v8
	v_pk_add_f32 v[8:9], v[14:15], v[12:13] neg_lo:[0,1] neg_hi:[0,1]
	v_mov_b32_e32 v36, v34
	v_pk_add_f32 v[12:13], v[36:37], v[8:9]
	s_nop 0
	v_mov_b32_e32 v14, v13
	v_pk_add_f32 v[14:15], v[12:13], v[14:15]
	s_nop 0
	v_pk_add_f32 v[30:31], v[10:11], v[14:15]
	v_mov_b32_e32 v9, v14
	v_mov_b32_e32 v13, v30
	v_pk_add_f32 v[32:33], v[12:13], v[34:35] neg_lo:[0,1] neg_hi:[0,1]
	s_nop 0
	v_sub_f32_e32 v10, v12, v32
	v_pk_add_f32 v[8:9], v[8:9], v[32:33] neg_lo:[0,1] neg_hi:[0,1]
	v_sub_f32_e32 v10, v34, v10
	v_add_f32_e32 v8, v8, v10
	v_add_f32_e32 v8, v8, v9
	;; [unrolled: 1-line block ×3, first 2 shown]
	v_cndmask_b32_e32 v156, v8, v27, vcc
.LBB125_103:                            ;   in Loop: Header=BB125_13 Depth=1
	s_or_b64 exec, exec, s[4:5]
	v_cvt_f32_f16_e32 v8, v11
	v_readlane_b32 s2, v166, 2
	s_nop 1
	v_add_f32_e32 v46, s2, v8
	v_readlane_b32 s2, v166, 23
	v_cmp_ge_f32_e32 vcc, s6, v46
	v_readlane_b32 s3, v166, 24
	s_and_b64 s[2:3], s[2:3], vcc
	s_and_saveexec_b64 s[4:5], s[2:3]
	s_cbranch_execz .LBB125_105
; %bb.104:                              ;   in Loop: Header=BB125_13 Depth=1
	v_mul_f32_e32 v8, 0x3fb8aa3b, v46
	v_rndne_f32_e32 v9, v8
	v_sub_f32_e32 v10, v8, v9
	v_fma_f32 v8, v46, s8, -v8
	v_fmac_f32_e32 v8, 0x32a5705f, v46
	v_add_f32_e32 v8, v10, v8
	v_cvt_i32_f32_e32 v9, v9
	v_exp_f32_e32 v8, v8
	v_cmp_ngt_f32_e32 vcc, s9, v46
	v_ldexp_f32 v8, v8, v9
	s_nop 0
	v_cndmask_b32_e32 v8, 0, v8, vcc
	v_cmp_nlt_f32_e32 vcc, s10, v46
	s_nop 1
	v_cndmask_b32_e32 v27, v140, v8, vcc
	v_add_f32_e32 v10, 1.0, v27
	v_add_f32_e32 v8, -1.0, v10
	v_sub_f32_e32 v9, v8, v10
	v_add_f32_e32 v9, 1.0, v9
	v_sub_f32_e32 v8, v27, v8
	v_add_f32_e32 v12, v8, v9
	v_frexp_mant_f32_e32 v13, v10
	v_cvt_f64_f32_e32 v[8:9], v10
	v_frexp_exp_i32_f64_e32 v8, v[8:9]
	v_cmp_gt_f32_e32 vcc, s12, v13
	v_cmp_gt_f32_e64 s[60:61], s14, v27
	s_nop 0
	v_subbrev_co_u32_e32 v32, vcc, 0, v8, vcc
	v_sub_u32_e32 v8, 0, v32
	v_ldexp_f32 v9, v10, v8
	v_add_f32_e32 v10, -1.0, v9
	v_add_f32_e32 v13, 1.0, v9
	v_ldexp_f32 v8, v12, v8
	v_add_f32_e32 v12, 1.0, v10
	v_add_f32_e32 v14, -1.0, v13
	v_sub_f32_e32 v12, v9, v12
	v_sub_f32_e32 v9, v9, v14
	v_add_f32_e32 v12, v8, v12
	v_add_f32_e32 v8, v8, v9
	;; [unrolled: 1-line block ×3, first 2 shown]
	v_rcp_f32_e32 v34, v29
	v_sub_f32_e32 v9, v13, v29
	v_add_f32_e32 v33, v8, v9
	v_add_f32_e32 v9, v10, v12
	v_sub_f32_e32 v8, v10, v9
	v_mul_f32_e32 v35, v9, v34
	v_add_f32_e32 v10, v12, v8
	v_mul_f32_e32 v12, v29, v35
	v_fma_f32 v14, v35, v29, -v12
	v_fmac_f32_e32 v14, v35, v33
	v_add_f32_e32 v8, v12, v14
	v_sub_f32_e32 v13, v9, v8
	v_pk_add_f32 v[30:31], v[8:9], v[12:13] neg_lo:[0,1] neg_hi:[0,1]
	v_mov_b32_e32 v15, v8
	v_pk_add_f32 v[8:9], v[30:31], v[14:15] neg_lo:[0,1] neg_hi:[0,1]
	v_cmp_eq_f32_e32 vcc, s11, v27
	v_add_f32_e32 v9, v10, v9
	v_add_f32_e32 v8, v8, v9
	;; [unrolled: 1-line block ×3, first 2 shown]
	v_mul_f32_e32 v10, v34, v9
	v_mul_f32_e32 v12, v29, v10
	v_fma_f32 v14, v10, v29, -v12
	v_fmac_f32_e32 v14, v10, v33
	v_sub_f32_e32 v13, v13, v9
	v_add_f32_e32 v29, v8, v13
	v_add_f32_e32 v8, v12, v14
	v_sub_f32_e32 v13, v9, v8
	v_pk_add_f32 v[30:31], v[8:9], v[12:13] neg_lo:[0,1] neg_hi:[0,1]
	v_mov_b32_e32 v15, v8
	v_pk_add_f32 v[8:9], v[30:31], v[14:15] neg_lo:[0,1] neg_hi:[0,1]
	s_or_b64 vcc, s[60:61], vcc
	v_add_f32_e32 v9, v29, v9
	v_add_f32_e32 v8, v8, v9
	;; [unrolled: 1-line block ×4, first 2 shown]
	v_sub_f32_e32 v12, v9, v35
	v_mul_f32_e32 v8, v34, v8
	v_sub_f32_e32 v10, v10, v12
	v_add_f32_e32 v10, v10, v8
	v_add_f32_e32 v12, v9, v10
	v_mul_f32_e32 v14, v12, v12
	v_fmamk_f32 v8, v14, 0x3e9b6dac, v139
	v_fmaak_f32 v29, v14, v8, 0x3f2aaada
	v_cvt_f32_i32_e32 v8, v32
	v_sub_f32_e32 v9, v12, v9
	v_sub_f32_e32 v9, v10, v9
	v_ldexp_f32 v10, v9, 1
	v_mul_f32_e32 v9, v12, v14
	v_pk_mul_f32 v[14:15], v[8:9], v[28:29]
	v_ldexp_f32 v13, v12, 1
	v_fma_f32 v12, v8, s13, -v14
	v_fmac_f32_e32 v12, 0xb102e308, v8
	v_pk_add_f32 v[8:9], v[14:15], v[12:13]
	v_mov_b32_e32 v30, v14
	v_sub_f32_e32 v13, v9, v13
	v_sub_f32_e32 v13, v15, v13
	v_add_f32_e32 v31, v10, v13
	v_pk_add_f32 v[14:15], v[8:9], v[14:15] neg_lo:[0,1] neg_hi:[0,1]
	v_pk_add_f32 v[32:33], v[8:9], v[30:31]
	v_mov_b32_e32 v13, v8
	v_mov_b32_e32 v15, v33
	v_pk_add_f32 v[34:35], v[12:13], v[14:15] neg_lo:[0,1] neg_hi:[0,1]
	v_pk_add_f32 v[12:13], v[12:13], v[14:15]
	s_nop 0
	v_mov_b32_e32 v10, v13
	v_pk_add_f32 v[14:15], v[10:11], v[8:9] neg_lo:[0,1] neg_hi:[0,1]
	v_mov_b32_e32 v12, v33
	v_mov_b32_e32 v15, v14
	v_pk_add_f32 v[36:37], v[32:33], v[14:15] neg_lo:[0,1] neg_hi:[0,1]
	v_mov_b32_e32 v32, v9
	v_mov_b32_e32 v33, v14
	;; [unrolled: 1-line block ×3, first 2 shown]
	v_pk_add_f32 v[12:13], v[12:13], v[32:33] neg_lo:[0,1] neg_hi:[0,1]
	v_mov_b32_e32 v14, v31
	v_mov_b32_e32 v15, v8
	v_pk_add_f32 v[8:9], v[14:15], v[12:13] neg_lo:[0,1] neg_hi:[0,1]
	v_mov_b32_e32 v36, v34
	v_pk_add_f32 v[12:13], v[36:37], v[8:9]
	s_nop 0
	v_mov_b32_e32 v14, v13
	v_pk_add_f32 v[14:15], v[12:13], v[14:15]
	s_nop 0
	v_pk_add_f32 v[30:31], v[10:11], v[14:15]
	v_mov_b32_e32 v9, v14
	v_mov_b32_e32 v13, v30
	v_pk_add_f32 v[32:33], v[12:13], v[34:35] neg_lo:[0,1] neg_hi:[0,1]
	s_nop 0
	v_sub_f32_e32 v10, v12, v32
	v_pk_add_f32 v[8:9], v[8:9], v[32:33] neg_lo:[0,1] neg_hi:[0,1]
	v_sub_f32_e32 v10, v34, v10
	v_add_f32_e32 v8, v8, v10
	v_add_f32_e32 v8, v8, v9
	v_add_f32_e32 v8, v30, v8
	v_cndmask_b32_e32 v46, v8, v27, vcc
.LBB125_105:                            ;   in Loop: Header=BB125_13 Depth=1
	s_or_b64 exec, exec, s[4:5]
	v_cvt_f32_f16_sdwa v8, v11 dst_sel:DWORD dst_unused:UNUSED_PAD src0_sel:WORD_1
	v_readlane_b32 s2, v166, 2
	s_nop 1
	v_add_f32_e32 v47, s2, v8
	v_readlane_b32 s2, v166, 23
	v_cmp_ge_f32_e32 vcc, s6, v47
	v_readlane_b32 s3, v166, 24
	s_and_b64 s[2:3], s[2:3], vcc
	s_and_saveexec_b64 s[4:5], s[2:3]
	s_cbranch_execz .LBB125_107
; %bb.106:                              ;   in Loop: Header=BB125_13 Depth=1
	v_mul_f32_e32 v8, 0x3fb8aa3b, v47
	v_rndne_f32_e32 v9, v8
	v_sub_f32_e32 v10, v8, v9
	v_fma_f32 v8, v47, s8, -v8
	v_fmac_f32_e32 v8, 0x32a5705f, v47
	v_add_f32_e32 v8, v10, v8
	v_cvt_i32_f32_e32 v9, v9
	v_exp_f32_e32 v8, v8
	v_cmp_ngt_f32_e32 vcc, s9, v47
	v_ldexp_f32 v8, v8, v9
	s_nop 0
	v_cndmask_b32_e32 v8, 0, v8, vcc
	v_cmp_nlt_f32_e32 vcc, s10, v47
	s_nop 1
	v_cndmask_b32_e32 v27, v140, v8, vcc
	v_add_f32_e32 v10, 1.0, v27
	v_add_f32_e32 v8, -1.0, v10
	v_sub_f32_e32 v9, v8, v10
	v_add_f32_e32 v9, 1.0, v9
	v_sub_f32_e32 v8, v27, v8
	v_add_f32_e32 v11, v8, v9
	v_frexp_mant_f32_e32 v12, v10
	v_cvt_f64_f32_e32 v[8:9], v10
	v_frexp_exp_i32_f64_e32 v8, v[8:9]
	v_cmp_gt_f32_e32 vcc, s12, v12
	v_cmp_gt_f32_e64 s[60:61], s14, v27
	s_nop 0
	v_subbrev_co_u32_e32 v30, vcc, 0, v8, vcc
	v_sub_u32_e32 v8, 0, v30
	v_ldexp_f32 v9, v10, v8
	v_add_f32_e32 v10, -1.0, v9
	v_add_f32_e32 v12, 1.0, v9
	v_ldexp_f32 v8, v11, v8
	v_add_f32_e32 v11, 1.0, v10
	v_add_f32_e32 v13, -1.0, v12
	v_sub_f32_e32 v11, v9, v11
	v_sub_f32_e32 v9, v9, v13
	v_add_f32_e32 v11, v8, v11
	v_add_f32_e32 v8, v8, v9
	v_add_f32_e32 v29, v12, v8
	v_rcp_f32_e32 v32, v29
	v_sub_f32_e32 v9, v12, v29
	v_add_f32_e32 v31, v8, v9
	v_add_f32_e32 v9, v10, v11
	v_mul_f32_e32 v34, v9, v32
	v_sub_f32_e32 v8, v10, v9
	v_mul_f32_e32 v10, v29, v34
	v_fma_f32 v12, v34, v29, -v10
	v_fmac_f32_e32 v12, v34, v31
	v_add_f32_e32 v33, v11, v8
	v_add_f32_e32 v8, v10, v12
	v_sub_f32_e32 v11, v9, v8
	v_pk_add_f32 v[14:15], v[8:9], v[10:11] neg_lo:[0,1] neg_hi:[0,1]
	v_mov_b32_e32 v13, v8
	v_pk_add_f32 v[8:9], v[14:15], v[12:13] neg_lo:[0,1] neg_hi:[0,1]
	v_cmp_eq_f32_e32 vcc, s11, v27
	v_add_f32_e32 v9, v33, v9
	v_add_f32_e32 v8, v8, v9
	;; [unrolled: 1-line block ×3, first 2 shown]
	v_mul_f32_e32 v33, v32, v9
	v_mul_f32_e32 v10, v29, v33
	v_fma_f32 v12, v33, v29, -v10
	v_fmac_f32_e32 v12, v33, v31
	v_sub_f32_e32 v11, v11, v9
	v_add_f32_e32 v29, v8, v11
	v_add_f32_e32 v8, v10, v12
	v_sub_f32_e32 v11, v9, v8
	v_pk_add_f32 v[14:15], v[8:9], v[10:11] neg_lo:[0,1] neg_hi:[0,1]
	v_mov_b32_e32 v13, v8
	v_pk_add_f32 v[8:9], v[14:15], v[12:13] neg_lo:[0,1] neg_hi:[0,1]
	s_or_b64 vcc, s[60:61], vcc
	v_add_f32_e32 v9, v29, v9
	v_add_f32_e32 v8, v8, v9
	;; [unrolled: 1-line block ×4, first 2 shown]
	v_sub_f32_e32 v10, v9, v34
	v_mul_f32_e32 v8, v32, v8
	v_sub_f32_e32 v10, v33, v10
	v_add_f32_e32 v10, v10, v8
	v_add_f32_e32 v12, v9, v10
	v_mul_f32_e32 v13, v12, v12
	v_fmamk_f32 v8, v13, 0x3e9b6dac, v139
	v_fmaak_f32 v29, v13, v8, 0x3f2aaada
	v_cvt_f32_i32_e32 v8, v30
	v_sub_f32_e32 v9, v12, v9
	v_sub_f32_e32 v9, v10, v9
	v_ldexp_f32 v14, v9, 1
	v_mul_f32_e32 v9, v12, v13
	v_ldexp_f32 v11, v12, 1
	v_pk_mul_f32 v[12:13], v[8:9], v[28:29]
	s_nop 0
	v_fma_f32 v10, v8, s13, -v12
	v_fmac_f32_e32 v10, 0xb102e308, v8
	v_pk_add_f32 v[8:9], v[12:13], v[10:11]
	s_nop 0
	v_sub_f32_e32 v11, v9, v11
	v_sub_f32_e32 v11, v13, v11
	v_add_f32_e32 v15, v14, v11
	v_mov_b32_e32 v14, v12
	v_pk_add_f32 v[12:13], v[8:9], v[12:13] neg_lo:[0,1] neg_hi:[0,1]
	v_pk_add_f32 v[30:31], v[8:9], v[14:15]
	v_mov_b32_e32 v11, v8
	v_mov_b32_e32 v13, v31
	v_pk_add_f32 v[32:33], v[10:11], v[12:13] neg_lo:[0,1] neg_hi:[0,1]
	v_pk_add_f32 v[10:11], v[10:11], v[12:13]
	v_mov_b32_e32 v14, v15
	v_mov_b32_e32 v12, v11
	v_pk_add_f32 v[34:35], v[12:13], v[8:9] neg_lo:[0,1] neg_hi:[0,1]
	v_mov_b32_e32 v10, v31
	v_mov_b32_e32 v13, v34
	v_pk_add_f32 v[36:37], v[30:31], v[12:13] neg_lo:[0,1] neg_hi:[0,1]
	v_mov_b32_e32 v30, v9
	v_mov_b32_e32 v31, v34
	v_mov_b32_e32 v33, v11
	v_pk_add_f32 v[10:11], v[10:11], v[30:31] neg_lo:[0,1] neg_hi:[0,1]
	v_mov_b32_e32 v15, v8
	v_pk_add_f32 v[8:9], v[14:15], v[10:11] neg_lo:[0,1] neg_hi:[0,1]
	v_mov_b32_e32 v36, v32
	v_pk_add_f32 v[10:11], v[36:37], v[8:9]
	s_nop 0
	v_mov_b32_e32 v14, v11
	v_pk_add_f32 v[14:15], v[10:11], v[14:15]
	s_nop 0
	v_pk_add_f32 v[12:13], v[12:13], v[14:15]
	v_mov_b32_e32 v9, v14
	v_mov_b32_e32 v11, v12
	v_pk_add_f32 v[30:31], v[10:11], v[32:33] neg_lo:[0,1] neg_hi:[0,1]
	s_nop 0
	v_sub_f32_e32 v10, v10, v30
	v_pk_add_f32 v[8:9], v[8:9], v[30:31] neg_lo:[0,1] neg_hi:[0,1]
	v_sub_f32_e32 v10, v32, v10
	v_add_f32_e32 v8, v8, v10
	v_add_f32_e32 v8, v8, v9
	;; [unrolled: 1-line block ×3, first 2 shown]
	v_cndmask_b32_e32 v47, v8, v27, vcc
.LBB125_107:                            ;   in Loop: Header=BB125_13 Depth=1
	s_or_b64 exec, exec, s[4:5]
	v_cvt_f32_f16_e32 v8, v7
	v_cvt_f32_f16_sdwa v9, v6 dst_sel:DWORD dst_unused:UNUSED_PAD src0_sel:WORD_1
	v_cvt_f32_f16_e32 v6, v6
	v_cvt_f32_f16_sdwa v13, v7 dst_sel:DWORD dst_unused:UNUSED_PAD src0_sel:WORD_1
	v_cvt_f32_f16_sdwa v7, v5 dst_sel:DWORD dst_unused:UNUSED_PAD src0_sel:WORD_1
	v_cvt_f32_f16_e32 v5, v5
	v_cvt_f32_f16_sdwa v10, v4 dst_sel:DWORD dst_unused:UNUSED_PAD src0_sel:WORD_1
	v_cvt_f32_f16_e32 v4, v4
	;; [unrolled: 2-line block ×6, first 2 shown]
	v_readlane_b32 s2, v166, 3
	s_barrier
	s_nop 0
	v_mul_f32_e32 v32, s2, v8
	v_mul_f32_e32 v31, s2, v9
	;; [unrolled: 1-line block ×16, first 2 shown]
	v_readlane_b32 s2, v166, 25
	v_readlane_b32 s3, v166, 26
	s_and_b64 vcc, exec, s[2:3]
	s_cbranch_vccz .LBB125_204
; %bb.108:                              ;   in Loop: Header=BB125_13 Depth=1
	v_readlane_b32 s2, v166, 9
	v_readlane_b32 s3, v166, 10
	v_mul_f32_e32 v127, v143, v0
	v_cmp_gt_u32_e32 vcc, s88, v19
	v_lshl_add_u64 v[48:49], s[2:3], 0, v[16:17]
	v_readlane_b32 s2, v166, 19
	v_readlane_b32 s3, v166, 20
	v_or_b32_e32 v0, 1, v19
	v_mov_b32_e32 v27, v17
	v_lshl_add_u64 v[50:51], s[2:3], 0, v[16:17]
	v_readlane_b32 s3, v166, 60
	s_cmp_lg_u32 s3, 0
	v_readlane_b32 s2, v166, 30
	s_cselect_b64 s[94:95], -1, 0
	s_cmp_eq_u32 s3, s2
	v_readlane_b32 s2, v166, 51
	v_readlane_b32 s3, v166, 52
	s_cselect_b64 s[96:97], -1, 0
	s_or_b64 s[60:61], s[2:3], vcc
	v_cmp_gt_u32_e32 vcc, s88, v0
	v_or_b32_e32 v0, 2, v19
	s_or_b64 s[62:63], s[2:3], vcc
	v_cmp_gt_u32_e32 vcc, s88, v0
	v_or_b32_e32 v0, 3, v19
	;; [unrolled: 3-line block ×14, first 2 shown]
	v_cmp_gt_u32_e64 s[88:89], s88, v0
	s_or_b64 s[88:89], s[2:3], s[88:89]
	s_or_b64 s[90:91], s[2:3], vcc
	v_readlane_b32 s2, v166, 27
	s_mov_b32 s6, 0
	v_readlane_b32 s3, v166, 28
	v_mul_f32_e32 v29, v47, v13
	v_lshl_add_u64 v[48:49], v[48:49], 0, v[26:27]
	v_lshl_add_u64 v[50:51], v[50:51], 0, v[26:27]
	v_mul_f32_e32 v16, v46, v8
	v_mul_f32_e32 v27, v156, v9
	;; [unrolled: 1-line block ×14, first 2 shown]
	s_mov_b32 s92, s6
	s_mov_b32 s98, s6
	;; [unrolled: 1-line block ×4, first 2 shown]
	v_readlane_b32 s9, v166, 59
	s_branch .LBB125_110
.LBB125_109:                            ;   in Loop: Header=BB125_110 Depth=2
	s_or_b64 exec, exec, s[2:3]
	v_cndmask_b32_e64 v8, v8, v71, s[24:25]
	v_cndmask_b32_e64 v52, v62, v70, s[24:25]
	v_mul_f32_e32 v52, v52, v129
	v_fma_f32 v8, v8, v129, v128
	v_cndmask_b32_e64 v8, v8, v128, s[22:23]
	v_cndmask_b32_e64 v52, v52, v129, s[22:23]
	s_waitcnt lgkmcnt(0)
	v_fmac_f32_e32 v8, v65, v52
	v_fmac_f32_e32 v9, v8, v130
	;; [unrolled: 1-line block ×15, first 2 shown]
	v_readlane_b32 s12, v166, 31
	v_fmac_f32_e32 v63, v61, v67
	v_cvt_f32_f16_sdwa v53, v4 dst_sel:DWORD dst_unused:UNUSED_PAD src0_sel:WORD_1
	v_cvt_f32_f16_sdwa v65, v5 dst_sel:DWORD dst_unused:UNUSED_PAD src0_sel:WORD_1
	v_cvt_f32_f16_e32 v52, v4
	v_cvt_f32_f16_e32 v64, v5
	v_cvt_f32_f16_sdwa v5, v6 dst_sel:DWORD dst_unused:UNUSED_PAD src0_sel:WORD_1
	v_cvt_f32_f16_sdwa v67, v7 dst_sel:DWORD dst_unused:UNUSED_PAD src0_sel:WORD_1
	v_cvt_f32_f16_e32 v4, v6
	v_cvt_f32_f16_e32 v66, v7
	;; [unrolled: 4-line block ×4, first 2 shown]
	v_readlane_b32 s13, v166, 32
	v_readlane_b32 s14, v166, 33
	;; [unrolled: 1-line block ×7, first 2 shown]
	s_add_i32 s98, s98, s12
	v_readlane_b32 s12, v166, 11
	v_readlane_b32 s2, v166, 4
	;; [unrolled: 1-line block ×4, first 2 shown]
	v_mov_b32_e32 v62, v61
	s_add_i32 s9, s9, 8
	s_add_i32 s8, s8, -1
	s_add_i32 s4, s4, s2
	s_add_i32 s92, s92, s16
	;; [unrolled: 1-line block ×3, first 2 shown]
	v_pk_fma_f32 v[44:45], v[10:11], v[64:65], v[44:45]
	v_pk_fma_f32 v[42:43], v[8:9], v[52:53], v[42:43]
	;; [unrolled: 1-line block ×7, first 2 shown]
	s_cmp_eq_u32 s8, 0
	v_pk_fma_f32 v[30:31], v[56:57], v[0:1], v[30:31]
	v_readlane_b32 s14, v166, 13
	v_readlane_b32 s15, v166, 14
	;; [unrolled: 1-line block ×5, first 2 shown]
	s_cbranch_scc1 .LBB125_203
.LBB125_110:                            ;   Parent Loop BB125_13 Depth=1
                                        ; =>  This Inner Loop Header: Depth=2
	s_lshl_b64 s[2:3], s[6:7], 2
	v_readlane_b32 s5, v166, 7
	s_add_u32 s2, s5, s2
	v_readlane_b32 s5, v166, 8
	s_addc_u32 s3, s5, s3
	global_load_dword v54, v17, s[2:3]
	s_mov_b32 s93, s7
	v_lshl_add_u64 v[0:1], s[92:93], 1, v[48:49]
	v_mov_b32_e32 v2, 0
	v_mov_b32_e32 v3, 0
	s_and_saveexec_b64 s[2:3], s[26:27]
	s_cbranch_execnz .LBB125_146
; %bb.111:                              ;   in Loop: Header=BB125_110 Depth=2
	s_or_b64 exec, exec, s[2:3]
	s_and_saveexec_b64 s[2:3], s[28:29]
	s_cbranch_execnz .LBB125_147
.LBB125_112:                            ;   in Loop: Header=BB125_110 Depth=2
	s_or_b64 exec, exec, s[2:3]
	v_mov_b32_e32 v4, 0
	s_and_saveexec_b64 s[2:3], s[30:31]
	s_cbranch_execnz .LBB125_148
.LBB125_113:                            ;   in Loop: Header=BB125_110 Depth=2
	s_or_b64 exec, exec, s[2:3]
	s_and_saveexec_b64 s[2:3], s[34:35]
	s_cbranch_execnz .LBB125_149
.LBB125_114:                            ;   in Loop: Header=BB125_110 Depth=2
	s_or_b64 exec, exec, s[2:3]
	v_mov_b32_e32 v5, 0
	s_and_saveexec_b64 s[2:3], s[36:37]
	s_cbranch_execnz .LBB125_150
.LBB125_115:                            ;   in Loop: Header=BB125_110 Depth=2
	s_or_b64 exec, exec, s[2:3]
	s_and_saveexec_b64 s[2:3], s[38:39]
	s_cbranch_execnz .LBB125_151
.LBB125_116:                            ;   in Loop: Header=BB125_110 Depth=2
	s_or_b64 exec, exec, s[2:3]
	v_mov_b32_e32 v6, 0
	s_and_saveexec_b64 s[2:3], s[40:41]
	s_cbranch_execnz .LBB125_152
.LBB125_117:                            ;   in Loop: Header=BB125_110 Depth=2
	s_or_b64 exec, exec, s[2:3]
	s_and_saveexec_b64 s[2:3], s[42:43]
	s_cbranch_execnz .LBB125_153
.LBB125_118:                            ;   in Loop: Header=BB125_110 Depth=2
	s_or_b64 exec, exec, s[2:3]
	v_mov_b32_e32 v7, 0
	s_and_saveexec_b64 s[2:3], s[44:45]
	s_cbranch_execnz .LBB125_154
.LBB125_119:                            ;   in Loop: Header=BB125_110 Depth=2
	s_or_b64 exec, exec, s[2:3]
	s_and_saveexec_b64 s[2:3], s[46:47]
	s_cbranch_execnz .LBB125_155
.LBB125_120:                            ;   in Loop: Header=BB125_110 Depth=2
	s_or_b64 exec, exec, s[2:3]
	v_mov_b32_e32 v8, 0
	s_and_saveexec_b64 s[2:3], s[48:49]
	s_cbranch_execnz .LBB125_156
.LBB125_121:                            ;   in Loop: Header=BB125_110 Depth=2
	s_or_b64 exec, exec, s[2:3]
	s_and_saveexec_b64 s[2:3], s[50:51]
	s_cbranch_execnz .LBB125_157
.LBB125_122:                            ;   in Loop: Header=BB125_110 Depth=2
	s_or_b64 exec, exec, s[2:3]
	v_mov_b32_e32 v9, 0
	s_and_saveexec_b64 s[2:3], s[52:53]
	s_cbranch_execnz .LBB125_158
.LBB125_123:                            ;   in Loop: Header=BB125_110 Depth=2
	s_or_b64 exec, exec, s[2:3]
	s_and_saveexec_b64 s[2:3], s[54:55]
	s_cbranch_execnz .LBB125_159
.LBB125_124:                            ;   in Loop: Header=BB125_110 Depth=2
	s_or_b64 exec, exec, s[2:3]
	v_mov_b32_e32 v10, 0
	s_and_saveexec_b64 s[2:3], s[56:57]
	s_cbranch_execnz .LBB125_160
.LBB125_125:                            ;   in Loop: Header=BB125_110 Depth=2
	s_or_b64 exec, exec, s[2:3]
	s_and_saveexec_b64 s[2:3], s[58:59]
	s_cbranch_execz .LBB125_127
.LBB125_126:                            ;   in Loop: Header=BB125_110 Depth=2
	global_load_ushort v0, v[0:1], off offset:1920
	s_waitcnt vmcnt(0)
	v_lshl_or_b32 v10, v0, 16, v10
.LBB125_127:                            ;   in Loop: Header=BB125_110 Depth=2
	s_or_b64 exec, exec, s[2:3]
	s_waitcnt vmcnt(0)
	ds_write_b16 v88, v3
	ds_write_b16 v89, v2 offset:128
	ds_write_b16 v90, v4 offset:256
	ds_write_b16_d16_hi v91, v4 offset:384
	ds_write_b16 v92, v5 offset:512
	ds_write_b16_d16_hi v93, v5 offset:640
	;; [unrolled: 2-line block ×7, first 2 shown]
	; wave barrier
	ds_read_b128 v[12:15], v119
	ds_read_b128 v[8:11], v119 offset:16
	s_mov_b32 s99, s7
	v_lshl_add_u64 v[0:1], s[98:99], 1, v[50:51]
	v_mov_b32_e32 v2, 0
	v_mov_b32_e32 v3, 0
	s_and_saveexec_b64 s[2:3], s[26:27]
	s_cbranch_execnz .LBB125_161
; %bb.128:                              ;   in Loop: Header=BB125_110 Depth=2
	s_or_b64 exec, exec, s[2:3]
	s_and_saveexec_b64 s[2:3], s[28:29]
	s_cbranch_execnz .LBB125_162
.LBB125_129:                            ;   in Loop: Header=BB125_110 Depth=2
	s_or_b64 exec, exec, s[2:3]
	v_mov_b32_e32 v4, 0
	s_and_saveexec_b64 s[2:3], s[30:31]
	s_cbranch_execnz .LBB125_163
.LBB125_130:                            ;   in Loop: Header=BB125_110 Depth=2
	s_or_b64 exec, exec, s[2:3]
	s_and_saveexec_b64 s[2:3], s[34:35]
	s_cbranch_execnz .LBB125_164
.LBB125_131:                            ;   in Loop: Header=BB125_110 Depth=2
	s_or_b64 exec, exec, s[2:3]
	v_mov_b32_e32 v5, 0
	s_and_saveexec_b64 s[2:3], s[36:37]
	s_cbranch_execnz .LBB125_165
.LBB125_132:                            ;   in Loop: Header=BB125_110 Depth=2
	s_or_b64 exec, exec, s[2:3]
	s_and_saveexec_b64 s[2:3], s[38:39]
	s_cbranch_execnz .LBB125_166
.LBB125_133:                            ;   in Loop: Header=BB125_110 Depth=2
	s_or_b64 exec, exec, s[2:3]
	v_mov_b32_e32 v6, 0
	s_and_saveexec_b64 s[2:3], s[40:41]
	s_cbranch_execnz .LBB125_167
.LBB125_134:                            ;   in Loop: Header=BB125_110 Depth=2
	s_or_b64 exec, exec, s[2:3]
	s_and_saveexec_b64 s[2:3], s[42:43]
	s_cbranch_execnz .LBB125_168
.LBB125_135:                            ;   in Loop: Header=BB125_110 Depth=2
	s_or_b64 exec, exec, s[2:3]
	v_mov_b32_e32 v7, 0
	s_and_saveexec_b64 s[2:3], s[44:45]
	s_cbranch_execnz .LBB125_169
.LBB125_136:                            ;   in Loop: Header=BB125_110 Depth=2
	s_or_b64 exec, exec, s[2:3]
	s_and_saveexec_b64 s[2:3], s[46:47]
	s_cbranch_execnz .LBB125_170
.LBB125_137:                            ;   in Loop: Header=BB125_110 Depth=2
	s_or_b64 exec, exec, s[2:3]
	v_mov_b32_e32 v52, 0
	s_and_saveexec_b64 s[2:3], s[48:49]
	s_cbranch_execnz .LBB125_171
.LBB125_138:                            ;   in Loop: Header=BB125_110 Depth=2
	s_or_b64 exec, exec, s[2:3]
	s_and_saveexec_b64 s[2:3], s[50:51]
	s_cbranch_execnz .LBB125_172
.LBB125_139:                            ;   in Loop: Header=BB125_110 Depth=2
	s_or_b64 exec, exec, s[2:3]
	v_mov_b32_e32 v53, 0
	s_and_saveexec_b64 s[2:3], s[52:53]
	s_cbranch_execnz .LBB125_173
.LBB125_140:                            ;   in Loop: Header=BB125_110 Depth=2
	s_or_b64 exec, exec, s[2:3]
	s_and_saveexec_b64 s[2:3], s[54:55]
	s_cbranch_execnz .LBB125_174
.LBB125_141:                            ;   in Loop: Header=BB125_110 Depth=2
	s_or_b64 exec, exec, s[2:3]
	v_mov_b32_e32 v55, 0
	s_and_saveexec_b64 s[2:3], s[56:57]
	s_cbranch_execnz .LBB125_175
.LBB125_142:                            ;   in Loop: Header=BB125_110 Depth=2
	s_or_b64 exec, exec, s[2:3]
	s_and_saveexec_b64 s[2:3], s[58:59]
	s_cbranch_execz .LBB125_144
.LBB125_143:                            ;   in Loop: Header=BB125_110 Depth=2
	global_load_ushort v0, v[0:1], off offset:1920
	s_waitcnt vmcnt(0)
	v_lshl_or_b32 v55, v0, 16, v55
.LBB125_144:                            ;   in Loop: Header=BB125_110 Depth=2
	s_or_b64 exec, exec, s[2:3]
	s_waitcnt vmcnt(0)
	ds_write_b16 v88, v3 offset:4224
	ds_write_b16 v101, v2 offset:128
	ds_write_b16 v102, v4 offset:256
	ds_write_b16_d16_hi v103, v4 offset:384
	ds_write_b16 v104, v5 offset:512
	ds_write_b16_d16_hi v105, v5 offset:640
	ds_write_b16 v106, v6 offset:768
	;; [unrolled: 2-line block ×6, first 2 shown]
	ds_write_b16_d16_hi v118, v55 offset:1920
	; wave barrier
	ds_read_b128 v[4:7], v119 offset:4224
	ds_read_b128 v[0:3], v120 offset:16
	s_andn2_b64 vcc, exec, s[94:95]
	s_cbranch_vccnz .LBB125_176
; %bb.145:                              ;   in Loop: Header=BB125_110 Depth=2
	v_mov_b32_e32 v52, s9
	ds_read_b64 v[52:53], v52
	s_cbranch_execz .LBB125_177
	s_branch .LBB125_180
.LBB125_146:                            ;   in Loop: Header=BB125_110 Depth=2
	global_load_ushort v3, v[0:1], off
	s_or_b64 exec, exec, s[2:3]
	s_and_saveexec_b64 s[2:3], s[28:29]
	s_cbranch_execz .LBB125_112
.LBB125_147:                            ;   in Loop: Header=BB125_110 Depth=2
	global_load_ushort v2, v[0:1], off offset:128
	s_or_b64 exec, exec, s[2:3]
	v_mov_b32_e32 v4, 0
	s_and_saveexec_b64 s[2:3], s[30:31]
	s_cbranch_execz .LBB125_113
.LBB125_148:                            ;   in Loop: Header=BB125_110 Depth=2
	global_load_ushort v4, v[0:1], off offset:256
	s_or_b64 exec, exec, s[2:3]
	s_and_saveexec_b64 s[2:3], s[34:35]
	s_cbranch_execz .LBB125_114
.LBB125_149:                            ;   in Loop: Header=BB125_110 Depth=2
	global_load_ushort v5, v[0:1], off offset:384
	s_waitcnt vmcnt(0)
	v_lshl_or_b32 v4, v5, 16, v4
	s_or_b64 exec, exec, s[2:3]
	v_mov_b32_e32 v5, 0
	s_and_saveexec_b64 s[2:3], s[36:37]
	s_cbranch_execz .LBB125_115
.LBB125_150:                            ;   in Loop: Header=BB125_110 Depth=2
	global_load_ushort v5, v[0:1], off offset:512
	s_or_b64 exec, exec, s[2:3]
	s_and_saveexec_b64 s[2:3], s[38:39]
	s_cbranch_execz .LBB125_116
.LBB125_151:                            ;   in Loop: Header=BB125_110 Depth=2
	global_load_ushort v6, v[0:1], off offset:640
	s_waitcnt vmcnt(0)
	v_lshl_or_b32 v5, v6, 16, v5
	s_or_b64 exec, exec, s[2:3]
	v_mov_b32_e32 v6, 0
	s_and_saveexec_b64 s[2:3], s[40:41]
	s_cbranch_execz .LBB125_117
.LBB125_152:                            ;   in Loop: Header=BB125_110 Depth=2
	global_load_ushort v6, v[0:1], off offset:768
	s_or_b64 exec, exec, s[2:3]
	s_and_saveexec_b64 s[2:3], s[42:43]
	s_cbranch_execz .LBB125_118
.LBB125_153:                            ;   in Loop: Header=BB125_110 Depth=2
	global_load_ushort v7, v[0:1], off offset:896
	s_waitcnt vmcnt(0)
	v_lshl_or_b32 v6, v7, 16, v6
	s_or_b64 exec, exec, s[2:3]
	v_mov_b32_e32 v7, 0
	s_and_saveexec_b64 s[2:3], s[44:45]
	s_cbranch_execz .LBB125_119
.LBB125_154:                            ;   in Loop: Header=BB125_110 Depth=2
	global_load_ushort v7, v[0:1], off offset:1024
	s_or_b64 exec, exec, s[2:3]
	s_and_saveexec_b64 s[2:3], s[46:47]
	s_cbranch_execz .LBB125_120
.LBB125_155:                            ;   in Loop: Header=BB125_110 Depth=2
	global_load_ushort v8, v[0:1], off offset:1152
	s_waitcnt vmcnt(0)
	v_lshl_or_b32 v7, v8, 16, v7
	s_or_b64 exec, exec, s[2:3]
	v_mov_b32_e32 v8, 0
	s_and_saveexec_b64 s[2:3], s[48:49]
	s_cbranch_execz .LBB125_121
.LBB125_156:                            ;   in Loop: Header=BB125_110 Depth=2
	global_load_ushort v8, v[0:1], off offset:1280
	s_or_b64 exec, exec, s[2:3]
	s_and_saveexec_b64 s[2:3], s[50:51]
	s_cbranch_execz .LBB125_122
.LBB125_157:                            ;   in Loop: Header=BB125_110 Depth=2
	global_load_ushort v9, v[0:1], off offset:1408
	s_waitcnt vmcnt(0)
	v_lshl_or_b32 v8, v9, 16, v8
	s_or_b64 exec, exec, s[2:3]
	v_mov_b32_e32 v9, 0
	s_and_saveexec_b64 s[2:3], s[52:53]
	s_cbranch_execz .LBB125_123
.LBB125_158:                            ;   in Loop: Header=BB125_110 Depth=2
	global_load_ushort v9, v[0:1], off offset:1536
	s_or_b64 exec, exec, s[2:3]
	s_and_saveexec_b64 s[2:3], s[54:55]
	s_cbranch_execz .LBB125_124
.LBB125_159:                            ;   in Loop: Header=BB125_110 Depth=2
	global_load_ushort v10, v[0:1], off offset:1664
	s_waitcnt vmcnt(0)
	v_lshl_or_b32 v9, v10, 16, v9
	s_or_b64 exec, exec, s[2:3]
	v_mov_b32_e32 v10, 0
	s_and_saveexec_b64 s[2:3], s[56:57]
	s_cbranch_execz .LBB125_125
.LBB125_160:                            ;   in Loop: Header=BB125_110 Depth=2
	global_load_ushort v10, v[0:1], off offset:1792
	s_or_b64 exec, exec, s[2:3]
	s_and_saveexec_b64 s[2:3], s[58:59]
	s_cbranch_execnz .LBB125_126
	s_branch .LBB125_127
.LBB125_161:                            ;   in Loop: Header=BB125_110 Depth=2
	global_load_ushort v3, v[0:1], off
	s_or_b64 exec, exec, s[2:3]
	s_and_saveexec_b64 s[2:3], s[28:29]
	s_cbranch_execz .LBB125_129
.LBB125_162:                            ;   in Loop: Header=BB125_110 Depth=2
	global_load_ushort v2, v[0:1], off offset:128
	s_or_b64 exec, exec, s[2:3]
	v_mov_b32_e32 v4, 0
	s_and_saveexec_b64 s[2:3], s[30:31]
	s_cbranch_execz .LBB125_130
.LBB125_163:                            ;   in Loop: Header=BB125_110 Depth=2
	global_load_ushort v4, v[0:1], off offset:256
	s_or_b64 exec, exec, s[2:3]
	s_and_saveexec_b64 s[2:3], s[34:35]
	s_cbranch_execz .LBB125_131
.LBB125_164:                            ;   in Loop: Header=BB125_110 Depth=2
	global_load_ushort v5, v[0:1], off offset:384
	s_waitcnt vmcnt(0)
	v_lshl_or_b32 v4, v5, 16, v4
	s_or_b64 exec, exec, s[2:3]
	v_mov_b32_e32 v5, 0
	s_and_saveexec_b64 s[2:3], s[36:37]
	s_cbranch_execz .LBB125_132
.LBB125_165:                            ;   in Loop: Header=BB125_110 Depth=2
	global_load_ushort v5, v[0:1], off offset:512
	s_or_b64 exec, exec, s[2:3]
	s_and_saveexec_b64 s[2:3], s[38:39]
	s_cbranch_execz .LBB125_133
.LBB125_166:                            ;   in Loop: Header=BB125_110 Depth=2
	global_load_ushort v6, v[0:1], off offset:640
	s_waitcnt vmcnt(0)
	v_lshl_or_b32 v5, v6, 16, v5
	s_or_b64 exec, exec, s[2:3]
	v_mov_b32_e32 v6, 0
	s_and_saveexec_b64 s[2:3], s[40:41]
	s_cbranch_execz .LBB125_134
.LBB125_167:                            ;   in Loop: Header=BB125_110 Depth=2
	global_load_ushort v6, v[0:1], off offset:768
	s_or_b64 exec, exec, s[2:3]
	s_and_saveexec_b64 s[2:3], s[42:43]
	s_cbranch_execz .LBB125_135
.LBB125_168:                            ;   in Loop: Header=BB125_110 Depth=2
	global_load_ushort v7, v[0:1], off offset:896
	s_waitcnt vmcnt(0)
	v_lshl_or_b32 v6, v7, 16, v6
	s_or_b64 exec, exec, s[2:3]
	v_mov_b32_e32 v7, 0
	s_and_saveexec_b64 s[2:3], s[44:45]
	s_cbranch_execz .LBB125_136
.LBB125_169:                            ;   in Loop: Header=BB125_110 Depth=2
	global_load_ushort v7, v[0:1], off offset:1024
	s_or_b64 exec, exec, s[2:3]
	s_and_saveexec_b64 s[2:3], s[46:47]
	s_cbranch_execz .LBB125_137
.LBB125_170:                            ;   in Loop: Header=BB125_110 Depth=2
	global_load_ushort v52, v[0:1], off offset:1152
	s_waitcnt vmcnt(0)
	v_lshl_or_b32 v7, v52, 16, v7
	s_or_b64 exec, exec, s[2:3]
	v_mov_b32_e32 v52, 0
	s_and_saveexec_b64 s[2:3], s[48:49]
	s_cbranch_execz .LBB125_138
.LBB125_171:                            ;   in Loop: Header=BB125_110 Depth=2
	global_load_ushort v52, v[0:1], off offset:1280
	s_or_b64 exec, exec, s[2:3]
	s_and_saveexec_b64 s[2:3], s[50:51]
	s_cbranch_execz .LBB125_139
.LBB125_172:                            ;   in Loop: Header=BB125_110 Depth=2
	global_load_ushort v53, v[0:1], off offset:1408
	s_waitcnt vmcnt(0)
	v_lshl_or_b32 v52, v53, 16, v52
	s_or_b64 exec, exec, s[2:3]
	v_mov_b32_e32 v53, 0
	s_and_saveexec_b64 s[2:3], s[52:53]
	s_cbranch_execz .LBB125_140
.LBB125_173:                            ;   in Loop: Header=BB125_110 Depth=2
	global_load_ushort v53, v[0:1], off offset:1536
	s_or_b64 exec, exec, s[2:3]
	s_and_saveexec_b64 s[2:3], s[54:55]
	s_cbranch_execz .LBB125_141
.LBB125_174:                            ;   in Loop: Header=BB125_110 Depth=2
	global_load_ushort v55, v[0:1], off offset:1664
	s_waitcnt vmcnt(0)
	v_lshl_or_b32 v53, v55, 16, v53
	s_or_b64 exec, exec, s[2:3]
	v_mov_b32_e32 v55, 0
	s_and_saveexec_b64 s[2:3], s[56:57]
	s_cbranch_execz .LBB125_142
.LBB125_175:                            ;   in Loop: Header=BB125_110 Depth=2
	global_load_ushort v55, v[0:1], off offset:1792
	s_or_b64 exec, exec, s[2:3]
	s_and_saveexec_b64 s[2:3], s[58:59]
	s_cbranch_execnz .LBB125_143
	s_branch .LBB125_144
.LBB125_176:                            ;   in Loop: Header=BB125_110 Depth=2
                                        ; implicit-def: $vgpr53
.LBB125_177:                            ;   in Loop: Header=BB125_110 Depth=2
	v_readlane_b32 s2, v166, 0
	v_readlane_b32 s3, v166, 1
	s_andn2_b64 vcc, exec, s[2:3]
	s_waitcnt lgkmcnt(0)
	v_mov_b32_e32 v53, 0
	s_cbranch_vccnz .LBB125_179
; %bb.178:                              ;   in Loop: Header=BB125_110 Depth=2
	s_mov_b32 s5, s7
	s_lshl_b64 s[2:3], s[4:5], 2
	v_readlane_b32 s5, v166, 21
	s_add_u32 s2, s5, s2
	v_readlane_b32 s5, v166, 22
	s_addc_u32 s3, s5, s3
	global_load_dword v53, v17, s[2:3]
.LBB125_179:                            ;   in Loop: Header=BB125_110 Depth=2
	v_mov_b32_e32 v52, 1.0
.LBB125_180:                            ;   in Loop: Header=BB125_110 Depth=2
	s_waitcnt lgkmcnt(14)
	v_cvt_f32_f16_e32 v59, v8
	v_cvt_f32_f16_sdwa v60, v8 dst_sel:DWORD dst_unused:UNUSED_PAD src0_sel:WORD_1
	v_mul_f32_e32 v8, 0x3fb8aa3b, v54
	v_cvt_f32_f16_e32 v61, v9
	v_cvt_f32_f16_sdwa v63, v9 dst_sel:DWORD dst_unused:UNUSED_PAD src0_sel:WORD_1
	v_mul_f32_e32 v9, v8, v143
	v_cmp_gt_f32_e32 vcc, s33, v9
	v_cvt_f32_f16_e32 v64, v10
	v_cvt_f32_f16_sdwa v65, v10 dst_sel:DWORD dst_unused:UNUSED_PAD src0_sel:WORD_1
	v_cndmask_b32_e32 v9, 0, v141, vcc
	v_fmac_f32_e32 v9, v8, v143
	v_exp_f32_e32 v9, v9
	v_cndmask_b32_e32 v10, 1.0, v142, vcc
	v_cvt_f32_f16_e32 v55, v12
	v_cvt_f32_f16_e32 v68, v11
	v_mul_f32_e32 v9, v9, v10
	v_cndmask_b32_e64 v129, 1.0, v9, s[60:61]
	v_mul_f32_e32 v9, v8, v144
	v_cmp_gt_f32_e32 vcc, s33, v9
	v_mul_f32_e32 v10, v127, v55
	v_cndmask_b32_e64 v128, 0, v10, s[60:61]
	v_cndmask_b32_e32 v9, 0, v141, vcc
	v_fmac_f32_e32 v9, v8, v144
	v_exp_f32_e32 v9, v9
	v_cndmask_b32_e32 v10, 1.0, v142, vcc
	v_cvt_f32_f16_sdwa v62, v11 dst_sel:DWORD dst_unused:UNUSED_PAD src0_sel:WORD_1
	v_cvt_f32_f16_sdwa v12, v12 dst_sel:DWORD dst_unused:UNUSED_PAD src0_sel:WORD_1
	v_mul_f32_e32 v10, v9, v10
	v_cndmask_b32_e64 v130, 1.0, v10, s[62:63]
	v_mul_f32_e32 v10, v8, v145
	v_cmp_gt_f32_e32 vcc, s33, v10
	v_mul_f32_e32 v9, v126, v12
	v_cvt_f32_f16_e32 v56, v13
	v_cndmask_b32_e32 v10, 0, v141, vcc
	v_fmac_f32_e32 v10, v8, v145
	v_exp_f32_e32 v10, v10
	v_cndmask_b32_e32 v11, 1.0, v142, vcc
	v_cvt_f32_f16_sdwa v13, v13 dst_sel:DWORD dst_unused:UNUSED_PAD src0_sel:WORD_1
	v_cvt_f32_f16_e32 v57, v14
	v_mul_f32_e32 v11, v10, v11
	v_cndmask_b32_e64 v131, 1.0, v11, s[64:65]
	v_mul_f32_e32 v11, v8, v146
	v_cmp_gt_f32_e32 vcc, s33, v11
	v_cvt_f32_f16_sdwa v14, v14 dst_sel:DWORD dst_unused:UNUSED_PAD src0_sel:WORD_1
	v_mul_f32_e32 v10, v125, v56
	v_cndmask_b32_e32 v11, 0, v141, vcc
	v_fmac_f32_e32 v11, v8, v146
	v_exp_f32_e32 v11, v11
	v_cndmask_b32_e32 v12, 1.0, v142, vcc
	v_cvt_f32_f16_e32 v58, v15
	v_cndmask_b32_e64 v9, 0, v9, s[62:63]
	v_mul_f32_e32 v12, v11, v12
	v_cndmask_b32_e64 v132, 1.0, v12, s[66:67]
	v_mul_f32_e32 v12, v8, v147
	v_cmp_gt_f32_e32 vcc, s33, v12
	v_mul_f32_e32 v11, v124, v13
	v_pk_mul_f32 v[66:67], v[8:9], v[46:47] op_sel_hi:[0,1]
	v_cndmask_b32_e32 v12, 0, v141, vcc
	v_fmac_f32_e32 v12, v8, v147
	v_exp_f32_e32 v12, v12
	v_cndmask_b32_e32 v13, 1.0, v142, vcc
	v_mul_f32_e32 v62, v29, v62
	v_cvt_f32_f16_sdwa v15, v15 dst_sel:DWORD dst_unused:UNUSED_PAD src0_sel:WORD_1
	v_mul_f32_e32 v13, v12, v13
	v_cndmask_b32_e64 v133, 1.0, v13, s[68:69]
	v_mul_f32_e32 v13, v8, v148
	v_cmp_gt_f32_e32 vcc, s33, v13
	v_mul_f32_e32 v12, v165, v57
	v_cndmask_b32_e64 v10, 0, v10, s[64:65]
	v_cndmask_b32_e32 v13, 0, v141, vcc
	v_fmac_f32_e32 v13, v8, v148
	v_exp_f32_e32 v13, v13
	v_cndmask_b32_e32 v54, 1.0, v142, vcc
	v_cndmask_b32_e64 v11, 0, v11, s[66:67]
	v_cndmask_b32_e64 v12, 0, v12, s[68:69]
	v_mul_f32_e32 v54, v13, v54
	v_mul_f32_e32 v13, v164, v14
	;; [unrolled: 1-line block ×3, first 2 shown]
	v_cmp_gt_f32_e32 vcc, s33, v14
	v_cndmask_b32_e64 v134, 1.0, v54, s[70:71]
	v_cndmask_b32_e64 v13, 0, v13, s[70:71]
	v_cndmask_b32_e32 v14, 0, v141, vcc
	v_fmac_f32_e32 v14, v8, v149
	v_exp_f32_e32 v14, v14
	v_cndmask_b32_e32 v54, 1.0, v142, vcc
	v_mul_f32_e32 v15, v162, v15
	v_cndmask_b32_e64 v15, 0, v15, s[74:75]
	v_mul_f32_e32 v54, v14, v54
	v_cndmask_b32_e64 v135, 1.0, v54, s[72:73]
	v_mul_f32_e32 v54, v8, v150
	v_cmp_gt_f32_e32 vcc, s33, v54
	v_mul_f32_e32 v14, v163, v58
	v_cndmask_b32_e64 v14, 0, v14, s[72:73]
	v_cndmask_b32_e32 v54, 0, v141, vcc
	v_fmac_f32_e32 v54, v8, v150
	v_exp_f32_e32 v54, v54
	v_cndmask_b32_e32 v55, 1.0, v142, vcc
	v_readlane_b32 s10, v166, 39
	v_readlane_b32 s11, v166, 40
	v_mul_f32_e32 v54, v54, v55
	v_cndmask_b32_e64 v136, 1.0, v54, s[74:75]
	v_mul_f32_e32 v54, v8, v151
	v_cmp_gt_f32_e32 vcc, s33, v54
	s_nop 1
	v_cndmask_b32_e32 v54, 0, v141, vcc
	v_fmac_f32_e32 v54, v8, v151
	v_exp_f32_e32 v54, v54
	v_cndmask_b32_e32 v55, 1.0, v142, vcc
	v_mul_f32_e32 v55, v54, v55
	v_cndmask_b32_e64 v137, 1.0, v55, s[76:77]
	v_mul_f32_e32 v55, v8, v152
	v_cmp_gt_f32_e32 vcc, s33, v55
	v_mul_f32_e32 v54, v161, v59
	v_cndmask_b32_e64 v54, 0, v54, s[76:77]
	v_cndmask_b32_e32 v55, 0, v141, vcc
	v_fmac_f32_e32 v55, v8, v152
	v_exp_f32_e32 v55, v55
	v_cndmask_b32_e32 v56, 1.0, v142, vcc
	v_mul_f32_e32 v56, v55, v56
	v_cndmask_b32_e64 v138, 1.0, v56, s[78:79]
	v_mul_f32_e32 v56, v8, v153
	v_cmp_gt_f32_e32 vcc, s33, v56
	v_mul_f32_e32 v55, v160, v60
	v_cndmask_b32_e64 v55, 0, v55, s[78:79]
	;; [unrolled: 10-line block ×4, first 2 shown]
	v_cndmask_b32_e32 v56, 0, v141, vcc
	v_fmac_f32_e32 v56, v8, v155
	v_exp_f32_e32 v56, v56
	v_cndmask_b32_e32 v57, 1.0, v142, vcc
	v_mul_f32_e32 v57, v56, v57
	v_mul_f32_e32 v56, v157, v64
	v_cndmask_b32_e64 v64, 1.0, v57, s[84:85]
	v_mul_f32_e32 v57, v8, v156
	v_cmp_gt_f32_e32 vcc, s33, v57
	v_cndmask_b32_e64 v56, 0, v56, s[84:85]
	s_nop 0
	v_cndmask_b32_e32 v57, 0, v141, vcc
	v_fmac_f32_e32 v57, v8, v156
	v_cndmask_b32_e32 v60, 1.0, v142, vcc
	v_mul_f32_e32 v8, v16, v68
	v_cmp_gt_f32_e32 vcc, s33, v66
	v_cndmask_b32_e64 v61, 0, v8, s[90:91]
	v_exp_f32_e32 v57, v57
	v_cndmask_b32_e32 v8, 0, v141, vcc
	v_add_f32_e32 v8, v66, v8
	v_exp_f32_e32 v8, v8
	v_cndmask_b32_e32 v63, 1.0, v142, vcc
	v_cmp_gt_f32_e32 vcc, s33, v67
	v_mul_f32_e32 v60, v57, v60
	v_mul_f32_e32 v8, v8, v63
	v_cndmask_b32_e32 v63, 0, v141, vcc
	v_add_f32_e32 v63, v67, v63
	v_exp_f32_e32 v63, v63
	v_mul_f32_e32 v57, v27, v65
	v_cndmask_b32_e32 v65, 1.0, v142, vcc
	v_cndmask_b32_e64 v66, 1.0, v8, s[90:91]
	v_mul_f32_e32 v65, v63, v65
	v_cndmask_b32_e64 v63, 0, v62, s[88:89]
	v_mul_f32_e32 v8, v130, v129
	v_fma_f32 v62, v130, v128, v9
	v_mul_f32_e32 v8, v8, v131
	v_fma_f32 v62, v62, v131, v10
	;; [unrolled: 2-line block ×11, first 2 shown]
	v_cndmask_b32_e64 v57, 0, v57, s[86:87]
	v_cndmask_b32_e64 v60, 1.0, v60, s[86:87]
	v_fma_f32 v8, v8, v64, v56
	v_cndmask_b32_e64 v67, 1.0, v65, s[88:89]
	v_fma_f32 v69, v8, v60, v57
	v_mov_b32_e32 v65, v66
	v_pk_mul_f32 v[76:77], v[68:69], v[64:65]
	v_pk_fma_f32 v[68:69], v[68:69], v[64:65], v[60:61]
	v_pk_mul_f32 v[76:77], v[76:77], v[60:61]
	v_mov_b32_e32 v70, v67
	v_mov_b32_e32 v77, v69
	;; [unrolled: 1-line block ×3, first 2 shown]
	v_pk_mul_f32 v[68:69], v[76:77], v[66:67]
	v_mov_b32_e32 v62, v67
	v_pk_mul_f32 v[70:71], v[68:69], v[70:71]
	v_pk_fma_f32 v[68:69], v[76:77], v[66:67], v[62:63]
	s_nop 0
	v_mov_b32_dpp v8, v70 row_shr:1 row_mask:0xf bank_mask:0xf
	v_mov_b32_dpp v62, v69 row_shr:1 row_mask:0xf bank_mask:0xf
	v_mul_f32_e32 v65, v70, v8
	v_fma_f32 v62, v70, v62, v69
	v_cndmask_b32_e64 v68, v65, v70, s[0:1]
	v_cndmask_b32_e64 v71, v62, v69, s[0:1]
	;; [unrolled: 1-line block ×4, first 2 shown]
	v_mov_b32_dpp v65, v71 row_shr:2 row_mask:0xf bank_mask:0xf
	v_mov_b32_dpp v62, v70 row_shr:2 row_mask:0xf bank_mask:0xf
	s_and_saveexec_b64 s[2:3], s[10:11]
; %bb.181:                              ;   in Loop: Header=BB125_110 Depth=2
	v_fmac_f32_e32 v71, v70, v65
	v_mul_f32_e32 v70, v70, v62
	v_mov_b32_e32 v68, v70
	v_mov_b32_e32 v8, v71
; %bb.182:                              ;   in Loop: Header=BB125_110 Depth=2
	s_or_b64 exec, exec, s[2:3]
	v_readlane_b32 s10, v166, 41
	v_mov_b32_dpp v62, v70 row_shr:4 row_mask:0xf bank_mask:0xf
	v_mov_b32_dpp v65, v71 row_shr:4 row_mask:0xf bank_mask:0xf
	v_readlane_b32 s11, v166, 42
	s_and_saveexec_b64 s[2:3], s[10:11]
; %bb.183:                              ;   in Loop: Header=BB125_110 Depth=2
	v_fmac_f32_e32 v71, v70, v65
	v_mul_f32_e32 v70, v70, v62
	v_mov_b32_e32 v68, v70
	v_mov_b32_e32 v8, v71
; %bb.184:                              ;   in Loop: Header=BB125_110 Depth=2
	s_or_b64 exec, exec, s[2:3]
	v_readlane_b32 s10, v166, 43
	v_mov_b32_dpp v62, v70 row_shr:8 row_mask:0xf bank_mask:0xf
	v_mov_b32_dpp v65, v71 row_shr:8 row_mask:0xf bank_mask:0xf
	v_readlane_b32 s11, v166, 44
	s_and_saveexec_b64 s[2:3], s[10:11]
; %bb.185:                              ;   in Loop: Header=BB125_110 Depth=2
	v_fmac_f32_e32 v71, v70, v65
	v_mul_f32_e32 v70, v70, v62
	v_mov_b32_e32 v68, v70
	v_mov_b32_e32 v8, v71
; %bb.186:                              ;   in Loop: Header=BB125_110 Depth=2
	s_or_b64 exec, exec, s[2:3]
	v_readlane_b32 s10, v166, 45
	v_mov_b32_dpp v62, v70 row_bcast:15 row_mask:0xf bank_mask:0xf
	v_mov_b32_dpp v65, v71 row_bcast:15 row_mask:0xf bank_mask:0xf
	v_readlane_b32 s11, v166, 46
	s_and_saveexec_b64 s[2:3], s[10:11]
; %bb.187:                              ;   in Loop: Header=BB125_110 Depth=2
	v_fmac_f32_e32 v71, v70, v65
	v_mul_f32_e32 v70, v70, v62
	v_mov_b32_e32 v68, v70
	v_mov_b32_e32 v8, v71
; %bb.188:                              ;   in Loop: Header=BB125_110 Depth=2
	s_or_b64 exec, exec, s[2:3]
	v_readlane_b32 s10, v166, 53
	v_mov_b32_dpp v65, v70 row_bcast:31 row_mask:0xf bank_mask:0xf
	v_mov_b32_dpp v62, v71 row_bcast:31 row_mask:0xf bank_mask:0xf
	v_readlane_b32 s11, v166, 54
	s_and_saveexec_b64 s[2:3], s[10:11]
; %bb.189:                              ;   in Loop: Header=BB125_110 Depth=2
	v_fmac_f32_e32 v71, v70, v62
	v_mul_f32_e32 v68, v70, v65
	v_mov_b32_e32 v69, v71
	v_mov_b32_e32 v8, v71
	v_mov_b64_e32 v[70:71], v[68:69]
; %bb.190:                              ;   in Loop: Header=BB125_110 Depth=2
	s_or_b64 exec, exec, s[2:3]
	v_readlane_b32 s10, v166, 47
	v_readlane_b32 s11, v166, 48
	s_and_saveexec_b64 s[2:3], s[10:11]
	s_cbranch_execz .LBB125_192
; %bb.191:                              ;   in Loop: Header=BB125_110 Depth=2
	ds_write_b64 v121, v[70:71] offset:8448
.LBB125_192:                            ;   in Loop: Header=BB125_110 Depth=2
	s_or_b64 exec, exec, s[2:3]
	v_readlane_b32 s10, v166, 55
	v_readlane_b32 s11, v166, 56
	s_waitcnt lgkmcnt(0)
	s_barrier
	s_and_saveexec_b64 s[2:3], s[10:11]
	s_cbranch_execz .LBB125_194
; %bb.193:                              ;   in Loop: Header=BB125_110 Depth=2
	ds_read_b64 v[70:71], v122 offset:8448
	v_readlane_b32 s10, v166, 49
	v_readlane_b32 s11, v166, 50
	s_waitcnt lgkmcnt(0)
	v_mov_b32_dpp v62, v70 row_shr:1 row_mask:0xf bank_mask:0xf
	v_mov_b32_dpp v65, v71 row_shr:1 row_mask:0xf bank_mask:0xf
	v_fma_f32 v65, v70, v65, v71
	v_mul_f32_e32 v62, v70, v62
	v_cndmask_b32_e64 v70, v62, v70, s[10:11]
	v_cndmask_b32_e64 v71, v65, v71, s[10:11]
	ds_write_b64 v122, v[70:71] offset:8448
.LBB125_194:                            ;   in Loop: Header=BB125_110 Depth=2
	s_or_b64 exec, exec, s[2:3]
	s_waitcnt lgkmcnt(0)
	s_barrier
	s_waitcnt lgkmcnt(0)
                                        ; implicit-def: $vgpr70
	s_and_saveexec_b64 s[2:3], s[20:21]
	s_cbranch_execz .LBB125_196
; %bb.195:                              ;   in Loop: Header=BB125_110 Depth=2
	ds_read_b64 v[70:71], v121 offset:8440
	s_waitcnt lgkmcnt(0)
	v_mul_f32_e32 v62, v68, v70
	v_fmac_f32_e32 v8, v68, v71
	v_mov_b32_e32 v68, v62
.LBB125_196:                            ;   in Loop: Header=BB125_110 Depth=2
	s_or_b64 exec, exec, s[2:3]
	ds_bpermute_b32 v62, v123, v68
	ds_bpermute_b32 v8, v123, v8
	v_readlane_b32 s10, v166, 57
	s_waitcnt vmcnt(0)
	v_mov_b32_e32 v69, v53
	v_readlane_b32 s11, v166, 58
	s_and_saveexec_b64 s[2:3], s[10:11]
	s_cbranch_execz .LBB125_200
; %bb.197:                              ;   in Loop: Header=BB125_110 Depth=2
	ds_read_b64 v[68:69], v17 offset:8456
	s_and_saveexec_b64 vcc, s[22:23]
	s_cbranch_execz .LBB125_199
; %bb.198:                              ;   in Loop: Header=BB125_110 Depth=2
	ds_write_b64 v17, v[52:53] offset:8456
.LBB125_199:                            ;   in Loop: Header=BB125_110 Depth=2
	s_or_b64 exec, exec, vcc
	s_waitcnt lgkmcnt(0)
	v_fmac_f32_e32 v69, v53, v68
	v_mul_f32_e32 v52, v52, v68
	v_mov_b32_e32 v53, v69
.LBB125_200:                            ;   in Loop: Header=BB125_110 Depth=2
	s_or_b64 exec, exec, s[2:3]
	s_waitcnt lgkmcnt(0)
	s_barrier
	ds_read_b32 v65, v17 offset:8460
	s_and_saveexec_b64 s[2:3], s[22:23]
	s_cbranch_execz .LBB125_109
; %bb.201:                              ;   in Loop: Header=BB125_110 Depth=2
	v_mov_b32_e32 v68, s9
	s_andn2_b64 vcc, exec, s[96:97]
	ds_write_b64 v68, v[52:53]
	s_cbranch_vccnz .LBB125_109
; %bb.202:                              ;   in Loop: Header=BB125_110 Depth=2
	s_mov_b32 s5, s7
	s_lshl_b64 s[10:11], s[4:5], 2
	v_readlane_b32 s5, v166, 21
	s_add_u32 s10, s5, s10
	v_readlane_b32 s5, v166, 22
	s_addc_u32 s11, s5, s11
	global_store_dword v17, v69, s[10:11]
	s_branch .LBB125_109
.LBB125_203:                            ;   in Loop: Header=BB125_13 Depth=1
	s_mov_b32 s6, 0x41a00000
	s_mov_b32 s8, 0x3fb8aa3b
	;; [unrolled: 1-line block ×8, first 2 shown]
.LBB125_204:                            ;   in Loop: Header=BB125_13 Depth=1
	v_cvt_f16_f32_e32 v0, v42
	v_cvt_f16_f32_e32 v4, v43
	v_cvt_f16_f32_e32 v1, v44
	v_cvt_f16_f32_e32 v5, v45
	v_cvt_f16_f32_e32 v2, v38
	v_cvt_f16_f32_e32 v6, v39
	v_cvt_f16_f32_e32 v3, v40
	v_cvt_f16_f32_e32 v7, v41
	v_cvt_f16_f32_e32 v8, v34
	v_cvt_f16_f32_e32 v9, v35
	v_cvt_f16_f32_e32 v10, v36
	v_cvt_f16_f32_e32 v11, v37
	v_cvt_f16_f32_e32 v12, v30
	v_cvt_f16_f32_e32 v13, v31
	v_cvt_f16_f32_e32 v14, v32
	v_cvt_f16_f32_e32 v15, v33
	v_pack_b32_f16 v3, v3, v7
	v_pack_b32_f16 v2, v2, v6
	;; [unrolled: 1-line block ×4, first 2 shown]
	s_barrier
	ds_write_b128 v119, v[0:3]
	v_pack_b32_f16 v3, v14, v15
	v_pack_b32_f16 v2, v12, v13
	;; [unrolled: 1-line block ×4, first 2 shown]
	ds_write_b128 v119, v[0:3] offset:16
	; wave barrier
	ds_read_u16 v16, v89 offset:128
	ds_read_u16 v15, v90 offset:256
	;; [unrolled: 1-line block ×15, first 2 shown]
	v_readlane_b32 s2, v166, 61
	v_readlane_b32 s3, v166, 62
	s_mov_b32 s3, s7
	s_mov_b64 s[18:19], s[2:3]
	v_lshl_add_u64 v[0:1], s[2:3], 1, v[20:21]
	s_and_saveexec_b64 s[2:3], s[26:27]
	s_cbranch_execnz .LBB125_271
; %bb.205:                              ;   in Loop: Header=BB125_13 Depth=1
	s_or_b64 exec, exec, s[2:3]
	s_and_saveexec_b64 s[2:3], s[28:29]
	s_cbranch_execnz .LBB125_272
.LBB125_206:                            ;   in Loop: Header=BB125_13 Depth=1
	s_or_b64 exec, exec, s[2:3]
	s_and_saveexec_b64 s[2:3], s[30:31]
	s_cbranch_execnz .LBB125_273
.LBB125_207:                            ;   in Loop: Header=BB125_13 Depth=1
	s_or_b64 exec, exec, s[2:3]
	s_and_saveexec_b64 s[2:3], s[34:35]
	s_cbranch_execnz .LBB125_274
.LBB125_208:                            ;   in Loop: Header=BB125_13 Depth=1
	s_or_b64 exec, exec, s[2:3]
	s_and_saveexec_b64 s[2:3], s[36:37]
	s_cbranch_execnz .LBB125_275
.LBB125_209:                            ;   in Loop: Header=BB125_13 Depth=1
	s_or_b64 exec, exec, s[2:3]
	s_and_saveexec_b64 s[2:3], s[38:39]
	s_cbranch_execnz .LBB125_276
.LBB125_210:                            ;   in Loop: Header=BB125_13 Depth=1
	s_or_b64 exec, exec, s[2:3]
	s_and_saveexec_b64 s[2:3], s[40:41]
	s_cbranch_execnz .LBB125_277
.LBB125_211:                            ;   in Loop: Header=BB125_13 Depth=1
	s_or_b64 exec, exec, s[2:3]
	s_and_saveexec_b64 s[2:3], s[42:43]
	s_cbranch_execnz .LBB125_278
.LBB125_212:                            ;   in Loop: Header=BB125_13 Depth=1
	s_or_b64 exec, exec, s[2:3]
	s_and_saveexec_b64 s[2:3], s[44:45]
	s_cbranch_execnz .LBB125_279
.LBB125_213:                            ;   in Loop: Header=BB125_13 Depth=1
	s_or_b64 exec, exec, s[2:3]
	s_and_saveexec_b64 s[2:3], s[46:47]
	s_cbranch_execnz .LBB125_280
.LBB125_214:                            ;   in Loop: Header=BB125_13 Depth=1
	s_or_b64 exec, exec, s[2:3]
	s_and_saveexec_b64 s[2:3], s[48:49]
	s_cbranch_execnz .LBB125_281
.LBB125_215:                            ;   in Loop: Header=BB125_13 Depth=1
	s_or_b64 exec, exec, s[2:3]
	s_and_saveexec_b64 s[2:3], s[50:51]
	s_cbranch_execnz .LBB125_282
.LBB125_216:                            ;   in Loop: Header=BB125_13 Depth=1
	s_or_b64 exec, exec, s[2:3]
	s_and_saveexec_b64 s[2:3], s[52:53]
	s_cbranch_execnz .LBB125_283
.LBB125_217:                            ;   in Loop: Header=BB125_13 Depth=1
	s_or_b64 exec, exec, s[2:3]
	s_and_saveexec_b64 s[2:3], s[54:55]
	s_cbranch_execnz .LBB125_284
.LBB125_218:                            ;   in Loop: Header=BB125_13 Depth=1
	s_or_b64 exec, exec, s[2:3]
	s_and_saveexec_b64 s[2:3], s[56:57]
	s_cbranch_execnz .LBB125_285
.LBB125_219:                            ;   in Loop: Header=BB125_13 Depth=1
	s_or_b64 exec, exec, s[2:3]
	s_and_saveexec_b64 s[2:3], s[58:59]
	s_cbranch_execz .LBB125_221
.LBB125_220:                            ;   in Loop: Header=BB125_13 Depth=1
	s_waitcnt lgkmcnt(0)
	global_store_short v[0:1], v2, off offset:1920
.LBB125_221:                            ;   in Loop: Header=BB125_13 Depth=1
	s_or_b64 exec, exec, s[2:3]
	v_lshl_add_u64 v[0:1], s[18:19], 1, v[22:23]
	s_waitcnt lgkmcnt(0)
	v_mov_b32_e32 v2, 0
	v_mov_b32_e32 v3, 0
	s_barrier
	s_and_saveexec_b64 s[2:3], s[26:27]
	s_cbranch_execz .LBB125_223
; %bb.222:                              ;   in Loop: Header=BB125_13 Depth=1
	global_load_ushort v3, v[0:1], off
.LBB125_223:                            ;   in Loop: Header=BB125_13 Depth=1
	s_or_b64 exec, exec, s[2:3]
	s_and_saveexec_b64 s[2:3], s[28:29]
	s_cbranch_execz .LBB125_225
; %bb.224:                              ;   in Loop: Header=BB125_13 Depth=1
	global_load_ushort v2, v[0:1], off offset:128
.LBB125_225:                            ;   in Loop: Header=BB125_13 Depth=1
	s_or_b64 exec, exec, s[2:3]
	v_mov_b32_e32 v4, 0
	v_mov_b32_e32 v5, 0
	s_and_saveexec_b64 s[2:3], s[30:31]
	s_cbranch_execz .LBB125_227
; %bb.226:                              ;   in Loop: Header=BB125_13 Depth=1
	global_load_ushort v5, v[0:1], off offset:256
.LBB125_227:                            ;   in Loop: Header=BB125_13 Depth=1
	s_or_b64 exec, exec, s[2:3]
	s_and_saveexec_b64 s[2:3], s[34:35]
	s_cbranch_execz .LBB125_229
; %bb.228:                              ;   in Loop: Header=BB125_13 Depth=1
	global_load_ushort v4, v[0:1], off offset:384
.LBB125_229:                            ;   in Loop: Header=BB125_13 Depth=1
	s_or_b64 exec, exec, s[2:3]
	v_mov_b32_e32 v6, 0
	v_mov_b32_e32 v7, 0
	s_and_saveexec_b64 s[2:3], s[36:37]
	s_cbranch_execz .LBB125_231
; %bb.230:                              ;   in Loop: Header=BB125_13 Depth=1
	global_load_ushort v7, v[0:1], off offset:512
.LBB125_231:                            ;   in Loop: Header=BB125_13 Depth=1
	;; [unrolled: 14-line block ×7, first 2 shown]
	s_or_b64 exec, exec, s[2:3]
	s_and_saveexec_b64 s[2:3], s[58:59]
	s_cbranch_execz .LBB125_253
; %bb.252:                              ;   in Loop: Header=BB125_13 Depth=1
	global_load_ushort v16, v[0:1], off offset:1920
.LBB125_253:                            ;   in Loop: Header=BB125_13 Depth=1
	s_or_b64 exec, exec, s[2:3]
	s_waitcnt vmcnt(0)
	ds_write_b16 v88, v3
	ds_write_b16 v89, v2 offset:128
	ds_write_b16 v90, v5 offset:256
	;; [unrolled: 1-line block ×15, first 2 shown]
	; wave barrier
	ds_read_b128 v[4:7], v119
	ds_read_b128 v[0:3], v119 offset:16
	s_mov_b32 s4, 0xbfb8aa3b
	s_mov_b32 s5, 0xb2a5705f
	;; [unrolled: 1-line block ×3, first 2 shown]
	s_waitcnt lgkmcnt(1)
	v_cvt_f32_f16_e32 v13, v4
	v_cvt_f32_f16_sdwa v11, v4 dst_sel:DWORD dst_unused:UNUSED_PAD src0_sel:WORD_1
	v_cvt_f32_f16_e32 v12, v5
	s_mov_b32 s16, 0xc2b17218
	v_mul_f32_e32 v8, 0xbfb8aa3b, v13
	v_rndne_f32_e32 v9, v8
	v_sub_f32_e32 v14, v8, v9
	v_fma_mix_f32 v8, v4, s4, -v8 op_sel_hi:[1,0,0]
	v_cvt_i32_f32_e32 v9, v9
	v_fma_mix_f32 v8, v4, s5, v8 op_sel_hi:[1,0,0]
	v_cmp_nlt_f32_e32 vcc, s15, v13
	v_add_f32_e32 v8, v14, v8
	v_exp_f32_e32 v8, v8
	v_cvt_f32_f16_sdwa v10, v5 dst_sel:DWORD dst_unused:UNUSED_PAD src0_sel:WORD_1
	s_waitcnt lgkmcnt(0)
	s_barrier
	v_ldexp_f32 v8, v8, v9
	v_mul_f32_e32 v9, 0xbfb8aa3b, v11
	v_rndne_f32_e32 v14, v9
	v_sub_f32_e32 v15, v9, v14
	v_fma_mix_f32 v9, v4, s4, -v9 op_sel:[1,0,0] op_sel_hi:[1,0,0]
	v_cndmask_b32_e32 v8, 0, v8, vcc
	v_fma_mix_f32 v4, v4, s5, v9 op_sel:[1,0,0] op_sel_hi:[1,0,0]
	v_cvt_i32_f32_e32 v9, v14
	v_add_f32_e32 v4, v15, v4
	v_exp_f32_e32 v4, v4
	v_cmp_ngt_f32_e32 vcc, s16, v13
	v_ldexp_f32 v4, v4, v9
	s_nop 0
	v_cndmask_b32_e32 v8, v140, v8, vcc
	v_cmp_nlt_f32_e32 vcc, s15, v11
	s_nop 1
	v_cndmask_b32_e32 v4, 0, v4, vcc
	v_cmp_ngt_f32_e32 vcc, s16, v11
	s_nop 1
	v_cndmask_b32_e32 v9, v140, v4, vcc
	v_mul_f32_e32 v4, 0xbfb8aa3b, v12
	v_rndne_f32_e32 v14, v4
	v_sub_f32_e32 v15, v4, v14
	v_fma_mix_f32 v4, v5, s4, -v4 op_sel_hi:[1,0,0]
	v_cvt_i32_f32_e32 v14, v14
	v_fma_mix_f32 v4, v5, s5, v4 op_sel_hi:[1,0,0]
	v_pk_add_f32 v[8:9], v[8:9], 1.0 op_sel_hi:[1,0]
	v_add_f32_e32 v4, v15, v4
	v_exp_f32_e32 v4, v4
	v_cmp_nlt_f32_e32 vcc, s15, v12
	v_ldexp_f32 v4, v4, v14
	v_mul_f32_e32 v14, 0xbfb8aa3b, v10
	v_rndne_f32_e32 v15, v14
	v_sub_f32_e32 v16, v14, v15
	v_fma_mix_f32 v14, v5, s4, -v14 op_sel:[1,0,0] op_sel_hi:[1,0,0]
	v_cndmask_b32_e32 v4, 0, v4, vcc
	v_fma_mix_f32 v5, v5, s5, v14 op_sel:[1,0,0] op_sel_hi:[1,0,0]
	v_cvt_i32_f32_e32 v14, v15
	v_add_f32_e32 v5, v16, v5
	v_exp_f32_e32 v5, v5
	v_cmp_ngt_f32_e32 vcc, s16, v12
	v_ldexp_f32 v5, v5, v14
	v_div_scale_f32 v14, s[2:3], v9, v9, v11
	v_rcp_f32_e32 v15, v14
	v_cndmask_b32_e32 v4, v140, v4, vcc
	v_cmp_nlt_f32_e32 vcc, s15, v10
	v_fma_f32 v16, -v14, v15, 1.0
	s_nop 0
	v_cndmask_b32_e32 v5, 0, v5, vcc
	v_cmp_ngt_f32_e32 vcc, s16, v10
	v_fmac_f32_e32 v15, v16, v15
	s_nop 0
	v_cndmask_b32_e32 v5, v140, v5, vcc
	v_div_scale_f32 v16, vcc, v11, v9, v11
	v_mul_f32_e32 v27, v16, v15
	v_fma_f32 v29, -v14, v27, v16
	v_fmac_f32_e32 v27, v29, v15
	v_fma_f32 v14, -v14, v27, v16
	v_div_fmas_f32 v14, v14, v15, v27
	v_div_fixup_f32 v9, v14, v9, v11
	v_div_scale_f32 v11, s[2:3], v8, v8, v13
	v_rcp_f32_e32 v14, v11
	v_pk_add_f32 v[4:5], v[4:5], 1.0 op_sel_hi:[1,0]
	v_fma_f32 v15, -v11, v14, 1.0
	v_fmac_f32_e32 v14, v15, v14
	v_div_scale_f32 v15, vcc, v13, v8, v13
	v_mul_f32_e32 v16, v15, v14
	v_fma_f32 v27, -v11, v16, v15
	v_fmac_f32_e32 v16, v27, v14
	v_fma_f32 v11, -v11, v16, v15
	v_div_fmas_f32 v11, v11, v14, v16
	v_div_fixup_f32 v8, v11, v8, v13
	v_div_scale_f32 v11, s[2:3], v5, v5, v10
	v_rcp_f32_e32 v13, v11
	v_pk_mul_f32 v[8:9], v[42:43], v[8:9]
	v_fma_f32 v14, -v11, v13, 1.0
	v_fmac_f32_e32 v13, v14, v13
	v_div_scale_f32 v14, vcc, v10, v5, v10
	v_mul_f32_e32 v15, v14, v13
	v_fma_f32 v16, -v11, v15, v14
	v_fmac_f32_e32 v15, v16, v13
	v_fma_f32 v11, -v11, v15, v14
	v_div_fmas_f32 v11, v11, v13, v15
	v_div_fixup_f32 v5, v11, v5, v10
	v_div_scale_f32 v10, s[2:3], v4, v4, v12
	v_rcp_f32_e32 v11, v10
	s_nop 0
	v_fma_f32 v13, -v10, v11, 1.0
	v_fmac_f32_e32 v11, v13, v11
	v_div_scale_f32 v13, vcc, v12, v4, v12
	v_mul_f32_e32 v14, v13, v11
	v_fma_f32 v15, -v10, v14, v13
	v_fmac_f32_e32 v14, v15, v11
	v_fma_f32 v10, -v10, v14, v13
	v_cvt_f32_f16_e32 v15, v6
	v_div_fmas_f32 v10, v10, v11, v14
	v_div_fixup_f32 v4, v10, v4, v12
	v_pk_mul_f32 v[10:11], v[44:45], v[4:5]
	v_cvt_f16_f32_e32 v4, v9
	v_cvt_f16_f32_e32 v9, v10
	v_mul_f32_e32 v10, 0xbfb8aa3b, v15
	v_cvt_f16_f32_e32 v5, v8
	v_cvt_f16_f32_e32 v8, v11
	v_rndne_f32_e32 v11, v10
	v_sub_f32_e32 v16, v10, v11
	v_fma_mix_f32 v10, v6, s4, -v10 op_sel_hi:[1,0,0]
	v_cvt_f32_f16_sdwa v13, v6 dst_sel:DWORD dst_unused:UNUSED_PAD src0_sel:WORD_1
	v_fma_mix_f32 v10, v6, s5, v10 op_sel_hi:[1,0,0]
	v_cvt_i32_f32_e32 v11, v11
	v_add_f32_e32 v10, v16, v10
	v_exp_f32_e32 v10, v10
	v_cvt_f32_f16_e32 v14, v7
	v_cmp_nlt_f32_e32 vcc, s15, v15
	v_cvt_f32_f16_sdwa v12, v7 dst_sel:DWORD dst_unused:UNUSED_PAD src0_sel:WORD_1
	v_ldexp_f32 v10, v10, v11
	v_mul_f32_e32 v11, 0xbfb8aa3b, v13
	v_rndne_f32_e32 v16, v11
	v_sub_f32_e32 v27, v11, v16
	v_fma_mix_f32 v11, v6, s4, -v11 op_sel:[1,0,0] op_sel_hi:[1,0,0]
	v_cndmask_b32_e32 v10, 0, v10, vcc
	v_fma_mix_f32 v6, v6, s5, v11 op_sel:[1,0,0] op_sel_hi:[1,0,0]
	v_cvt_i32_f32_e32 v11, v16
	v_add_f32_e32 v6, v27, v6
	v_exp_f32_e32 v6, v6
	v_cmp_ngt_f32_e32 vcc, s16, v15
	v_ldexp_f32 v6, v6, v11
	s_nop 0
	v_cndmask_b32_e32 v10, v140, v10, vcc
	v_cmp_nlt_f32_e32 vcc, s15, v13
	s_nop 1
	v_cndmask_b32_e32 v6, 0, v6, vcc
	v_cmp_ngt_f32_e32 vcc, s16, v13
	s_nop 1
	v_cndmask_b32_e32 v11, v140, v6, vcc
	v_mul_f32_e32 v6, 0xbfb8aa3b, v14
	v_rndne_f32_e32 v16, v6
	v_sub_f32_e32 v27, v6, v16
	v_fma_mix_f32 v6, v7, s4, -v6 op_sel_hi:[1,0,0]
	v_cvt_i32_f32_e32 v16, v16
	v_fma_mix_f32 v6, v7, s5, v6 op_sel_hi:[1,0,0]
	v_pk_add_f32 v[10:11], v[10:11], 1.0 op_sel_hi:[1,0]
	v_add_f32_e32 v6, v27, v6
	v_exp_f32_e32 v6, v6
	v_cmp_nlt_f32_e32 vcc, s15, v14
	v_ldexp_f32 v6, v6, v16
	v_mul_f32_e32 v16, 0xbfb8aa3b, v12
	v_rndne_f32_e32 v27, v16
	v_sub_f32_e32 v29, v16, v27
	v_fma_mix_f32 v16, v7, s4, -v16 op_sel:[1,0,0] op_sel_hi:[1,0,0]
	v_cndmask_b32_e32 v6, 0, v6, vcc
	v_fma_mix_f32 v7, v7, s5, v16 op_sel:[1,0,0] op_sel_hi:[1,0,0]
	v_cvt_i32_f32_e32 v16, v27
	v_add_f32_e32 v7, v29, v7
	v_exp_f32_e32 v7, v7
	v_cmp_ngt_f32_e32 vcc, s16, v14
	v_ldexp_f32 v7, v7, v16
	v_div_scale_f32 v16, s[2:3], v11, v11, v13
	v_rcp_f32_e32 v27, v16
	v_cndmask_b32_e32 v6, v140, v6, vcc
	v_cmp_nlt_f32_e32 vcc, s15, v12
	v_fma_f32 v29, -v16, v27, 1.0
	s_nop 0
	v_cndmask_b32_e32 v7, 0, v7, vcc
	v_cmp_ngt_f32_e32 vcc, s16, v12
	v_fmac_f32_e32 v27, v29, v27
	s_nop 0
	v_cndmask_b32_e32 v7, v140, v7, vcc
	v_div_scale_f32 v29, vcc, v13, v11, v13
	v_mul_f32_e32 v42, v29, v27
	v_fma_f32 v43, -v16, v42, v29
	v_fmac_f32_e32 v42, v43, v27
	v_fma_f32 v16, -v16, v42, v29
	v_div_fmas_f32 v16, v16, v27, v42
	v_div_fixup_f32 v11, v16, v11, v13
	v_div_scale_f32 v13, s[2:3], v10, v10, v15
	v_rcp_f32_e32 v16, v13
	v_pk_add_f32 v[6:7], v[6:7], 1.0 op_sel_hi:[1,0]
	v_fma_f32 v27, -v13, v16, 1.0
	v_fmac_f32_e32 v16, v27, v16
	v_div_scale_f32 v27, vcc, v15, v10, v15
	v_mul_f32_e32 v29, v27, v16
	v_fma_f32 v42, -v13, v29, v27
	v_fmac_f32_e32 v29, v42, v16
	v_fma_f32 v13, -v13, v29, v27
	v_div_fmas_f32 v13, v13, v16, v29
	v_div_fixup_f32 v10, v13, v10, v15
	v_div_scale_f32 v13, s[2:3], v7, v7, v12
	v_rcp_f32_e32 v15, v13
	v_pk_mul_f32 v[10:11], v[38:39], v[10:11]
	v_fma_f32 v16, -v13, v15, 1.0
	v_fmac_f32_e32 v15, v16, v15
	v_div_scale_f32 v16, vcc, v12, v7, v12
	v_mul_f32_e32 v27, v16, v15
	v_fma_f32 v29, -v13, v27, v16
	v_fmac_f32_e32 v27, v29, v15
	v_fma_f32 v13, -v13, v27, v16
	v_div_fmas_f32 v13, v13, v15, v27
	v_div_fixup_f32 v7, v13, v7, v12
	v_div_scale_f32 v12, s[2:3], v6, v6, v14
	v_rcp_f32_e32 v13, v12
	s_nop 0
	v_fma_f32 v15, -v12, v13, 1.0
	v_fmac_f32_e32 v13, v15, v13
	v_div_scale_f32 v15, vcc, v14, v6, v14
	v_mul_f32_e32 v16, v15, v13
	v_fma_f32 v27, -v12, v16, v15
	v_fmac_f32_e32 v16, v27, v13
	v_fma_f32 v12, -v12, v16, v15
	v_cvt_f32_f16_e32 v27, v0
	v_div_fmas_f32 v12, v12, v13, v16
	v_div_fixup_f32 v6, v12, v6, v14
	v_pk_mul_f32 v[12:13], v[40:41], v[6:7]
	v_cvt_f16_f32_e32 v6, v11
	v_cvt_f16_f32_e32 v11, v12
	v_mul_f32_e32 v12, 0xbfb8aa3b, v27
	v_cvt_f16_f32_e32 v7, v10
	v_cvt_f16_f32_e32 v10, v13
	v_rndne_f32_e32 v13, v12
	v_sub_f32_e32 v29, v12, v13
	v_fma_mix_f32 v12, v0, s4, -v12 op_sel_hi:[1,0,0]
	v_cvt_f32_f16_sdwa v15, v0 dst_sel:DWORD dst_unused:UNUSED_PAD src0_sel:WORD_1
	v_fma_mix_f32 v12, v0, s5, v12 op_sel_hi:[1,0,0]
	v_cvt_i32_f32_e32 v13, v13
	v_add_f32_e32 v12, v29, v12
	v_exp_f32_e32 v12, v12
	v_cvt_f32_f16_e32 v16, v1
	v_cmp_nlt_f32_e32 vcc, s15, v27
	v_cvt_f32_f16_sdwa v14, v1 dst_sel:DWORD dst_unused:UNUSED_PAD src0_sel:WORD_1
	v_ldexp_f32 v12, v12, v13
	v_mul_f32_e32 v13, 0xbfb8aa3b, v15
	v_rndne_f32_e32 v29, v13
	v_sub_f32_e32 v38, v13, v29
	v_fma_mix_f32 v13, v0, s4, -v13 op_sel:[1,0,0] op_sel_hi:[1,0,0]
	v_cndmask_b32_e32 v12, 0, v12, vcc
	v_fma_mix_f32 v0, v0, s5, v13 op_sel:[1,0,0] op_sel_hi:[1,0,0]
	v_cvt_i32_f32_e32 v13, v29
	v_add_f32_e32 v0, v38, v0
	v_exp_f32_e32 v0, v0
	v_cmp_ngt_f32_e32 vcc, s16, v27
	v_ldexp_f32 v0, v0, v13
	s_nop 0
	v_cndmask_b32_e32 v12, v140, v12, vcc
	v_cmp_nlt_f32_e32 vcc, s15, v15
	s_nop 1
	v_cndmask_b32_e32 v0, 0, v0, vcc
	v_cmp_ngt_f32_e32 vcc, s16, v15
	s_nop 1
	v_cndmask_b32_e32 v13, v140, v0, vcc
	v_mul_f32_e32 v0, 0xbfb8aa3b, v16
	v_rndne_f32_e32 v29, v0
	v_sub_f32_e32 v38, v0, v29
	v_fma_mix_f32 v0, v1, s4, -v0 op_sel_hi:[1,0,0]
	v_cvt_i32_f32_e32 v29, v29
	v_fma_mix_f32 v0, v1, s5, v0 op_sel_hi:[1,0,0]
	v_pk_add_f32 v[12:13], v[12:13], 1.0 op_sel_hi:[1,0]
	v_add_f32_e32 v0, v38, v0
	v_exp_f32_e32 v0, v0
	v_cmp_nlt_f32_e32 vcc, s15, v16
	v_ldexp_f32 v0, v0, v29
	v_mul_f32_e32 v29, 0xbfb8aa3b, v14
	v_rndne_f32_e32 v38, v29
	v_sub_f32_e32 v39, v29, v38
	v_fma_mix_f32 v29, v1, s4, -v29 op_sel:[1,0,0] op_sel_hi:[1,0,0]
	v_cndmask_b32_e32 v0, 0, v0, vcc
	v_fma_mix_f32 v1, v1, s5, v29 op_sel:[1,0,0] op_sel_hi:[1,0,0]
	v_cvt_i32_f32_e32 v29, v38
	v_add_f32_e32 v1, v39, v1
	v_exp_f32_e32 v1, v1
	v_cmp_ngt_f32_e32 vcc, s16, v16
	v_ldexp_f32 v1, v1, v29
	v_div_scale_f32 v29, s[2:3], v13, v13, v15
	v_rcp_f32_e32 v38, v29
	v_cndmask_b32_e32 v0, v140, v0, vcc
	v_cmp_nlt_f32_e32 vcc, s15, v14
	v_fma_f32 v39, -v29, v38, 1.0
	s_nop 0
	v_cndmask_b32_e32 v1, 0, v1, vcc
	v_cmp_ngt_f32_e32 vcc, s16, v14
	v_fmac_f32_e32 v38, v39, v38
	s_nop 0
	v_cndmask_b32_e32 v1, v140, v1, vcc
	v_div_scale_f32 v39, vcc, v15, v13, v15
	v_mul_f32_e32 v40, v39, v38
	v_fma_f32 v41, -v29, v40, v39
	v_fmac_f32_e32 v40, v41, v38
	v_fma_f32 v29, -v29, v40, v39
	v_div_fmas_f32 v29, v29, v38, v40
	v_div_fixup_f32 v13, v29, v13, v15
	v_div_scale_f32 v15, s[2:3], v12, v12, v27
	v_rcp_f32_e32 v29, v15
	v_pk_add_f32 v[0:1], v[0:1], 1.0 op_sel_hi:[1,0]
	v_fma_f32 v38, -v15, v29, 1.0
	v_fmac_f32_e32 v29, v38, v29
	v_div_scale_f32 v38, vcc, v27, v12, v27
	v_mul_f32_e32 v39, v38, v29
	v_fma_f32 v40, -v15, v39, v38
	v_fmac_f32_e32 v39, v40, v29
	v_fma_f32 v15, -v15, v39, v38
	v_div_fmas_f32 v15, v15, v29, v39
	v_div_fixup_f32 v12, v15, v12, v27
	v_div_scale_f32 v15, s[2:3], v1, v1, v14
	v_rcp_f32_e32 v27, v15
	v_pk_mul_f32 v[12:13], v[34:35], v[12:13]
	v_cvt_f32_f16_e32 v34, v2
	v_cvt_f16_f32_e32 v13, v13
	v_fma_f32 v29, -v15, v27, 1.0
	v_fmac_f32_e32 v27, v29, v27
	v_div_scale_f32 v29, vcc, v14, v1, v14
	v_mul_f32_e32 v38, v29, v27
	v_fma_f32 v39, -v15, v38, v29
	v_fmac_f32_e32 v38, v39, v27
	v_fma_f32 v15, -v15, v38, v29
	v_div_fmas_f32 v15, v15, v27, v38
	v_div_fixup_f32 v1, v15, v1, v14
	v_div_scale_f32 v14, s[2:3], v0, v0, v16
	v_rcp_f32_e32 v15, v14
	v_cvt_f16_f32_e32 v12, v12
	v_fma_f32 v27, -v14, v15, 1.0
	v_fmac_f32_e32 v15, v27, v15
	v_div_scale_f32 v27, vcc, v16, v0, v16
	v_mul_f32_e32 v29, v27, v15
	v_fma_f32 v38, -v14, v29, v27
	v_fmac_f32_e32 v29, v38, v15
	v_fma_f32 v14, -v14, v29, v27
	v_div_fmas_f32 v14, v14, v15, v29
	v_div_fixup_f32 v0, v14, v0, v16
	v_pk_mul_f32 v[0:1], v[36:37], v[0:1]
	v_cvt_f32_f16_sdwa v27, v2 dst_sel:DWORD dst_unused:UNUSED_PAD src0_sel:WORD_1
	v_cvt_f16_f32_e32 v15, v0
	v_mul_f32_e32 v0, 0xbfb8aa3b, v34
	v_cvt_f16_f32_e32 v14, v1
	v_rndne_f32_e32 v1, v0
	v_sub_f32_e32 v35, v0, v1
	v_fma_mix_f32 v0, v2, s4, -v0 op_sel_hi:[1,0,0]
	v_cvt_i32_f32_e32 v1, v1
	v_fma_mix_f32 v0, v2, s5, v0 op_sel_hi:[1,0,0]
	v_cvt_f32_f16_e32 v29, v3
	v_add_f32_e32 v0, v35, v0
	v_exp_f32_e32 v0, v0
	v_cvt_f32_f16_sdwa v16, v3 dst_sel:DWORD dst_unused:UNUSED_PAD src0_sel:WORD_1
	v_cmp_nlt_f32_e32 vcc, s15, v34
	v_ldexp_f32 v0, v0, v1
	v_mul_f32_e32 v1, 0xbfb8aa3b, v27
	v_rndne_f32_e32 v35, v1
	v_sub_f32_e32 v36, v1, v35
	v_fma_mix_f32 v1, v2, s4, -v1 op_sel:[1,0,0] op_sel_hi:[1,0,0]
	v_cndmask_b32_e32 v0, 0, v0, vcc
	v_fma_mix_f32 v1, v2, s5, v1 op_sel:[1,0,0] op_sel_hi:[1,0,0]
	v_cvt_i32_f32_e32 v2, v35
	v_add_f32_e32 v1, v36, v1
	v_exp_f32_e32 v1, v1
	v_cmp_ngt_f32_e32 vcc, s16, v34
	v_ldexp_f32 v1, v1, v2
	v_mul_f32_e32 v2, 0xbfb8aa3b, v29
	v_rndne_f32_e32 v35, v2
	v_sub_f32_e32 v36, v2, v35
	v_fma_mix_f32 v2, v3, s4, -v2 op_sel_hi:[1,0,0]
	v_cvt_i32_f32_e32 v35, v35
	v_fma_mix_f32 v2, v3, s5, v2 op_sel_hi:[1,0,0]
	v_cndmask_b32_e32 v0, v140, v0, vcc
	v_add_f32_e32 v2, v36, v2
	v_exp_f32_e32 v2, v2
	v_cmp_nlt_f32_e32 vcc, s15, v27
	v_ldexp_f32 v2, v2, v35
	v_mul_f32_e32 v35, 0xbfb8aa3b, v16
	v_rndne_f32_e32 v36, v35
	v_sub_f32_e32 v37, v35, v36
	v_fma_mix_f32 v35, v3, s4, -v35 op_sel:[1,0,0] op_sel_hi:[1,0,0]
	v_cndmask_b32_e32 v1, 0, v1, vcc
	v_fma_mix_f32 v3, v3, s5, v35 op_sel:[1,0,0] op_sel_hi:[1,0,0]
	v_cvt_i32_f32_e32 v35, v36
	v_add_f32_e32 v3, v37, v3
	v_exp_f32_e32 v3, v3
	v_cmp_ngt_f32_e32 vcc, s16, v27
	v_ldexp_f32 v3, v3, v35
	s_nop 0
	v_cndmask_b32_e32 v1, v140, v1, vcc
	v_pk_add_f32 v[0:1], v[0:1], 1.0 op_sel_hi:[1,0]
	v_cmp_nlt_f32_e32 vcc, s15, v29
	v_div_scale_f32 v35, s[2:3], v1, v1, v27
	v_rcp_f32_e32 v36, v35
	v_cndmask_b32_e32 v2, 0, v2, vcc
	v_cmp_ngt_f32_e32 vcc, s16, v29
	v_fma_f32 v37, -v35, v36, 1.0
	s_nop 0
	v_cndmask_b32_e32 v2, v140, v2, vcc
	v_cmp_nlt_f32_e32 vcc, s15, v16
	v_fmac_f32_e32 v36, v37, v36
	s_nop 0
	v_cndmask_b32_e32 v3, 0, v3, vcc
	v_cmp_ngt_f32_e32 vcc, s16, v16
	s_nop 1
	v_cndmask_b32_e32 v3, v140, v3, vcc
	v_div_scale_f32 v37, vcc, v27, v1, v27
	v_mul_f32_e32 v38, v37, v36
	v_fma_f32 v39, -v35, v38, v37
	v_fmac_f32_e32 v38, v39, v36
	v_fma_f32 v35, -v35, v38, v37
	v_div_fmas_f32 v35, v35, v36, v38
	v_div_fixup_f32 v1, v35, v1, v27
	v_div_scale_f32 v27, s[2:3], v0, v0, v34
	v_rcp_f32_e32 v35, v27
	v_pk_add_f32 v[2:3], v[2:3], 1.0 op_sel_hi:[1,0]
	v_fma_f32 v36, -v27, v35, 1.0
	v_fmac_f32_e32 v35, v36, v35
	v_div_scale_f32 v36, vcc, v34, v0, v34
	v_mul_f32_e32 v37, v36, v35
	v_fma_f32 v38, -v27, v37, v36
	v_fmac_f32_e32 v37, v38, v35
	v_fma_f32 v27, -v27, v37, v36
	v_div_fmas_f32 v27, v27, v35, v37
	v_div_fixup_f32 v0, v27, v0, v34
	v_div_scale_f32 v27, s[2:3], v3, v3, v16
	v_rcp_f32_e32 v34, v27
	v_pk_mul_f32 v[0:1], v[30:31], v[0:1]
	v_fma_f32 v35, -v27, v34, 1.0
	v_fmac_f32_e32 v34, v35, v34
	v_div_scale_f32 v35, vcc, v16, v3, v16
	v_mul_f32_e32 v36, v35, v34
	v_fma_f32 v37, -v27, v36, v35
	v_fmac_f32_e32 v36, v37, v34
	v_fma_f32 v27, -v27, v36, v35
	v_div_fmas_f32 v27, v27, v34, v36
	v_div_fixup_f32 v3, v27, v3, v16
	v_div_scale_f32 v16, s[2:3], v2, v2, v29
	v_rcp_f32_e32 v27, v16
	s_nop 0
	v_fma_f32 v34, -v16, v27, 1.0
	v_fmac_f32_e32 v27, v34, v27
	v_div_scale_f32 v34, vcc, v29, v2, v29
	v_mul_f32_e32 v35, v34, v27
	v_fma_f32 v36, -v16, v35, v34
	v_fmac_f32_e32 v35, v36, v27
	v_fma_f32 v16, -v16, v35, v34
	v_div_fmas_f32 v16, v16, v27, v35
	v_div_fixup_f32 v2, v16, v2, v29
	v_pk_mul_f32 v[2:3], v[32:33], v[2:3]
	v_cvt_f16_f32_e32 v16, v1
	v_cvt_f16_f32_e32 v27, v0
	;; [unrolled: 1-line block ×4, first 2 shown]
	v_pack_b32_f16 v3, v11, v10
	v_pack_b32_f16 v2, v7, v6
	;; [unrolled: 1-line block ×4, first 2 shown]
	ds_write_b128 v119, v[0:3]
	v_pack_b32_f16 v3, v30, v29
	v_pack_b32_f16 v2, v27, v16
	;; [unrolled: 1-line block ×4, first 2 shown]
	ds_write_b128 v119, v[0:3] offset:16
	; wave barrier
	ds_read_u16 v16, v89 offset:128
	ds_read_u16 v15, v90 offset:256
	;; [unrolled: 1-line block ×15, first 2 shown]
	v_lshl_add_u64 v[0:1], s[18:19], 1, v[24:25]
	s_and_saveexec_b64 s[2:3], s[26:27]
	s_cbranch_execnz .LBB125_286
; %bb.254:                              ;   in Loop: Header=BB125_13 Depth=1
	s_or_b64 exec, exec, s[2:3]
	s_and_saveexec_b64 s[2:3], s[28:29]
	s_cbranch_execnz .LBB125_287
.LBB125_255:                            ;   in Loop: Header=BB125_13 Depth=1
	s_or_b64 exec, exec, s[2:3]
	s_and_saveexec_b64 s[2:3], s[30:31]
	s_cbranch_execnz .LBB125_288
.LBB125_256:                            ;   in Loop: Header=BB125_13 Depth=1
	s_or_b64 exec, exec, s[2:3]
	s_and_saveexec_b64 s[2:3], s[34:35]
	s_cbranch_execnz .LBB125_289
.LBB125_257:                            ;   in Loop: Header=BB125_13 Depth=1
	s_or_b64 exec, exec, s[2:3]
	s_and_saveexec_b64 s[2:3], s[36:37]
	s_cbranch_execnz .LBB125_290
.LBB125_258:                            ;   in Loop: Header=BB125_13 Depth=1
	s_or_b64 exec, exec, s[2:3]
	s_and_saveexec_b64 s[2:3], s[38:39]
	s_cbranch_execnz .LBB125_291
.LBB125_259:                            ;   in Loop: Header=BB125_13 Depth=1
	s_or_b64 exec, exec, s[2:3]
	s_and_saveexec_b64 s[2:3], s[40:41]
	s_cbranch_execnz .LBB125_292
.LBB125_260:                            ;   in Loop: Header=BB125_13 Depth=1
	s_or_b64 exec, exec, s[2:3]
	s_and_saveexec_b64 s[2:3], s[42:43]
	s_cbranch_execnz .LBB125_293
.LBB125_261:                            ;   in Loop: Header=BB125_13 Depth=1
	s_or_b64 exec, exec, s[2:3]
	s_and_saveexec_b64 s[2:3], s[44:45]
	s_cbranch_execnz .LBB125_294
.LBB125_262:                            ;   in Loop: Header=BB125_13 Depth=1
	s_or_b64 exec, exec, s[2:3]
	s_and_saveexec_b64 s[2:3], s[46:47]
	s_cbranch_execnz .LBB125_295
.LBB125_263:                            ;   in Loop: Header=BB125_13 Depth=1
	s_or_b64 exec, exec, s[2:3]
	s_and_saveexec_b64 s[2:3], s[48:49]
	s_cbranch_execnz .LBB125_296
.LBB125_264:                            ;   in Loop: Header=BB125_13 Depth=1
	s_or_b64 exec, exec, s[2:3]
	s_and_saveexec_b64 s[2:3], s[50:51]
	s_cbranch_execnz .LBB125_297
.LBB125_265:                            ;   in Loop: Header=BB125_13 Depth=1
	s_or_b64 exec, exec, s[2:3]
	s_and_saveexec_b64 s[2:3], s[52:53]
	s_cbranch_execnz .LBB125_298
.LBB125_266:                            ;   in Loop: Header=BB125_13 Depth=1
	s_or_b64 exec, exec, s[2:3]
	s_and_saveexec_b64 s[2:3], s[54:55]
	s_cbranch_execnz .LBB125_299
.LBB125_267:                            ;   in Loop: Header=BB125_13 Depth=1
	s_or_b64 exec, exec, s[2:3]
	s_and_saveexec_b64 s[2:3], s[56:57]
	s_cbranch_execnz .LBB125_300
.LBB125_268:                            ;   in Loop: Header=BB125_13 Depth=1
	s_or_b64 exec, exec, s[2:3]
	s_and_saveexec_b64 s[2:3], s[58:59]
	s_cbranch_execz .LBB125_12
	s_branch .LBB125_301
.LBB125_269:                            ;   in Loop: Header=BB125_13 Depth=1
	global_load_ushort v36, v[8:9], off offset:1664
	s_or_b64 exec, exec, s[2:3]
	s_and_saveexec_b64 s[2:3], s[56:57]
	s_cbranch_execz .LBB125_73
.LBB125_270:                            ;   in Loop: Header=BB125_13 Depth=1
	global_load_ushort v35, v[8:9], off offset:1792
	s_or_b64 exec, exec, s[2:3]
	v_mov_b32_e32 v37, 0
	s_and_saveexec_b64 s[2:3], s[58:59]
	s_cbranch_execnz .LBB125_74
	s_branch .LBB125_75
.LBB125_271:                            ;   in Loop: Header=BB125_13 Depth=1
	ds_read_u16 v27, v88
	s_waitcnt lgkmcnt(0)
	global_store_short v[0:1], v27, off
	s_or_b64 exec, exec, s[2:3]
	s_and_saveexec_b64 s[2:3], s[28:29]
	s_cbranch_execz .LBB125_206
.LBB125_272:                            ;   in Loop: Header=BB125_13 Depth=1
	s_waitcnt lgkmcnt(14)
	global_store_short v[0:1], v16, off offset:128
	s_or_b64 exec, exec, s[2:3]
	s_and_saveexec_b64 s[2:3], s[30:31]
	s_cbranch_execz .LBB125_207
.LBB125_273:                            ;   in Loop: Header=BB125_13 Depth=1
	s_waitcnt lgkmcnt(13)
	global_store_short v[0:1], v15, off offset:256
	s_or_b64 exec, exec, s[2:3]
	s_and_saveexec_b64 s[2:3], s[34:35]
	s_cbranch_execz .LBB125_208
.LBB125_274:                            ;   in Loop: Header=BB125_13 Depth=1
	s_waitcnt lgkmcnt(12)
	global_store_short v[0:1], v14, off offset:384
	s_or_b64 exec, exec, s[2:3]
	s_and_saveexec_b64 s[2:3], s[36:37]
	s_cbranch_execz .LBB125_209
.LBB125_275:                            ;   in Loop: Header=BB125_13 Depth=1
	s_waitcnt lgkmcnt(11)
	global_store_short v[0:1], v13, off offset:512
	s_or_b64 exec, exec, s[2:3]
	s_and_saveexec_b64 s[2:3], s[38:39]
	s_cbranch_execz .LBB125_210
.LBB125_276:                            ;   in Loop: Header=BB125_13 Depth=1
	s_waitcnt lgkmcnt(10)
	global_store_short v[0:1], v12, off offset:640
	s_or_b64 exec, exec, s[2:3]
	s_and_saveexec_b64 s[2:3], s[40:41]
	s_cbranch_execz .LBB125_211
.LBB125_277:                            ;   in Loop: Header=BB125_13 Depth=1
	s_waitcnt lgkmcnt(9)
	global_store_short v[0:1], v11, off offset:768
	s_or_b64 exec, exec, s[2:3]
	s_and_saveexec_b64 s[2:3], s[42:43]
	s_cbranch_execz .LBB125_212
.LBB125_278:                            ;   in Loop: Header=BB125_13 Depth=1
	s_waitcnt lgkmcnt(8)
	global_store_short v[0:1], v10, off offset:896
	s_or_b64 exec, exec, s[2:3]
	s_and_saveexec_b64 s[2:3], s[44:45]
	s_cbranch_execz .LBB125_213
.LBB125_279:                            ;   in Loop: Header=BB125_13 Depth=1
	s_waitcnt lgkmcnt(7)
	global_store_short v[0:1], v9, off offset:1024
	s_or_b64 exec, exec, s[2:3]
	s_and_saveexec_b64 s[2:3], s[46:47]
	s_cbranch_execz .LBB125_214
.LBB125_280:                            ;   in Loop: Header=BB125_13 Depth=1
	s_waitcnt lgkmcnt(6)
	global_store_short v[0:1], v8, off offset:1152
	s_or_b64 exec, exec, s[2:3]
	s_and_saveexec_b64 s[2:3], s[48:49]
	s_cbranch_execz .LBB125_215
.LBB125_281:                            ;   in Loop: Header=BB125_13 Depth=1
	s_waitcnt lgkmcnt(5)
	global_store_short v[0:1], v7, off offset:1280
	s_or_b64 exec, exec, s[2:3]
	s_and_saveexec_b64 s[2:3], s[50:51]
	s_cbranch_execz .LBB125_216
.LBB125_282:                            ;   in Loop: Header=BB125_13 Depth=1
	s_waitcnt lgkmcnt(4)
	global_store_short v[0:1], v6, off offset:1408
	s_or_b64 exec, exec, s[2:3]
	s_and_saveexec_b64 s[2:3], s[52:53]
	s_cbranch_execz .LBB125_217
.LBB125_283:                            ;   in Loop: Header=BB125_13 Depth=1
	s_waitcnt lgkmcnt(3)
	global_store_short v[0:1], v5, off offset:1536
	s_or_b64 exec, exec, s[2:3]
	s_and_saveexec_b64 s[2:3], s[54:55]
	s_cbranch_execz .LBB125_218
.LBB125_284:                            ;   in Loop: Header=BB125_13 Depth=1
	s_waitcnt lgkmcnt(2)
	global_store_short v[0:1], v4, off offset:1664
	s_or_b64 exec, exec, s[2:3]
	s_and_saveexec_b64 s[2:3], s[56:57]
	s_cbranch_execz .LBB125_219
.LBB125_285:                            ;   in Loop: Header=BB125_13 Depth=1
	s_waitcnt lgkmcnt(1)
	global_store_short v[0:1], v3, off offset:1792
	s_or_b64 exec, exec, s[2:3]
	s_and_saveexec_b64 s[2:3], s[58:59]
	s_cbranch_execnz .LBB125_220
	s_branch .LBB125_221
.LBB125_286:                            ;   in Loop: Header=BB125_13 Depth=1
	ds_read_u16 v27, v88
	s_waitcnt lgkmcnt(0)
	global_store_short v[0:1], v27, off
	s_or_b64 exec, exec, s[2:3]
	s_and_saveexec_b64 s[2:3], s[28:29]
	s_cbranch_execz .LBB125_255
.LBB125_287:                            ;   in Loop: Header=BB125_13 Depth=1
	s_waitcnt lgkmcnt(14)
	global_store_short v[0:1], v16, off offset:128
	s_or_b64 exec, exec, s[2:3]
	s_and_saveexec_b64 s[2:3], s[30:31]
	s_cbranch_execz .LBB125_256
.LBB125_288:                            ;   in Loop: Header=BB125_13 Depth=1
	s_waitcnt lgkmcnt(13)
	global_store_short v[0:1], v15, off offset:256
	s_or_b64 exec, exec, s[2:3]
	s_and_saveexec_b64 s[2:3], s[34:35]
	s_cbranch_execz .LBB125_257
.LBB125_289:                            ;   in Loop: Header=BB125_13 Depth=1
	s_waitcnt lgkmcnt(12)
	global_store_short v[0:1], v14, off offset:384
	s_or_b64 exec, exec, s[2:3]
	s_and_saveexec_b64 s[2:3], s[36:37]
	s_cbranch_execz .LBB125_258
.LBB125_290:                            ;   in Loop: Header=BB125_13 Depth=1
	s_waitcnt lgkmcnt(11)
	global_store_short v[0:1], v13, off offset:512
	s_or_b64 exec, exec, s[2:3]
	s_and_saveexec_b64 s[2:3], s[38:39]
	s_cbranch_execz .LBB125_259
.LBB125_291:                            ;   in Loop: Header=BB125_13 Depth=1
	s_waitcnt lgkmcnt(10)
	global_store_short v[0:1], v12, off offset:640
	s_or_b64 exec, exec, s[2:3]
	s_and_saveexec_b64 s[2:3], s[40:41]
	s_cbranch_execz .LBB125_260
.LBB125_292:                            ;   in Loop: Header=BB125_13 Depth=1
	s_waitcnt lgkmcnt(9)
	global_store_short v[0:1], v11, off offset:768
	s_or_b64 exec, exec, s[2:3]
	s_and_saveexec_b64 s[2:3], s[42:43]
	s_cbranch_execz .LBB125_261
.LBB125_293:                            ;   in Loop: Header=BB125_13 Depth=1
	s_waitcnt lgkmcnt(8)
	global_store_short v[0:1], v10, off offset:896
	s_or_b64 exec, exec, s[2:3]
	s_and_saveexec_b64 s[2:3], s[44:45]
	s_cbranch_execz .LBB125_262
.LBB125_294:                            ;   in Loop: Header=BB125_13 Depth=1
	s_waitcnt lgkmcnt(7)
	global_store_short v[0:1], v9, off offset:1024
	s_or_b64 exec, exec, s[2:3]
	s_and_saveexec_b64 s[2:3], s[46:47]
	s_cbranch_execz .LBB125_263
.LBB125_295:                            ;   in Loop: Header=BB125_13 Depth=1
	s_waitcnt lgkmcnt(6)
	global_store_short v[0:1], v8, off offset:1152
	s_or_b64 exec, exec, s[2:3]
	s_and_saveexec_b64 s[2:3], s[48:49]
	s_cbranch_execz .LBB125_264
.LBB125_296:                            ;   in Loop: Header=BB125_13 Depth=1
	s_waitcnt lgkmcnt(5)
	global_store_short v[0:1], v7, off offset:1280
	s_or_b64 exec, exec, s[2:3]
	s_and_saveexec_b64 s[2:3], s[50:51]
	s_cbranch_execz .LBB125_265
.LBB125_297:                            ;   in Loop: Header=BB125_13 Depth=1
	s_waitcnt lgkmcnt(4)
	global_store_short v[0:1], v6, off offset:1408
	s_or_b64 exec, exec, s[2:3]
	s_and_saveexec_b64 s[2:3], s[52:53]
	s_cbranch_execz .LBB125_266
.LBB125_298:                            ;   in Loop: Header=BB125_13 Depth=1
	s_waitcnt lgkmcnt(3)
	global_store_short v[0:1], v5, off offset:1536
	s_or_b64 exec, exec, s[2:3]
	s_and_saveexec_b64 s[2:3], s[54:55]
	s_cbranch_execz .LBB125_267
.LBB125_299:                            ;   in Loop: Header=BB125_13 Depth=1
	s_waitcnt lgkmcnt(2)
	global_store_short v[0:1], v4, off offset:1664
	s_or_b64 exec, exec, s[2:3]
	s_and_saveexec_b64 s[2:3], s[56:57]
	s_cbranch_execz .LBB125_268
.LBB125_300:                            ;   in Loop: Header=BB125_13 Depth=1
	s_waitcnt lgkmcnt(1)
	global_store_short v[0:1], v3, off offset:1792
	s_or_b64 exec, exec, s[2:3]
	s_and_saveexec_b64 s[2:3], s[58:59]
	s_cbranch_execz .LBB125_12
.LBB125_301:                            ;   in Loop: Header=BB125_13 Depth=1
	s_waitcnt lgkmcnt(0)
	global_store_short v[0:1], v2, off offset:1920
	s_branch .LBB125_12
.LBB125_302:
	s_endpgm
	.section	.rodata,"a",@progbits
	.p2align	6, 0x0
	.amdhsa_kernel _Z25selective_scan_fwd_kernelI32Selective_Scan_fwd_kernel_traitsILi128ELi16ELi1ELb0ELb1ELb1ELb1ELb0EN3c104HalfEffEEv13SSMParamsBase
		.amdhsa_group_segment_fixed_size 0
		.amdhsa_private_segment_fixed_size 0
		.amdhsa_kernarg_size 248
		.amdhsa_user_sgpr_count 2
		.amdhsa_user_sgpr_dispatch_ptr 0
		.amdhsa_user_sgpr_queue_ptr 0
		.amdhsa_user_sgpr_kernarg_segment_ptr 1
		.amdhsa_user_sgpr_dispatch_id 0
		.amdhsa_user_sgpr_kernarg_preload_length 0
		.amdhsa_user_sgpr_kernarg_preload_offset 0
		.amdhsa_user_sgpr_private_segment_size 0
		.amdhsa_uses_dynamic_stack 0
		.amdhsa_enable_private_segment 0
		.amdhsa_system_sgpr_workgroup_id_x 1
		.amdhsa_system_sgpr_workgroup_id_y 1
		.amdhsa_system_sgpr_workgroup_id_z 0
		.amdhsa_system_sgpr_workgroup_info 0
		.amdhsa_system_vgpr_workitem_id 0
		.amdhsa_next_free_vgpr 168
		.amdhsa_next_free_sgpr 100
		.amdhsa_accum_offset 168
		.amdhsa_reserve_vcc 1
		.amdhsa_float_round_mode_32 0
		.amdhsa_float_round_mode_16_64 0
		.amdhsa_float_denorm_mode_32 3
		.amdhsa_float_denorm_mode_16_64 3
		.amdhsa_dx10_clamp 1
		.amdhsa_ieee_mode 1
		.amdhsa_fp16_overflow 0
		.amdhsa_tg_split 0
		.amdhsa_exception_fp_ieee_invalid_op 0
		.amdhsa_exception_fp_denorm_src 0
		.amdhsa_exception_fp_ieee_div_zero 0
		.amdhsa_exception_fp_ieee_overflow 0
		.amdhsa_exception_fp_ieee_underflow 0
		.amdhsa_exception_fp_ieee_inexact 0
		.amdhsa_exception_int_div_zero 0
	.end_amdhsa_kernel
	.section	.text._Z25selective_scan_fwd_kernelI32Selective_Scan_fwd_kernel_traitsILi128ELi16ELi1ELb0ELb1ELb1ELb1ELb0EN3c104HalfEffEEv13SSMParamsBase,"axG",@progbits,_Z25selective_scan_fwd_kernelI32Selective_Scan_fwd_kernel_traitsILi128ELi16ELi1ELb0ELb1ELb1ELb1ELb0EN3c104HalfEffEEv13SSMParamsBase,comdat
.Lfunc_end125:
	.size	_Z25selective_scan_fwd_kernelI32Selective_Scan_fwd_kernel_traitsILi128ELi16ELi1ELb0ELb1ELb1ELb1ELb0EN3c104HalfEffEEv13SSMParamsBase, .Lfunc_end125-_Z25selective_scan_fwd_kernelI32Selective_Scan_fwd_kernel_traitsILi128ELi16ELi1ELb0ELb1ELb1ELb1ELb0EN3c104HalfEffEEv13SSMParamsBase
                                        ; -- End function
	.section	.AMDGPU.csdata,"",@progbits
; Kernel info:
; codeLenInByte = 25112
; NumSgprs: 106
; NumVgprs: 168
; NumAgprs: 0
; TotalNumVgprs: 168
; ScratchSize: 0
; MemoryBound: 0
; FloatMode: 240
; IeeeMode: 1
; LDSByteSize: 0 bytes/workgroup (compile time only)
; SGPRBlocks: 13
; VGPRBlocks: 20
; NumSGPRsForWavesPerEU: 106
; NumVGPRsForWavesPerEU: 168
; AccumOffset: 168
; Occupancy: 3
; WaveLimiterHint : 0
; COMPUTE_PGM_RSRC2:SCRATCH_EN: 0
; COMPUTE_PGM_RSRC2:USER_SGPR: 2
; COMPUTE_PGM_RSRC2:TRAP_HANDLER: 0
; COMPUTE_PGM_RSRC2:TGID_X_EN: 1
; COMPUTE_PGM_RSRC2:TGID_Y_EN: 1
; COMPUTE_PGM_RSRC2:TGID_Z_EN: 0
; COMPUTE_PGM_RSRC2:TIDIG_COMP_CNT: 0
; COMPUTE_PGM_RSRC3_GFX90A:ACCUM_OFFSET: 41
; COMPUTE_PGM_RSRC3_GFX90A:TG_SPLIT: 0
	.section	.text._Z25selective_scan_fwd_kernelI32Selective_Scan_fwd_kernel_traitsILi128ELi16ELi1ELb0ELb1ELb1ELb0ELb1EN3c104HalfEffEEv13SSMParamsBase,"axG",@progbits,_Z25selective_scan_fwd_kernelI32Selective_Scan_fwd_kernel_traitsILi128ELi16ELi1ELb0ELb1ELb1ELb0ELb1EN3c104HalfEffEEv13SSMParamsBase,comdat
	.protected	_Z25selective_scan_fwd_kernelI32Selective_Scan_fwd_kernel_traitsILi128ELi16ELi1ELb0ELb1ELb1ELb0ELb1EN3c104HalfEffEEv13SSMParamsBase ; -- Begin function _Z25selective_scan_fwd_kernelI32Selective_Scan_fwd_kernel_traitsILi128ELi16ELi1ELb0ELb1ELb1ELb0ELb1EN3c104HalfEffEEv13SSMParamsBase
	.globl	_Z25selective_scan_fwd_kernelI32Selective_Scan_fwd_kernel_traitsILi128ELi16ELi1ELb0ELb1ELb1ELb0ELb1EN3c104HalfEffEEv13SSMParamsBase
	.p2align	8
	.type	_Z25selective_scan_fwd_kernelI32Selective_Scan_fwd_kernel_traitsILi128ELi16ELi1ELb0ELb1ELb1ELb0ELb1EN3c104HalfEffEEv13SSMParamsBase,@function
_Z25selective_scan_fwd_kernelI32Selective_Scan_fwd_kernel_traitsILi128ELi16ELi1ELb0ELb1ELb1ELb0ELb1EN3c104HalfEffEEv13SSMParamsBase: ; @_Z25selective_scan_fwd_kernelI32Selective_Scan_fwd_kernel_traitsILi128ELi16ELi1ELb0ELb1ELb1ELb0ELb1EN3c104HalfEffEEv13SSMParamsBase
; %bb.0:
	s_load_dword s29, s[0:1], 0x18
	s_load_dwordx4 s[4:7], s[0:1], 0xe0
	s_load_dwordx2 s[10:11], s[0:1], 0xf0
	s_mov_b32 s24, s3
	s_ashr_i32 s3, s2, 31
	s_waitcnt lgkmcnt(0)
	s_abs_i32 s28, s29
	v_cvt_f32_u32_e32 v1, s28
	s_lshl_b64 s[8:9], s[2:3], 2
	s_add_u32 s26, s4, s8
	s_addc_u32 s27, s5, s9
	v_rcp_iflag_f32_e32 v1, v1
	s_cmp_eq_u64 s[10:11], 0
                                        ; implicit-def: $vgpr167 : SGPR spill to VGPR lane
	v_mul_f32_e32 v1, 0x4f7ffffe, v1
	v_cvt_u32_f32_e32 v1, v1
	s_nop 0
	v_readfirstlane_b32 s30, v1
	s_cbranch_scc1 .LBB126_2
; %bb.1:
	s_add_u32 s4, s10, s2
	s_addc_u32 s5, s11, s3
	v_mov_b32_e32 v1, 0
	global_load_ubyte v1, v1, s[4:5]
	s_waitcnt vmcnt(0)
	v_and_b32_e32 v1, 1, v1
	v_cmp_eq_u32_e64 s[4:5], 1, v1
	s_branch .LBB126_3
.LBB126_2:
	s_mov_b64 s[4:5], 0
.LBB126_3:
	s_nop 0
	v_writelane_b32 v167, s4, 0
	s_cmp_eq_u64 s[6:7], 0
	s_nop 0
	v_writelane_b32 v167, s5, 1
	s_load_dwordx2 s[4:5], s[0:1], 0x20
	s_cbranch_scc1 .LBB126_5
; %bb.4:
	s_add_u32 s2, s6, s8
	s_addc_u32 s3, s7, s9
	s_load_dword s2, s[2:3], 0x0
	s_waitcnt lgkmcnt(0)
	s_ashr_i32 s3, s2, 31
.LBB126_5:
	s_waitcnt lgkmcnt(0)
	s_cmp_eq_u64 s[4:5], s[2:3]
	s_cbranch_scc1 .LBB126_238
; %bb.6:
	s_load_dwordx16 s[36:51], s[0:1], 0x88
	s_load_dwordx2 s[4:5], s[26:27], 0x0
	s_mov_b32 s3, 0
	v_writelane_b32 v167, s3, 2
	v_writelane_b32 v167, s3, 3
	s_waitcnt lgkmcnt(0)
	s_cmp_eq_u64 s[42:43], 0
	s_cbranch_scc1 .LBB126_8
; %bb.7:
	s_ashr_i32 s25, s24, 31
	s_lshl_b64 s[6:7], s[24:25], 2
	s_add_u32 s6, s42, s6
	s_addc_u32 s7, s43, s7
	s_load_dword s3, s[6:7], 0x0
	s_waitcnt lgkmcnt(0)
	v_writelane_b32 v167, s3, 3
.LBB126_8:
	s_cmp_eq_u64 s[48:49], 0
	s_cbranch_scc1 .LBB126_10
; %bb.9:
	s_ashr_i32 s25, s24, 31
	s_lshl_b64 s[6:7], s[24:25], 2
	s_add_u32 s6, s48, s6
	s_addc_u32 s7, s49, s7
	s_load_dword s3, s[6:7], 0x0
	s_waitcnt lgkmcnt(0)
	v_writelane_b32 v167, s3, 2
.LBB126_10:
	s_sub_i32 s31, s5, s4
	s_cmp_lt_i32 s31, 1
	s_cbranch_scc1 .LBB126_238
; %bb.11:
	s_sub_i32 s3, 0, s28
	s_mul_i32 s3, s3, s30
	s_mul_hi_u32 s3, s30, s3
	s_load_dwordx8 s[8:15], s[0:1], 0x2c
	s_load_dwordx2 s[20:21], s[0:1], 0x5c
	s_load_dwordx4 s[52:55], s[0:1], 0x4c
	s_abs_i32 s5, s24
	s_add_i32 s30, s30, s3
	s_load_dwordx4 s[56:59], s[0:1], 0x7c
	s_load_dwordx2 s[18:19], s[0:1], 0x6c
	s_load_dwordx2 s[26:27], s[0:1], 0xc8
	s_mul_hi_u32 s3, s5, s30
	s_waitcnt lgkmcnt(0)
	s_load_dword s11, s[0:1], 0xc
	s_load_dword s25, s[0:1], 0x28
	s_ashr_i32 s0, s24, 31
	s_ashr_i32 s1, s29, 31
	s_xor_b32 s0, s0, s1
	s_mul_i32 s1, s3, s28
	s_sub_i32 s1, s5, s1
	s_add_i32 s5, s3, 1
	s_sub_i32 s6, s1, s28
	s_cmp_ge_u32 s1, s28
	s_cselect_b32 s3, s5, s3
	s_cselect_b32 s1, s6, s1
	s_add_i32 s5, s3, 1
	s_cmp_ge_u32 s1, s28
	s_cselect_b32 s1, s5, s3
	s_xor_b32 s1, s1, s0
	s_mul_i32 s6, s4, s54
	s_mov_b32 s7, 0
	s_sub_i32 s3, s1, s0
	s_lshl_b64 s[0:1], s[6:7], 1
	s_add_u32 s5, s44, s0
	s_mul_i32 s6, s55, s24
	s_addc_u32 s16, s45, s1
	s_lshl_b64 s[0:1], s[6:7], 1
	s_add_u32 s22, s5, s0
	s_mul_i32 s6, s4, s20
	s_addc_u32 s23, s16, s1
	;; [unrolled: 4-line block ×3, first 2 shown]
	s_lshl_b64 s[0:1], s[6:7], 1
	s_add_u32 s0, s5, s0
	s_addc_u32 s1, s16, s1
	v_writelane_b32 v167, s0, 4
	s_mul_i32 s6, s8, s24
	v_mbcnt_lo_u32_b32 v1, -1, 0
	v_writelane_b32 v167, s1, 5
	s_lshl_b64 s[0:1], s[6:7], 2
	s_add_u32 s0, s36, s0
	v_writelane_b32 v167, s0, 6
	s_addc_u32 s0, s37, s1
	s_mul_i32 s6, s4, s10
	v_writelane_b32 v167, s0, 7
	s_lshl_b64 s[0:1], s[6:7], 1
	s_add_u32 s5, s38, s0
	s_mul_i32 s6, s3, s13
	s_addc_u32 s8, s39, s1
	s_lshl_b64 s[0:1], s[6:7], 1
	s_add_u32 s0, s5, s0
	s_addc_u32 s1, s8, s1
	v_writelane_b32 v167, s0, 8
	v_lshlrev_b32_e32 v19, 4, v0
	v_mbcnt_hi_u32_b32 v18, -1, v1
	v_writelane_b32 v167, s1, 9
	s_waitcnt lgkmcnt(0)
	v_writelane_b32 v167, s8, 10
	s_mul_i32 s6, s4, s14
	s_lshl_b64 s[0:1], s[6:7], 1
	v_writelane_b32 v167, s9, 11
	v_writelane_b32 v167, s10, 12
	;; [unrolled: 1-line block ×7, first 2 shown]
	s_add_u32 s5, s40, s0
	v_writelane_b32 v167, s52, 18
	s_mul_i32 s6, s3, s53
	s_addc_u32 s8, s41, s1
	v_writelane_b32 v167, s53, 19
	s_lshl_b64 s[0:1], s[6:7], 1
	v_writelane_b32 v167, s54, 20
	s_add_u32 s0, s5, s0
	v_writelane_b32 v167, s55, 21
	s_addc_u32 s1, s8, s1
	v_writelane_b32 v167, s0, 22
	s_mul_i32 s6, s2, s56
	v_and_b32_e32 v2, 0x400, v19
	v_writelane_b32 v167, s1, 23
	s_lshl_b64 s[0:1], s[6:7], 2
	v_writelane_b32 v167, s56, 24
	s_add_u32 s2, s26, s0
	s_mul_i32 s6, s57, s24
	v_writelane_b32 v167, s57, 25
	s_addc_u32 s3, s27, s1
	v_writelane_b32 v167, s58, 26
	s_lshl_b64 s[0:1], s[6:7], 2
	v_writelane_b32 v167, s59, 27
	s_add_u32 s0, s2, s0
	v_writelane_b32 v167, s0, 28
	s_addc_u32 s0, s3, s1
	v_writelane_b32 v167, s0, 29
	s_add_i32 s0, s31, 0x7ff
	s_lshr_b32 s1, s0, 11
	s_bitcmp1_b32 s25, 0
	v_or_b32_e32 v68, v18, v2
	s_cselect_b64 s[2:3], -1, 0
	v_lshrrev_b32_e32 v1, 5, v68
	v_writelane_b32 v167, s2, 30
	v_and_b32_e32 v1, 34, v1
	v_and_b32_e32 v20, 64, v0
	v_writelane_b32 v167, s3, 31
	s_cmp_gt_i32 s11, 0
	v_add_u32_e32 v69, 64, v68
	v_or_b32_e32 v70, 0x80, v68
	v_add_u32_e32 v71, 0xc0, v68
	v_or_b32_e32 v72, 0x100, v68
	;; [unrolled: 2-line block ×7, first 2 shown]
	v_add_u32_e32 v83, 0x3c0, v68
	v_add_u32_e32 v1, v1, v68
	v_add_u16_e32 v22, v18, v20
	v_writelane_b32 v167, s11, 32
	s_cselect_b64 s[2:3], -1, 0
	v_lshl_add_u32 v84, v1, 1, 0
	v_lshrrev_b32_e32 v1, 5, v69
	v_lshrrev_b32_e32 v3, 5, v70
	;; [unrolled: 1-line block ×15, first 2 shown]
	v_lshrrev_b16_e32 v22, 1, v22
	v_writelane_b32 v167, s2, 33
	v_and_b32_e32 v1, 38, v1
	v_and_b32_e32 v3, 38, v3
	;; [unrolled: 1-line block ×15, first 2 shown]
	v_add_lshl_u32 v21, v18, v20, 4
	v_and_b32_e32 v22, 0x7e, v22
	v_writelane_b32 v167, s3, 34
	v_add_lshl_u32 v1, v1, v68, 1
	v_add_lshl_u32 v3, v3, v68, 1
	;; [unrolled: 1-line block ×16, first 2 shown]
	s_add_i32 s0, 0, 0x1080
	v_writelane_b32 v167, s31, 35
	v_add_u32_e32 v101, s0, v1
	v_add_u32_e32 v102, s0, v3
	;; [unrolled: 1-line block ×16, first 2 shown]
	v_writelane_b32 v167, s1, 36
	s_add_i32 s0, s1, -1
	s_mul_i32 s6, s4, s18
	s_and_b32 s5, s31, 0x7ff
	v_writelane_b32 v167, s0, 37
	s_lshl_b64 s[0:1], s[6:7], 1
	s_add_u32 s2, s50, s0
	s_mul_i32 s6, s19, s24
	s_addc_u32 s3, s51, s1
	s_lshl_b64 s[0:1], s[6:7], 1
	s_add_u32 s2, s2, s0
	s_addc_u32 s3, s3, s1
	s_cmp_eq_u32 s5, 0
	s_cselect_b64 s[0:1], -1, 0
	v_add_u32_e32 v85, 0, v1
	v_writelane_b32 v167, s0, 38
	v_and_b32_e32 v1, 15, v18
	v_cmp_lt_u32_e64 s[4:5], 1, v1
	v_writelane_b32 v167, s1, 39
	v_cmp_eq_u32_e64 s[0:1], 0, v1
	v_writelane_b32 v167, s4, 40
	v_add_u32_e32 v86, 0, v3
	v_and_b32_e32 v3, 64, v18
	v_writelane_b32 v167, s5, 41
	v_cmp_lt_u32_e64 s[4:5], 3, v1
	v_mov_b32_e32 v17, 0
	v_add_u32_e32 v99, 0, v16
	v_writelane_b32 v167, s4, 42
	v_lshlrev_b32_e32 v16, 1, v18
	s_mov_b64 s[8:9], s[22:23]
	v_writelane_b32 v167, s5, 43
	v_cmp_lt_u32_e64 s[4:5], 7, v1
	v_and_b32_e32 v1, 16, v18
	v_lshl_add_u32 v118, v0, 3, 0
	v_writelane_b32 v167, s4, 44
	v_cmp_lt_u32_e64 s[20:21], 63, v0
	v_cmp_eq_u32_e64 s[22:23], 0, v0
	v_writelane_b32 v167, s5, 45
	v_cmp_ne_u32_e64 s[4:5], 0, v1
	v_or_b32_e32 v1, 63, v20
	v_add_u32_e32 v87, 0, v4
	v_writelane_b32 v167, s4, 46
	v_add_u32_e32 v88, 0, v5
	v_add_u32_e32 v89, 0, v6
	v_writelane_b32 v167, s5, 47
	v_cmp_lt_u32_e64 s[4:5], 31, v18
	v_add_u32_e32 v90, 0, v7
	v_add_u32_e32 v91, 0, v8
	v_writelane_b32 v167, s4, 48
	v_add_u32_e32 v92, 0, v9
	v_add_u32_e32 v93, 0, v10
	v_writelane_b32 v167, s5, 49
	v_cmp_eq_u32_e64 s[4:5], v1, v0
	v_lshrrev_b32_e32 v1, 3, v0
	v_and_b32_e32 v1, 8, v1
	v_writelane_b32 v167, s4, 50
	v_add_u32_e32 v117, 0, v1
	v_and_b32_e32 v1, 1, v18
	v_writelane_b32 v167, s5, 51
	v_cmp_gt_u32_e64 s[4:5], 2, v0
	v_add_u32_e32 v94, 0, v11
	v_add_u32_e32 v95, 0, v12
	v_writelane_b32 v167, s4, 52
	v_add_u32_e32 v96, 0, v13
	v_add_u32_e32 v97, 0, v14
	v_writelane_b32 v167, s5, 53
	v_cmp_eq_u32_e64 s[4:5], 0, v1
	v_add_u32_e32 v1, -1, v18
	v_cmp_lt_i32_e32 vcc, v1, v3
	v_writelane_b32 v167, s4, 54
	v_add_u32_e32 v98, 0, v15
	v_cndmask_b32_e32 v1, v1, v18, vcc
	v_writelane_b32 v167, s5, 55
	v_cmp_gt_u32_e64 s[4:5], 64, v0
	v_lshlrev_b32_e32 v119, 2, v1
	v_lshl_add_u64 v[0:1], s[2:3], 0, v[16:17]
	v_writelane_b32 v167, s4, 56
	v_lshlrev_b32_e32 v16, 1, v2
	s_add_i32 s2, 0, 0x2110
	v_writelane_b32 v167, s5, 57
	v_add_u32_e32 v100, 0, v21
	v_cmp_eq_u32_e64 s[24:25], 0, v18
	v_lshl_add_u64 v[20:21], v[0:1], 0, v[16:17]
	v_lshlrev_b32_e32 v22, 1, v2
	s_mov_b32 s6, 0x41a00000
	s_mov_b32 s10, 0x3fb8aa3b
	s_mov_b32 s11, 0xc2ce8ed0
	s_mov_b32 s12, 0x42b17218
	s_mov_b32 s13, 0x7f800000
	s_mov_b32 s14, 0x3f2aaaab
	s_mov_b32 s15, 0x3f317218
	s_mov_b32 s16, 0x33800000
	v_writelane_b32 v167, s2, 58
	s_mov_b32 s33, 0xc2fc0000
	s_mov_b32 s3, 0
	v_or_b32_e32 v134, 15, v19
	v_mov_b32_e32 v135, 0x3ecc95a3
	v_mov_b32_e32 v136, 0x7f800000
	v_mov_b32_e32 v137, 0x42800000
	v_mov_b32_e32 v138, 0x1f800000
	v_mov_b32_e32 v24, 0x3f317218
                                        ; implicit-def: $vgpr0
	s_branch .LBB126_13
.LBB126_12:                             ;   in Loop: Header=BB126_13 Depth=1
	s_or_b64 exec, exec, s[2:3]
	v_readlane_b32 s2, v167, 4
	v_readlane_b32 s3, v167, 5
	s_add_u32 s2, s2, 0x1000
	s_addc_u32 s3, s3, 0
	v_writelane_b32 v167, s2, 4
	s_add_u32 s8, s8, 0x1000
	s_addc_u32 s9, s9, 0
	v_writelane_b32 v167, s3, 5
	s_nop 0
	v_readlane_b32 s2, v167, 8
	v_readlane_b32 s3, v167, 9
	s_add_u32 s2, s2, 0x1000
	s_addc_u32 s3, s3, 0
	v_writelane_b32 v167, s2, 8
	s_nop 1
	v_writelane_b32 v167, s3, 9
	s_nop 0
	v_readlane_b32 s2, v167, 22
	v_readlane_b32 s3, v167, 23
	s_add_u32 s2, s2, 0x1000
	s_addc_u32 s3, s3, 0
	v_writelane_b32 v167, s2, 22
	s_nop 1
	v_writelane_b32 v167, s3, 23
	s_nop 0
	v_readlane_b32 s3, v167, 59
	s_add_i32 s3, s3, 1
	v_readlane_b32 s2, v167, 36
	s_cmp_eq_u32 s3, s2
	s_cbranch_scc1 .LBB126_238
.LBB126_13:                             ; =>This Loop Header: Depth=1
                                        ;     Child Loop BB126_110 Depth 2
	s_lshl_b32 s18, s3, 11
	v_writelane_b32 v167, s3, 59
	s_mov_b32 s4, s18
	v_readlane_b32 s2, v167, 35
	v_writelane_b32 v167, s4, 60
	s_waitcnt lgkmcnt(14)
	v_lshlrev_b32_e32 v16, 1, v18
	s_sub_i32 s88, s2, s18
	v_writelane_b32 v167, s5, 61
	v_writelane_b32 v167, s8, 62
	v_mov_b32_e32 v23, v17
	v_cmp_gt_u32_e64 s[26:27], s88, v68
	v_lshl_add_u64 v[0:1], s[8:9], 0, v[16:17]
	v_writelane_b32 v167, s9, 63
	v_lshl_add_u64 v[0:1], v[0:1], 0, v[22:23]
	s_waitcnt lgkmcnt(0)
	v_mov_b32_e32 v2, 0
	s_barrier
	s_and_saveexec_b64 s[2:3], s[26:27]
	s_cbranch_execz .LBB126_15
; %bb.14:                               ;   in Loop: Header=BB126_13 Depth=1
	global_load_ushort v2, v[0:1], off
.LBB126_15:                             ;   in Loop: Header=BB126_13 Depth=1
	s_or_b64 exec, exec, s[2:3]
	v_cmp_gt_u32_e64 s[28:29], s88, v69
	v_mov_b32_e32 v3, 0
	v_mov_b32_e32 v4, 0
	s_and_saveexec_b64 s[2:3], s[28:29]
	s_cbranch_execz .LBB126_17
; %bb.16:                               ;   in Loop: Header=BB126_13 Depth=1
	global_load_ushort v4, v[0:1], off offset:128
.LBB126_17:                             ;   in Loop: Header=BB126_13 Depth=1
	s_or_b64 exec, exec, s[2:3]
	v_cmp_gt_u32_e64 s[30:31], s88, v70
	s_and_saveexec_b64 s[2:3], s[30:31]
	s_cbranch_execz .LBB126_19
; %bb.18:                               ;   in Loop: Header=BB126_13 Depth=1
	global_load_ushort v3, v[0:1], off offset:256
.LBB126_19:                             ;   in Loop: Header=BB126_13 Depth=1
	s_or_b64 exec, exec, s[2:3]
	v_cmp_gt_u32_e64 s[34:35], s88, v71
	v_mov_b32_e32 v5, 0
	v_mov_b32_e32 v6, 0
	s_and_saveexec_b64 s[2:3], s[34:35]
	s_cbranch_execz .LBB126_21
; %bb.20:                               ;   in Loop: Header=BB126_13 Depth=1
	global_load_ushort v6, v[0:1], off offset:384
.LBB126_21:                             ;   in Loop: Header=BB126_13 Depth=1
	s_or_b64 exec, exec, s[2:3]
	v_cmp_gt_u32_e64 s[36:37], s88, v72
	s_and_saveexec_b64 s[2:3], s[36:37]
	s_cbranch_execz .LBB126_23
; %bb.22:                               ;   in Loop: Header=BB126_13 Depth=1
	global_load_ushort v5, v[0:1], off offset:512
.LBB126_23:                             ;   in Loop: Header=BB126_13 Depth=1
	;; [unrolled: 16-line block ×7, first 2 shown]
	s_or_b64 exec, exec, s[2:3]
	v_cmp_gt_u32_e64 s[58:59], s88, v83
	v_mov_b32_e32 v10, 0
	v_mov_b32_e32 v26, 0
	s_and_saveexec_b64 s[2:3], s[58:59]
	s_cbranch_execz .LBB126_45
; %bb.44:                               ;   in Loop: Header=BB126_13 Depth=1
	global_load_ushort v26, v[0:1], off offset:1920
.LBB126_45:                             ;   in Loop: Header=BB126_13 Depth=1
	s_or_b64 exec, exec, s[2:3]
	s_waitcnt vmcnt(0)
	ds_write_b16 v84, v2
	ds_write_b16 v85, v4 offset:128
	ds_write_b16 v86, v3 offset:256
	;; [unrolled: 1-line block ×15, first 2 shown]
	; wave barrier
	ds_read_b128 v[0:3], v100
	ds_read_b128 v[4:7], v100 offset:16
	v_readlane_b32 s2, v167, 4
	v_readlane_b32 s3, v167, 5
	v_mov_b32_e32 v23, v17
	s_waitcnt lgkmcnt(0)
	v_lshl_add_u64 v[8:9], s[2:3], 0, v[16:17]
	v_lshl_add_u64 v[8:9], v[8:9], 0, v[22:23]
	s_barrier
	s_and_saveexec_b64 s[2:3], s[26:27]
	s_cbranch_execz .LBB126_47
; %bb.46:                               ;   in Loop: Header=BB126_13 Depth=1
	global_load_ushort v10, v[8:9], off
.LBB126_47:                             ;   in Loop: Header=BB126_13 Depth=1
	s_or_b64 exec, exec, s[2:3]
	v_mov_b32_e32 v11, 0
	v_mov_b32_e32 v12, 0
	s_and_saveexec_b64 s[2:3], s[28:29]
	s_cbranch_execz .LBB126_49
; %bb.48:                               ;   in Loop: Header=BB126_13 Depth=1
	global_load_ushort v12, v[8:9], off offset:128
.LBB126_49:                             ;   in Loop: Header=BB126_13 Depth=1
	s_or_b64 exec, exec, s[2:3]
	s_and_saveexec_b64 s[2:3], s[30:31]
	s_cbranch_execz .LBB126_51
; %bb.50:                               ;   in Loop: Header=BB126_13 Depth=1
	global_load_ushort v11, v[8:9], off offset:256
.LBB126_51:                             ;   in Loop: Header=BB126_13 Depth=1
	s_or_b64 exec, exec, s[2:3]
	v_mov_b32_e32 v13, 0
	v_mov_b32_e32 v14, 0
	s_and_saveexec_b64 s[2:3], s[34:35]
	s_cbranch_execz .LBB126_53
; %bb.52:                               ;   in Loop: Header=BB126_13 Depth=1
	global_load_ushort v14, v[8:9], off offset:384
.LBB126_53:                             ;   in Loop: Header=BB126_13 Depth=1
	s_or_b64 exec, exec, s[2:3]
	s_and_saveexec_b64 s[2:3], s[36:37]
	s_cbranch_execz .LBB126_55
; %bb.54:                               ;   in Loop: Header=BB126_13 Depth=1
	global_load_ushort v13, v[8:9], off offset:512
.LBB126_55:                             ;   in Loop: Header=BB126_13 Depth=1
	;; [unrolled: 14-line block ×6, first 2 shown]
	s_or_b64 exec, exec, s[2:3]
	v_mov_b32_e32 v31, 0
	v_mov_b32_e32 v32, 0
	s_and_saveexec_b64 s[2:3], s[54:55]
	s_cbranch_execnz .LBB126_221
; %bb.72:                               ;   in Loop: Header=BB126_13 Depth=1
	s_or_b64 exec, exec, s[2:3]
	s_and_saveexec_b64 s[2:3], s[56:57]
	s_cbranch_execnz .LBB126_222
.LBB126_73:                             ;   in Loop: Header=BB126_13 Depth=1
	s_or_b64 exec, exec, s[2:3]
	v_mov_b32_e32 v33, 0
	s_and_saveexec_b64 s[2:3], s[58:59]
	s_cbranch_execz .LBB126_75
.LBB126_74:                             ;   in Loop: Header=BB126_13 Depth=1
	global_load_ushort v33, v[8:9], off offset:1920
.LBB126_75:                             ;   in Loop: Header=BB126_13 Depth=1
	s_or_b64 exec, exec, s[2:3]
	s_waitcnt vmcnt(0)
	ds_write_b16 v84, v10
	ds_write_b16 v85, v12 offset:128
	ds_write_b16 v86, v11 offset:256
	;; [unrolled: 1-line block ×15, first 2 shown]
	; wave barrier
	ds_read_b128 v[12:15], v100
	ds_read_b128 v[8:11], v100 offset:16
	v_readlane_b32 s2, v167, 2
	s_waitcnt lgkmcnt(1)
	v_cvt_f32_f16_e32 v23, v12
	v_add_f32_e32 v139, s2, v23
	v_readlane_b32 s2, v167, 30
	v_cmp_ge_f32_e32 vcc, s6, v139
	v_readlane_b32 s3, v167, 31
	s_and_b64 s[2:3], s[2:3], vcc
	s_and_saveexec_b64 s[4:5], s[2:3]
	s_cbranch_execz .LBB126_77
; %bb.76:                               ;   in Loop: Header=BB126_13 Depth=1
	v_mul_f32_e32 v23, 0x3fb8aa3b, v139
	v_rndne_f32_e32 v25, v23
	v_sub_f32_e32 v26, v23, v25
	v_fma_f32 v23, v139, s10, -v23
	v_fmac_f32_e32 v23, 0x32a5705f, v139
	v_add_f32_e32 v23, v26, v23
	v_cvt_i32_f32_e32 v25, v25
	v_exp_f32_e32 v23, v23
	v_cmp_ngt_f32_e32 vcc, s11, v139
	v_ldexp_f32 v23, v23, v25
	s_nop 0
	v_cndmask_b32_e32 v23, 0, v23, vcc
	v_cmp_nlt_f32_e32 vcc, s12, v139
	s_nop 1
	v_cndmask_b32_e32 v42, v136, v23, vcc
	v_add_f32_e32 v23, 1.0, v42
	v_add_f32_e32 v25, -1.0, v23
	v_sub_f32_e32 v26, v25, v23
	v_add_f32_e32 v26, 1.0, v26
	v_sub_f32_e32 v25, v42, v25
	v_add_f32_e32 v25, v25, v26
	v_frexp_mant_f32_e32 v28, v23
	v_cvt_f64_f32_e32 v[26:27], v23
	v_frexp_exp_i32_f64_e32 v26, v[26:27]
	v_cmp_gt_f32_e32 vcc, s14, v28
	v_cmp_gt_f32_e64 s[60:61], s16, v42
	s_nop 0
	v_subbrev_co_u32_e32 v34, vcc, 0, v26, vcc
	v_sub_u32_e32 v26, 0, v34
	v_ldexp_f32 v23, v23, v26
	v_ldexp_f32 v25, v25, v26
	v_add_f32_e32 v26, -1.0, v23
	v_add_f32_e32 v27, 1.0, v26
	v_sub_f32_e32 v27, v23, v27
	v_add_f32_e32 v28, v25, v27
	v_add_f32_e32 v27, 1.0, v23
	v_add_f32_e32 v29, -1.0, v27
	v_sub_f32_e32 v23, v23, v29
	v_add_f32_e32 v23, v25, v23
	v_add_f32_e32 v25, v27, v23
	v_rcp_f32_e32 v35, v25
	v_sub_f32_e32 v27, v27, v25
	v_add_f32_e32 v23, v23, v27
	v_add_f32_e32 v27, v26, v28
	v_sub_f32_e32 v26, v26, v27
	v_mul_f32_e32 v37, v27, v35
	v_add_f32_e32 v36, v28, v26
	v_mul_f32_e32 v28, v25, v37
	v_fma_f32 v30, v37, v25, -v28
	v_fmac_f32_e32 v30, v37, v23
	v_add_f32_e32 v26, v28, v30
	v_sub_f32_e32 v29, v27, v26
	v_pk_add_f32 v[32:33], v[26:27], v[28:29] neg_lo:[0,1] neg_hi:[0,1]
	v_mov_b32_e32 v31, v26
	v_pk_add_f32 v[26:27], v[32:33], v[30:31] neg_lo:[0,1] neg_hi:[0,1]
	v_cmp_eq_f32_e32 vcc, s13, v42
	v_add_f32_e32 v27, v36, v27
	v_add_f32_e32 v26, v26, v27
	;; [unrolled: 1-line block ×3, first 2 shown]
	v_mul_f32_e32 v36, v35, v27
	v_mul_f32_e32 v28, v25, v36
	v_fma_f32 v30, v36, v25, -v28
	v_fmac_f32_e32 v30, v36, v23
	v_sub_f32_e32 v23, v29, v27
	v_add_f32_e32 v23, v26, v23
	v_add_f32_e32 v26, v28, v30
	v_sub_f32_e32 v29, v27, v26
	v_pk_add_f32 v[32:33], v[26:27], v[28:29] neg_lo:[0,1] neg_hi:[0,1]
	v_mov_b32_e32 v31, v26
	v_pk_add_f32 v[26:27], v[32:33], v[30:31] neg_lo:[0,1] neg_hi:[0,1]
	s_or_b64 vcc, s[60:61], vcc
	v_add_f32_e32 v23, v23, v27
	v_add_f32_e32 v23, v26, v23
	;; [unrolled: 1-line block ×4, first 2 shown]
	v_sub_f32_e32 v25, v27, v37
	v_mul_f32_e32 v23, v35, v23
	v_sub_f32_e32 v25, v36, v25
	v_add_f32_e32 v23, v25, v23
	v_add_f32_e32 v28, v27, v23
	v_cvt_f32_i32_e32 v26, v34
	v_mul_f32_e32 v30, v28, v28
	v_fmamk_f32 v25, v30, 0x3e9b6dac, v135
	v_sub_f32_e32 v27, v28, v27
	v_fmaak_f32 v25, v30, v25, 0x3f2aaada
	v_sub_f32_e32 v23, v23, v27
	v_mul_f32_e32 v27, v28, v30
	v_pk_mul_f32 v[30:31], v[26:27], v[24:25]
	v_ldexp_f32 v29, v28, 1
	v_fma_f32 v28, v26, s15, -v30
	v_fmac_f32_e32 v28, 0xb102e308, v26
	v_pk_add_f32 v[26:27], v[30:31], v[28:29]
	v_ldexp_f32 v23, v23, 1
	v_sub_f32_e32 v25, v27, v29
	v_sub_f32_e32 v25, v31, v25
	v_add_f32_e32 v33, v23, v25
	v_mov_b32_e32 v32, v30
	v_pk_add_f32 v[30:31], v[26:27], v[30:31] neg_lo:[0,1] neg_hi:[0,1]
	v_pk_add_f32 v[34:35], v[26:27], v[32:33]
	v_mov_b32_e32 v29, v26
	v_mov_b32_e32 v31, v35
	v_pk_add_f32 v[36:37], v[28:29], v[30:31] neg_lo:[0,1] neg_hi:[0,1]
	v_pk_add_f32 v[28:29], v[28:29], v[30:31]
	v_mov_b32_e32 v32, v33
	v_mov_b32_e32 v30, v29
	v_pk_add_f32 v[38:39], v[30:31], v[26:27] neg_lo:[0,1] neg_hi:[0,1]
	v_mov_b32_e32 v28, v35
	v_mov_b32_e32 v23, v38
	v_pk_add_f32 v[40:41], v[34:35], v[22:23] neg_lo:[0,1] neg_hi:[0,1]
	v_mov_b32_e32 v34, v27
	v_mov_b32_e32 v35, v38
	;; [unrolled: 1-line block ×3, first 2 shown]
	v_pk_add_f32 v[28:29], v[28:29], v[34:35] neg_lo:[0,1] neg_hi:[0,1]
	v_mov_b32_e32 v33, v26
	v_pk_add_f32 v[26:27], v[32:33], v[28:29] neg_lo:[0,1] neg_hi:[0,1]
	v_mov_b32_e32 v40, v36
	v_pk_add_f32 v[28:29], v[40:41], v[26:27]
	s_nop 0
	v_mov_b32_e32 v32, v29
	v_pk_add_f32 v[32:33], v[28:29], v[32:33]
	s_nop 0
	v_pk_add_f32 v[30:31], v[30:31], v[32:33]
	v_mov_b32_e32 v27, v32
	v_mov_b32_e32 v29, v30
	v_pk_add_f32 v[34:35], v[28:29], v[36:37] neg_lo:[0,1] neg_hi:[0,1]
	s_nop 0
	v_sub_f32_e32 v23, v28, v34
	v_pk_add_f32 v[26:27], v[26:27], v[34:35] neg_lo:[0,1] neg_hi:[0,1]
	v_sub_f32_e32 v23, v36, v23
	v_add_f32_e32 v23, v26, v23
	v_add_f32_e32 v23, v23, v27
	;; [unrolled: 1-line block ×3, first 2 shown]
	v_cndmask_b32_e32 v139, v23, v42, vcc
.LBB126_77:                             ;   in Loop: Header=BB126_13 Depth=1
	s_or_b64 exec, exec, s[4:5]
	v_cvt_f32_f16_sdwa v12, v12 dst_sel:DWORD dst_unused:UNUSED_PAD src0_sel:WORD_1
	v_readlane_b32 s2, v167, 2
	s_nop 1
	v_add_f32_e32 v140, s2, v12
	v_readlane_b32 s2, v167, 30
	v_cmp_ge_f32_e32 vcc, s6, v140
	v_readlane_b32 s3, v167, 31
	s_and_b64 s[2:3], s[2:3], vcc
	s_and_saveexec_b64 s[4:5], s[2:3]
	s_cbranch_execz .LBB126_79
; %bb.78:                               ;   in Loop: Header=BB126_13 Depth=1
	v_mul_f32_e32 v12, 0x3fb8aa3b, v140
	v_rndne_f32_e32 v23, v12
	v_sub_f32_e32 v25, v12, v23
	v_fma_f32 v12, v140, s10, -v12
	v_fmac_f32_e32 v12, 0x32a5705f, v140
	v_add_f32_e32 v12, v25, v12
	v_cvt_i32_f32_e32 v23, v23
	v_exp_f32_e32 v12, v12
	v_cmp_ngt_f32_e32 vcc, s11, v140
	v_ldexp_f32 v12, v12, v23
	s_nop 0
	v_cndmask_b32_e32 v12, 0, v12, vcc
	v_cmp_nlt_f32_e32 vcc, s12, v140
	s_nop 1
	v_cndmask_b32_e32 v40, v136, v12, vcc
	v_add_f32_e32 v12, 1.0, v40
	v_add_f32_e32 v23, -1.0, v12
	v_sub_f32_e32 v25, v23, v12
	v_add_f32_e32 v25, 1.0, v25
	v_sub_f32_e32 v23, v40, v23
	v_add_f32_e32 v23, v23, v25
	v_frexp_mant_f32_e32 v25, v12
	v_cvt_f64_f32_e32 v[26:27], v12
	v_frexp_exp_i32_f64_e32 v26, v[26:27]
	v_cmp_gt_f32_e32 vcc, s14, v25
	v_cmp_gt_f32_e64 s[60:61], s16, v40
	s_nop 0
	v_subbrev_co_u32_e32 v34, vcc, 0, v26, vcc
	v_sub_u32_e32 v25, 0, v34
	v_ldexp_f32 v12, v12, v25
	v_ldexp_f32 v23, v23, v25
	v_add_f32_e32 v25, -1.0, v12
	v_add_f32_e32 v27, 1.0, v12
	v_add_f32_e32 v26, 1.0, v25
	v_add_f32_e32 v28, -1.0, v27
	v_sub_f32_e32 v26, v12, v26
	v_sub_f32_e32 v12, v12, v28
	v_add_f32_e32 v12, v23, v12
	v_add_f32_e32 v26, v23, v26
	;; [unrolled: 1-line block ×3, first 2 shown]
	v_rcp_f32_e32 v35, v23
	v_sub_f32_e32 v27, v27, v23
	v_add_f32_e32 v12, v12, v27
	v_add_f32_e32 v27, v25, v26
	v_mul_f32_e32 v36, v27, v35
	v_mul_f32_e32 v28, v23, v36
	v_fma_f32 v30, v36, v23, -v28
	v_sub_f32_e32 v25, v25, v27
	v_fmac_f32_e32 v30, v36, v12
	v_add_f32_e32 v25, v26, v25
	v_add_f32_e32 v26, v28, v30
	v_sub_f32_e32 v29, v27, v26
	v_pk_add_f32 v[32:33], v[26:27], v[28:29] neg_lo:[0,1] neg_hi:[0,1]
	v_mov_b32_e32 v31, v26
	v_pk_add_f32 v[26:27], v[32:33], v[30:31] neg_lo:[0,1] neg_hi:[0,1]
	v_cmp_eq_f32_e32 vcc, s13, v40
	v_add_f32_e32 v25, v25, v27
	v_add_f32_e32 v25, v26, v25
	;; [unrolled: 1-line block ×3, first 2 shown]
	v_mul_f32_e32 v37, v35, v27
	v_mul_f32_e32 v28, v23, v37
	v_fma_f32 v30, v37, v23, -v28
	v_fmac_f32_e32 v30, v37, v12
	v_add_f32_e32 v26, v28, v30
	v_sub_f32_e32 v12, v29, v27
	v_sub_f32_e32 v29, v27, v26
	v_pk_add_f32 v[32:33], v[26:27], v[28:29] neg_lo:[0,1] neg_hi:[0,1]
	v_mov_b32_e32 v31, v26
	v_add_f32_e32 v12, v25, v12
	v_pk_add_f32 v[26:27], v[32:33], v[30:31] neg_lo:[0,1] neg_hi:[0,1]
	v_add_f32_e32 v23, v36, v37
	v_add_f32_e32 v12, v12, v27
	;; [unrolled: 1-line block ×4, first 2 shown]
	v_sub_f32_e32 v25, v23, v36
	v_mul_f32_e32 v12, v35, v12
	v_sub_f32_e32 v25, v37, v25
	v_add_f32_e32 v12, v25, v12
	v_add_f32_e32 v27, v23, v12
	v_cvt_f32_i32_e32 v26, v34
	v_mul_f32_e32 v28, v27, v27
	v_fmamk_f32 v25, v28, 0x3e9b6dac, v135
	v_fmaak_f32 v25, v28, v25, 0x3f2aaada
	v_sub_f32_e32 v23, v27, v23
	v_ldexp_f32 v29, v27, 1
	v_mul_f32_e32 v27, v27, v28
	v_pk_mul_f32 v[30:31], v[26:27], v[24:25]
	v_sub_f32_e32 v12, v12, v23
	v_fma_f32 v28, v26, s15, -v30
	v_fmac_f32_e32 v28, 0xb102e308, v26
	v_pk_add_f32 v[26:27], v[30:31], v[28:29]
	v_ldexp_f32 v12, v12, 1
	v_sub_f32_e32 v23, v27, v29
	v_sub_f32_e32 v23, v31, v23
	v_add_f32_e32 v33, v12, v23
	v_mov_b32_e32 v32, v30
	v_pk_add_f32 v[30:31], v[26:27], v[30:31] neg_lo:[0,1] neg_hi:[0,1]
	v_pk_add_f32 v[34:35], v[26:27], v[32:33]
	v_mov_b32_e32 v29, v26
	v_mov_b32_e32 v31, v35
	v_pk_add_f32 v[36:37], v[28:29], v[30:31] neg_lo:[0,1] neg_hi:[0,1]
	v_pk_add_f32 v[28:29], v[28:29], v[30:31]
	s_or_b64 vcc, s[60:61], vcc
	v_mov_b32_e32 v12, v29
	v_pk_add_f32 v[30:31], v[12:13], v[26:27] neg_lo:[0,1] neg_hi:[0,1]
	v_mov_b32_e32 v28, v35
	v_mov_b32_e32 v23, v30
	v_pk_add_f32 v[38:39], v[34:35], v[22:23] neg_lo:[0,1] neg_hi:[0,1]
	v_mov_b32_e32 v34, v27
	v_mov_b32_e32 v35, v30
	;; [unrolled: 1-line block ×3, first 2 shown]
	v_pk_add_f32 v[28:29], v[28:29], v[34:35] neg_lo:[0,1] neg_hi:[0,1]
	v_mov_b32_e32 v30, v33
	v_mov_b32_e32 v31, v26
	v_pk_add_f32 v[26:27], v[30:31], v[28:29] neg_lo:[0,1] neg_hi:[0,1]
	v_mov_b32_e32 v38, v36
	v_pk_add_f32 v[28:29], v[38:39], v[26:27]
	s_nop 0
	v_mov_b32_e32 v30, v29
	v_pk_add_f32 v[30:31], v[28:29], v[30:31]
	s_nop 0
	v_pk_add_f32 v[32:33], v[12:13], v[30:31]
	v_mov_b32_e32 v27, v30
	v_mov_b32_e32 v29, v32
	v_pk_add_f32 v[34:35], v[28:29], v[36:37] neg_lo:[0,1] neg_hi:[0,1]
	s_nop 0
	v_sub_f32_e32 v12, v28, v34
	v_pk_add_f32 v[26:27], v[26:27], v[34:35] neg_lo:[0,1] neg_hi:[0,1]
	v_sub_f32_e32 v12, v36, v12
	v_add_f32_e32 v12, v26, v12
	v_add_f32_e32 v12, v12, v27
	;; [unrolled: 1-line block ×3, first 2 shown]
	v_cndmask_b32_e32 v140, v12, v40, vcc
.LBB126_79:                             ;   in Loop: Header=BB126_13 Depth=1
	s_or_b64 exec, exec, s[4:5]
	v_cvt_f32_f16_e32 v12, v13
	v_readlane_b32 s2, v167, 2
	s_nop 1
	v_add_f32_e32 v141, s2, v12
	v_readlane_b32 s2, v167, 30
	v_cmp_ge_f32_e32 vcc, s6, v141
	v_readlane_b32 s3, v167, 31
	s_and_b64 s[2:3], s[2:3], vcc
	s_and_saveexec_b64 s[4:5], s[2:3]
	s_cbranch_execz .LBB126_81
; %bb.80:                               ;   in Loop: Header=BB126_13 Depth=1
	v_mul_f32_e32 v12, 0x3fb8aa3b, v141
	v_rndne_f32_e32 v23, v12
	v_sub_f32_e32 v25, v12, v23
	v_fma_f32 v12, v141, s10, -v12
	v_fmac_f32_e32 v12, 0x32a5705f, v141
	v_add_f32_e32 v12, v25, v12
	v_cvt_i32_f32_e32 v23, v23
	v_exp_f32_e32 v12, v12
	v_cmp_ngt_f32_e32 vcc, s11, v141
	v_ldexp_f32 v12, v12, v23
	s_nop 0
	v_cndmask_b32_e32 v12, 0, v12, vcc
	v_cmp_nlt_f32_e32 vcc, s12, v141
	s_nop 1
	v_cndmask_b32_e32 v40, v136, v12, vcc
	v_add_f32_e32 v12, 1.0, v40
	v_add_f32_e32 v23, -1.0, v12
	v_sub_f32_e32 v25, v23, v12
	v_add_f32_e32 v25, 1.0, v25
	v_sub_f32_e32 v23, v40, v23
	v_add_f32_e32 v23, v23, v25
	v_frexp_mant_f32_e32 v25, v12
	v_cvt_f64_f32_e32 v[26:27], v12
	v_frexp_exp_i32_f64_e32 v26, v[26:27]
	v_cmp_gt_f32_e32 vcc, s14, v25
	v_cmp_gt_f32_e64 s[60:61], s16, v40
	s_nop 0
	v_subbrev_co_u32_e32 v34, vcc, 0, v26, vcc
	v_sub_u32_e32 v25, 0, v34
	v_ldexp_f32 v12, v12, v25
	v_ldexp_f32 v23, v23, v25
	v_add_f32_e32 v25, -1.0, v12
	v_add_f32_e32 v27, 1.0, v12
	v_add_f32_e32 v26, 1.0, v25
	v_add_f32_e32 v28, -1.0, v27
	v_sub_f32_e32 v26, v12, v26
	v_sub_f32_e32 v12, v12, v28
	v_add_f32_e32 v12, v23, v12
	v_add_f32_e32 v26, v23, v26
	;; [unrolled: 1-line block ×3, first 2 shown]
	v_rcp_f32_e32 v35, v23
	v_sub_f32_e32 v27, v27, v23
	v_add_f32_e32 v12, v12, v27
	v_add_f32_e32 v27, v25, v26
	v_mul_f32_e32 v36, v27, v35
	v_mul_f32_e32 v28, v23, v36
	v_fma_f32 v30, v36, v23, -v28
	v_sub_f32_e32 v25, v25, v27
	v_fmac_f32_e32 v30, v36, v12
	v_add_f32_e32 v25, v26, v25
	v_add_f32_e32 v26, v28, v30
	v_sub_f32_e32 v29, v27, v26
	v_pk_add_f32 v[32:33], v[26:27], v[28:29] neg_lo:[0,1] neg_hi:[0,1]
	v_mov_b32_e32 v31, v26
	v_pk_add_f32 v[26:27], v[32:33], v[30:31] neg_lo:[0,1] neg_hi:[0,1]
	v_cmp_eq_f32_e32 vcc, s13, v40
	v_add_f32_e32 v25, v25, v27
	v_add_f32_e32 v25, v26, v25
	;; [unrolled: 1-line block ×3, first 2 shown]
	v_mul_f32_e32 v37, v35, v27
	v_mul_f32_e32 v28, v23, v37
	v_fma_f32 v30, v37, v23, -v28
	v_fmac_f32_e32 v30, v37, v12
	v_add_f32_e32 v26, v28, v30
	v_sub_f32_e32 v12, v29, v27
	v_sub_f32_e32 v29, v27, v26
	v_pk_add_f32 v[32:33], v[26:27], v[28:29] neg_lo:[0,1] neg_hi:[0,1]
	v_mov_b32_e32 v31, v26
	v_add_f32_e32 v12, v25, v12
	v_pk_add_f32 v[26:27], v[32:33], v[30:31] neg_lo:[0,1] neg_hi:[0,1]
	v_add_f32_e32 v23, v36, v37
	v_add_f32_e32 v12, v12, v27
	;; [unrolled: 1-line block ×4, first 2 shown]
	v_sub_f32_e32 v25, v23, v36
	v_mul_f32_e32 v12, v35, v12
	v_sub_f32_e32 v25, v37, v25
	v_add_f32_e32 v12, v25, v12
	v_add_f32_e32 v27, v23, v12
	v_cvt_f32_i32_e32 v26, v34
	v_mul_f32_e32 v28, v27, v27
	v_fmamk_f32 v25, v28, 0x3e9b6dac, v135
	v_fmaak_f32 v25, v28, v25, 0x3f2aaada
	v_sub_f32_e32 v23, v27, v23
	v_ldexp_f32 v29, v27, 1
	v_mul_f32_e32 v27, v27, v28
	v_pk_mul_f32 v[30:31], v[26:27], v[24:25]
	v_sub_f32_e32 v12, v12, v23
	v_fma_f32 v28, v26, s15, -v30
	v_fmac_f32_e32 v28, 0xb102e308, v26
	v_pk_add_f32 v[26:27], v[30:31], v[28:29]
	v_ldexp_f32 v12, v12, 1
	v_sub_f32_e32 v23, v27, v29
	v_sub_f32_e32 v23, v31, v23
	v_add_f32_e32 v33, v12, v23
	v_mov_b32_e32 v32, v30
	v_pk_add_f32 v[30:31], v[26:27], v[30:31] neg_lo:[0,1] neg_hi:[0,1]
	v_pk_add_f32 v[34:35], v[26:27], v[32:33]
	v_mov_b32_e32 v29, v26
	v_mov_b32_e32 v31, v35
	v_pk_add_f32 v[36:37], v[28:29], v[30:31] neg_lo:[0,1] neg_hi:[0,1]
	v_pk_add_f32 v[28:29], v[28:29], v[30:31]
	s_or_b64 vcc, s[60:61], vcc
	v_mov_b32_e32 v12, v29
	v_pk_add_f32 v[30:31], v[12:13], v[26:27] neg_lo:[0,1] neg_hi:[0,1]
	v_mov_b32_e32 v28, v35
	v_mov_b32_e32 v23, v30
	v_pk_add_f32 v[38:39], v[34:35], v[22:23] neg_lo:[0,1] neg_hi:[0,1]
	v_mov_b32_e32 v34, v27
	v_mov_b32_e32 v35, v30
	;; [unrolled: 1-line block ×3, first 2 shown]
	v_pk_add_f32 v[28:29], v[28:29], v[34:35] neg_lo:[0,1] neg_hi:[0,1]
	v_mov_b32_e32 v30, v33
	v_mov_b32_e32 v31, v26
	v_pk_add_f32 v[26:27], v[30:31], v[28:29] neg_lo:[0,1] neg_hi:[0,1]
	v_mov_b32_e32 v38, v36
	v_pk_add_f32 v[28:29], v[38:39], v[26:27]
	s_nop 0
	v_mov_b32_e32 v30, v29
	v_pk_add_f32 v[30:31], v[28:29], v[30:31]
	s_nop 0
	v_pk_add_f32 v[32:33], v[12:13], v[30:31]
	v_mov_b32_e32 v27, v30
	v_mov_b32_e32 v29, v32
	v_pk_add_f32 v[34:35], v[28:29], v[36:37] neg_lo:[0,1] neg_hi:[0,1]
	s_nop 0
	v_sub_f32_e32 v12, v28, v34
	v_pk_add_f32 v[26:27], v[26:27], v[34:35] neg_lo:[0,1] neg_hi:[0,1]
	v_sub_f32_e32 v12, v36, v12
	v_add_f32_e32 v12, v26, v12
	v_add_f32_e32 v12, v12, v27
	;; [unrolled: 1-line block ×3, first 2 shown]
	v_cndmask_b32_e32 v141, v12, v40, vcc
.LBB126_81:                             ;   in Loop: Header=BB126_13 Depth=1
	s_or_b64 exec, exec, s[4:5]
	v_cvt_f32_f16_sdwa v12, v13 dst_sel:DWORD dst_unused:UNUSED_PAD src0_sel:WORD_1
	v_readlane_b32 s2, v167, 2
	s_nop 1
	v_add_f32_e32 v142, s2, v12
	v_readlane_b32 s2, v167, 30
	v_cmp_ge_f32_e32 vcc, s6, v142
	v_readlane_b32 s3, v167, 31
	s_and_b64 s[2:3], s[2:3], vcc
	s_and_saveexec_b64 s[4:5], s[2:3]
	s_cbranch_execz .LBB126_83
; %bb.82:                               ;   in Loop: Header=BB126_13 Depth=1
	v_mul_f32_e32 v12, 0x3fb8aa3b, v142
	v_rndne_f32_e32 v13, v12
	v_sub_f32_e32 v23, v12, v13
	v_fma_f32 v12, v142, s10, -v12
	v_fmac_f32_e32 v12, 0x32a5705f, v142
	v_add_f32_e32 v12, v23, v12
	v_cvt_i32_f32_e32 v13, v13
	v_exp_f32_e32 v12, v12
	v_cmp_ngt_f32_e32 vcc, s11, v142
	v_ldexp_f32 v12, v12, v13
	s_nop 0
	v_cndmask_b32_e32 v12, 0, v12, vcc
	v_cmp_nlt_f32_e32 vcc, s12, v142
	s_nop 1
	v_cndmask_b32_e32 v40, v136, v12, vcc
	v_add_f32_e32 v23, 1.0, v40
	v_add_f32_e32 v12, -1.0, v23
	v_sub_f32_e32 v13, v12, v23
	v_add_f32_e32 v13, 1.0, v13
	v_sub_f32_e32 v12, v40, v12
	v_add_f32_e32 v25, v12, v13
	v_frexp_mant_f32_e32 v26, v23
	v_cvt_f64_f32_e32 v[12:13], v23
	v_frexp_exp_i32_f64_e32 v12, v[12:13]
	v_cmp_gt_f32_e32 vcc, s14, v26
	v_cmp_gt_f32_e64 s[60:61], s16, v40
	s_nop 0
	v_subbrev_co_u32_e32 v32, vcc, 0, v12, vcc
	v_sub_u32_e32 v12, 0, v32
	v_ldexp_f32 v13, v23, v12
	v_add_f32_e32 v23, -1.0, v13
	v_add_f32_e32 v26, 1.0, v13
	v_ldexp_f32 v12, v25, v12
	v_add_f32_e32 v25, 1.0, v23
	v_add_f32_e32 v27, -1.0, v26
	v_sub_f32_e32 v25, v13, v25
	v_sub_f32_e32 v13, v13, v27
	v_add_f32_e32 v25, v12, v25
	v_add_f32_e32 v12, v12, v13
	;; [unrolled: 1-line block ×3, first 2 shown]
	v_rcp_f32_e32 v35, v33
	v_sub_f32_e32 v13, v26, v33
	v_add_f32_e32 v34, v12, v13
	v_add_f32_e32 v13, v23, v25
	v_sub_f32_e32 v12, v23, v13
	v_add_f32_e32 v23, v25, v12
	v_mul_f32_e32 v25, v13, v35
	v_mul_f32_e32 v26, v33, v25
	v_fma_f32 v28, v25, v33, -v26
	v_fmac_f32_e32 v28, v25, v34
	v_add_f32_e32 v12, v26, v28
	v_sub_f32_e32 v27, v13, v12
	v_pk_add_f32 v[30:31], v[12:13], v[26:27] neg_lo:[0,1] neg_hi:[0,1]
	v_mov_b32_e32 v29, v12
	v_pk_add_f32 v[12:13], v[30:31], v[28:29] neg_lo:[0,1] neg_hi:[0,1]
	v_cmp_eq_f32_e32 vcc, s13, v40
	v_add_f32_e32 v13, v23, v13
	v_add_f32_e32 v12, v12, v13
	;; [unrolled: 1-line block ×3, first 2 shown]
	v_mul_f32_e32 v23, v35, v13
	v_mul_f32_e32 v26, v33, v23
	v_fma_f32 v28, v23, v33, -v26
	v_fmac_f32_e32 v28, v23, v34
	v_sub_f32_e32 v27, v27, v13
	v_add_f32_e32 v33, v12, v27
	v_add_f32_e32 v12, v26, v28
	v_sub_f32_e32 v27, v13, v12
	v_pk_add_f32 v[30:31], v[12:13], v[26:27] neg_lo:[0,1] neg_hi:[0,1]
	v_mov_b32_e32 v29, v12
	v_pk_add_f32 v[12:13], v[30:31], v[28:29] neg_lo:[0,1] neg_hi:[0,1]
	s_or_b64 vcc, s[60:61], vcc
	v_add_f32_e32 v13, v33, v13
	v_add_f32_e32 v12, v12, v13
	;; [unrolled: 1-line block ×4, first 2 shown]
	v_sub_f32_e32 v25, v13, v25
	v_mul_f32_e32 v12, v35, v12
	v_sub_f32_e32 v23, v23, v25
	v_add_f32_e32 v23, v23, v12
	v_add_f32_e32 v26, v13, v23
	v_mul_f32_e32 v28, v26, v26
	v_fmamk_f32 v12, v28, 0x3e9b6dac, v135
	v_fmaak_f32 v25, v28, v12, 0x3f2aaada
	v_cvt_f32_i32_e32 v12, v32
	v_sub_f32_e32 v13, v26, v13
	v_sub_f32_e32 v13, v23, v13
	v_ldexp_f32 v23, v13, 1
	v_mul_f32_e32 v13, v26, v28
	v_pk_mul_f32 v[28:29], v[12:13], v[24:25]
	v_ldexp_f32 v27, v26, 1
	v_fma_f32 v26, v12, s15, -v28
	v_fmac_f32_e32 v26, 0xb102e308, v12
	v_pk_add_f32 v[12:13], v[28:29], v[26:27]
	v_mov_b32_e32 v30, v28
	v_sub_f32_e32 v25, v13, v27
	v_sub_f32_e32 v25, v29, v25
	v_add_f32_e32 v31, v23, v25
	v_pk_add_f32 v[28:29], v[12:13], v[28:29] neg_lo:[0,1] neg_hi:[0,1]
	v_pk_add_f32 v[32:33], v[12:13], v[30:31]
	v_mov_b32_e32 v27, v12
	v_mov_b32_e32 v29, v33
	v_pk_add_f32 v[34:35], v[26:27], v[28:29] neg_lo:[0,1] neg_hi:[0,1]
	v_pk_add_f32 v[26:27], v[26:27], v[28:29]
	v_mov_b32_e32 v30, v31
	v_mov_b32_e32 v28, v27
	v_pk_add_f32 v[36:37], v[28:29], v[12:13] neg_lo:[0,1] neg_hi:[0,1]
	v_mov_b32_e32 v26, v33
	v_mov_b32_e32 v23, v36
	v_pk_add_f32 v[38:39], v[32:33], v[22:23] neg_lo:[0,1] neg_hi:[0,1]
	v_mov_b32_e32 v32, v13
	v_mov_b32_e32 v33, v36
	;; [unrolled: 1-line block ×3, first 2 shown]
	v_pk_add_f32 v[26:27], v[26:27], v[32:33] neg_lo:[0,1] neg_hi:[0,1]
	v_mov_b32_e32 v31, v12
	v_pk_add_f32 v[12:13], v[30:31], v[26:27] neg_lo:[0,1] neg_hi:[0,1]
	v_mov_b32_e32 v38, v34
	v_pk_add_f32 v[26:27], v[38:39], v[12:13]
	s_nop 0
	v_mov_b32_e32 v30, v27
	v_pk_add_f32 v[30:31], v[26:27], v[30:31]
	s_nop 0
	v_pk_add_f32 v[28:29], v[28:29], v[30:31]
	v_mov_b32_e32 v13, v30
	v_mov_b32_e32 v27, v28
	v_pk_add_f32 v[32:33], v[26:27], v[34:35] neg_lo:[0,1] neg_hi:[0,1]
	s_nop 0
	v_sub_f32_e32 v23, v26, v32
	v_pk_add_f32 v[12:13], v[12:13], v[32:33] neg_lo:[0,1] neg_hi:[0,1]
	v_sub_f32_e32 v23, v34, v23
	v_add_f32_e32 v12, v12, v23
	v_add_f32_e32 v12, v12, v13
	;; [unrolled: 1-line block ×3, first 2 shown]
	v_cndmask_b32_e32 v142, v12, v40, vcc
.LBB126_83:                             ;   in Loop: Header=BB126_13 Depth=1
	s_or_b64 exec, exec, s[4:5]
	v_cvt_f32_f16_e32 v12, v14
	v_readlane_b32 s2, v167, 2
	s_nop 1
	v_add_f32_e32 v143, s2, v12
	v_readlane_b32 s2, v167, 30
	v_cmp_ge_f32_e32 vcc, s6, v143
	v_readlane_b32 s3, v167, 31
	s_and_b64 s[2:3], s[2:3], vcc
	s_and_saveexec_b64 s[4:5], s[2:3]
	s_cbranch_execz .LBB126_85
; %bb.84:                               ;   in Loop: Header=BB126_13 Depth=1
	v_mul_f32_e32 v12, 0x3fb8aa3b, v143
	v_rndne_f32_e32 v13, v12
	v_sub_f32_e32 v23, v12, v13
	v_fma_f32 v12, v143, s10, -v12
	v_fmac_f32_e32 v12, 0x32a5705f, v143
	v_add_f32_e32 v12, v23, v12
	v_cvt_i32_f32_e32 v13, v13
	v_exp_f32_e32 v12, v12
	v_cmp_ngt_f32_e32 vcc, s11, v143
	v_ldexp_f32 v12, v12, v13
	s_nop 0
	v_cndmask_b32_e32 v12, 0, v12, vcc
	v_cmp_nlt_f32_e32 vcc, s12, v143
	s_nop 1
	v_cndmask_b32_e32 v40, v136, v12, vcc
	v_add_f32_e32 v23, 1.0, v40
	v_add_f32_e32 v12, -1.0, v23
	v_sub_f32_e32 v13, v12, v23
	v_add_f32_e32 v13, 1.0, v13
	v_sub_f32_e32 v12, v40, v12
	v_add_f32_e32 v25, v12, v13
	v_frexp_mant_f32_e32 v26, v23
	v_cvt_f64_f32_e32 v[12:13], v23
	v_frexp_exp_i32_f64_e32 v12, v[12:13]
	v_cmp_gt_f32_e32 vcc, s14, v26
	v_cmp_gt_f32_e64 s[60:61], s16, v40
	s_nop 0
	v_subbrev_co_u32_e32 v32, vcc, 0, v12, vcc
	v_sub_u32_e32 v12, 0, v32
	v_ldexp_f32 v13, v23, v12
	v_add_f32_e32 v23, -1.0, v13
	v_add_f32_e32 v26, 1.0, v13
	v_ldexp_f32 v12, v25, v12
	v_add_f32_e32 v25, 1.0, v23
	v_add_f32_e32 v27, -1.0, v26
	v_sub_f32_e32 v25, v13, v25
	v_sub_f32_e32 v13, v13, v27
	v_add_f32_e32 v25, v12, v25
	v_add_f32_e32 v12, v12, v13
	;; [unrolled: 1-line block ×3, first 2 shown]
	v_rcp_f32_e32 v35, v33
	v_sub_f32_e32 v13, v26, v33
	v_add_f32_e32 v34, v12, v13
	v_add_f32_e32 v13, v23, v25
	v_sub_f32_e32 v12, v23, v13
	v_add_f32_e32 v23, v25, v12
	v_mul_f32_e32 v25, v13, v35
	v_mul_f32_e32 v26, v33, v25
	v_fma_f32 v28, v25, v33, -v26
	v_fmac_f32_e32 v28, v25, v34
	v_add_f32_e32 v12, v26, v28
	v_sub_f32_e32 v27, v13, v12
	v_pk_add_f32 v[30:31], v[12:13], v[26:27] neg_lo:[0,1] neg_hi:[0,1]
	v_mov_b32_e32 v29, v12
	v_pk_add_f32 v[12:13], v[30:31], v[28:29] neg_lo:[0,1] neg_hi:[0,1]
	v_cmp_eq_f32_e32 vcc, s13, v40
	v_add_f32_e32 v13, v23, v13
	v_add_f32_e32 v12, v12, v13
	;; [unrolled: 1-line block ×3, first 2 shown]
	v_mul_f32_e32 v23, v35, v13
	v_mul_f32_e32 v26, v33, v23
	v_fma_f32 v28, v23, v33, -v26
	v_fmac_f32_e32 v28, v23, v34
	v_sub_f32_e32 v27, v27, v13
	v_add_f32_e32 v33, v12, v27
	v_add_f32_e32 v12, v26, v28
	v_sub_f32_e32 v27, v13, v12
	v_pk_add_f32 v[30:31], v[12:13], v[26:27] neg_lo:[0,1] neg_hi:[0,1]
	v_mov_b32_e32 v29, v12
	v_pk_add_f32 v[12:13], v[30:31], v[28:29] neg_lo:[0,1] neg_hi:[0,1]
	s_or_b64 vcc, s[60:61], vcc
	v_add_f32_e32 v13, v33, v13
	v_add_f32_e32 v12, v12, v13
	v_add_f32_e32 v13, v25, v23
	v_add_f32_e32 v12, v27, v12
	v_sub_f32_e32 v25, v13, v25
	v_mul_f32_e32 v12, v35, v12
	v_sub_f32_e32 v23, v23, v25
	v_add_f32_e32 v23, v23, v12
	v_add_f32_e32 v26, v13, v23
	v_mul_f32_e32 v28, v26, v26
	v_fmamk_f32 v12, v28, 0x3e9b6dac, v135
	v_fmaak_f32 v25, v28, v12, 0x3f2aaada
	v_cvt_f32_i32_e32 v12, v32
	v_sub_f32_e32 v13, v26, v13
	v_sub_f32_e32 v13, v23, v13
	v_ldexp_f32 v23, v13, 1
	v_mul_f32_e32 v13, v26, v28
	v_pk_mul_f32 v[28:29], v[12:13], v[24:25]
	v_ldexp_f32 v27, v26, 1
	v_fma_f32 v26, v12, s15, -v28
	v_fmac_f32_e32 v26, 0xb102e308, v12
	v_pk_add_f32 v[12:13], v[28:29], v[26:27]
	v_mov_b32_e32 v30, v28
	v_sub_f32_e32 v25, v13, v27
	v_sub_f32_e32 v25, v29, v25
	v_add_f32_e32 v31, v23, v25
	v_pk_add_f32 v[28:29], v[12:13], v[28:29] neg_lo:[0,1] neg_hi:[0,1]
	v_pk_add_f32 v[32:33], v[12:13], v[30:31]
	v_mov_b32_e32 v27, v12
	v_mov_b32_e32 v29, v33
	v_pk_add_f32 v[34:35], v[26:27], v[28:29] neg_lo:[0,1] neg_hi:[0,1]
	v_pk_add_f32 v[26:27], v[26:27], v[28:29]
	v_mov_b32_e32 v30, v31
	v_mov_b32_e32 v28, v27
	v_pk_add_f32 v[36:37], v[28:29], v[12:13] neg_lo:[0,1] neg_hi:[0,1]
	v_mov_b32_e32 v26, v33
	v_mov_b32_e32 v23, v36
	v_pk_add_f32 v[38:39], v[32:33], v[22:23] neg_lo:[0,1] neg_hi:[0,1]
	v_mov_b32_e32 v32, v13
	v_mov_b32_e32 v33, v36
	;; [unrolled: 1-line block ×3, first 2 shown]
	v_pk_add_f32 v[26:27], v[26:27], v[32:33] neg_lo:[0,1] neg_hi:[0,1]
	v_mov_b32_e32 v31, v12
	v_pk_add_f32 v[12:13], v[30:31], v[26:27] neg_lo:[0,1] neg_hi:[0,1]
	v_mov_b32_e32 v38, v34
	v_pk_add_f32 v[26:27], v[38:39], v[12:13]
	s_nop 0
	v_mov_b32_e32 v30, v27
	v_pk_add_f32 v[30:31], v[26:27], v[30:31]
	s_nop 0
	v_pk_add_f32 v[28:29], v[28:29], v[30:31]
	v_mov_b32_e32 v13, v30
	v_mov_b32_e32 v27, v28
	v_pk_add_f32 v[32:33], v[26:27], v[34:35] neg_lo:[0,1] neg_hi:[0,1]
	s_nop 0
	v_sub_f32_e32 v23, v26, v32
	v_pk_add_f32 v[12:13], v[12:13], v[32:33] neg_lo:[0,1] neg_hi:[0,1]
	v_sub_f32_e32 v23, v34, v23
	v_add_f32_e32 v12, v12, v23
	v_add_f32_e32 v12, v12, v13
	;; [unrolled: 1-line block ×3, first 2 shown]
	v_cndmask_b32_e32 v143, v12, v40, vcc
.LBB126_85:                             ;   in Loop: Header=BB126_13 Depth=1
	s_or_b64 exec, exec, s[4:5]
	v_cvt_f32_f16_sdwa v12, v14 dst_sel:DWORD dst_unused:UNUSED_PAD src0_sel:WORD_1
	v_readlane_b32 s2, v167, 2
	s_nop 1
	v_add_f32_e32 v144, s2, v12
	v_readlane_b32 s2, v167, 30
	v_cmp_ge_f32_e32 vcc, s6, v144
	v_readlane_b32 s3, v167, 31
	s_and_b64 s[2:3], s[2:3], vcc
	s_and_saveexec_b64 s[4:5], s[2:3]
	s_cbranch_execz .LBB126_87
; %bb.86:                               ;   in Loop: Header=BB126_13 Depth=1
	v_mul_f32_e32 v12, 0x3fb8aa3b, v144
	v_rndne_f32_e32 v13, v12
	v_sub_f32_e32 v14, v12, v13
	v_fma_f32 v12, v144, s10, -v12
	v_fmac_f32_e32 v12, 0x32a5705f, v144
	v_add_f32_e32 v12, v14, v12
	v_cvt_i32_f32_e32 v13, v13
	v_exp_f32_e32 v12, v12
	v_cmp_ngt_f32_e32 vcc, s11, v144
	v_ldexp_f32 v12, v12, v13
	s_nop 0
	v_cndmask_b32_e32 v12, 0, v12, vcc
	v_cmp_nlt_f32_e32 vcc, s12, v144
	s_nop 1
	v_cndmask_b32_e32 v38, v136, v12, vcc
	v_add_f32_e32 v14, 1.0, v38
	v_add_f32_e32 v12, -1.0, v14
	v_sub_f32_e32 v13, v12, v14
	v_add_f32_e32 v13, 1.0, v13
	v_sub_f32_e32 v12, v38, v12
	v_add_f32_e32 v23, v12, v13
	v_frexp_mant_f32_e32 v25, v14
	v_cvt_f64_f32_e32 v[12:13], v14
	v_frexp_exp_i32_f64_e32 v12, v[12:13]
	v_cmp_gt_f32_e32 vcc, s14, v25
	v_cmp_gt_f32_e64 s[60:61], s16, v38
	s_nop 0
	v_subbrev_co_u32_e32 v32, vcc, 0, v12, vcc
	v_sub_u32_e32 v12, 0, v32
	v_ldexp_f32 v13, v14, v12
	v_add_f32_e32 v14, -1.0, v13
	v_add_f32_e32 v25, 1.0, v13
	v_ldexp_f32 v12, v23, v12
	v_add_f32_e32 v23, 1.0, v14
	v_add_f32_e32 v26, -1.0, v25
	v_sub_f32_e32 v23, v13, v23
	v_sub_f32_e32 v13, v13, v26
	v_add_f32_e32 v23, v12, v23
	v_add_f32_e32 v12, v12, v13
	;; [unrolled: 1-line block ×3, first 2 shown]
	v_rcp_f32_e32 v34, v33
	v_sub_f32_e32 v13, v25, v33
	v_add_f32_e32 v25, v12, v13
	v_add_f32_e32 v13, v14, v23
	v_sub_f32_e32 v12, v14, v13
	v_add_f32_e32 v14, v23, v12
	v_mul_f32_e32 v23, v13, v34
	v_mul_f32_e32 v26, v33, v23
	v_fma_f32 v28, v23, v33, -v26
	v_fmac_f32_e32 v28, v23, v25
	v_add_f32_e32 v12, v26, v28
	v_sub_f32_e32 v27, v13, v12
	v_pk_add_f32 v[30:31], v[12:13], v[26:27] neg_lo:[0,1] neg_hi:[0,1]
	v_mov_b32_e32 v29, v12
	v_pk_add_f32 v[12:13], v[30:31], v[28:29] neg_lo:[0,1] neg_hi:[0,1]
	v_cmp_eq_f32_e32 vcc, s13, v38
	v_add_f32_e32 v13, v14, v13
	v_add_f32_e32 v12, v12, v13
	;; [unrolled: 1-line block ×3, first 2 shown]
	v_mul_f32_e32 v14, v34, v13
	v_mul_f32_e32 v26, v33, v14
	v_fma_f32 v28, v14, v33, -v26
	v_fmac_f32_e32 v28, v14, v25
	v_sub_f32_e32 v25, v27, v13
	v_add_f32_e32 v25, v12, v25
	v_add_f32_e32 v12, v26, v28
	v_sub_f32_e32 v27, v13, v12
	v_pk_add_f32 v[30:31], v[12:13], v[26:27] neg_lo:[0,1] neg_hi:[0,1]
	v_mov_b32_e32 v29, v12
	v_pk_add_f32 v[12:13], v[30:31], v[28:29] neg_lo:[0,1] neg_hi:[0,1]
	s_or_b64 vcc, s[60:61], vcc
	v_add_f32_e32 v13, v25, v13
	v_add_f32_e32 v12, v12, v13
	;; [unrolled: 1-line block ×4, first 2 shown]
	v_sub_f32_e32 v23, v13, v23
	v_mul_f32_e32 v12, v34, v12
	v_sub_f32_e32 v14, v14, v23
	v_add_f32_e32 v14, v14, v12
	v_add_f32_e32 v23, v13, v14
	v_mul_f32_e32 v26, v23, v23
	v_fmamk_f32 v12, v26, 0x3e9b6dac, v135
	v_fmaak_f32 v25, v26, v12, 0x3f2aaada
	v_cvt_f32_i32_e32 v12, v32
	v_sub_f32_e32 v13, v23, v13
	v_sub_f32_e32 v13, v14, v13
	v_ldexp_f32 v14, v13, 1
	v_mul_f32_e32 v13, v23, v26
	v_pk_mul_f32 v[28:29], v[12:13], v[24:25]
	v_ldexp_f32 v27, v23, 1
	v_fma_f32 v26, v12, s15, -v28
	v_fmac_f32_e32 v26, 0xb102e308, v12
	v_pk_add_f32 v[12:13], v[28:29], v[26:27]
	v_mov_b32_e32 v30, v28
	v_sub_f32_e32 v23, v13, v27
	v_sub_f32_e32 v23, v29, v23
	v_add_f32_e32 v31, v14, v23
	v_pk_add_f32 v[28:29], v[12:13], v[28:29] neg_lo:[0,1] neg_hi:[0,1]
	v_pk_add_f32 v[32:33], v[12:13], v[30:31]
	v_mov_b32_e32 v27, v12
	v_mov_b32_e32 v29, v33
	v_pk_add_f32 v[34:35], v[26:27], v[28:29] neg_lo:[0,1] neg_hi:[0,1]
	v_pk_add_f32 v[26:27], v[26:27], v[28:29]
	s_nop 0
	v_mov_b32_e32 v14, v27
	v_pk_add_f32 v[28:29], v[14:15], v[12:13] neg_lo:[0,1] neg_hi:[0,1]
	v_mov_b32_e32 v26, v33
	v_mov_b32_e32 v23, v28
	v_pk_add_f32 v[36:37], v[32:33], v[22:23] neg_lo:[0,1] neg_hi:[0,1]
	v_mov_b32_e32 v32, v13
	v_mov_b32_e32 v33, v28
	;; [unrolled: 1-line block ×3, first 2 shown]
	v_pk_add_f32 v[26:27], v[26:27], v[32:33] neg_lo:[0,1] neg_hi:[0,1]
	v_mov_b32_e32 v28, v31
	v_mov_b32_e32 v29, v12
	v_pk_add_f32 v[12:13], v[28:29], v[26:27] neg_lo:[0,1] neg_hi:[0,1]
	v_mov_b32_e32 v36, v34
	v_pk_add_f32 v[26:27], v[36:37], v[12:13]
	s_nop 0
	v_mov_b32_e32 v28, v27
	v_pk_add_f32 v[28:29], v[26:27], v[28:29]
	s_nop 0
	v_pk_add_f32 v[30:31], v[14:15], v[28:29]
	v_mov_b32_e32 v13, v28
	v_mov_b32_e32 v27, v30
	v_pk_add_f32 v[32:33], v[26:27], v[34:35] neg_lo:[0,1] neg_hi:[0,1]
	s_nop 0
	v_sub_f32_e32 v14, v26, v32
	v_pk_add_f32 v[12:13], v[12:13], v[32:33] neg_lo:[0,1] neg_hi:[0,1]
	v_sub_f32_e32 v14, v34, v14
	v_add_f32_e32 v12, v12, v14
	v_add_f32_e32 v12, v12, v13
	;; [unrolled: 1-line block ×3, first 2 shown]
	v_cndmask_b32_e32 v144, v12, v38, vcc
.LBB126_87:                             ;   in Loop: Header=BB126_13 Depth=1
	s_or_b64 exec, exec, s[4:5]
	v_cvt_f32_f16_e32 v12, v15
	v_readlane_b32 s2, v167, 2
	s_nop 1
	v_add_f32_e32 v145, s2, v12
	v_readlane_b32 s2, v167, 30
	v_cmp_ge_f32_e32 vcc, s6, v145
	v_readlane_b32 s3, v167, 31
	s_and_b64 s[2:3], s[2:3], vcc
	s_and_saveexec_b64 s[4:5], s[2:3]
	s_cbranch_execz .LBB126_89
; %bb.88:                               ;   in Loop: Header=BB126_13 Depth=1
	v_mul_f32_e32 v12, 0x3fb8aa3b, v145
	v_rndne_f32_e32 v13, v12
	v_sub_f32_e32 v14, v12, v13
	v_fma_f32 v12, v145, s10, -v12
	v_fmac_f32_e32 v12, 0x32a5705f, v145
	v_add_f32_e32 v12, v14, v12
	v_cvt_i32_f32_e32 v13, v13
	v_exp_f32_e32 v12, v12
	v_cmp_ngt_f32_e32 vcc, s11, v145
	v_ldexp_f32 v12, v12, v13
	s_nop 0
	v_cndmask_b32_e32 v12, 0, v12, vcc
	v_cmp_nlt_f32_e32 vcc, s12, v145
	s_nop 1
	v_cndmask_b32_e32 v38, v136, v12, vcc
	v_add_f32_e32 v14, 1.0, v38
	v_add_f32_e32 v12, -1.0, v14
	v_sub_f32_e32 v13, v12, v14
	v_add_f32_e32 v13, 1.0, v13
	v_sub_f32_e32 v12, v38, v12
	v_add_f32_e32 v23, v12, v13
	v_frexp_mant_f32_e32 v25, v14
	v_cvt_f64_f32_e32 v[12:13], v14
	v_frexp_exp_i32_f64_e32 v12, v[12:13]
	v_cmp_gt_f32_e32 vcc, s14, v25
	v_cmp_gt_f32_e64 s[60:61], s16, v38
	s_nop 0
	v_subbrev_co_u32_e32 v32, vcc, 0, v12, vcc
	v_sub_u32_e32 v12, 0, v32
	v_ldexp_f32 v13, v14, v12
	v_add_f32_e32 v14, -1.0, v13
	v_add_f32_e32 v25, 1.0, v13
	v_ldexp_f32 v12, v23, v12
	v_add_f32_e32 v23, 1.0, v14
	v_add_f32_e32 v26, -1.0, v25
	v_sub_f32_e32 v23, v13, v23
	v_sub_f32_e32 v13, v13, v26
	v_add_f32_e32 v23, v12, v23
	v_add_f32_e32 v12, v12, v13
	;; [unrolled: 1-line block ×3, first 2 shown]
	v_rcp_f32_e32 v34, v33
	v_sub_f32_e32 v13, v25, v33
	v_add_f32_e32 v25, v12, v13
	v_add_f32_e32 v13, v14, v23
	v_sub_f32_e32 v12, v14, v13
	v_add_f32_e32 v14, v23, v12
	v_mul_f32_e32 v23, v13, v34
	v_mul_f32_e32 v26, v33, v23
	v_fma_f32 v28, v23, v33, -v26
	v_fmac_f32_e32 v28, v23, v25
	v_add_f32_e32 v12, v26, v28
	v_sub_f32_e32 v27, v13, v12
	v_pk_add_f32 v[30:31], v[12:13], v[26:27] neg_lo:[0,1] neg_hi:[0,1]
	v_mov_b32_e32 v29, v12
	v_pk_add_f32 v[12:13], v[30:31], v[28:29] neg_lo:[0,1] neg_hi:[0,1]
	v_cmp_eq_f32_e32 vcc, s13, v38
	v_add_f32_e32 v13, v14, v13
	v_add_f32_e32 v12, v12, v13
	v_add_f32_e32 v13, v27, v12
	v_mul_f32_e32 v14, v34, v13
	v_mul_f32_e32 v26, v33, v14
	v_fma_f32 v28, v14, v33, -v26
	v_fmac_f32_e32 v28, v14, v25
	v_sub_f32_e32 v25, v27, v13
	v_add_f32_e32 v25, v12, v25
	v_add_f32_e32 v12, v26, v28
	v_sub_f32_e32 v27, v13, v12
	v_pk_add_f32 v[30:31], v[12:13], v[26:27] neg_lo:[0,1] neg_hi:[0,1]
	v_mov_b32_e32 v29, v12
	v_pk_add_f32 v[12:13], v[30:31], v[28:29] neg_lo:[0,1] neg_hi:[0,1]
	s_or_b64 vcc, s[60:61], vcc
	v_add_f32_e32 v13, v25, v13
	v_add_f32_e32 v12, v12, v13
	;; [unrolled: 1-line block ×4, first 2 shown]
	v_sub_f32_e32 v23, v13, v23
	v_mul_f32_e32 v12, v34, v12
	v_sub_f32_e32 v14, v14, v23
	v_add_f32_e32 v14, v14, v12
	v_add_f32_e32 v23, v13, v14
	v_mul_f32_e32 v26, v23, v23
	v_fmamk_f32 v12, v26, 0x3e9b6dac, v135
	v_fmaak_f32 v25, v26, v12, 0x3f2aaada
	v_cvt_f32_i32_e32 v12, v32
	v_sub_f32_e32 v13, v23, v13
	v_sub_f32_e32 v13, v14, v13
	v_ldexp_f32 v14, v13, 1
	v_mul_f32_e32 v13, v23, v26
	v_pk_mul_f32 v[28:29], v[12:13], v[24:25]
	v_ldexp_f32 v27, v23, 1
	v_fma_f32 v26, v12, s15, -v28
	v_fmac_f32_e32 v26, 0xb102e308, v12
	v_pk_add_f32 v[12:13], v[28:29], v[26:27]
	v_mov_b32_e32 v30, v28
	v_sub_f32_e32 v23, v13, v27
	v_sub_f32_e32 v23, v29, v23
	v_add_f32_e32 v31, v14, v23
	v_pk_add_f32 v[28:29], v[12:13], v[28:29] neg_lo:[0,1] neg_hi:[0,1]
	v_pk_add_f32 v[32:33], v[12:13], v[30:31]
	v_mov_b32_e32 v27, v12
	v_mov_b32_e32 v29, v33
	v_pk_add_f32 v[34:35], v[26:27], v[28:29] neg_lo:[0,1] neg_hi:[0,1]
	v_pk_add_f32 v[26:27], v[26:27], v[28:29]
	s_nop 0
	v_mov_b32_e32 v14, v27
	v_pk_add_f32 v[28:29], v[14:15], v[12:13] neg_lo:[0,1] neg_hi:[0,1]
	v_mov_b32_e32 v26, v33
	v_mov_b32_e32 v23, v28
	v_pk_add_f32 v[36:37], v[32:33], v[22:23] neg_lo:[0,1] neg_hi:[0,1]
	v_mov_b32_e32 v32, v13
	v_mov_b32_e32 v33, v28
	;; [unrolled: 1-line block ×3, first 2 shown]
	v_pk_add_f32 v[26:27], v[26:27], v[32:33] neg_lo:[0,1] neg_hi:[0,1]
	v_mov_b32_e32 v28, v31
	v_mov_b32_e32 v29, v12
	v_pk_add_f32 v[12:13], v[28:29], v[26:27] neg_lo:[0,1] neg_hi:[0,1]
	v_mov_b32_e32 v36, v34
	v_pk_add_f32 v[26:27], v[36:37], v[12:13]
	s_nop 0
	v_mov_b32_e32 v28, v27
	v_pk_add_f32 v[28:29], v[26:27], v[28:29]
	s_nop 0
	v_pk_add_f32 v[30:31], v[14:15], v[28:29]
	v_mov_b32_e32 v13, v28
	v_mov_b32_e32 v27, v30
	v_pk_add_f32 v[32:33], v[26:27], v[34:35] neg_lo:[0,1] neg_hi:[0,1]
	s_nop 0
	v_sub_f32_e32 v14, v26, v32
	v_pk_add_f32 v[12:13], v[12:13], v[32:33] neg_lo:[0,1] neg_hi:[0,1]
	v_sub_f32_e32 v14, v34, v14
	v_add_f32_e32 v12, v12, v14
	v_add_f32_e32 v12, v12, v13
	v_add_f32_e32 v12, v30, v12
	v_cndmask_b32_e32 v145, v12, v38, vcc
.LBB126_89:                             ;   in Loop: Header=BB126_13 Depth=1
	s_or_b64 exec, exec, s[4:5]
	v_cvt_f32_f16_sdwa v12, v15 dst_sel:DWORD dst_unused:UNUSED_PAD src0_sel:WORD_1
	v_readlane_b32 s2, v167, 2
	s_nop 1
	v_add_f32_e32 v146, s2, v12
	v_readlane_b32 s2, v167, 30
	v_cmp_ge_f32_e32 vcc, s6, v146
	v_readlane_b32 s3, v167, 31
	s_and_b64 s[2:3], s[2:3], vcc
	s_and_saveexec_b64 s[4:5], s[2:3]
	s_cbranch_execz .LBB126_91
; %bb.90:                               ;   in Loop: Header=BB126_13 Depth=1
	v_mul_f32_e32 v12, 0x3fb8aa3b, v146
	v_rndne_f32_e32 v13, v12
	v_sub_f32_e32 v14, v12, v13
	v_fma_f32 v12, v146, s10, -v12
	v_fmac_f32_e32 v12, 0x32a5705f, v146
	v_add_f32_e32 v12, v14, v12
	v_cvt_i32_f32_e32 v13, v13
	v_exp_f32_e32 v12, v12
	v_cmp_ngt_f32_e32 vcc, s11, v146
	v_ldexp_f32 v12, v12, v13
	s_nop 0
	v_cndmask_b32_e32 v12, 0, v12, vcc
	v_cmp_nlt_f32_e32 vcc, s12, v146
	s_nop 1
	v_cndmask_b32_e32 v38, v136, v12, vcc
	v_add_f32_e32 v14, 1.0, v38
	v_add_f32_e32 v12, -1.0, v14
	v_sub_f32_e32 v13, v12, v14
	v_add_f32_e32 v13, 1.0, v13
	v_sub_f32_e32 v12, v38, v12
	v_add_f32_e32 v15, v12, v13
	v_frexp_mant_f32_e32 v23, v14
	v_cvt_f64_f32_e32 v[12:13], v14
	v_frexp_exp_i32_f64_e32 v12, v[12:13]
	v_cmp_gt_f32_e32 vcc, s14, v23
	v_cmp_gt_f32_e64 s[60:61], s16, v38
	s_nop 0
	v_subbrev_co_u32_e32 v23, vcc, 0, v12, vcc
	v_sub_u32_e32 v12, 0, v23
	v_ldexp_f32 v13, v14, v12
	v_add_f32_e32 v14, -1.0, v13
	v_add_f32_e32 v25, 1.0, v13
	v_ldexp_f32 v12, v15, v12
	v_add_f32_e32 v15, 1.0, v14
	v_add_f32_e32 v26, -1.0, v25
	v_sub_f32_e32 v15, v13, v15
	v_sub_f32_e32 v13, v13, v26
	v_add_f32_e32 v15, v12, v15
	v_add_f32_e32 v12, v12, v13
	;; [unrolled: 1-line block ×3, first 2 shown]
	v_rcp_f32_e32 v31, v30
	v_sub_f32_e32 v13, v25, v30
	v_add_f32_e32 v25, v12, v13
	v_add_f32_e32 v13, v14, v15
	v_mul_f32_e32 v33, v13, v31
	v_sub_f32_e32 v12, v14, v13
	v_mul_f32_e32 v14, v30, v33
	v_fma_f32 v26, v33, v30, -v14
	v_fmac_f32_e32 v26, v33, v25
	v_add_f32_e32 v32, v15, v12
	v_add_f32_e32 v12, v14, v26
	v_sub_f32_e32 v15, v13, v12
	v_pk_add_f32 v[28:29], v[12:13], v[14:15] neg_lo:[0,1] neg_hi:[0,1]
	v_mov_b32_e32 v27, v12
	v_pk_add_f32 v[12:13], v[28:29], v[26:27] neg_lo:[0,1] neg_hi:[0,1]
	v_cmp_eq_f32_e32 vcc, s13, v38
	v_add_f32_e32 v13, v32, v13
	v_add_f32_e32 v12, v12, v13
	;; [unrolled: 1-line block ×3, first 2 shown]
	v_mul_f32_e32 v32, v31, v13
	v_mul_f32_e32 v14, v30, v32
	v_fma_f32 v26, v32, v30, -v14
	v_fmac_f32_e32 v26, v32, v25
	v_sub_f32_e32 v15, v15, v13
	v_add_f32_e32 v25, v12, v15
	v_add_f32_e32 v12, v14, v26
	v_sub_f32_e32 v15, v13, v12
	v_pk_add_f32 v[28:29], v[12:13], v[14:15] neg_lo:[0,1] neg_hi:[0,1]
	v_mov_b32_e32 v27, v12
	v_pk_add_f32 v[12:13], v[28:29], v[26:27] neg_lo:[0,1] neg_hi:[0,1]
	s_or_b64 vcc, s[60:61], vcc
	v_add_f32_e32 v13, v25, v13
	v_add_f32_e32 v12, v12, v13
	;; [unrolled: 1-line block ×4, first 2 shown]
	v_sub_f32_e32 v14, v13, v33
	v_mul_f32_e32 v12, v31, v12
	v_sub_f32_e32 v14, v32, v14
	v_add_f32_e32 v14, v14, v12
	v_add_f32_e32 v26, v13, v14
	v_mul_f32_e32 v27, v26, v26
	v_fmamk_f32 v12, v27, 0x3e9b6dac, v135
	v_fmaak_f32 v25, v27, v12, 0x3f2aaada
	v_cvt_f32_i32_e32 v12, v23
	v_sub_f32_e32 v13, v26, v13
	v_sub_f32_e32 v13, v14, v13
	v_ldexp_f32 v23, v13, 1
	v_mul_f32_e32 v13, v26, v27
	v_ldexp_f32 v15, v26, 1
	v_pk_mul_f32 v[26:27], v[12:13], v[24:25]
	s_nop 0
	v_fma_f32 v14, v12, s15, -v26
	v_fmac_f32_e32 v14, 0xb102e308, v12
	v_pk_add_f32 v[12:13], v[26:27], v[14:15]
	v_mov_b32_e32 v28, v26
	v_sub_f32_e32 v15, v13, v15
	v_sub_f32_e32 v15, v27, v15
	v_add_f32_e32 v29, v23, v15
	v_pk_add_f32 v[26:27], v[12:13], v[26:27] neg_lo:[0,1] neg_hi:[0,1]
	v_pk_add_f32 v[30:31], v[12:13], v[28:29]
	v_mov_b32_e32 v15, v12
	v_mov_b32_e32 v27, v31
	v_pk_add_f32 v[32:33], v[14:15], v[26:27] neg_lo:[0,1] neg_hi:[0,1]
	v_pk_add_f32 v[14:15], v[14:15], v[26:27]
	v_mov_b32_e32 v28, v29
	v_mov_b32_e32 v26, v15
	v_pk_add_f32 v[34:35], v[26:27], v[12:13] neg_lo:[0,1] neg_hi:[0,1]
	v_mov_b32_e32 v14, v31
	v_mov_b32_e32 v23, v34
	v_pk_add_f32 v[36:37], v[30:31], v[22:23] neg_lo:[0,1] neg_hi:[0,1]
	v_mov_b32_e32 v30, v13
	v_mov_b32_e32 v31, v34
	;; [unrolled: 1-line block ×3, first 2 shown]
	v_pk_add_f32 v[14:15], v[14:15], v[30:31] neg_lo:[0,1] neg_hi:[0,1]
	v_mov_b32_e32 v29, v12
	v_pk_add_f32 v[12:13], v[28:29], v[14:15] neg_lo:[0,1] neg_hi:[0,1]
	v_mov_b32_e32 v36, v32
	v_pk_add_f32 v[14:15], v[36:37], v[12:13]
	s_nop 0
	v_mov_b32_e32 v28, v15
	v_pk_add_f32 v[28:29], v[14:15], v[28:29]
	s_nop 0
	v_pk_add_f32 v[26:27], v[26:27], v[28:29]
	v_mov_b32_e32 v13, v28
	v_mov_b32_e32 v15, v26
	v_pk_add_f32 v[30:31], v[14:15], v[32:33] neg_lo:[0,1] neg_hi:[0,1]
	s_nop 0
	v_sub_f32_e32 v14, v14, v30
	v_pk_add_f32 v[12:13], v[12:13], v[30:31] neg_lo:[0,1] neg_hi:[0,1]
	v_sub_f32_e32 v14, v32, v14
	v_add_f32_e32 v12, v12, v14
	v_add_f32_e32 v12, v12, v13
	;; [unrolled: 1-line block ×3, first 2 shown]
	v_cndmask_b32_e32 v146, v12, v38, vcc
.LBB126_91:                             ;   in Loop: Header=BB126_13 Depth=1
	s_or_b64 exec, exec, s[4:5]
	s_waitcnt lgkmcnt(0)
	v_cvt_f32_f16_e32 v12, v8
	v_readlane_b32 s2, v167, 2
	s_nop 1
	v_add_f32_e32 v147, s2, v12
	v_readlane_b32 s2, v167, 30
	v_cmp_ge_f32_e32 vcc, s6, v147
	v_readlane_b32 s3, v167, 31
	s_and_b64 s[2:3], s[2:3], vcc
	s_and_saveexec_b64 s[4:5], s[2:3]
	s_cbranch_execz .LBB126_93
; %bb.92:                               ;   in Loop: Header=BB126_13 Depth=1
	v_mul_f32_e32 v12, 0x3fb8aa3b, v147
	v_rndne_f32_e32 v13, v12
	v_sub_f32_e32 v14, v12, v13
	v_fma_f32 v12, v147, s10, -v12
	v_fmac_f32_e32 v12, 0x32a5705f, v147
	v_add_f32_e32 v12, v14, v12
	v_cvt_i32_f32_e32 v13, v13
	v_exp_f32_e32 v12, v12
	v_cmp_ngt_f32_e32 vcc, s11, v147
	v_ldexp_f32 v12, v12, v13
	s_nop 0
	v_cndmask_b32_e32 v12, 0, v12, vcc
	v_cmp_nlt_f32_e32 vcc, s12, v147
	s_nop 1
	v_cndmask_b32_e32 v38, v136, v12, vcc
	v_add_f32_e32 v14, 1.0, v38
	v_add_f32_e32 v12, -1.0, v14
	v_sub_f32_e32 v13, v12, v14
	v_add_f32_e32 v13, 1.0, v13
	v_sub_f32_e32 v12, v38, v12
	v_add_f32_e32 v15, v12, v13
	v_frexp_mant_f32_e32 v23, v14
	v_cvt_f64_f32_e32 v[12:13], v14
	v_frexp_exp_i32_f64_e32 v12, v[12:13]
	v_cmp_gt_f32_e32 vcc, s14, v23
	v_cmp_gt_f32_e64 s[60:61], s16, v38
	s_nop 0
	v_subbrev_co_u32_e32 v23, vcc, 0, v12, vcc
	v_sub_u32_e32 v12, 0, v23
	v_ldexp_f32 v13, v14, v12
	v_add_f32_e32 v14, -1.0, v13
	v_add_f32_e32 v25, 1.0, v13
	v_ldexp_f32 v12, v15, v12
	v_add_f32_e32 v15, 1.0, v14
	v_add_f32_e32 v26, -1.0, v25
	v_sub_f32_e32 v15, v13, v15
	v_sub_f32_e32 v13, v13, v26
	v_add_f32_e32 v15, v12, v15
	v_add_f32_e32 v12, v12, v13
	;; [unrolled: 1-line block ×3, first 2 shown]
	v_rcp_f32_e32 v31, v30
	v_sub_f32_e32 v13, v25, v30
	v_add_f32_e32 v25, v12, v13
	v_add_f32_e32 v13, v14, v15
	v_mul_f32_e32 v33, v13, v31
	v_sub_f32_e32 v12, v14, v13
	v_mul_f32_e32 v14, v30, v33
	v_fma_f32 v26, v33, v30, -v14
	v_fmac_f32_e32 v26, v33, v25
	v_add_f32_e32 v32, v15, v12
	v_add_f32_e32 v12, v14, v26
	v_sub_f32_e32 v15, v13, v12
	v_pk_add_f32 v[28:29], v[12:13], v[14:15] neg_lo:[0,1] neg_hi:[0,1]
	v_mov_b32_e32 v27, v12
	v_pk_add_f32 v[12:13], v[28:29], v[26:27] neg_lo:[0,1] neg_hi:[0,1]
	v_cmp_eq_f32_e32 vcc, s13, v38
	v_add_f32_e32 v13, v32, v13
	v_add_f32_e32 v12, v12, v13
	;; [unrolled: 1-line block ×3, first 2 shown]
	v_mul_f32_e32 v32, v31, v13
	v_mul_f32_e32 v14, v30, v32
	v_fma_f32 v26, v32, v30, -v14
	v_fmac_f32_e32 v26, v32, v25
	v_sub_f32_e32 v15, v15, v13
	v_add_f32_e32 v25, v12, v15
	v_add_f32_e32 v12, v14, v26
	v_sub_f32_e32 v15, v13, v12
	v_pk_add_f32 v[28:29], v[12:13], v[14:15] neg_lo:[0,1] neg_hi:[0,1]
	v_mov_b32_e32 v27, v12
	v_pk_add_f32 v[12:13], v[28:29], v[26:27] neg_lo:[0,1] neg_hi:[0,1]
	s_or_b64 vcc, s[60:61], vcc
	v_add_f32_e32 v13, v25, v13
	v_add_f32_e32 v12, v12, v13
	;; [unrolled: 1-line block ×4, first 2 shown]
	v_sub_f32_e32 v14, v13, v33
	v_mul_f32_e32 v12, v31, v12
	v_sub_f32_e32 v14, v32, v14
	v_add_f32_e32 v14, v14, v12
	v_add_f32_e32 v26, v13, v14
	v_mul_f32_e32 v27, v26, v26
	v_fmamk_f32 v12, v27, 0x3e9b6dac, v135
	v_fmaak_f32 v25, v27, v12, 0x3f2aaada
	v_cvt_f32_i32_e32 v12, v23
	v_sub_f32_e32 v13, v26, v13
	v_sub_f32_e32 v13, v14, v13
	v_ldexp_f32 v23, v13, 1
	v_mul_f32_e32 v13, v26, v27
	v_ldexp_f32 v15, v26, 1
	v_pk_mul_f32 v[26:27], v[12:13], v[24:25]
	s_nop 0
	v_fma_f32 v14, v12, s15, -v26
	v_fmac_f32_e32 v14, 0xb102e308, v12
	v_pk_add_f32 v[12:13], v[26:27], v[14:15]
	v_mov_b32_e32 v28, v26
	v_sub_f32_e32 v15, v13, v15
	v_sub_f32_e32 v15, v27, v15
	v_add_f32_e32 v29, v23, v15
	v_pk_add_f32 v[26:27], v[12:13], v[26:27] neg_lo:[0,1] neg_hi:[0,1]
	v_pk_add_f32 v[30:31], v[12:13], v[28:29]
	v_mov_b32_e32 v15, v12
	v_mov_b32_e32 v27, v31
	v_pk_add_f32 v[32:33], v[14:15], v[26:27] neg_lo:[0,1] neg_hi:[0,1]
	v_pk_add_f32 v[14:15], v[14:15], v[26:27]
	v_mov_b32_e32 v28, v29
	v_mov_b32_e32 v26, v15
	v_pk_add_f32 v[34:35], v[26:27], v[12:13] neg_lo:[0,1] neg_hi:[0,1]
	v_mov_b32_e32 v14, v31
	v_mov_b32_e32 v23, v34
	v_pk_add_f32 v[36:37], v[30:31], v[22:23] neg_lo:[0,1] neg_hi:[0,1]
	v_mov_b32_e32 v30, v13
	v_mov_b32_e32 v31, v34
	;; [unrolled: 1-line block ×3, first 2 shown]
	v_pk_add_f32 v[14:15], v[14:15], v[30:31] neg_lo:[0,1] neg_hi:[0,1]
	v_mov_b32_e32 v29, v12
	v_pk_add_f32 v[12:13], v[28:29], v[14:15] neg_lo:[0,1] neg_hi:[0,1]
	v_mov_b32_e32 v36, v32
	v_pk_add_f32 v[14:15], v[36:37], v[12:13]
	s_nop 0
	v_mov_b32_e32 v28, v15
	v_pk_add_f32 v[28:29], v[14:15], v[28:29]
	s_nop 0
	v_pk_add_f32 v[26:27], v[26:27], v[28:29]
	v_mov_b32_e32 v13, v28
	v_mov_b32_e32 v15, v26
	v_pk_add_f32 v[30:31], v[14:15], v[32:33] neg_lo:[0,1] neg_hi:[0,1]
	s_nop 0
	v_sub_f32_e32 v14, v14, v30
	v_pk_add_f32 v[12:13], v[12:13], v[30:31] neg_lo:[0,1] neg_hi:[0,1]
	v_sub_f32_e32 v14, v32, v14
	v_add_f32_e32 v12, v12, v14
	v_add_f32_e32 v12, v12, v13
	;; [unrolled: 1-line block ×3, first 2 shown]
	v_cndmask_b32_e32 v147, v12, v38, vcc
.LBB126_93:                             ;   in Loop: Header=BB126_13 Depth=1
	s_or_b64 exec, exec, s[4:5]
	v_cvt_f32_f16_sdwa v8, v8 dst_sel:DWORD dst_unused:UNUSED_PAD src0_sel:WORD_1
	v_readlane_b32 s2, v167, 2
	s_nop 1
	v_add_f32_e32 v148, s2, v8
	v_readlane_b32 s2, v167, 30
	v_cmp_ge_f32_e32 vcc, s6, v148
	v_readlane_b32 s3, v167, 31
	s_and_b64 s[2:3], s[2:3], vcc
	s_and_saveexec_b64 s[4:5], s[2:3]
	s_cbranch_execz .LBB126_95
; %bb.94:                               ;   in Loop: Header=BB126_13 Depth=1
	v_mul_f32_e32 v8, 0x3fb8aa3b, v148
	v_rndne_f32_e32 v12, v8
	v_sub_f32_e32 v13, v8, v12
	v_fma_f32 v8, v148, s10, -v8
	v_fmac_f32_e32 v8, 0x32a5705f, v148
	v_add_f32_e32 v8, v13, v8
	v_cvt_i32_f32_e32 v12, v12
	v_exp_f32_e32 v8, v8
	v_cmp_ngt_f32_e32 vcc, s11, v148
	v_ldexp_f32 v8, v8, v12
	s_nop 0
	v_cndmask_b32_e32 v8, 0, v8, vcc
	v_cmp_nlt_f32_e32 vcc, s12, v148
	s_nop 1
	v_cndmask_b32_e32 v36, v136, v8, vcc
	v_add_f32_e32 v8, 1.0, v36
	v_add_f32_e32 v12, -1.0, v8
	v_sub_f32_e32 v13, v12, v8
	v_add_f32_e32 v13, 1.0, v13
	v_sub_f32_e32 v12, v36, v12
	v_add_f32_e32 v14, v12, v13
	v_frexp_mant_f32_e32 v15, v8
	v_cvt_f64_f32_e32 v[12:13], v8
	v_frexp_exp_i32_f64_e32 v12, v[12:13]
	v_cmp_gt_f32_e32 vcc, s14, v15
	v_cmp_gt_f32_e64 s[60:61], s16, v36
	s_nop 0
	v_subbrev_co_u32_e32 v23, vcc, 0, v12, vcc
	v_sub_u32_e32 v12, 0, v23
	v_ldexp_f32 v8, v8, v12
	v_ldexp_f32 v12, v14, v12
	v_add_f32_e32 v14, -1.0, v8
	v_add_f32_e32 v13, 1.0, v14
	v_sub_f32_e32 v13, v8, v13
	v_add_f32_e32 v15, v12, v13
	v_add_f32_e32 v13, 1.0, v8
	v_add_f32_e32 v25, -1.0, v13
	v_sub_f32_e32 v8, v8, v25
	v_add_f32_e32 v8, v12, v8
	v_add_f32_e32 v25, v13, v8
	v_rcp_f32_e32 v30, v25
	v_sub_f32_e32 v12, v13, v25
	v_add_f32_e32 v13, v14, v15
	v_add_f32_e32 v8, v8, v12
	v_mul_f32_e32 v32, v13, v30
	v_sub_f32_e32 v12, v14, v13
	v_mul_f32_e32 v14, v25, v32
	v_fma_f32 v26, v32, v25, -v14
	v_fmac_f32_e32 v26, v32, v8
	v_add_f32_e32 v31, v15, v12
	v_add_f32_e32 v12, v14, v26
	v_sub_f32_e32 v15, v13, v12
	v_pk_add_f32 v[28:29], v[12:13], v[14:15] neg_lo:[0,1] neg_hi:[0,1]
	v_mov_b32_e32 v27, v12
	v_pk_add_f32 v[12:13], v[28:29], v[26:27] neg_lo:[0,1] neg_hi:[0,1]
	v_cmp_eq_f32_e32 vcc, s13, v36
	v_add_f32_e32 v13, v31, v13
	v_add_f32_e32 v12, v12, v13
	;; [unrolled: 1-line block ×3, first 2 shown]
	v_mul_f32_e32 v31, v30, v13
	v_mul_f32_e32 v14, v25, v31
	v_fma_f32 v26, v31, v25, -v14
	v_fmac_f32_e32 v26, v31, v8
	v_sub_f32_e32 v8, v15, v13
	v_add_f32_e32 v8, v12, v8
	v_add_f32_e32 v12, v14, v26
	v_sub_f32_e32 v15, v13, v12
	v_pk_add_f32 v[28:29], v[12:13], v[14:15] neg_lo:[0,1] neg_hi:[0,1]
	v_mov_b32_e32 v27, v12
	v_pk_add_f32 v[12:13], v[28:29], v[26:27] neg_lo:[0,1] neg_hi:[0,1]
	s_or_b64 vcc, s[60:61], vcc
	v_add_f32_e32 v8, v8, v13
	v_add_f32_e32 v8, v12, v8
	;; [unrolled: 1-line block ×4, first 2 shown]
	v_sub_f32_e32 v12, v13, v32
	v_mul_f32_e32 v8, v30, v8
	v_sub_f32_e32 v12, v31, v12
	v_add_f32_e32 v8, v12, v8
	v_add_f32_e32 v14, v13, v8
	v_mul_f32_e32 v26, v14, v14
	v_fmamk_f32 v12, v26, 0x3e9b6dac, v135
	v_fmaak_f32 v25, v26, v12, 0x3f2aaada
	v_cvt_f32_i32_e32 v12, v23
	v_sub_f32_e32 v13, v14, v13
	v_sub_f32_e32 v8, v8, v13
	v_mul_f32_e32 v13, v14, v26
	v_pk_mul_f32 v[26:27], v[12:13], v[24:25]
	v_ldexp_f32 v15, v14, 1
	v_fma_f32 v14, v12, s15, -v26
	v_fmac_f32_e32 v14, 0xb102e308, v12
	v_pk_add_f32 v[12:13], v[26:27], v[14:15]
	v_ldexp_f32 v8, v8, 1
	v_sub_f32_e32 v15, v13, v15
	v_sub_f32_e32 v15, v27, v15
	v_add_f32_e32 v29, v8, v15
	v_mov_b32_e32 v28, v26
	v_pk_add_f32 v[26:27], v[12:13], v[26:27] neg_lo:[0,1] neg_hi:[0,1]
	v_pk_add_f32 v[30:31], v[12:13], v[28:29]
	v_mov_b32_e32 v15, v12
	v_mov_b32_e32 v27, v31
	v_pk_add_f32 v[32:33], v[14:15], v[26:27] neg_lo:[0,1] neg_hi:[0,1]
	v_pk_add_f32 v[14:15], v[14:15], v[26:27]
	s_nop 0
	v_mov_b32_e32 v8, v15
	v_pk_add_f32 v[26:27], v[8:9], v[12:13] neg_lo:[0,1] neg_hi:[0,1]
	v_mov_b32_e32 v14, v31
	v_mov_b32_e32 v23, v26
	v_pk_add_f32 v[34:35], v[30:31], v[22:23] neg_lo:[0,1] neg_hi:[0,1]
	v_mov_b32_e32 v30, v13
	v_mov_b32_e32 v31, v26
	;; [unrolled: 1-line block ×3, first 2 shown]
	v_pk_add_f32 v[14:15], v[14:15], v[30:31] neg_lo:[0,1] neg_hi:[0,1]
	v_mov_b32_e32 v26, v29
	v_mov_b32_e32 v27, v12
	v_pk_add_f32 v[12:13], v[26:27], v[14:15] neg_lo:[0,1] neg_hi:[0,1]
	v_mov_b32_e32 v34, v32
	v_pk_add_f32 v[14:15], v[34:35], v[12:13]
	s_nop 0
	v_mov_b32_e32 v26, v15
	v_pk_add_f32 v[26:27], v[14:15], v[26:27]
	s_nop 0
	v_pk_add_f32 v[28:29], v[8:9], v[26:27]
	v_mov_b32_e32 v13, v26
	v_mov_b32_e32 v15, v28
	v_pk_add_f32 v[30:31], v[14:15], v[32:33] neg_lo:[0,1] neg_hi:[0,1]
	s_nop 0
	v_sub_f32_e32 v8, v14, v30
	v_pk_add_f32 v[12:13], v[12:13], v[30:31] neg_lo:[0,1] neg_hi:[0,1]
	v_sub_f32_e32 v8, v32, v8
	v_add_f32_e32 v8, v12, v8
	v_add_f32_e32 v8, v8, v13
	;; [unrolled: 1-line block ×3, first 2 shown]
	v_cndmask_b32_e32 v148, v8, v36, vcc
.LBB126_95:                             ;   in Loop: Header=BB126_13 Depth=1
	s_or_b64 exec, exec, s[4:5]
	v_cvt_f32_f16_e32 v8, v9
	v_readlane_b32 s2, v167, 2
	s_nop 1
	v_add_f32_e32 v149, s2, v8
	v_readlane_b32 s2, v167, 30
	v_cmp_ge_f32_e32 vcc, s6, v149
	v_readlane_b32 s3, v167, 31
	s_and_b64 s[2:3], s[2:3], vcc
	s_and_saveexec_b64 s[4:5], s[2:3]
	s_cbranch_execz .LBB126_97
; %bb.96:                               ;   in Loop: Header=BB126_13 Depth=1
	v_mul_f32_e32 v8, 0x3fb8aa3b, v149
	v_rndne_f32_e32 v12, v8
	v_sub_f32_e32 v13, v8, v12
	v_fma_f32 v8, v149, s10, -v8
	v_fmac_f32_e32 v8, 0x32a5705f, v149
	v_add_f32_e32 v8, v13, v8
	v_cvt_i32_f32_e32 v12, v12
	v_exp_f32_e32 v8, v8
	v_cmp_ngt_f32_e32 vcc, s11, v149
	v_ldexp_f32 v8, v8, v12
	s_nop 0
	v_cndmask_b32_e32 v8, 0, v8, vcc
	v_cmp_nlt_f32_e32 vcc, s12, v149
	s_nop 1
	v_cndmask_b32_e32 v36, v136, v8, vcc
	v_add_f32_e32 v8, 1.0, v36
	v_add_f32_e32 v12, -1.0, v8
	v_sub_f32_e32 v13, v12, v8
	v_add_f32_e32 v13, 1.0, v13
	v_sub_f32_e32 v12, v36, v12
	v_add_f32_e32 v14, v12, v13
	v_frexp_mant_f32_e32 v15, v8
	v_cvt_f64_f32_e32 v[12:13], v8
	v_frexp_exp_i32_f64_e32 v12, v[12:13]
	v_cmp_gt_f32_e32 vcc, s14, v15
	v_cmp_gt_f32_e64 s[60:61], s16, v36
	s_nop 0
	v_subbrev_co_u32_e32 v23, vcc, 0, v12, vcc
	v_sub_u32_e32 v12, 0, v23
	v_ldexp_f32 v8, v8, v12
	v_ldexp_f32 v12, v14, v12
	v_add_f32_e32 v14, -1.0, v8
	v_add_f32_e32 v13, 1.0, v14
	v_sub_f32_e32 v13, v8, v13
	v_add_f32_e32 v15, v12, v13
	v_add_f32_e32 v13, 1.0, v8
	v_add_f32_e32 v25, -1.0, v13
	v_sub_f32_e32 v8, v8, v25
	v_add_f32_e32 v8, v12, v8
	v_add_f32_e32 v25, v13, v8
	v_rcp_f32_e32 v30, v25
	v_sub_f32_e32 v12, v13, v25
	v_add_f32_e32 v13, v14, v15
	v_add_f32_e32 v8, v8, v12
	v_mul_f32_e32 v32, v13, v30
	v_sub_f32_e32 v12, v14, v13
	v_mul_f32_e32 v14, v25, v32
	v_fma_f32 v26, v32, v25, -v14
	v_fmac_f32_e32 v26, v32, v8
	v_add_f32_e32 v31, v15, v12
	v_add_f32_e32 v12, v14, v26
	v_sub_f32_e32 v15, v13, v12
	v_pk_add_f32 v[28:29], v[12:13], v[14:15] neg_lo:[0,1] neg_hi:[0,1]
	v_mov_b32_e32 v27, v12
	v_pk_add_f32 v[12:13], v[28:29], v[26:27] neg_lo:[0,1] neg_hi:[0,1]
	v_cmp_eq_f32_e32 vcc, s13, v36
	v_add_f32_e32 v13, v31, v13
	v_add_f32_e32 v12, v12, v13
	;; [unrolled: 1-line block ×3, first 2 shown]
	v_mul_f32_e32 v31, v30, v13
	v_mul_f32_e32 v14, v25, v31
	v_fma_f32 v26, v31, v25, -v14
	v_fmac_f32_e32 v26, v31, v8
	v_sub_f32_e32 v8, v15, v13
	v_add_f32_e32 v8, v12, v8
	v_add_f32_e32 v12, v14, v26
	v_sub_f32_e32 v15, v13, v12
	v_pk_add_f32 v[28:29], v[12:13], v[14:15] neg_lo:[0,1] neg_hi:[0,1]
	v_mov_b32_e32 v27, v12
	v_pk_add_f32 v[12:13], v[28:29], v[26:27] neg_lo:[0,1] neg_hi:[0,1]
	s_or_b64 vcc, s[60:61], vcc
	v_add_f32_e32 v8, v8, v13
	v_add_f32_e32 v8, v12, v8
	;; [unrolled: 1-line block ×4, first 2 shown]
	v_sub_f32_e32 v12, v13, v32
	v_mul_f32_e32 v8, v30, v8
	v_sub_f32_e32 v12, v31, v12
	v_add_f32_e32 v8, v12, v8
	v_add_f32_e32 v14, v13, v8
	v_mul_f32_e32 v26, v14, v14
	v_fmamk_f32 v12, v26, 0x3e9b6dac, v135
	v_fmaak_f32 v25, v26, v12, 0x3f2aaada
	v_cvt_f32_i32_e32 v12, v23
	v_sub_f32_e32 v13, v14, v13
	v_sub_f32_e32 v8, v8, v13
	v_mul_f32_e32 v13, v14, v26
	v_pk_mul_f32 v[26:27], v[12:13], v[24:25]
	v_ldexp_f32 v15, v14, 1
	v_fma_f32 v14, v12, s15, -v26
	v_fmac_f32_e32 v14, 0xb102e308, v12
	v_pk_add_f32 v[12:13], v[26:27], v[14:15]
	v_ldexp_f32 v8, v8, 1
	v_sub_f32_e32 v15, v13, v15
	v_sub_f32_e32 v15, v27, v15
	v_add_f32_e32 v29, v8, v15
	v_mov_b32_e32 v28, v26
	v_pk_add_f32 v[26:27], v[12:13], v[26:27] neg_lo:[0,1] neg_hi:[0,1]
	v_pk_add_f32 v[30:31], v[12:13], v[28:29]
	v_mov_b32_e32 v15, v12
	v_mov_b32_e32 v27, v31
	v_pk_add_f32 v[32:33], v[14:15], v[26:27] neg_lo:[0,1] neg_hi:[0,1]
	v_pk_add_f32 v[14:15], v[14:15], v[26:27]
	s_nop 0
	v_mov_b32_e32 v8, v15
	v_pk_add_f32 v[26:27], v[8:9], v[12:13] neg_lo:[0,1] neg_hi:[0,1]
	v_mov_b32_e32 v14, v31
	v_mov_b32_e32 v23, v26
	v_pk_add_f32 v[34:35], v[30:31], v[22:23] neg_lo:[0,1] neg_hi:[0,1]
	v_mov_b32_e32 v30, v13
	v_mov_b32_e32 v31, v26
	;; [unrolled: 1-line block ×3, first 2 shown]
	v_pk_add_f32 v[14:15], v[14:15], v[30:31] neg_lo:[0,1] neg_hi:[0,1]
	v_mov_b32_e32 v26, v29
	v_mov_b32_e32 v27, v12
	v_pk_add_f32 v[12:13], v[26:27], v[14:15] neg_lo:[0,1] neg_hi:[0,1]
	v_mov_b32_e32 v34, v32
	v_pk_add_f32 v[14:15], v[34:35], v[12:13]
	s_nop 0
	v_mov_b32_e32 v26, v15
	v_pk_add_f32 v[26:27], v[14:15], v[26:27]
	s_nop 0
	v_pk_add_f32 v[28:29], v[8:9], v[26:27]
	v_mov_b32_e32 v13, v26
	v_mov_b32_e32 v15, v28
	v_pk_add_f32 v[30:31], v[14:15], v[32:33] neg_lo:[0,1] neg_hi:[0,1]
	s_nop 0
	v_sub_f32_e32 v8, v14, v30
	v_pk_add_f32 v[12:13], v[12:13], v[30:31] neg_lo:[0,1] neg_hi:[0,1]
	v_sub_f32_e32 v8, v32, v8
	v_add_f32_e32 v8, v12, v8
	v_add_f32_e32 v8, v8, v13
	;; [unrolled: 1-line block ×3, first 2 shown]
	v_cndmask_b32_e32 v149, v8, v36, vcc
.LBB126_97:                             ;   in Loop: Header=BB126_13 Depth=1
	s_or_b64 exec, exec, s[4:5]
	v_cvt_f32_f16_sdwa v8, v9 dst_sel:DWORD dst_unused:UNUSED_PAD src0_sel:WORD_1
	v_readlane_b32 s2, v167, 2
	s_nop 1
	v_add_f32_e32 v150, s2, v8
	v_readlane_b32 s2, v167, 30
	v_cmp_ge_f32_e32 vcc, s6, v150
	v_readlane_b32 s3, v167, 31
	s_and_b64 s[2:3], s[2:3], vcc
	s_and_saveexec_b64 s[4:5], s[2:3]
	s_cbranch_execz .LBB126_99
; %bb.98:                               ;   in Loop: Header=BB126_13 Depth=1
	v_mul_f32_e32 v8, 0x3fb8aa3b, v150
	v_rndne_f32_e32 v9, v8
	v_sub_f32_e32 v12, v8, v9
	v_fma_f32 v8, v150, s10, -v8
	v_fmac_f32_e32 v8, 0x32a5705f, v150
	v_add_f32_e32 v8, v12, v8
	v_cvt_i32_f32_e32 v9, v9
	v_exp_f32_e32 v8, v8
	v_cmp_ngt_f32_e32 vcc, s11, v150
	v_ldexp_f32 v8, v8, v9
	s_nop 0
	v_cndmask_b32_e32 v8, 0, v8, vcc
	v_cmp_nlt_f32_e32 vcc, s12, v150
	s_nop 1
	v_cndmask_b32_e32 v23, v136, v8, vcc
	v_add_f32_e32 v12, 1.0, v23
	v_add_f32_e32 v8, -1.0, v12
	v_sub_f32_e32 v9, v8, v12
	v_add_f32_e32 v9, 1.0, v9
	v_sub_f32_e32 v8, v23, v8
	v_add_f32_e32 v13, v8, v9
	v_frexp_mant_f32_e32 v14, v12
	v_cvt_f64_f32_e32 v[8:9], v12
	v_frexp_exp_i32_f64_e32 v8, v[8:9]
	v_cmp_gt_f32_e32 vcc, s14, v14
	v_cmp_gt_f32_e64 s[60:61], s16, v23
	s_nop 0
	v_subbrev_co_u32_e32 v28, vcc, 0, v8, vcc
	v_sub_u32_e32 v8, 0, v28
	v_ldexp_f32 v9, v12, v8
	v_add_f32_e32 v12, -1.0, v9
	v_add_f32_e32 v14, 1.0, v9
	v_ldexp_f32 v8, v13, v8
	v_add_f32_e32 v13, 1.0, v12
	v_add_f32_e32 v15, -1.0, v14
	v_sub_f32_e32 v13, v9, v13
	v_sub_f32_e32 v9, v9, v15
	v_add_f32_e32 v13, v8, v13
	v_add_f32_e32 v8, v8, v9
	;; [unrolled: 1-line block ×3, first 2 shown]
	v_rcp_f32_e32 v30, v25
	v_sub_f32_e32 v9, v14, v25
	v_add_f32_e32 v29, v8, v9
	v_add_f32_e32 v9, v12, v13
	v_mul_f32_e32 v32, v9, v30
	v_sub_f32_e32 v8, v12, v9
	v_mul_f32_e32 v12, v25, v32
	v_fma_f32 v14, v32, v25, -v12
	v_fmac_f32_e32 v14, v32, v29
	v_add_f32_e32 v31, v13, v8
	v_add_f32_e32 v8, v12, v14
	v_sub_f32_e32 v13, v9, v8
	v_pk_add_f32 v[26:27], v[8:9], v[12:13] neg_lo:[0,1] neg_hi:[0,1]
	v_mov_b32_e32 v15, v8
	v_pk_add_f32 v[8:9], v[26:27], v[14:15] neg_lo:[0,1] neg_hi:[0,1]
	v_cmp_eq_f32_e32 vcc, s13, v23
	v_add_f32_e32 v9, v31, v9
	v_add_f32_e32 v8, v8, v9
	;; [unrolled: 1-line block ×3, first 2 shown]
	v_mul_f32_e32 v31, v30, v9
	v_mul_f32_e32 v12, v25, v31
	v_fma_f32 v14, v31, v25, -v12
	v_fmac_f32_e32 v14, v31, v29
	v_sub_f32_e32 v13, v13, v9
	v_add_f32_e32 v25, v8, v13
	v_add_f32_e32 v8, v12, v14
	v_sub_f32_e32 v13, v9, v8
	v_pk_add_f32 v[26:27], v[8:9], v[12:13] neg_lo:[0,1] neg_hi:[0,1]
	v_mov_b32_e32 v15, v8
	v_pk_add_f32 v[8:9], v[26:27], v[14:15] neg_lo:[0,1] neg_hi:[0,1]
	s_or_b64 vcc, s[60:61], vcc
	v_add_f32_e32 v9, v25, v9
	v_add_f32_e32 v8, v8, v9
	;; [unrolled: 1-line block ×4, first 2 shown]
	v_sub_f32_e32 v12, v9, v32
	v_mul_f32_e32 v8, v30, v8
	v_sub_f32_e32 v12, v31, v12
	v_add_f32_e32 v12, v12, v8
	v_add_f32_e32 v14, v9, v12
	v_mul_f32_e32 v15, v14, v14
	v_fmamk_f32 v8, v15, 0x3e9b6dac, v135
	v_fmaak_f32 v25, v15, v8, 0x3f2aaada
	v_cvt_f32_i32_e32 v8, v28
	v_sub_f32_e32 v9, v14, v9
	v_sub_f32_e32 v9, v12, v9
	v_ldexp_f32 v26, v9, 1
	v_mul_f32_e32 v9, v14, v15
	v_ldexp_f32 v13, v14, 1
	v_pk_mul_f32 v[14:15], v[8:9], v[24:25]
	s_nop 0
	v_fma_f32 v12, v8, s15, -v14
	v_fmac_f32_e32 v12, 0xb102e308, v8
	v_pk_add_f32 v[8:9], v[14:15], v[12:13]
	s_nop 0
	v_sub_f32_e32 v13, v9, v13
	v_sub_f32_e32 v13, v15, v13
	v_add_f32_e32 v27, v26, v13
	v_mov_b32_e32 v26, v14
	v_pk_add_f32 v[14:15], v[8:9], v[14:15] neg_lo:[0,1] neg_hi:[0,1]
	v_pk_add_f32 v[28:29], v[8:9], v[26:27]
	v_mov_b32_e32 v13, v8
	v_mov_b32_e32 v15, v29
	v_pk_add_f32 v[30:31], v[12:13], v[14:15] neg_lo:[0,1] neg_hi:[0,1]
	v_pk_add_f32 v[12:13], v[12:13], v[14:15]
	v_mov_b32_e32 v26, v27
	v_mov_b32_e32 v14, v13
	v_pk_add_f32 v[32:33], v[14:15], v[8:9] neg_lo:[0,1] neg_hi:[0,1]
	v_mov_b32_e32 v12, v29
	v_mov_b32_e32 v15, v32
	v_pk_add_f32 v[34:35], v[28:29], v[14:15] neg_lo:[0,1] neg_hi:[0,1]
	v_mov_b32_e32 v28, v9
	v_mov_b32_e32 v29, v32
	;; [unrolled: 1-line block ×3, first 2 shown]
	v_pk_add_f32 v[12:13], v[12:13], v[28:29] neg_lo:[0,1] neg_hi:[0,1]
	v_mov_b32_e32 v27, v8
	v_pk_add_f32 v[8:9], v[26:27], v[12:13] neg_lo:[0,1] neg_hi:[0,1]
	v_mov_b32_e32 v34, v30
	v_pk_add_f32 v[12:13], v[34:35], v[8:9]
	s_nop 0
	v_mov_b32_e32 v26, v13
	v_pk_add_f32 v[26:27], v[12:13], v[26:27]
	s_nop 0
	v_pk_add_f32 v[14:15], v[14:15], v[26:27]
	v_mov_b32_e32 v9, v26
	v_mov_b32_e32 v13, v14
	v_pk_add_f32 v[28:29], v[12:13], v[30:31] neg_lo:[0,1] neg_hi:[0,1]
	s_nop 0
	v_sub_f32_e32 v12, v12, v28
	v_pk_add_f32 v[8:9], v[8:9], v[28:29] neg_lo:[0,1] neg_hi:[0,1]
	v_sub_f32_e32 v12, v30, v12
	v_add_f32_e32 v8, v8, v12
	v_add_f32_e32 v8, v8, v9
	;; [unrolled: 1-line block ×3, first 2 shown]
	v_cndmask_b32_e32 v150, v8, v23, vcc
.LBB126_99:                             ;   in Loop: Header=BB126_13 Depth=1
	s_or_b64 exec, exec, s[4:5]
	v_cvt_f32_f16_e32 v8, v10
	v_readlane_b32 s2, v167, 2
	s_nop 1
	v_add_f32_e32 v151, s2, v8
	v_readlane_b32 s2, v167, 30
	v_cmp_ge_f32_e32 vcc, s6, v151
	v_readlane_b32 s3, v167, 31
	s_and_b64 s[2:3], s[2:3], vcc
	s_and_saveexec_b64 s[4:5], s[2:3]
	s_cbranch_execz .LBB126_101
; %bb.100:                              ;   in Loop: Header=BB126_13 Depth=1
	v_mul_f32_e32 v8, 0x3fb8aa3b, v151
	v_rndne_f32_e32 v9, v8
	v_sub_f32_e32 v12, v8, v9
	v_fma_f32 v8, v151, s10, -v8
	v_fmac_f32_e32 v8, 0x32a5705f, v151
	v_add_f32_e32 v8, v12, v8
	v_cvt_i32_f32_e32 v9, v9
	v_exp_f32_e32 v8, v8
	v_cmp_ngt_f32_e32 vcc, s11, v151
	v_ldexp_f32 v8, v8, v9
	s_nop 0
	v_cndmask_b32_e32 v8, 0, v8, vcc
	v_cmp_nlt_f32_e32 vcc, s12, v151
	s_nop 1
	v_cndmask_b32_e32 v23, v136, v8, vcc
	v_add_f32_e32 v12, 1.0, v23
	v_add_f32_e32 v8, -1.0, v12
	v_sub_f32_e32 v9, v8, v12
	v_add_f32_e32 v9, 1.0, v9
	v_sub_f32_e32 v8, v23, v8
	v_add_f32_e32 v13, v8, v9
	v_frexp_mant_f32_e32 v14, v12
	v_cvt_f64_f32_e32 v[8:9], v12
	v_frexp_exp_i32_f64_e32 v8, v[8:9]
	v_cmp_gt_f32_e32 vcc, s14, v14
	v_cmp_gt_f32_e64 s[60:61], s16, v23
	s_nop 0
	v_subbrev_co_u32_e32 v28, vcc, 0, v8, vcc
	v_sub_u32_e32 v8, 0, v28
	v_ldexp_f32 v9, v12, v8
	v_add_f32_e32 v12, -1.0, v9
	v_add_f32_e32 v14, 1.0, v9
	v_ldexp_f32 v8, v13, v8
	v_add_f32_e32 v13, 1.0, v12
	v_add_f32_e32 v15, -1.0, v14
	v_sub_f32_e32 v13, v9, v13
	v_sub_f32_e32 v9, v9, v15
	v_add_f32_e32 v13, v8, v13
	v_add_f32_e32 v8, v8, v9
	;; [unrolled: 1-line block ×3, first 2 shown]
	v_rcp_f32_e32 v30, v25
	v_sub_f32_e32 v9, v14, v25
	v_add_f32_e32 v29, v8, v9
	v_add_f32_e32 v9, v12, v13
	v_mul_f32_e32 v32, v9, v30
	v_sub_f32_e32 v8, v12, v9
	v_mul_f32_e32 v12, v25, v32
	v_fma_f32 v14, v32, v25, -v12
	v_fmac_f32_e32 v14, v32, v29
	v_add_f32_e32 v31, v13, v8
	v_add_f32_e32 v8, v12, v14
	v_sub_f32_e32 v13, v9, v8
	v_pk_add_f32 v[26:27], v[8:9], v[12:13] neg_lo:[0,1] neg_hi:[0,1]
	v_mov_b32_e32 v15, v8
	v_pk_add_f32 v[8:9], v[26:27], v[14:15] neg_lo:[0,1] neg_hi:[0,1]
	v_cmp_eq_f32_e32 vcc, s13, v23
	v_add_f32_e32 v9, v31, v9
	v_add_f32_e32 v8, v8, v9
	;; [unrolled: 1-line block ×3, first 2 shown]
	v_mul_f32_e32 v31, v30, v9
	v_mul_f32_e32 v12, v25, v31
	v_fma_f32 v14, v31, v25, -v12
	v_fmac_f32_e32 v14, v31, v29
	v_sub_f32_e32 v13, v13, v9
	v_add_f32_e32 v25, v8, v13
	v_add_f32_e32 v8, v12, v14
	v_sub_f32_e32 v13, v9, v8
	v_pk_add_f32 v[26:27], v[8:9], v[12:13] neg_lo:[0,1] neg_hi:[0,1]
	v_mov_b32_e32 v15, v8
	v_pk_add_f32 v[8:9], v[26:27], v[14:15] neg_lo:[0,1] neg_hi:[0,1]
	s_or_b64 vcc, s[60:61], vcc
	v_add_f32_e32 v9, v25, v9
	v_add_f32_e32 v8, v8, v9
	;; [unrolled: 1-line block ×4, first 2 shown]
	v_sub_f32_e32 v12, v9, v32
	v_mul_f32_e32 v8, v30, v8
	v_sub_f32_e32 v12, v31, v12
	v_add_f32_e32 v12, v12, v8
	v_add_f32_e32 v14, v9, v12
	v_mul_f32_e32 v15, v14, v14
	v_fmamk_f32 v8, v15, 0x3e9b6dac, v135
	v_fmaak_f32 v25, v15, v8, 0x3f2aaada
	v_cvt_f32_i32_e32 v8, v28
	v_sub_f32_e32 v9, v14, v9
	v_sub_f32_e32 v9, v12, v9
	v_ldexp_f32 v26, v9, 1
	v_mul_f32_e32 v9, v14, v15
	v_ldexp_f32 v13, v14, 1
	v_pk_mul_f32 v[14:15], v[8:9], v[24:25]
	s_nop 0
	v_fma_f32 v12, v8, s15, -v14
	v_fmac_f32_e32 v12, 0xb102e308, v8
	v_pk_add_f32 v[8:9], v[14:15], v[12:13]
	s_nop 0
	v_sub_f32_e32 v13, v9, v13
	v_sub_f32_e32 v13, v15, v13
	v_add_f32_e32 v27, v26, v13
	v_mov_b32_e32 v26, v14
	v_pk_add_f32 v[14:15], v[8:9], v[14:15] neg_lo:[0,1] neg_hi:[0,1]
	v_pk_add_f32 v[28:29], v[8:9], v[26:27]
	v_mov_b32_e32 v13, v8
	v_mov_b32_e32 v15, v29
	v_pk_add_f32 v[30:31], v[12:13], v[14:15] neg_lo:[0,1] neg_hi:[0,1]
	v_pk_add_f32 v[12:13], v[12:13], v[14:15]
	v_mov_b32_e32 v26, v27
	v_mov_b32_e32 v14, v13
	v_pk_add_f32 v[32:33], v[14:15], v[8:9] neg_lo:[0,1] neg_hi:[0,1]
	v_mov_b32_e32 v12, v29
	v_mov_b32_e32 v15, v32
	v_pk_add_f32 v[34:35], v[28:29], v[14:15] neg_lo:[0,1] neg_hi:[0,1]
	v_mov_b32_e32 v28, v9
	v_mov_b32_e32 v29, v32
	;; [unrolled: 1-line block ×3, first 2 shown]
	v_pk_add_f32 v[12:13], v[12:13], v[28:29] neg_lo:[0,1] neg_hi:[0,1]
	v_mov_b32_e32 v27, v8
	v_pk_add_f32 v[8:9], v[26:27], v[12:13] neg_lo:[0,1] neg_hi:[0,1]
	v_mov_b32_e32 v34, v30
	v_pk_add_f32 v[12:13], v[34:35], v[8:9]
	s_nop 0
	v_mov_b32_e32 v26, v13
	v_pk_add_f32 v[26:27], v[12:13], v[26:27]
	s_nop 0
	v_pk_add_f32 v[14:15], v[14:15], v[26:27]
	v_mov_b32_e32 v9, v26
	v_mov_b32_e32 v13, v14
	v_pk_add_f32 v[28:29], v[12:13], v[30:31] neg_lo:[0,1] neg_hi:[0,1]
	s_nop 0
	v_sub_f32_e32 v12, v12, v28
	v_pk_add_f32 v[8:9], v[8:9], v[28:29] neg_lo:[0,1] neg_hi:[0,1]
	v_sub_f32_e32 v12, v30, v12
	v_add_f32_e32 v8, v8, v12
	v_add_f32_e32 v8, v8, v9
	;; [unrolled: 1-line block ×3, first 2 shown]
	v_cndmask_b32_e32 v151, v8, v23, vcc
.LBB126_101:                            ;   in Loop: Header=BB126_13 Depth=1
	s_or_b64 exec, exec, s[4:5]
	v_cvt_f32_f16_sdwa v8, v10 dst_sel:DWORD dst_unused:UNUSED_PAD src0_sel:WORD_1
	v_readlane_b32 s2, v167, 2
	s_nop 1
	v_add_f32_e32 v152, s2, v8
	v_readlane_b32 s2, v167, 30
	v_cmp_ge_f32_e32 vcc, s6, v152
	v_readlane_b32 s3, v167, 31
	s_and_b64 s[2:3], s[2:3], vcc
	s_and_saveexec_b64 s[4:5], s[2:3]
	s_cbranch_execz .LBB126_103
; %bb.102:                              ;   in Loop: Header=BB126_13 Depth=1
	v_mul_f32_e32 v8, 0x3fb8aa3b, v152
	v_rndne_f32_e32 v9, v8
	v_sub_f32_e32 v10, v8, v9
	v_fma_f32 v8, v152, s10, -v8
	v_fmac_f32_e32 v8, 0x32a5705f, v152
	v_add_f32_e32 v8, v10, v8
	v_cvt_i32_f32_e32 v9, v9
	v_exp_f32_e32 v8, v8
	v_cmp_ngt_f32_e32 vcc, s11, v152
	v_ldexp_f32 v8, v8, v9
	s_nop 0
	v_cndmask_b32_e32 v8, 0, v8, vcc
	v_cmp_nlt_f32_e32 vcc, s12, v152
	s_nop 1
	v_cndmask_b32_e32 v23, v136, v8, vcc
	v_add_f32_e32 v10, 1.0, v23
	v_add_f32_e32 v8, -1.0, v10
	v_sub_f32_e32 v9, v8, v10
	v_add_f32_e32 v9, 1.0, v9
	v_sub_f32_e32 v8, v23, v8
	v_add_f32_e32 v12, v8, v9
	v_frexp_mant_f32_e32 v13, v10
	v_cvt_f64_f32_e32 v[8:9], v10
	v_frexp_exp_i32_f64_e32 v8, v[8:9]
	v_cmp_gt_f32_e32 vcc, s14, v13
	v_cmp_gt_f32_e64 s[60:61], s16, v23
	s_nop 0
	v_subbrev_co_u32_e32 v28, vcc, 0, v8, vcc
	v_sub_u32_e32 v8, 0, v28
	v_ldexp_f32 v9, v10, v8
	v_add_f32_e32 v10, -1.0, v9
	v_add_f32_e32 v13, 1.0, v9
	v_ldexp_f32 v8, v12, v8
	v_add_f32_e32 v12, 1.0, v10
	v_add_f32_e32 v14, -1.0, v13
	v_sub_f32_e32 v12, v9, v12
	v_sub_f32_e32 v9, v9, v14
	v_add_f32_e32 v12, v8, v12
	v_add_f32_e32 v8, v8, v9
	;; [unrolled: 1-line block ×3, first 2 shown]
	v_rcp_f32_e32 v30, v25
	v_sub_f32_e32 v9, v13, v25
	v_add_f32_e32 v29, v8, v9
	v_add_f32_e32 v9, v10, v12
	v_sub_f32_e32 v8, v10, v9
	v_mul_f32_e32 v31, v9, v30
	v_add_f32_e32 v10, v12, v8
	v_mul_f32_e32 v12, v25, v31
	v_fma_f32 v14, v31, v25, -v12
	v_fmac_f32_e32 v14, v31, v29
	v_add_f32_e32 v8, v12, v14
	v_sub_f32_e32 v13, v9, v8
	v_pk_add_f32 v[26:27], v[8:9], v[12:13] neg_lo:[0,1] neg_hi:[0,1]
	v_mov_b32_e32 v15, v8
	v_pk_add_f32 v[8:9], v[26:27], v[14:15] neg_lo:[0,1] neg_hi:[0,1]
	v_cmp_eq_f32_e32 vcc, s13, v23
	v_add_f32_e32 v9, v10, v9
	v_add_f32_e32 v8, v8, v9
	;; [unrolled: 1-line block ×3, first 2 shown]
	v_mul_f32_e32 v10, v30, v9
	v_mul_f32_e32 v12, v25, v10
	v_fma_f32 v14, v10, v25, -v12
	v_fmac_f32_e32 v14, v10, v29
	v_sub_f32_e32 v13, v13, v9
	v_add_f32_e32 v25, v8, v13
	v_add_f32_e32 v8, v12, v14
	v_sub_f32_e32 v13, v9, v8
	v_pk_add_f32 v[26:27], v[8:9], v[12:13] neg_lo:[0,1] neg_hi:[0,1]
	v_mov_b32_e32 v15, v8
	v_pk_add_f32 v[8:9], v[26:27], v[14:15] neg_lo:[0,1] neg_hi:[0,1]
	s_or_b64 vcc, s[60:61], vcc
	v_add_f32_e32 v9, v25, v9
	v_add_f32_e32 v8, v8, v9
	;; [unrolled: 1-line block ×4, first 2 shown]
	v_sub_f32_e32 v12, v9, v31
	v_mul_f32_e32 v8, v30, v8
	v_sub_f32_e32 v10, v10, v12
	v_add_f32_e32 v10, v10, v8
	v_add_f32_e32 v12, v9, v10
	v_mul_f32_e32 v14, v12, v12
	v_fmamk_f32 v8, v14, 0x3e9b6dac, v135
	v_fmaak_f32 v25, v14, v8, 0x3f2aaada
	v_cvt_f32_i32_e32 v8, v28
	v_sub_f32_e32 v9, v12, v9
	v_sub_f32_e32 v9, v10, v9
	v_ldexp_f32 v10, v9, 1
	v_mul_f32_e32 v9, v12, v14
	v_pk_mul_f32 v[14:15], v[8:9], v[24:25]
	v_ldexp_f32 v13, v12, 1
	v_fma_f32 v12, v8, s15, -v14
	v_fmac_f32_e32 v12, 0xb102e308, v8
	v_pk_add_f32 v[8:9], v[14:15], v[12:13]
	v_mov_b32_e32 v26, v14
	v_sub_f32_e32 v13, v9, v13
	v_sub_f32_e32 v13, v15, v13
	v_add_f32_e32 v27, v10, v13
	v_pk_add_f32 v[14:15], v[8:9], v[14:15] neg_lo:[0,1] neg_hi:[0,1]
	v_pk_add_f32 v[28:29], v[8:9], v[26:27]
	v_mov_b32_e32 v13, v8
	v_mov_b32_e32 v15, v29
	v_pk_add_f32 v[30:31], v[12:13], v[14:15] neg_lo:[0,1] neg_hi:[0,1]
	v_pk_add_f32 v[12:13], v[12:13], v[14:15]
	s_nop 0
	v_mov_b32_e32 v10, v13
	v_pk_add_f32 v[14:15], v[10:11], v[8:9] neg_lo:[0,1] neg_hi:[0,1]
	v_mov_b32_e32 v12, v29
	v_mov_b32_e32 v15, v14
	v_pk_add_f32 v[32:33], v[28:29], v[14:15] neg_lo:[0,1] neg_hi:[0,1]
	v_mov_b32_e32 v28, v9
	v_mov_b32_e32 v29, v14
	;; [unrolled: 1-line block ×3, first 2 shown]
	v_pk_add_f32 v[12:13], v[12:13], v[28:29] neg_lo:[0,1] neg_hi:[0,1]
	v_mov_b32_e32 v14, v27
	v_mov_b32_e32 v15, v8
	v_pk_add_f32 v[8:9], v[14:15], v[12:13] neg_lo:[0,1] neg_hi:[0,1]
	v_mov_b32_e32 v32, v30
	v_pk_add_f32 v[12:13], v[32:33], v[8:9]
	s_nop 0
	v_mov_b32_e32 v14, v13
	v_pk_add_f32 v[14:15], v[12:13], v[14:15]
	s_nop 0
	v_pk_add_f32 v[26:27], v[10:11], v[14:15]
	v_mov_b32_e32 v9, v14
	v_mov_b32_e32 v13, v26
	v_pk_add_f32 v[28:29], v[12:13], v[30:31] neg_lo:[0,1] neg_hi:[0,1]
	s_nop 0
	v_sub_f32_e32 v10, v12, v28
	v_pk_add_f32 v[8:9], v[8:9], v[28:29] neg_lo:[0,1] neg_hi:[0,1]
	v_sub_f32_e32 v10, v30, v10
	v_add_f32_e32 v8, v8, v10
	v_add_f32_e32 v8, v8, v9
	;; [unrolled: 1-line block ×3, first 2 shown]
	v_cndmask_b32_e32 v152, v8, v23, vcc
.LBB126_103:                            ;   in Loop: Header=BB126_13 Depth=1
	s_or_b64 exec, exec, s[4:5]
	v_cvt_f32_f16_e32 v8, v11
	v_readlane_b32 s2, v167, 2
	s_nop 1
	v_add_f32_e32 v26, s2, v8
	v_readlane_b32 s2, v167, 30
	v_cmp_ge_f32_e32 vcc, s6, v26
	v_readlane_b32 s3, v167, 31
	s_and_b64 s[2:3], s[2:3], vcc
	s_and_saveexec_b64 s[4:5], s[2:3]
	s_cbranch_execz .LBB126_105
; %bb.104:                              ;   in Loop: Header=BB126_13 Depth=1
	v_mul_f32_e32 v8, 0x3fb8aa3b, v26
	v_rndne_f32_e32 v9, v8
	v_sub_f32_e32 v10, v8, v9
	v_fma_f32 v8, v26, s10, -v8
	v_fmac_f32_e32 v8, 0x32a5705f, v26
	v_add_f32_e32 v8, v10, v8
	v_cvt_i32_f32_e32 v9, v9
	v_exp_f32_e32 v8, v8
	v_cmp_ngt_f32_e32 vcc, s11, v26
	v_ldexp_f32 v8, v8, v9
	s_nop 0
	v_cndmask_b32_e32 v8, 0, v8, vcc
	v_cmp_nlt_f32_e32 vcc, s12, v26
	s_nop 1
	v_cndmask_b32_e32 v23, v136, v8, vcc
	v_add_f32_e32 v10, 1.0, v23
	v_add_f32_e32 v8, -1.0, v10
	v_sub_f32_e32 v9, v8, v10
	v_add_f32_e32 v9, 1.0, v9
	v_sub_f32_e32 v8, v23, v8
	v_add_f32_e32 v12, v8, v9
	v_frexp_mant_f32_e32 v13, v10
	v_cvt_f64_f32_e32 v[8:9], v10
	v_frexp_exp_i32_f64_e32 v8, v[8:9]
	v_cmp_gt_f32_e32 vcc, s14, v13
	v_cmp_gt_f32_e64 s[60:61], s16, v23
	s_nop 0
	v_subbrev_co_u32_e32 v28, vcc, 0, v8, vcc
	v_sub_u32_e32 v8, 0, v28
	v_ldexp_f32 v9, v10, v8
	v_add_f32_e32 v10, -1.0, v9
	v_add_f32_e32 v13, 1.0, v9
	v_ldexp_f32 v8, v12, v8
	v_add_f32_e32 v12, 1.0, v10
	v_add_f32_e32 v14, -1.0, v13
	v_sub_f32_e32 v12, v9, v12
	v_sub_f32_e32 v9, v9, v14
	v_add_f32_e32 v12, v8, v12
	v_add_f32_e32 v8, v8, v9
	;; [unrolled: 1-line block ×3, first 2 shown]
	v_rcp_f32_e32 v30, v25
	v_sub_f32_e32 v9, v13, v25
	v_add_f32_e32 v29, v8, v9
	v_add_f32_e32 v9, v10, v12
	v_sub_f32_e32 v8, v10, v9
	v_mul_f32_e32 v31, v9, v30
	v_add_f32_e32 v10, v12, v8
	v_mul_f32_e32 v12, v25, v31
	v_fma_f32 v14, v31, v25, -v12
	v_fmac_f32_e32 v14, v31, v29
	v_add_f32_e32 v8, v12, v14
	v_sub_f32_e32 v13, v9, v8
	v_pk_add_f32 v[26:27], v[8:9], v[12:13] neg_lo:[0,1] neg_hi:[0,1]
	v_mov_b32_e32 v15, v8
	v_pk_add_f32 v[8:9], v[26:27], v[14:15] neg_lo:[0,1] neg_hi:[0,1]
	v_cmp_eq_f32_e32 vcc, s13, v23
	v_add_f32_e32 v9, v10, v9
	v_add_f32_e32 v8, v8, v9
	;; [unrolled: 1-line block ×3, first 2 shown]
	v_mul_f32_e32 v10, v30, v9
	v_mul_f32_e32 v12, v25, v10
	v_fma_f32 v14, v10, v25, -v12
	v_fmac_f32_e32 v14, v10, v29
	v_sub_f32_e32 v13, v13, v9
	v_add_f32_e32 v25, v8, v13
	v_add_f32_e32 v8, v12, v14
	v_sub_f32_e32 v13, v9, v8
	v_pk_add_f32 v[26:27], v[8:9], v[12:13] neg_lo:[0,1] neg_hi:[0,1]
	v_mov_b32_e32 v15, v8
	v_pk_add_f32 v[8:9], v[26:27], v[14:15] neg_lo:[0,1] neg_hi:[0,1]
	s_or_b64 vcc, s[60:61], vcc
	v_add_f32_e32 v9, v25, v9
	v_add_f32_e32 v8, v8, v9
	;; [unrolled: 1-line block ×4, first 2 shown]
	v_sub_f32_e32 v12, v9, v31
	v_mul_f32_e32 v8, v30, v8
	v_sub_f32_e32 v10, v10, v12
	v_add_f32_e32 v10, v10, v8
	v_add_f32_e32 v12, v9, v10
	v_mul_f32_e32 v14, v12, v12
	v_fmamk_f32 v8, v14, 0x3e9b6dac, v135
	v_fmaak_f32 v25, v14, v8, 0x3f2aaada
	v_cvt_f32_i32_e32 v8, v28
	v_sub_f32_e32 v9, v12, v9
	v_sub_f32_e32 v9, v10, v9
	v_ldexp_f32 v10, v9, 1
	v_mul_f32_e32 v9, v12, v14
	v_pk_mul_f32 v[14:15], v[8:9], v[24:25]
	v_ldexp_f32 v13, v12, 1
	v_fma_f32 v12, v8, s15, -v14
	v_fmac_f32_e32 v12, 0xb102e308, v8
	v_pk_add_f32 v[8:9], v[14:15], v[12:13]
	v_mov_b32_e32 v26, v14
	v_sub_f32_e32 v13, v9, v13
	v_sub_f32_e32 v13, v15, v13
	v_add_f32_e32 v27, v10, v13
	v_pk_add_f32 v[14:15], v[8:9], v[14:15] neg_lo:[0,1] neg_hi:[0,1]
	v_pk_add_f32 v[28:29], v[8:9], v[26:27]
	v_mov_b32_e32 v13, v8
	v_mov_b32_e32 v15, v29
	v_pk_add_f32 v[30:31], v[12:13], v[14:15] neg_lo:[0,1] neg_hi:[0,1]
	v_pk_add_f32 v[12:13], v[12:13], v[14:15]
	s_nop 0
	v_mov_b32_e32 v10, v13
	v_pk_add_f32 v[14:15], v[10:11], v[8:9] neg_lo:[0,1] neg_hi:[0,1]
	v_mov_b32_e32 v12, v29
	v_mov_b32_e32 v15, v14
	v_pk_add_f32 v[32:33], v[28:29], v[14:15] neg_lo:[0,1] neg_hi:[0,1]
	v_mov_b32_e32 v28, v9
	v_mov_b32_e32 v29, v14
	v_mov_b32_e32 v31, v13
	v_pk_add_f32 v[12:13], v[12:13], v[28:29] neg_lo:[0,1] neg_hi:[0,1]
	v_mov_b32_e32 v14, v27
	v_mov_b32_e32 v15, v8
	v_pk_add_f32 v[8:9], v[14:15], v[12:13] neg_lo:[0,1] neg_hi:[0,1]
	v_mov_b32_e32 v32, v30
	v_pk_add_f32 v[12:13], v[32:33], v[8:9]
	s_nop 0
	v_mov_b32_e32 v14, v13
	v_pk_add_f32 v[14:15], v[12:13], v[14:15]
	s_nop 0
	v_pk_add_f32 v[26:27], v[10:11], v[14:15]
	v_mov_b32_e32 v9, v14
	v_mov_b32_e32 v13, v26
	v_pk_add_f32 v[28:29], v[12:13], v[30:31] neg_lo:[0,1] neg_hi:[0,1]
	s_nop 0
	v_sub_f32_e32 v10, v12, v28
	v_pk_add_f32 v[8:9], v[8:9], v[28:29] neg_lo:[0,1] neg_hi:[0,1]
	v_sub_f32_e32 v10, v30, v10
	v_add_f32_e32 v8, v8, v10
	v_add_f32_e32 v8, v8, v9
	;; [unrolled: 1-line block ×3, first 2 shown]
	v_cndmask_b32_e32 v26, v8, v23, vcc
.LBB126_105:                            ;   in Loop: Header=BB126_13 Depth=1
	s_or_b64 exec, exec, s[4:5]
	v_cvt_f32_f16_sdwa v8, v11 dst_sel:DWORD dst_unused:UNUSED_PAD src0_sel:WORD_1
	v_readlane_b32 s2, v167, 2
	s_nop 1
	v_add_f32_e32 v27, s2, v8
	v_readlane_b32 s2, v167, 30
	v_cmp_ge_f32_e32 vcc, s6, v27
	v_readlane_b32 s3, v167, 31
	s_and_b64 s[2:3], s[2:3], vcc
	s_and_saveexec_b64 s[4:5], s[2:3]
	s_cbranch_execz .LBB126_107
; %bb.106:                              ;   in Loop: Header=BB126_13 Depth=1
	v_mul_f32_e32 v8, 0x3fb8aa3b, v27
	v_rndne_f32_e32 v9, v8
	v_sub_f32_e32 v10, v8, v9
	v_fma_f32 v8, v27, s10, -v8
	v_fmac_f32_e32 v8, 0x32a5705f, v27
	v_add_f32_e32 v8, v10, v8
	v_cvt_i32_f32_e32 v9, v9
	v_exp_f32_e32 v8, v8
	v_cmp_ngt_f32_e32 vcc, s11, v27
	v_ldexp_f32 v8, v8, v9
	s_nop 0
	v_cndmask_b32_e32 v8, 0, v8, vcc
	v_cmp_nlt_f32_e32 vcc, s12, v27
	s_nop 1
	v_cndmask_b32_e32 v23, v136, v8, vcc
	v_add_f32_e32 v10, 1.0, v23
	v_add_f32_e32 v8, -1.0, v10
	v_sub_f32_e32 v9, v8, v10
	v_add_f32_e32 v9, 1.0, v9
	v_sub_f32_e32 v8, v23, v8
	v_add_f32_e32 v11, v8, v9
	v_frexp_mant_f32_e32 v12, v10
	v_cvt_f64_f32_e32 v[8:9], v10
	v_frexp_exp_i32_f64_e32 v8, v[8:9]
	v_cmp_gt_f32_e32 vcc, s14, v12
	v_cmp_gt_f32_e64 s[60:61], s16, v23
	s_nop 0
	v_subbrev_co_u32_e32 v27, vcc, 0, v8, vcc
	v_sub_u32_e32 v8, 0, v27
	v_ldexp_f32 v9, v10, v8
	v_add_f32_e32 v10, -1.0, v9
	v_add_f32_e32 v12, 1.0, v9
	v_ldexp_f32 v8, v11, v8
	v_add_f32_e32 v11, 1.0, v10
	v_add_f32_e32 v13, -1.0, v12
	v_sub_f32_e32 v11, v9, v11
	v_sub_f32_e32 v9, v9, v13
	v_add_f32_e32 v11, v8, v11
	v_add_f32_e32 v8, v8, v9
	;; [unrolled: 1-line block ×3, first 2 shown]
	v_rcp_f32_e32 v29, v25
	v_sub_f32_e32 v9, v12, v25
	v_add_f32_e32 v28, v8, v9
	v_add_f32_e32 v9, v10, v11
	v_mul_f32_e32 v31, v9, v29
	v_sub_f32_e32 v8, v10, v9
	v_mul_f32_e32 v10, v25, v31
	v_fma_f32 v12, v31, v25, -v10
	v_fmac_f32_e32 v12, v31, v28
	v_add_f32_e32 v30, v11, v8
	v_add_f32_e32 v8, v10, v12
	v_sub_f32_e32 v11, v9, v8
	v_pk_add_f32 v[14:15], v[8:9], v[10:11] neg_lo:[0,1] neg_hi:[0,1]
	v_mov_b32_e32 v13, v8
	v_pk_add_f32 v[8:9], v[14:15], v[12:13] neg_lo:[0,1] neg_hi:[0,1]
	v_cmp_eq_f32_e32 vcc, s13, v23
	v_add_f32_e32 v9, v30, v9
	v_add_f32_e32 v8, v8, v9
	v_add_f32_e32 v9, v11, v8
	v_mul_f32_e32 v30, v29, v9
	v_mul_f32_e32 v10, v25, v30
	v_fma_f32 v12, v30, v25, -v10
	v_fmac_f32_e32 v12, v30, v28
	v_sub_f32_e32 v11, v11, v9
	v_add_f32_e32 v25, v8, v11
	v_add_f32_e32 v8, v10, v12
	v_sub_f32_e32 v11, v9, v8
	v_pk_add_f32 v[14:15], v[8:9], v[10:11] neg_lo:[0,1] neg_hi:[0,1]
	v_mov_b32_e32 v13, v8
	v_pk_add_f32 v[8:9], v[14:15], v[12:13] neg_lo:[0,1] neg_hi:[0,1]
	s_or_b64 vcc, s[60:61], vcc
	v_add_f32_e32 v9, v25, v9
	v_add_f32_e32 v8, v8, v9
	;; [unrolled: 1-line block ×4, first 2 shown]
	v_sub_f32_e32 v10, v9, v31
	v_mul_f32_e32 v8, v29, v8
	v_sub_f32_e32 v10, v30, v10
	v_add_f32_e32 v10, v10, v8
	v_add_f32_e32 v12, v9, v10
	v_mul_f32_e32 v13, v12, v12
	v_fmamk_f32 v8, v13, 0x3e9b6dac, v135
	v_fmaak_f32 v25, v13, v8, 0x3f2aaada
	v_cvt_f32_i32_e32 v8, v27
	v_sub_f32_e32 v9, v12, v9
	v_sub_f32_e32 v9, v10, v9
	v_ldexp_f32 v14, v9, 1
	v_mul_f32_e32 v9, v12, v13
	v_ldexp_f32 v11, v12, 1
	v_pk_mul_f32 v[12:13], v[8:9], v[24:25]
	s_nop 0
	v_fma_f32 v10, v8, s15, -v12
	v_fmac_f32_e32 v10, 0xb102e308, v8
	v_pk_add_f32 v[8:9], v[12:13], v[10:11]
	s_nop 0
	v_sub_f32_e32 v11, v9, v11
	v_sub_f32_e32 v11, v13, v11
	v_add_f32_e32 v15, v14, v11
	v_mov_b32_e32 v14, v12
	v_pk_add_f32 v[12:13], v[8:9], v[12:13] neg_lo:[0,1] neg_hi:[0,1]
	v_pk_add_f32 v[28:29], v[8:9], v[14:15]
	v_mov_b32_e32 v11, v8
	v_mov_b32_e32 v13, v29
	v_pk_add_f32 v[30:31], v[10:11], v[12:13] neg_lo:[0,1] neg_hi:[0,1]
	v_pk_add_f32 v[10:11], v[10:11], v[12:13]
	v_mov_b32_e32 v14, v15
	v_mov_b32_e32 v12, v11
	v_pk_add_f32 v[32:33], v[12:13], v[8:9] neg_lo:[0,1] neg_hi:[0,1]
	v_mov_b32_e32 v10, v29
	v_mov_b32_e32 v13, v32
	v_pk_add_f32 v[34:35], v[28:29], v[12:13] neg_lo:[0,1] neg_hi:[0,1]
	v_mov_b32_e32 v28, v9
	v_mov_b32_e32 v29, v32
	;; [unrolled: 1-line block ×3, first 2 shown]
	v_pk_add_f32 v[10:11], v[10:11], v[28:29] neg_lo:[0,1] neg_hi:[0,1]
	v_mov_b32_e32 v15, v8
	v_pk_add_f32 v[8:9], v[14:15], v[10:11] neg_lo:[0,1] neg_hi:[0,1]
	v_mov_b32_e32 v34, v30
	v_pk_add_f32 v[10:11], v[34:35], v[8:9]
	s_nop 0
	v_mov_b32_e32 v14, v11
	v_pk_add_f32 v[14:15], v[10:11], v[14:15]
	s_nop 0
	v_pk_add_f32 v[12:13], v[12:13], v[14:15]
	v_mov_b32_e32 v9, v14
	v_mov_b32_e32 v11, v12
	v_pk_add_f32 v[28:29], v[10:11], v[30:31] neg_lo:[0,1] neg_hi:[0,1]
	s_nop 0
	v_sub_f32_e32 v10, v10, v28
	v_pk_add_f32 v[8:9], v[8:9], v[28:29] neg_lo:[0,1] neg_hi:[0,1]
	v_sub_f32_e32 v10, v30, v10
	v_add_f32_e32 v8, v8, v10
	v_add_f32_e32 v8, v8, v9
	;; [unrolled: 1-line block ×3, first 2 shown]
	v_cndmask_b32_e32 v27, v8, v23, vcc
.LBB126_107:                            ;   in Loop: Header=BB126_13 Depth=1
	s_or_b64 exec, exec, s[4:5]
	v_cvt_f32_f16_e32 v8, v7
	v_cvt_f32_f16_sdwa v9, v6 dst_sel:DWORD dst_unused:UNUSED_PAD src0_sel:WORD_1
	v_cvt_f32_f16_e32 v6, v6
	v_cvt_f32_f16_sdwa v13, v7 dst_sel:DWORD dst_unused:UNUSED_PAD src0_sel:WORD_1
	v_cvt_f32_f16_sdwa v7, v5 dst_sel:DWORD dst_unused:UNUSED_PAD src0_sel:WORD_1
	v_cvt_f32_f16_e32 v5, v5
	v_cvt_f32_f16_sdwa v10, v4 dst_sel:DWORD dst_unused:UNUSED_PAD src0_sel:WORD_1
	v_cvt_f32_f16_e32 v4, v4
	;; [unrolled: 2-line block ×6, first 2 shown]
	v_readlane_b32 s2, v167, 3
	s_barrier
	s_nop 0
	v_mul_f32_e32 v28, s2, v8
	v_mul_f32_e32 v31, s2, v9
	;; [unrolled: 1-line block ×16, first 2 shown]
	v_readlane_b32 s2, v167, 33
	v_readlane_b32 s3, v167, 34
	s_and_b64 vcc, exec, s[2:3]
	s_cbranch_vccz .LBB126_204
; %bb.108:                              ;   in Loop: Header=BB126_13 Depth=1
	v_readlane_b32 s2, v167, 8
	v_readlane_b32 s3, v167, 9
	v_mul_f32_e32 v165, v139, v0
	v_cmp_gt_u32_e32 vcc, s88, v19
	v_lshl_add_u64 v[44:45], s[2:3], 0, v[16:17]
	v_readlane_b32 s2, v167, 22
	v_readlane_b32 s3, v167, 23
	v_or_b32_e32 v0, 1, v19
	v_mov_b32_e32 v23, v17
	v_lshl_add_u64 v[46:47], s[2:3], 0, v[16:17]
	v_readlane_b32 s3, v167, 59
	s_cmp_lg_u32 s3, 0
	v_readlane_b32 s2, v167, 37
	s_cselect_b64 s[94:95], -1, 0
	s_cmp_eq_u32 s3, s2
	v_readlane_b32 s2, v167, 38
	v_readlane_b32 s3, v167, 39
	s_cselect_b64 s[96:97], -1, 0
	s_or_b64 s[60:61], s[2:3], vcc
	v_cmp_gt_u32_e32 vcc, s88, v0
	v_or_b32_e32 v0, 2, v19
	s_or_b64 s[62:63], s[2:3], vcc
	v_cmp_gt_u32_e32 vcc, s88, v0
	v_or_b32_e32 v0, 3, v19
	;; [unrolled: 3-line block ×13, first 2 shown]
	s_mov_b32 s6, 0
	s_or_b64 s[86:87], s[2:3], vcc
	v_cmp_gt_u32_e32 vcc, s88, v0
	v_cmp_gt_u32_e64 s[88:89], s88, v134
	v_mul_f32_e32 v25, v27, v13
	v_lshl_add_u64 v[44:45], v[44:45], 0, v[22:23]
	v_lshl_add_u64 v[46:47], v[46:47], 0, v[22:23]
	v_mul_f32_e32 v16, v26, v8
	v_mul_f32_e32 v23, v152, v9
	v_mul_f32_e32 v153, v151, v6
	v_mul_f32_e32 v154, v150, v7
	v_mul_f32_e32 v155, v149, v5
	v_mul_f32_e32 v156, v148, v10
	v_mul_f32_e32 v157, v147, v4
	v_mul_f32_e32 v158, v146, v11
	v_mul_f32_e32 v159, v145, v3
	v_mul_f32_e32 v160, v144, v12
	v_mul_f32_e32 v161, v143, v2
	v_mul_f32_e32 v162, v142, v14
	v_mul_f32_e32 v163, v141, v1
	v_mul_f32_e32 v164, v140, v15
	s_or_b64 s[88:89], s[2:3], s[88:89]
	s_or_b64 s[90:91], s[2:3], vcc
	s_mov_b32 s92, s6
	s_mov_b32 s98, s6
	;; [unrolled: 1-line block ×3, first 2 shown]
	v_readlane_b32 s8, v167, 32
	v_readlane_b32 s9, v167, 58
	s_branch .LBB126_110
.LBB126_109:                            ;   in Loop: Header=BB126_110 Depth=2
	s_or_b64 exec, exec, s[2:3]
	v_cndmask_b32_e64 v8, v8, v67, s[24:25]
	v_cndmask_b32_e64 v48, v58, v66, s[24:25]
	v_mul_f32_e32 v48, v48, v120
	v_fma_f32 v8, v8, v120, v166
	v_cndmask_b32_e64 v8, v8, v166, s[22:23]
	v_cndmask_b32_e64 v48, v48, v120, s[22:23]
	s_waitcnt lgkmcnt(0)
	v_fmac_f32_e32 v8, v61, v48
	v_fmac_f32_e32 v9, v8, v121
	;; [unrolled: 1-line block ×13, first 2 shown]
	v_readlane_b32 s12, v167, 24
	v_fmac_f32_e32 v53, v52, v56
	v_readlane_b32 s13, v167, 25
	v_readlane_b32 s14, v167, 26
	;; [unrolled: 1-line block ×3, first 2 shown]
	v_fmac_f32_e32 v57, v53, v62
	s_add_i32 s4, s4, s14
	v_readlane_b32 s12, v167, 18
	v_fmac_f32_e32 v59, v57, v63
	v_cvt_f32_f16_sdwa v49, v4 dst_sel:DWORD dst_unused:UNUSED_PAD src0_sel:WORD_1
	v_cvt_f32_f16_sdwa v61, v5 dst_sel:DWORD dst_unused:UNUSED_PAD src0_sel:WORD_1
	v_cvt_f32_f16_e32 v48, v4
	v_cvt_f32_f16_e32 v60, v5
	v_cvt_f32_f16_sdwa v5, v6 dst_sel:DWORD dst_unused:UNUSED_PAD src0_sel:WORD_1
	v_cvt_f32_f16_sdwa v63, v7 dst_sel:DWORD dst_unused:UNUSED_PAD src0_sel:WORD_1
	v_cvt_f32_f16_e32 v4, v6
	v_cvt_f32_f16_e32 v62, v7
	;; [unrolled: 4-line block ×4, first 2 shown]
	v_readlane_b32 s13, v167, 19
	v_readlane_b32 s14, v167, 20
	;; [unrolled: 1-line block ×3, first 2 shown]
	s_add_i32 s98, s98, s12
	v_readlane_b32 s12, v167, 10
	v_readlane_b32 s13, v167, 11
	;; [unrolled: 1-line block ×3, first 2 shown]
	v_mov_b32_e32 v58, v57
	s_add_i32 s9, s9, 8
	s_add_i32 s8, s8, -1
	s_add_i32 s92, s92, s16
	s_add_i32 s6, s6, s13
	v_pk_fma_f32 v[40:41], v[10:11], v[60:61], v[40:41]
	v_pk_fma_f32 v[42:43], v[8:9], v[48:49], v[42:43]
	;; [unrolled: 1-line block ×7, first 2 shown]
	s_cmp_eq_u32 s8, 0
	v_pk_fma_f32 v[30:31], v[52:53], v[0:1], v[30:31]
	v_readlane_b32 s14, v167, 12
	v_readlane_b32 s15, v167, 13
	;; [unrolled: 1-line block ×5, first 2 shown]
	s_cbranch_scc1 .LBB126_203
.LBB126_110:                            ;   Parent Loop BB126_13 Depth=1
                                        ; =>  This Inner Loop Header: Depth=2
	s_lshl_b64 s[2:3], s[6:7], 2
	v_readlane_b32 s5, v167, 6
	s_add_u32 s2, s5, s2
	v_readlane_b32 s5, v167, 7
	s_addc_u32 s3, s5, s3
	global_load_dword v50, v17, s[2:3]
	s_mov_b32 s93, s7
	v_lshl_add_u64 v[0:1], s[92:93], 1, v[44:45]
	v_mov_b32_e32 v2, 0
	v_mov_b32_e32 v3, 0
	s_and_saveexec_b64 s[2:3], s[26:27]
	s_cbranch_execnz .LBB126_146
; %bb.111:                              ;   in Loop: Header=BB126_110 Depth=2
	s_or_b64 exec, exec, s[2:3]
	s_and_saveexec_b64 s[2:3], s[28:29]
	s_cbranch_execnz .LBB126_147
.LBB126_112:                            ;   in Loop: Header=BB126_110 Depth=2
	s_or_b64 exec, exec, s[2:3]
	v_mov_b32_e32 v4, 0
	s_and_saveexec_b64 s[2:3], s[30:31]
	s_cbranch_execnz .LBB126_148
.LBB126_113:                            ;   in Loop: Header=BB126_110 Depth=2
	s_or_b64 exec, exec, s[2:3]
	s_and_saveexec_b64 s[2:3], s[34:35]
	s_cbranch_execnz .LBB126_149
.LBB126_114:                            ;   in Loop: Header=BB126_110 Depth=2
	s_or_b64 exec, exec, s[2:3]
	v_mov_b32_e32 v5, 0
	s_and_saveexec_b64 s[2:3], s[36:37]
	s_cbranch_execnz .LBB126_150
.LBB126_115:                            ;   in Loop: Header=BB126_110 Depth=2
	s_or_b64 exec, exec, s[2:3]
	s_and_saveexec_b64 s[2:3], s[38:39]
	s_cbranch_execnz .LBB126_151
.LBB126_116:                            ;   in Loop: Header=BB126_110 Depth=2
	s_or_b64 exec, exec, s[2:3]
	v_mov_b32_e32 v6, 0
	s_and_saveexec_b64 s[2:3], s[40:41]
	s_cbranch_execnz .LBB126_152
.LBB126_117:                            ;   in Loop: Header=BB126_110 Depth=2
	s_or_b64 exec, exec, s[2:3]
	s_and_saveexec_b64 s[2:3], s[42:43]
	s_cbranch_execnz .LBB126_153
.LBB126_118:                            ;   in Loop: Header=BB126_110 Depth=2
	s_or_b64 exec, exec, s[2:3]
	v_mov_b32_e32 v7, 0
	s_and_saveexec_b64 s[2:3], s[44:45]
	s_cbranch_execnz .LBB126_154
.LBB126_119:                            ;   in Loop: Header=BB126_110 Depth=2
	s_or_b64 exec, exec, s[2:3]
	s_and_saveexec_b64 s[2:3], s[46:47]
	s_cbranch_execnz .LBB126_155
.LBB126_120:                            ;   in Loop: Header=BB126_110 Depth=2
	s_or_b64 exec, exec, s[2:3]
	v_mov_b32_e32 v8, 0
	s_and_saveexec_b64 s[2:3], s[48:49]
	s_cbranch_execnz .LBB126_156
.LBB126_121:                            ;   in Loop: Header=BB126_110 Depth=2
	s_or_b64 exec, exec, s[2:3]
	s_and_saveexec_b64 s[2:3], s[50:51]
	s_cbranch_execnz .LBB126_157
.LBB126_122:                            ;   in Loop: Header=BB126_110 Depth=2
	s_or_b64 exec, exec, s[2:3]
	v_mov_b32_e32 v9, 0
	s_and_saveexec_b64 s[2:3], s[52:53]
	s_cbranch_execnz .LBB126_158
.LBB126_123:                            ;   in Loop: Header=BB126_110 Depth=2
	s_or_b64 exec, exec, s[2:3]
	s_and_saveexec_b64 s[2:3], s[54:55]
	s_cbranch_execnz .LBB126_159
.LBB126_124:                            ;   in Loop: Header=BB126_110 Depth=2
	s_or_b64 exec, exec, s[2:3]
	v_mov_b32_e32 v10, 0
	s_and_saveexec_b64 s[2:3], s[56:57]
	s_cbranch_execnz .LBB126_160
.LBB126_125:                            ;   in Loop: Header=BB126_110 Depth=2
	s_or_b64 exec, exec, s[2:3]
	s_and_saveexec_b64 s[2:3], s[58:59]
	s_cbranch_execz .LBB126_127
.LBB126_126:                            ;   in Loop: Header=BB126_110 Depth=2
	global_load_ushort v0, v[0:1], off offset:1920
	s_waitcnt vmcnt(0)
	v_lshl_or_b32 v10, v0, 16, v10
.LBB126_127:                            ;   in Loop: Header=BB126_110 Depth=2
	s_or_b64 exec, exec, s[2:3]
	s_waitcnt vmcnt(0)
	ds_write_b16 v84, v3
	ds_write_b16 v85, v2 offset:128
	ds_write_b16 v86, v4 offset:256
	ds_write_b16_d16_hi v87, v4 offset:384
	ds_write_b16 v88, v5 offset:512
	ds_write_b16_d16_hi v89, v5 offset:640
	;; [unrolled: 2-line block ×7, first 2 shown]
	; wave barrier
	ds_read_b128 v[12:15], v100
	ds_read_b128 v[8:11], v100 offset:16
	s_mov_b32 s99, s7
	v_lshl_add_u64 v[0:1], s[98:99], 1, v[46:47]
	v_mov_b32_e32 v2, 0
	v_mov_b32_e32 v3, 0
	s_and_saveexec_b64 s[2:3], s[26:27]
	s_cbranch_execnz .LBB126_161
; %bb.128:                              ;   in Loop: Header=BB126_110 Depth=2
	s_or_b64 exec, exec, s[2:3]
	s_and_saveexec_b64 s[2:3], s[28:29]
	s_cbranch_execnz .LBB126_162
.LBB126_129:                            ;   in Loop: Header=BB126_110 Depth=2
	s_or_b64 exec, exec, s[2:3]
	v_mov_b32_e32 v4, 0
	s_and_saveexec_b64 s[2:3], s[30:31]
	s_cbranch_execnz .LBB126_163
.LBB126_130:                            ;   in Loop: Header=BB126_110 Depth=2
	s_or_b64 exec, exec, s[2:3]
	s_and_saveexec_b64 s[2:3], s[34:35]
	s_cbranch_execnz .LBB126_164
.LBB126_131:                            ;   in Loop: Header=BB126_110 Depth=2
	s_or_b64 exec, exec, s[2:3]
	v_mov_b32_e32 v5, 0
	s_and_saveexec_b64 s[2:3], s[36:37]
	s_cbranch_execnz .LBB126_165
.LBB126_132:                            ;   in Loop: Header=BB126_110 Depth=2
	s_or_b64 exec, exec, s[2:3]
	s_and_saveexec_b64 s[2:3], s[38:39]
	s_cbranch_execnz .LBB126_166
.LBB126_133:                            ;   in Loop: Header=BB126_110 Depth=2
	s_or_b64 exec, exec, s[2:3]
	v_mov_b32_e32 v6, 0
	s_and_saveexec_b64 s[2:3], s[40:41]
	s_cbranch_execnz .LBB126_167
.LBB126_134:                            ;   in Loop: Header=BB126_110 Depth=2
	s_or_b64 exec, exec, s[2:3]
	s_and_saveexec_b64 s[2:3], s[42:43]
	s_cbranch_execnz .LBB126_168
.LBB126_135:                            ;   in Loop: Header=BB126_110 Depth=2
	s_or_b64 exec, exec, s[2:3]
	v_mov_b32_e32 v7, 0
	s_and_saveexec_b64 s[2:3], s[44:45]
	s_cbranch_execnz .LBB126_169
.LBB126_136:                            ;   in Loop: Header=BB126_110 Depth=2
	s_or_b64 exec, exec, s[2:3]
	s_and_saveexec_b64 s[2:3], s[46:47]
	s_cbranch_execnz .LBB126_170
.LBB126_137:                            ;   in Loop: Header=BB126_110 Depth=2
	s_or_b64 exec, exec, s[2:3]
	v_mov_b32_e32 v48, 0
	s_and_saveexec_b64 s[2:3], s[48:49]
	s_cbranch_execnz .LBB126_171
.LBB126_138:                            ;   in Loop: Header=BB126_110 Depth=2
	s_or_b64 exec, exec, s[2:3]
	s_and_saveexec_b64 s[2:3], s[50:51]
	s_cbranch_execnz .LBB126_172
.LBB126_139:                            ;   in Loop: Header=BB126_110 Depth=2
	s_or_b64 exec, exec, s[2:3]
	v_mov_b32_e32 v49, 0
	s_and_saveexec_b64 s[2:3], s[52:53]
	s_cbranch_execnz .LBB126_173
.LBB126_140:                            ;   in Loop: Header=BB126_110 Depth=2
	s_or_b64 exec, exec, s[2:3]
	s_and_saveexec_b64 s[2:3], s[54:55]
	s_cbranch_execnz .LBB126_174
.LBB126_141:                            ;   in Loop: Header=BB126_110 Depth=2
	s_or_b64 exec, exec, s[2:3]
	v_mov_b32_e32 v51, 0
	s_and_saveexec_b64 s[2:3], s[56:57]
	s_cbranch_execnz .LBB126_175
.LBB126_142:                            ;   in Loop: Header=BB126_110 Depth=2
	s_or_b64 exec, exec, s[2:3]
	s_and_saveexec_b64 s[2:3], s[58:59]
	s_cbranch_execz .LBB126_144
.LBB126_143:                            ;   in Loop: Header=BB126_110 Depth=2
	global_load_ushort v0, v[0:1], off offset:1920
	s_waitcnt vmcnt(0)
	v_lshl_or_b32 v51, v0, 16, v51
.LBB126_144:                            ;   in Loop: Header=BB126_110 Depth=2
	s_or_b64 exec, exec, s[2:3]
	s_waitcnt vmcnt(0)
	ds_write_b16 v84, v3 offset:4224
	ds_write_b16 v101, v2 offset:128
	;; [unrolled: 1-line block ×3, first 2 shown]
	ds_write_b16_d16_hi v103, v4 offset:384
	ds_write_b16 v104, v5 offset:512
	ds_write_b16_d16_hi v105, v5 offset:640
	ds_write_b16 v106, v6 offset:768
	;; [unrolled: 2-line block ×6, first 2 shown]
	ds_write_b16_d16_hi v115, v51 offset:1920
	; wave barrier
	ds_read_b128 v[4:7], v100 offset:4224
	ds_read_b128 v[0:3], v116 offset:16
	s_andn2_b64 vcc, exec, s[94:95]
	s_cbranch_vccnz .LBB126_176
; %bb.145:                              ;   in Loop: Header=BB126_110 Depth=2
	v_mov_b32_e32 v48, s9
	ds_read_b64 v[48:49], v48
	s_cbranch_execz .LBB126_177
	s_branch .LBB126_180
.LBB126_146:                            ;   in Loop: Header=BB126_110 Depth=2
	global_load_ushort v3, v[0:1], off
	s_or_b64 exec, exec, s[2:3]
	s_and_saveexec_b64 s[2:3], s[28:29]
	s_cbranch_execz .LBB126_112
.LBB126_147:                            ;   in Loop: Header=BB126_110 Depth=2
	global_load_ushort v2, v[0:1], off offset:128
	s_or_b64 exec, exec, s[2:3]
	v_mov_b32_e32 v4, 0
	s_and_saveexec_b64 s[2:3], s[30:31]
	s_cbranch_execz .LBB126_113
.LBB126_148:                            ;   in Loop: Header=BB126_110 Depth=2
	global_load_ushort v4, v[0:1], off offset:256
	s_or_b64 exec, exec, s[2:3]
	s_and_saveexec_b64 s[2:3], s[34:35]
	s_cbranch_execz .LBB126_114
.LBB126_149:                            ;   in Loop: Header=BB126_110 Depth=2
	global_load_ushort v5, v[0:1], off offset:384
	s_waitcnt vmcnt(0)
	v_lshl_or_b32 v4, v5, 16, v4
	s_or_b64 exec, exec, s[2:3]
	v_mov_b32_e32 v5, 0
	s_and_saveexec_b64 s[2:3], s[36:37]
	s_cbranch_execz .LBB126_115
.LBB126_150:                            ;   in Loop: Header=BB126_110 Depth=2
	global_load_ushort v5, v[0:1], off offset:512
	s_or_b64 exec, exec, s[2:3]
	s_and_saveexec_b64 s[2:3], s[38:39]
	s_cbranch_execz .LBB126_116
.LBB126_151:                            ;   in Loop: Header=BB126_110 Depth=2
	global_load_ushort v6, v[0:1], off offset:640
	s_waitcnt vmcnt(0)
	v_lshl_or_b32 v5, v6, 16, v5
	s_or_b64 exec, exec, s[2:3]
	v_mov_b32_e32 v6, 0
	s_and_saveexec_b64 s[2:3], s[40:41]
	s_cbranch_execz .LBB126_117
.LBB126_152:                            ;   in Loop: Header=BB126_110 Depth=2
	global_load_ushort v6, v[0:1], off offset:768
	s_or_b64 exec, exec, s[2:3]
	s_and_saveexec_b64 s[2:3], s[42:43]
	s_cbranch_execz .LBB126_118
.LBB126_153:                            ;   in Loop: Header=BB126_110 Depth=2
	global_load_ushort v7, v[0:1], off offset:896
	s_waitcnt vmcnt(0)
	v_lshl_or_b32 v6, v7, 16, v6
	s_or_b64 exec, exec, s[2:3]
	v_mov_b32_e32 v7, 0
	s_and_saveexec_b64 s[2:3], s[44:45]
	s_cbranch_execz .LBB126_119
.LBB126_154:                            ;   in Loop: Header=BB126_110 Depth=2
	global_load_ushort v7, v[0:1], off offset:1024
	s_or_b64 exec, exec, s[2:3]
	s_and_saveexec_b64 s[2:3], s[46:47]
	s_cbranch_execz .LBB126_120
.LBB126_155:                            ;   in Loop: Header=BB126_110 Depth=2
	global_load_ushort v8, v[0:1], off offset:1152
	s_waitcnt vmcnt(0)
	v_lshl_or_b32 v7, v8, 16, v7
	s_or_b64 exec, exec, s[2:3]
	v_mov_b32_e32 v8, 0
	s_and_saveexec_b64 s[2:3], s[48:49]
	s_cbranch_execz .LBB126_121
.LBB126_156:                            ;   in Loop: Header=BB126_110 Depth=2
	global_load_ushort v8, v[0:1], off offset:1280
	s_or_b64 exec, exec, s[2:3]
	s_and_saveexec_b64 s[2:3], s[50:51]
	s_cbranch_execz .LBB126_122
.LBB126_157:                            ;   in Loop: Header=BB126_110 Depth=2
	global_load_ushort v9, v[0:1], off offset:1408
	s_waitcnt vmcnt(0)
	v_lshl_or_b32 v8, v9, 16, v8
	s_or_b64 exec, exec, s[2:3]
	v_mov_b32_e32 v9, 0
	s_and_saveexec_b64 s[2:3], s[52:53]
	s_cbranch_execz .LBB126_123
.LBB126_158:                            ;   in Loop: Header=BB126_110 Depth=2
	global_load_ushort v9, v[0:1], off offset:1536
	s_or_b64 exec, exec, s[2:3]
	s_and_saveexec_b64 s[2:3], s[54:55]
	s_cbranch_execz .LBB126_124
.LBB126_159:                            ;   in Loop: Header=BB126_110 Depth=2
	global_load_ushort v10, v[0:1], off offset:1664
	s_waitcnt vmcnt(0)
	v_lshl_or_b32 v9, v10, 16, v9
	s_or_b64 exec, exec, s[2:3]
	v_mov_b32_e32 v10, 0
	s_and_saveexec_b64 s[2:3], s[56:57]
	s_cbranch_execz .LBB126_125
.LBB126_160:                            ;   in Loop: Header=BB126_110 Depth=2
	global_load_ushort v10, v[0:1], off offset:1792
	s_or_b64 exec, exec, s[2:3]
	s_and_saveexec_b64 s[2:3], s[58:59]
	s_cbranch_execnz .LBB126_126
	s_branch .LBB126_127
.LBB126_161:                            ;   in Loop: Header=BB126_110 Depth=2
	global_load_ushort v3, v[0:1], off
	s_or_b64 exec, exec, s[2:3]
	s_and_saveexec_b64 s[2:3], s[28:29]
	s_cbranch_execz .LBB126_129
.LBB126_162:                            ;   in Loop: Header=BB126_110 Depth=2
	global_load_ushort v2, v[0:1], off offset:128
	s_or_b64 exec, exec, s[2:3]
	v_mov_b32_e32 v4, 0
	s_and_saveexec_b64 s[2:3], s[30:31]
	s_cbranch_execz .LBB126_130
.LBB126_163:                            ;   in Loop: Header=BB126_110 Depth=2
	global_load_ushort v4, v[0:1], off offset:256
	s_or_b64 exec, exec, s[2:3]
	s_and_saveexec_b64 s[2:3], s[34:35]
	s_cbranch_execz .LBB126_131
.LBB126_164:                            ;   in Loop: Header=BB126_110 Depth=2
	global_load_ushort v5, v[0:1], off offset:384
	s_waitcnt vmcnt(0)
	v_lshl_or_b32 v4, v5, 16, v4
	s_or_b64 exec, exec, s[2:3]
	v_mov_b32_e32 v5, 0
	s_and_saveexec_b64 s[2:3], s[36:37]
	s_cbranch_execz .LBB126_132
.LBB126_165:                            ;   in Loop: Header=BB126_110 Depth=2
	global_load_ushort v5, v[0:1], off offset:512
	s_or_b64 exec, exec, s[2:3]
	s_and_saveexec_b64 s[2:3], s[38:39]
	s_cbranch_execz .LBB126_133
.LBB126_166:                            ;   in Loop: Header=BB126_110 Depth=2
	global_load_ushort v6, v[0:1], off offset:640
	s_waitcnt vmcnt(0)
	v_lshl_or_b32 v5, v6, 16, v5
	s_or_b64 exec, exec, s[2:3]
	v_mov_b32_e32 v6, 0
	s_and_saveexec_b64 s[2:3], s[40:41]
	s_cbranch_execz .LBB126_134
.LBB126_167:                            ;   in Loop: Header=BB126_110 Depth=2
	global_load_ushort v6, v[0:1], off offset:768
	s_or_b64 exec, exec, s[2:3]
	s_and_saveexec_b64 s[2:3], s[42:43]
	s_cbranch_execz .LBB126_135
.LBB126_168:                            ;   in Loop: Header=BB126_110 Depth=2
	global_load_ushort v7, v[0:1], off offset:896
	s_waitcnt vmcnt(0)
	v_lshl_or_b32 v6, v7, 16, v6
	s_or_b64 exec, exec, s[2:3]
	v_mov_b32_e32 v7, 0
	s_and_saveexec_b64 s[2:3], s[44:45]
	s_cbranch_execz .LBB126_136
.LBB126_169:                            ;   in Loop: Header=BB126_110 Depth=2
	global_load_ushort v7, v[0:1], off offset:1024
	s_or_b64 exec, exec, s[2:3]
	s_and_saveexec_b64 s[2:3], s[46:47]
	s_cbranch_execz .LBB126_137
.LBB126_170:                            ;   in Loop: Header=BB126_110 Depth=2
	global_load_ushort v48, v[0:1], off offset:1152
	s_waitcnt vmcnt(0)
	v_lshl_or_b32 v7, v48, 16, v7
	s_or_b64 exec, exec, s[2:3]
	v_mov_b32_e32 v48, 0
	s_and_saveexec_b64 s[2:3], s[48:49]
	s_cbranch_execz .LBB126_138
.LBB126_171:                            ;   in Loop: Header=BB126_110 Depth=2
	global_load_ushort v48, v[0:1], off offset:1280
	s_or_b64 exec, exec, s[2:3]
	s_and_saveexec_b64 s[2:3], s[50:51]
	s_cbranch_execz .LBB126_139
.LBB126_172:                            ;   in Loop: Header=BB126_110 Depth=2
	global_load_ushort v49, v[0:1], off offset:1408
	s_waitcnt vmcnt(0)
	v_lshl_or_b32 v48, v49, 16, v48
	s_or_b64 exec, exec, s[2:3]
	v_mov_b32_e32 v49, 0
	s_and_saveexec_b64 s[2:3], s[52:53]
	s_cbranch_execz .LBB126_140
.LBB126_173:                            ;   in Loop: Header=BB126_110 Depth=2
	global_load_ushort v49, v[0:1], off offset:1536
	s_or_b64 exec, exec, s[2:3]
	s_and_saveexec_b64 s[2:3], s[54:55]
	s_cbranch_execz .LBB126_141
.LBB126_174:                            ;   in Loop: Header=BB126_110 Depth=2
	global_load_ushort v51, v[0:1], off offset:1664
	s_waitcnt vmcnt(0)
	v_lshl_or_b32 v49, v51, 16, v49
	s_or_b64 exec, exec, s[2:3]
	v_mov_b32_e32 v51, 0
	s_and_saveexec_b64 s[2:3], s[56:57]
	s_cbranch_execz .LBB126_142
.LBB126_175:                            ;   in Loop: Header=BB126_110 Depth=2
	global_load_ushort v51, v[0:1], off offset:1792
	s_or_b64 exec, exec, s[2:3]
	s_and_saveexec_b64 s[2:3], s[58:59]
	s_cbranch_execnz .LBB126_143
	s_branch .LBB126_144
.LBB126_176:                            ;   in Loop: Header=BB126_110 Depth=2
                                        ; implicit-def: $vgpr49
.LBB126_177:                            ;   in Loop: Header=BB126_110 Depth=2
	v_readlane_b32 s2, v167, 0
	v_readlane_b32 s3, v167, 1
	s_andn2_b64 vcc, exec, s[2:3]
	s_waitcnt lgkmcnt(0)
	v_mov_b32_e32 v49, 0
	s_cbranch_vccnz .LBB126_179
; %bb.178:                              ;   in Loop: Header=BB126_110 Depth=2
	s_mov_b32 s5, s7
	s_lshl_b64 s[2:3], s[4:5], 2
	v_readlane_b32 s5, v167, 28
	s_add_u32 s2, s5, s2
	v_readlane_b32 s5, v167, 29
	s_addc_u32 s3, s5, s3
	global_load_dword v49, v17, s[2:3]
.LBB126_179:                            ;   in Loop: Header=BB126_110 Depth=2
	v_mov_b32_e32 v48, 1.0
.LBB126_180:                            ;   in Loop: Header=BB126_110 Depth=2
	s_waitcnt lgkmcnt(14)
	v_cvt_f32_f16_e32 v55, v8
	v_cvt_f32_f16_sdwa v56, v8 dst_sel:DWORD dst_unused:UNUSED_PAD src0_sel:WORD_1
	v_mul_f32_e32 v8, 0x3fb8aa3b, v50
	v_cvt_f32_f16_e32 v57, v9
	v_cvt_f32_f16_sdwa v59, v9 dst_sel:DWORD dst_unused:UNUSED_PAD src0_sel:WORD_1
	v_mul_f32_e32 v9, v8, v139
	v_cmp_gt_f32_e32 vcc, s33, v9
	v_cvt_f32_f16_e32 v60, v10
	v_cvt_f32_f16_sdwa v61, v10 dst_sel:DWORD dst_unused:UNUSED_PAD src0_sel:WORD_1
	v_cndmask_b32_e32 v9, 0, v137, vcc
	v_fmac_f32_e32 v9, v8, v139
	v_exp_f32_e32 v9, v9
	v_cndmask_b32_e32 v10, 1.0, v138, vcc
	v_cvt_f32_f16_e32 v51, v12
	v_cvt_f32_f16_e32 v64, v11
	v_mul_f32_e32 v9, v9, v10
	v_cndmask_b32_e64 v120, 1.0, v9, s[60:61]
	v_mul_f32_e32 v9, v8, v140
	v_cmp_gt_f32_e32 vcc, s33, v9
	v_mul_f32_e32 v10, v165, v51
	v_cndmask_b32_e64 v166, 0, v10, s[60:61]
	v_cndmask_b32_e32 v9, 0, v137, vcc
	v_fmac_f32_e32 v9, v8, v140
	v_exp_f32_e32 v9, v9
	v_cndmask_b32_e32 v10, 1.0, v138, vcc
	v_cvt_f32_f16_sdwa v58, v11 dst_sel:DWORD dst_unused:UNUSED_PAD src0_sel:WORD_1
	v_cvt_f32_f16_sdwa v12, v12 dst_sel:DWORD dst_unused:UNUSED_PAD src0_sel:WORD_1
	v_mul_f32_e32 v10, v9, v10
	v_cndmask_b32_e64 v121, 1.0, v10, s[62:63]
	v_mul_f32_e32 v10, v8, v141
	v_cmp_gt_f32_e32 vcc, s33, v10
	v_mul_f32_e32 v9, v164, v12
	v_cvt_f32_f16_e32 v52, v13
	v_cndmask_b32_e32 v10, 0, v137, vcc
	v_fmac_f32_e32 v10, v8, v141
	v_exp_f32_e32 v10, v10
	v_cndmask_b32_e32 v11, 1.0, v138, vcc
	v_cvt_f32_f16_sdwa v13, v13 dst_sel:DWORD dst_unused:UNUSED_PAD src0_sel:WORD_1
	v_cvt_f32_f16_e32 v53, v14
	v_mul_f32_e32 v11, v10, v11
	v_cndmask_b32_e64 v122, 1.0, v11, s[64:65]
	v_mul_f32_e32 v11, v8, v142
	v_cmp_gt_f32_e32 vcc, s33, v11
	v_cvt_f32_f16_sdwa v14, v14 dst_sel:DWORD dst_unused:UNUSED_PAD src0_sel:WORD_1
	v_mul_f32_e32 v10, v163, v52
	v_cndmask_b32_e32 v11, 0, v137, vcc
	v_fmac_f32_e32 v11, v8, v142
	v_exp_f32_e32 v11, v11
	v_cndmask_b32_e32 v12, 1.0, v138, vcc
	v_cvt_f32_f16_e32 v54, v15
	v_cndmask_b32_e64 v9, 0, v9, s[62:63]
	v_mul_f32_e32 v12, v11, v12
	v_cndmask_b32_e64 v123, 1.0, v12, s[66:67]
	v_mul_f32_e32 v12, v8, v143
	v_cmp_gt_f32_e32 vcc, s33, v12
	v_mul_f32_e32 v11, v162, v13
	v_pk_mul_f32 v[62:63], v[8:9], v[26:27] op_sel_hi:[0,1]
	v_cndmask_b32_e32 v12, 0, v137, vcc
	v_fmac_f32_e32 v12, v8, v143
	v_exp_f32_e32 v12, v12
	v_cndmask_b32_e32 v13, 1.0, v138, vcc
	v_mul_f32_e32 v58, v25, v58
	v_cvt_f32_f16_sdwa v15, v15 dst_sel:DWORD dst_unused:UNUSED_PAD src0_sel:WORD_1
	v_mul_f32_e32 v13, v12, v13
	v_cndmask_b32_e64 v124, 1.0, v13, s[68:69]
	v_mul_f32_e32 v13, v8, v144
	v_cmp_gt_f32_e32 vcc, s33, v13
	v_mul_f32_e32 v12, v161, v53
	v_cndmask_b32_e64 v10, 0, v10, s[64:65]
	v_cndmask_b32_e32 v13, 0, v137, vcc
	v_fmac_f32_e32 v13, v8, v144
	v_exp_f32_e32 v13, v13
	v_cndmask_b32_e32 v50, 1.0, v138, vcc
	v_cndmask_b32_e64 v11, 0, v11, s[66:67]
	v_cndmask_b32_e64 v12, 0, v12, s[68:69]
	v_mul_f32_e32 v50, v13, v50
	v_mul_f32_e32 v13, v160, v14
	;; [unrolled: 1-line block ×3, first 2 shown]
	v_cmp_gt_f32_e32 vcc, s33, v14
	v_cndmask_b32_e64 v125, 1.0, v50, s[70:71]
	v_cndmask_b32_e64 v13, 0, v13, s[70:71]
	v_cndmask_b32_e32 v14, 0, v137, vcc
	v_fmac_f32_e32 v14, v8, v145
	v_exp_f32_e32 v14, v14
	v_cndmask_b32_e32 v50, 1.0, v138, vcc
	v_mul_f32_e32 v15, v158, v15
	v_cndmask_b32_e64 v15, 0, v15, s[74:75]
	v_mul_f32_e32 v50, v14, v50
	v_cndmask_b32_e64 v126, 1.0, v50, s[72:73]
	v_mul_f32_e32 v50, v8, v146
	v_cmp_gt_f32_e32 vcc, s33, v50
	v_mul_f32_e32 v14, v159, v54
	v_cndmask_b32_e64 v14, 0, v14, s[72:73]
	v_cndmask_b32_e32 v50, 0, v137, vcc
	v_fmac_f32_e32 v50, v8, v146
	v_exp_f32_e32 v50, v50
	v_cndmask_b32_e32 v51, 1.0, v138, vcc
	v_readlane_b32 s10, v167, 40
	v_readlane_b32 s11, v167, 41
	v_mul_f32_e32 v50, v50, v51
	v_cndmask_b32_e64 v127, 1.0, v50, s[74:75]
	v_mul_f32_e32 v50, v8, v147
	v_cmp_gt_f32_e32 vcc, s33, v50
	s_nop 1
	v_cndmask_b32_e32 v50, 0, v137, vcc
	v_fmac_f32_e32 v50, v8, v147
	v_exp_f32_e32 v50, v50
	v_cndmask_b32_e32 v51, 1.0, v138, vcc
	v_mul_f32_e32 v51, v50, v51
	v_cndmask_b32_e64 v128, 1.0, v51, s[76:77]
	v_mul_f32_e32 v51, v8, v148
	v_cmp_gt_f32_e32 vcc, s33, v51
	v_mul_f32_e32 v50, v157, v55
	v_cndmask_b32_e64 v50, 0, v50, s[76:77]
	v_cndmask_b32_e32 v51, 0, v137, vcc
	v_fmac_f32_e32 v51, v8, v148
	v_exp_f32_e32 v51, v51
	v_cndmask_b32_e32 v52, 1.0, v138, vcc
	v_mul_f32_e32 v52, v51, v52
	v_cndmask_b32_e64 v129, 1.0, v52, s[78:79]
	v_mul_f32_e32 v52, v8, v149
	v_cmp_gt_f32_e32 vcc, s33, v52
	v_mul_f32_e32 v51, v156, v56
	v_cndmask_b32_e64 v51, 0, v51, s[78:79]
	;; [unrolled: 10-line block ×4, first 2 shown]
	v_cndmask_b32_e32 v52, 0, v137, vcc
	v_fmac_f32_e32 v52, v8, v151
	v_exp_f32_e32 v52, v52
	v_cndmask_b32_e32 v53, 1.0, v138, vcc
	v_mul_f32_e32 v53, v52, v53
	v_mul_f32_e32 v52, v153, v60
	v_cndmask_b32_e64 v60, 1.0, v53, s[84:85]
	v_mul_f32_e32 v53, v8, v152
	v_cmp_gt_f32_e32 vcc, s33, v53
	v_cndmask_b32_e64 v52, 0, v52, s[84:85]
	s_nop 0
	v_cndmask_b32_e32 v53, 0, v137, vcc
	v_fmac_f32_e32 v53, v8, v152
	v_cndmask_b32_e32 v56, 1.0, v138, vcc
	v_mul_f32_e32 v8, v16, v64
	v_cmp_gt_f32_e32 vcc, s33, v62
	v_cndmask_b32_e64 v57, 0, v8, s[90:91]
	v_exp_f32_e32 v53, v53
	v_cndmask_b32_e32 v8, 0, v137, vcc
	v_add_f32_e32 v8, v62, v8
	v_exp_f32_e32 v8, v8
	v_cndmask_b32_e32 v59, 1.0, v138, vcc
	v_cmp_gt_f32_e32 vcc, s33, v63
	v_mul_f32_e32 v56, v53, v56
	v_mul_f32_e32 v8, v8, v59
	v_cndmask_b32_e32 v59, 0, v137, vcc
	v_add_f32_e32 v59, v63, v59
	v_exp_f32_e32 v59, v59
	v_mul_f32_e32 v53, v23, v61
	v_cndmask_b32_e32 v61, 1.0, v138, vcc
	v_cndmask_b32_e64 v62, 1.0, v8, s[90:91]
	v_mul_f32_e32 v61, v59, v61
	v_cndmask_b32_e64 v59, 0, v58, s[88:89]
	v_mul_f32_e32 v8, v121, v120
	v_fma_f32 v58, v121, v166, v9
	v_mul_f32_e32 v8, v8, v122
	v_fma_f32 v58, v58, v122, v10
	;; [unrolled: 2-line block ×11, first 2 shown]
	v_cndmask_b32_e64 v53, 0, v53, s[86:87]
	v_cndmask_b32_e64 v56, 1.0, v56, s[86:87]
	v_fma_f32 v8, v8, v60, v52
	v_cndmask_b32_e64 v63, 1.0, v61, s[88:89]
	v_fma_f32 v65, v8, v56, v53
	v_mov_b32_e32 v61, v62
	v_pk_mul_f32 v[132:133], v[64:65], v[60:61]
	v_pk_fma_f32 v[64:65], v[64:65], v[60:61], v[56:57]
	v_pk_mul_f32 v[132:133], v[132:133], v[56:57]
	v_mov_b32_e32 v66, v63
	v_mov_b32_e32 v133, v65
	;; [unrolled: 1-line block ×3, first 2 shown]
	v_pk_mul_f32 v[64:65], v[132:133], v[62:63]
	v_mov_b32_e32 v58, v63
	v_pk_mul_f32 v[66:67], v[64:65], v[66:67]
	v_pk_fma_f32 v[64:65], v[132:133], v[62:63], v[58:59]
	s_nop 0
	v_mov_b32_dpp v8, v66 row_shr:1 row_mask:0xf bank_mask:0xf
	v_mov_b32_dpp v58, v65 row_shr:1 row_mask:0xf bank_mask:0xf
	v_mul_f32_e32 v61, v66, v8
	v_fma_f32 v58, v66, v58, v65
	v_cndmask_b32_e64 v64, v61, v66, s[0:1]
	v_cndmask_b32_e64 v67, v58, v65, s[0:1]
	;; [unrolled: 1-line block ×4, first 2 shown]
	v_mov_b32_dpp v61, v67 row_shr:2 row_mask:0xf bank_mask:0xf
	v_mov_b32_dpp v58, v66 row_shr:2 row_mask:0xf bank_mask:0xf
	s_and_saveexec_b64 s[2:3], s[10:11]
; %bb.181:                              ;   in Loop: Header=BB126_110 Depth=2
	v_fmac_f32_e32 v67, v66, v61
	v_mul_f32_e32 v66, v66, v58
	v_mov_b32_e32 v64, v66
	v_mov_b32_e32 v8, v67
; %bb.182:                              ;   in Loop: Header=BB126_110 Depth=2
	s_or_b64 exec, exec, s[2:3]
	v_readlane_b32 s10, v167, 42
	v_mov_b32_dpp v58, v66 row_shr:4 row_mask:0xf bank_mask:0xf
	v_mov_b32_dpp v61, v67 row_shr:4 row_mask:0xf bank_mask:0xf
	v_readlane_b32 s11, v167, 43
	s_and_saveexec_b64 s[2:3], s[10:11]
; %bb.183:                              ;   in Loop: Header=BB126_110 Depth=2
	v_fmac_f32_e32 v67, v66, v61
	v_mul_f32_e32 v66, v66, v58
	v_mov_b32_e32 v64, v66
	v_mov_b32_e32 v8, v67
; %bb.184:                              ;   in Loop: Header=BB126_110 Depth=2
	s_or_b64 exec, exec, s[2:3]
	v_readlane_b32 s10, v167, 44
	v_mov_b32_dpp v58, v66 row_shr:8 row_mask:0xf bank_mask:0xf
	v_mov_b32_dpp v61, v67 row_shr:8 row_mask:0xf bank_mask:0xf
	v_readlane_b32 s11, v167, 45
	s_and_saveexec_b64 s[2:3], s[10:11]
; %bb.185:                              ;   in Loop: Header=BB126_110 Depth=2
	v_fmac_f32_e32 v67, v66, v61
	v_mul_f32_e32 v66, v66, v58
	v_mov_b32_e32 v64, v66
	v_mov_b32_e32 v8, v67
; %bb.186:                              ;   in Loop: Header=BB126_110 Depth=2
	s_or_b64 exec, exec, s[2:3]
	v_readlane_b32 s10, v167, 46
	v_mov_b32_dpp v58, v66 row_bcast:15 row_mask:0xf bank_mask:0xf
	v_mov_b32_dpp v61, v67 row_bcast:15 row_mask:0xf bank_mask:0xf
	v_readlane_b32 s11, v167, 47
	s_and_saveexec_b64 s[2:3], s[10:11]
; %bb.187:                              ;   in Loop: Header=BB126_110 Depth=2
	v_fmac_f32_e32 v67, v66, v61
	v_mul_f32_e32 v66, v66, v58
	v_mov_b32_e32 v64, v66
	v_mov_b32_e32 v8, v67
; %bb.188:                              ;   in Loop: Header=BB126_110 Depth=2
	s_or_b64 exec, exec, s[2:3]
	v_readlane_b32 s10, v167, 48
	v_mov_b32_dpp v61, v66 row_bcast:31 row_mask:0xf bank_mask:0xf
	v_mov_b32_dpp v58, v67 row_bcast:31 row_mask:0xf bank_mask:0xf
	v_readlane_b32 s11, v167, 49
	s_and_saveexec_b64 s[2:3], s[10:11]
; %bb.189:                              ;   in Loop: Header=BB126_110 Depth=2
	v_fmac_f32_e32 v67, v66, v58
	v_mul_f32_e32 v64, v66, v61
	v_mov_b32_e32 v65, v67
	v_mov_b32_e32 v8, v67
	v_mov_b64_e32 v[66:67], v[64:65]
; %bb.190:                              ;   in Loop: Header=BB126_110 Depth=2
	s_or_b64 exec, exec, s[2:3]
	v_readlane_b32 s10, v167, 50
	v_readlane_b32 s11, v167, 51
	s_and_saveexec_b64 s[2:3], s[10:11]
	s_cbranch_execz .LBB126_192
; %bb.191:                              ;   in Loop: Header=BB126_110 Depth=2
	ds_write_b64 v117, v[66:67] offset:8448
.LBB126_192:                            ;   in Loop: Header=BB126_110 Depth=2
	s_or_b64 exec, exec, s[2:3]
	v_readlane_b32 s10, v167, 52
	v_readlane_b32 s11, v167, 53
	s_waitcnt lgkmcnt(0)
	s_barrier
	s_and_saveexec_b64 s[2:3], s[10:11]
	s_cbranch_execz .LBB126_194
; %bb.193:                              ;   in Loop: Header=BB126_110 Depth=2
	ds_read_b64 v[66:67], v118 offset:8448
	v_readlane_b32 s10, v167, 54
	v_readlane_b32 s11, v167, 55
	s_waitcnt lgkmcnt(0)
	v_mov_b32_dpp v58, v66 row_shr:1 row_mask:0xf bank_mask:0xf
	v_mov_b32_dpp v61, v67 row_shr:1 row_mask:0xf bank_mask:0xf
	v_fma_f32 v61, v66, v61, v67
	v_mul_f32_e32 v58, v66, v58
	v_cndmask_b32_e64 v66, v58, v66, s[10:11]
	v_cndmask_b32_e64 v67, v61, v67, s[10:11]
	ds_write_b64 v118, v[66:67] offset:8448
.LBB126_194:                            ;   in Loop: Header=BB126_110 Depth=2
	s_or_b64 exec, exec, s[2:3]
	s_waitcnt lgkmcnt(0)
	s_barrier
	s_waitcnt lgkmcnt(0)
                                        ; implicit-def: $vgpr66
	s_and_saveexec_b64 s[2:3], s[20:21]
	s_cbranch_execz .LBB126_196
; %bb.195:                              ;   in Loop: Header=BB126_110 Depth=2
	ds_read_b64 v[66:67], v117 offset:8440
	s_waitcnt lgkmcnt(0)
	v_mul_f32_e32 v58, v64, v66
	v_fmac_f32_e32 v8, v64, v67
	v_mov_b32_e32 v64, v58
.LBB126_196:                            ;   in Loop: Header=BB126_110 Depth=2
	s_or_b64 exec, exec, s[2:3]
	ds_bpermute_b32 v58, v119, v64
	ds_bpermute_b32 v8, v119, v8
	v_readlane_b32 s10, v167, 56
	s_waitcnt vmcnt(0)
	v_mov_b32_e32 v65, v49
	v_readlane_b32 s11, v167, 57
	s_and_saveexec_b64 s[2:3], s[10:11]
	s_cbranch_execz .LBB126_200
; %bb.197:                              ;   in Loop: Header=BB126_110 Depth=2
	ds_read_b64 v[64:65], v17 offset:8456
	s_and_saveexec_b64 vcc, s[22:23]
	s_cbranch_execz .LBB126_199
; %bb.198:                              ;   in Loop: Header=BB126_110 Depth=2
	ds_write_b64 v17, v[48:49] offset:8456
.LBB126_199:                            ;   in Loop: Header=BB126_110 Depth=2
	s_or_b64 exec, exec, vcc
	s_waitcnt lgkmcnt(0)
	v_fmac_f32_e32 v65, v49, v64
	v_mul_f32_e32 v48, v48, v64
	v_mov_b32_e32 v49, v65
.LBB126_200:                            ;   in Loop: Header=BB126_110 Depth=2
	s_or_b64 exec, exec, s[2:3]
	s_waitcnt lgkmcnt(0)
	s_barrier
	ds_read_b32 v61, v17 offset:8460
	s_and_saveexec_b64 s[2:3], s[22:23]
	s_cbranch_execz .LBB126_109
; %bb.201:                              ;   in Loop: Header=BB126_110 Depth=2
	v_mov_b32_e32 v64, s9
	s_andn2_b64 vcc, exec, s[96:97]
	ds_write_b64 v64, v[48:49]
	s_cbranch_vccnz .LBB126_109
; %bb.202:                              ;   in Loop: Header=BB126_110 Depth=2
	s_mov_b32 s5, s7
	s_lshl_b64 s[10:11], s[4:5], 2
	v_readlane_b32 s5, v167, 28
	s_add_u32 s10, s5, s10
	v_readlane_b32 s5, v167, 29
	s_addc_u32 s11, s5, s11
	global_store_dword v17, v65, s[10:11]
	s_branch .LBB126_109
.LBB126_203:                            ;   in Loop: Header=BB126_13 Depth=1
	s_mov_b32 s6, 0x41a00000
	s_mov_b32 s10, 0x3fb8aa3b
	;; [unrolled: 1-line block ×8, first 2 shown]
.LBB126_204:                            ;   in Loop: Header=BB126_13 Depth=1
	v_cvt_f16_f32_e32 v0, v43
	v_cvt_f16_f32_e32 v4, v42
	;; [unrolled: 1-line block ×16, first 2 shown]
	v_pack_b32_f16 v3, v7, v3
	v_pack_b32_f16 v2, v6, v2
	;; [unrolled: 1-line block ×4, first 2 shown]
	s_barrier
	ds_write_b128 v100, v[0:3]
	v_pack_b32_f16 v3, v15, v14
	v_pack_b32_f16 v2, v13, v12
	;; [unrolled: 1-line block ×4, first 2 shown]
	ds_write_b128 v100, v[0:3] offset:16
	; wave barrier
	ds_read_u16 v16, v85 offset:128
	ds_read_u16 v15, v86 offset:256
	;; [unrolled: 1-line block ×15, first 2 shown]
	v_readlane_b32 s2, v167, 60
	v_readlane_b32 s3, v167, 61
	s_mov_b32 s3, s7
	s_nop 0
	v_lshl_add_u64 v[0:1], s[2:3], 1, v[20:21]
	s_and_saveexec_b64 s[2:3], s[26:27]
	s_cbranch_execz .LBB126_206
; %bb.205:                              ;   in Loop: Header=BB126_13 Depth=1
	ds_read_u16 v23, v84
	s_waitcnt lgkmcnt(0)
	global_store_short v[0:1], v23, off
.LBB126_206:                            ;   in Loop: Header=BB126_13 Depth=1
	s_or_b64 exec, exec, s[2:3]
	s_and_saveexec_b64 s[2:3], s[28:29]
	v_readlane_b32 s8, v167, 62
	v_readlane_b32 s9, v167, 63
	s_cbranch_execnz .LBB126_223
; %bb.207:                              ;   in Loop: Header=BB126_13 Depth=1
	s_or_b64 exec, exec, s[2:3]
	s_and_saveexec_b64 s[2:3], s[30:31]
	s_cbranch_execnz .LBB126_224
.LBB126_208:                            ;   in Loop: Header=BB126_13 Depth=1
	s_or_b64 exec, exec, s[2:3]
	s_and_saveexec_b64 s[2:3], s[34:35]
	s_cbranch_execnz .LBB126_225
.LBB126_209:                            ;   in Loop: Header=BB126_13 Depth=1
	s_or_b64 exec, exec, s[2:3]
	s_and_saveexec_b64 s[2:3], s[36:37]
	s_cbranch_execnz .LBB126_226
.LBB126_210:                            ;   in Loop: Header=BB126_13 Depth=1
	s_or_b64 exec, exec, s[2:3]
	s_and_saveexec_b64 s[2:3], s[38:39]
	s_cbranch_execnz .LBB126_227
.LBB126_211:                            ;   in Loop: Header=BB126_13 Depth=1
	s_or_b64 exec, exec, s[2:3]
	s_and_saveexec_b64 s[2:3], s[40:41]
	s_cbranch_execnz .LBB126_228
.LBB126_212:                            ;   in Loop: Header=BB126_13 Depth=1
	s_or_b64 exec, exec, s[2:3]
	s_and_saveexec_b64 s[2:3], s[42:43]
	s_cbranch_execnz .LBB126_229
.LBB126_213:                            ;   in Loop: Header=BB126_13 Depth=1
	s_or_b64 exec, exec, s[2:3]
	s_and_saveexec_b64 s[2:3], s[44:45]
	s_cbranch_execnz .LBB126_230
.LBB126_214:                            ;   in Loop: Header=BB126_13 Depth=1
	s_or_b64 exec, exec, s[2:3]
	s_and_saveexec_b64 s[2:3], s[46:47]
	s_cbranch_execnz .LBB126_231
.LBB126_215:                            ;   in Loop: Header=BB126_13 Depth=1
	s_or_b64 exec, exec, s[2:3]
	s_and_saveexec_b64 s[2:3], s[48:49]
	s_cbranch_execnz .LBB126_232
.LBB126_216:                            ;   in Loop: Header=BB126_13 Depth=1
	s_or_b64 exec, exec, s[2:3]
	s_and_saveexec_b64 s[2:3], s[50:51]
	s_cbranch_execnz .LBB126_233
.LBB126_217:                            ;   in Loop: Header=BB126_13 Depth=1
	s_or_b64 exec, exec, s[2:3]
	s_and_saveexec_b64 s[2:3], s[52:53]
	s_cbranch_execnz .LBB126_234
.LBB126_218:                            ;   in Loop: Header=BB126_13 Depth=1
	s_or_b64 exec, exec, s[2:3]
	s_and_saveexec_b64 s[2:3], s[54:55]
	s_cbranch_execnz .LBB126_235
.LBB126_219:                            ;   in Loop: Header=BB126_13 Depth=1
	s_or_b64 exec, exec, s[2:3]
	s_and_saveexec_b64 s[2:3], s[56:57]
	s_cbranch_execnz .LBB126_236
.LBB126_220:                            ;   in Loop: Header=BB126_13 Depth=1
	s_or_b64 exec, exec, s[2:3]
	s_and_saveexec_b64 s[2:3], s[58:59]
	s_cbranch_execz .LBB126_12
	s_branch .LBB126_237
.LBB126_221:                            ;   in Loop: Header=BB126_13 Depth=1
	global_load_ushort v32, v[8:9], off offset:1664
	s_or_b64 exec, exec, s[2:3]
	s_and_saveexec_b64 s[2:3], s[56:57]
	s_cbranch_execz .LBB126_73
.LBB126_222:                            ;   in Loop: Header=BB126_13 Depth=1
	global_load_ushort v31, v[8:9], off offset:1792
	s_or_b64 exec, exec, s[2:3]
	v_mov_b32_e32 v33, 0
	s_and_saveexec_b64 s[2:3], s[58:59]
	s_cbranch_execnz .LBB126_74
	s_branch .LBB126_75
.LBB126_223:                            ;   in Loop: Header=BB126_13 Depth=1
	s_waitcnt lgkmcnt(14)
	global_store_short v[0:1], v16, off offset:128
	s_or_b64 exec, exec, s[2:3]
	s_and_saveexec_b64 s[2:3], s[30:31]
	s_cbranch_execz .LBB126_208
.LBB126_224:                            ;   in Loop: Header=BB126_13 Depth=1
	s_waitcnt lgkmcnt(13)
	global_store_short v[0:1], v15, off offset:256
	s_or_b64 exec, exec, s[2:3]
	s_and_saveexec_b64 s[2:3], s[34:35]
	s_cbranch_execz .LBB126_209
.LBB126_225:                            ;   in Loop: Header=BB126_13 Depth=1
	s_waitcnt lgkmcnt(12)
	global_store_short v[0:1], v14, off offset:384
	s_or_b64 exec, exec, s[2:3]
	s_and_saveexec_b64 s[2:3], s[36:37]
	s_cbranch_execz .LBB126_210
.LBB126_226:                            ;   in Loop: Header=BB126_13 Depth=1
	s_waitcnt lgkmcnt(11)
	global_store_short v[0:1], v13, off offset:512
	s_or_b64 exec, exec, s[2:3]
	s_and_saveexec_b64 s[2:3], s[38:39]
	s_cbranch_execz .LBB126_211
.LBB126_227:                            ;   in Loop: Header=BB126_13 Depth=1
	s_waitcnt lgkmcnt(10)
	global_store_short v[0:1], v12, off offset:640
	s_or_b64 exec, exec, s[2:3]
	s_and_saveexec_b64 s[2:3], s[40:41]
	s_cbranch_execz .LBB126_212
.LBB126_228:                            ;   in Loop: Header=BB126_13 Depth=1
	s_waitcnt lgkmcnt(9)
	global_store_short v[0:1], v11, off offset:768
	s_or_b64 exec, exec, s[2:3]
	s_and_saveexec_b64 s[2:3], s[42:43]
	s_cbranch_execz .LBB126_213
.LBB126_229:                            ;   in Loop: Header=BB126_13 Depth=1
	s_waitcnt lgkmcnt(8)
	global_store_short v[0:1], v10, off offset:896
	s_or_b64 exec, exec, s[2:3]
	s_and_saveexec_b64 s[2:3], s[44:45]
	s_cbranch_execz .LBB126_214
.LBB126_230:                            ;   in Loop: Header=BB126_13 Depth=1
	s_waitcnt lgkmcnt(7)
	global_store_short v[0:1], v9, off offset:1024
	s_or_b64 exec, exec, s[2:3]
	s_and_saveexec_b64 s[2:3], s[46:47]
	s_cbranch_execz .LBB126_215
.LBB126_231:                            ;   in Loop: Header=BB126_13 Depth=1
	s_waitcnt lgkmcnt(6)
	global_store_short v[0:1], v8, off offset:1152
	s_or_b64 exec, exec, s[2:3]
	s_and_saveexec_b64 s[2:3], s[48:49]
	s_cbranch_execz .LBB126_216
.LBB126_232:                            ;   in Loop: Header=BB126_13 Depth=1
	s_waitcnt lgkmcnt(5)
	global_store_short v[0:1], v7, off offset:1280
	s_or_b64 exec, exec, s[2:3]
	s_and_saveexec_b64 s[2:3], s[50:51]
	s_cbranch_execz .LBB126_217
.LBB126_233:                            ;   in Loop: Header=BB126_13 Depth=1
	s_waitcnt lgkmcnt(4)
	global_store_short v[0:1], v6, off offset:1408
	s_or_b64 exec, exec, s[2:3]
	s_and_saveexec_b64 s[2:3], s[52:53]
	s_cbranch_execz .LBB126_218
.LBB126_234:                            ;   in Loop: Header=BB126_13 Depth=1
	s_waitcnt lgkmcnt(3)
	global_store_short v[0:1], v5, off offset:1536
	s_or_b64 exec, exec, s[2:3]
	s_and_saveexec_b64 s[2:3], s[54:55]
	s_cbranch_execz .LBB126_219
.LBB126_235:                            ;   in Loop: Header=BB126_13 Depth=1
	s_waitcnt lgkmcnt(2)
	global_store_short v[0:1], v4, off offset:1664
	s_or_b64 exec, exec, s[2:3]
	s_and_saveexec_b64 s[2:3], s[56:57]
	s_cbranch_execz .LBB126_220
.LBB126_236:                            ;   in Loop: Header=BB126_13 Depth=1
	s_waitcnt lgkmcnt(1)
	global_store_short v[0:1], v3, off offset:1792
	s_or_b64 exec, exec, s[2:3]
	s_and_saveexec_b64 s[2:3], s[58:59]
	s_cbranch_execz .LBB126_12
.LBB126_237:                            ;   in Loop: Header=BB126_13 Depth=1
	s_waitcnt lgkmcnt(0)
	global_store_short v[0:1], v2, off offset:1920
	s_branch .LBB126_12
.LBB126_238:
	s_endpgm
	.section	.rodata,"a",@progbits
	.p2align	6, 0x0
	.amdhsa_kernel _Z25selective_scan_fwd_kernelI32Selective_Scan_fwd_kernel_traitsILi128ELi16ELi1ELb0ELb1ELb1ELb0ELb1EN3c104HalfEffEEv13SSMParamsBase
		.amdhsa_group_segment_fixed_size 0
		.amdhsa_private_segment_fixed_size 0
		.amdhsa_kernarg_size 248
		.amdhsa_user_sgpr_count 2
		.amdhsa_user_sgpr_dispatch_ptr 0
		.amdhsa_user_sgpr_queue_ptr 0
		.amdhsa_user_sgpr_kernarg_segment_ptr 1
		.amdhsa_user_sgpr_dispatch_id 0
		.amdhsa_user_sgpr_kernarg_preload_length 0
		.amdhsa_user_sgpr_kernarg_preload_offset 0
		.amdhsa_user_sgpr_private_segment_size 0
		.amdhsa_uses_dynamic_stack 0
		.amdhsa_enable_private_segment 0
		.amdhsa_system_sgpr_workgroup_id_x 1
		.amdhsa_system_sgpr_workgroup_id_y 1
		.amdhsa_system_sgpr_workgroup_id_z 0
		.amdhsa_system_sgpr_workgroup_info 0
		.amdhsa_system_vgpr_workitem_id 0
		.amdhsa_next_free_vgpr 168
		.amdhsa_next_free_sgpr 100
		.amdhsa_accum_offset 168
		.amdhsa_reserve_vcc 1
		.amdhsa_float_round_mode_32 0
		.amdhsa_float_round_mode_16_64 0
		.amdhsa_float_denorm_mode_32 3
		.amdhsa_float_denorm_mode_16_64 3
		.amdhsa_dx10_clamp 1
		.amdhsa_ieee_mode 1
		.amdhsa_fp16_overflow 0
		.amdhsa_tg_split 0
		.amdhsa_exception_fp_ieee_invalid_op 0
		.amdhsa_exception_fp_denorm_src 0
		.amdhsa_exception_fp_ieee_div_zero 0
		.amdhsa_exception_fp_ieee_overflow 0
		.amdhsa_exception_fp_ieee_underflow 0
		.amdhsa_exception_fp_ieee_inexact 0
		.amdhsa_exception_int_div_zero 0
	.end_amdhsa_kernel
	.section	.text._Z25selective_scan_fwd_kernelI32Selective_Scan_fwd_kernel_traitsILi128ELi16ELi1ELb0ELb1ELb1ELb0ELb1EN3c104HalfEffEEv13SSMParamsBase,"axG",@progbits,_Z25selective_scan_fwd_kernelI32Selective_Scan_fwd_kernel_traitsILi128ELi16ELi1ELb0ELb1ELb1ELb0ELb1EN3c104HalfEffEEv13SSMParamsBase,comdat
.Lfunc_end126:
	.size	_Z25selective_scan_fwd_kernelI32Selective_Scan_fwd_kernel_traitsILi128ELi16ELi1ELb0ELb1ELb1ELb0ELb1EN3c104HalfEffEEv13SSMParamsBase, .Lfunc_end126-_Z25selective_scan_fwd_kernelI32Selective_Scan_fwd_kernel_traitsILi128ELi16ELi1ELb0ELb1ELb1ELb0ELb1EN3c104HalfEffEEv13SSMParamsBase
                                        ; -- End function
	.section	.AMDGPU.csdata,"",@progbits
; Kernel info:
; codeLenInByte = 20940
; NumSgprs: 106
; NumVgprs: 168
; NumAgprs: 0
; TotalNumVgprs: 168
; ScratchSize: 0
; MemoryBound: 0
; FloatMode: 240
; IeeeMode: 1
; LDSByteSize: 0 bytes/workgroup (compile time only)
; SGPRBlocks: 13
; VGPRBlocks: 20
; NumSGPRsForWavesPerEU: 106
; NumVGPRsForWavesPerEU: 168
; AccumOffset: 168
; Occupancy: 3
; WaveLimiterHint : 1
; COMPUTE_PGM_RSRC2:SCRATCH_EN: 0
; COMPUTE_PGM_RSRC2:USER_SGPR: 2
; COMPUTE_PGM_RSRC2:TRAP_HANDLER: 0
; COMPUTE_PGM_RSRC2:TGID_X_EN: 1
; COMPUTE_PGM_RSRC2:TGID_Y_EN: 1
; COMPUTE_PGM_RSRC2:TGID_Z_EN: 0
; COMPUTE_PGM_RSRC2:TIDIG_COMP_CNT: 0
; COMPUTE_PGM_RSRC3_GFX90A:ACCUM_OFFSET: 41
; COMPUTE_PGM_RSRC3_GFX90A:TG_SPLIT: 0
	.section	.text._Z25selective_scan_fwd_kernelI32Selective_Scan_fwd_kernel_traitsILi128ELi16ELi1ELb0ELb1ELb1ELb0ELb0EN3c104HalfEffEEv13SSMParamsBase,"axG",@progbits,_Z25selective_scan_fwd_kernelI32Selective_Scan_fwd_kernel_traitsILi128ELi16ELi1ELb0ELb1ELb1ELb0ELb0EN3c104HalfEffEEv13SSMParamsBase,comdat
	.protected	_Z25selective_scan_fwd_kernelI32Selective_Scan_fwd_kernel_traitsILi128ELi16ELi1ELb0ELb1ELb1ELb0ELb0EN3c104HalfEffEEv13SSMParamsBase ; -- Begin function _Z25selective_scan_fwd_kernelI32Selective_Scan_fwd_kernel_traitsILi128ELi16ELi1ELb0ELb1ELb1ELb0ELb0EN3c104HalfEffEEv13SSMParamsBase
	.globl	_Z25selective_scan_fwd_kernelI32Selective_Scan_fwd_kernel_traitsILi128ELi16ELi1ELb0ELb1ELb1ELb0ELb0EN3c104HalfEffEEv13SSMParamsBase
	.p2align	8
	.type	_Z25selective_scan_fwd_kernelI32Selective_Scan_fwd_kernel_traitsILi128ELi16ELi1ELb0ELb1ELb1ELb0ELb0EN3c104HalfEffEEv13SSMParamsBase,@function
_Z25selective_scan_fwd_kernelI32Selective_Scan_fwd_kernel_traitsILi128ELi16ELi1ELb0ELb1ELb1ELb0ELb0EN3c104HalfEffEEv13SSMParamsBase: ; @_Z25selective_scan_fwd_kernelI32Selective_Scan_fwd_kernel_traitsILi128ELi16ELi1ELb0ELb1ELb1ELb0ELb0EN3c104HalfEffEEv13SSMParamsBase
; %bb.0:
	s_load_dword s29, s[0:1], 0x18
	s_load_dwordx4 s[4:7], s[0:1], 0xe8
	s_mov_b32 s24, s3
                                        ; implicit-def: $vgpr167 : SGPR spill to VGPR lane
	s_waitcnt lgkmcnt(0)
	s_abs_i32 s28, s29
	v_cvt_f32_u32_e32 v1, s28
	s_cmp_eq_u64 s[6:7], 0
	v_rcp_iflag_f32_e32 v1, v1
	s_nop 0
	v_mul_f32_e32 v1, 0x4f7ffffe, v1
	v_cvt_u32_f32_e32 v1, v1
	s_nop 0
	v_readfirstlane_b32 s30, v1
	s_cbranch_scc1 .LBB127_2
; %bb.1:
	s_ashr_i32 s3, s2, 31
	s_add_u32 s6, s6, s2
	s_addc_u32 s7, s7, s3
	v_mov_b32_e32 v1, 0
	global_load_ubyte v1, v1, s[6:7]
	s_waitcnt vmcnt(0)
	v_and_b32_e32 v1, 1, v1
	v_cmp_eq_u32_e64 s[6:7], 1, v1
	s_branch .LBB127_3
.LBB127_2:
	s_mov_b64 s[6:7], 0
.LBB127_3:
	s_nop 0
	v_writelane_b32 v167, s6, 0
	s_cmp_eq_u64 s[4:5], 0
	s_nop 0
	v_writelane_b32 v167, s7, 1
	s_load_dwordx2 s[6:7], s[0:1], 0x20
	s_cbranch_scc1 .LBB127_5
; %bb.4:
	s_ashr_i32 s3, s2, 31
	s_lshl_b64 s[8:9], s[2:3], 2
	s_add_u32 s4, s4, s8
	s_addc_u32 s5, s5, s9
	s_load_dword s26, s[4:5], 0x0
	s_waitcnt lgkmcnt(0)
	s_ashr_i32 s27, s26, 31
	s_cmp_eq_u64 s[6:7], s[26:27]
	s_cbranch_scc0 .LBB127_6
	s_branch .LBB127_238
.LBB127_5:
	s_mov_b32 s26, s2
	s_ashr_i32 s27, s26, 31
	s_waitcnt lgkmcnt(0)
	s_cmp_eq_u64 s[6:7], s[26:27]
	s_cbranch_scc1 .LBB127_238
.LBB127_6:
	s_load_dwordx16 s[36:51], s[0:1], 0x88
	s_load_dwordx2 s[34:35], s[0:1], 0x8
	s_mov_b32 s3, 0
	v_writelane_b32 v167, s3, 2
	v_writelane_b32 v167, s3, 3
	s_waitcnt lgkmcnt(0)
	s_cmp_eq_u64 s[42:43], 0
	s_cbranch_scc1 .LBB127_8
; %bb.7:
	s_ashr_i32 s25, s24, 31
	s_lshl_b64 s[4:5], s[24:25], 2
	s_add_u32 s4, s42, s4
	s_addc_u32 s5, s43, s5
	s_load_dword s3, s[4:5], 0x0
	s_waitcnt lgkmcnt(0)
	v_writelane_b32 v167, s3, 3
.LBB127_8:
	s_cmp_eq_u64 s[48:49], 0
	s_cbranch_scc1 .LBB127_10
; %bb.9:
	s_ashr_i32 s25, s24, 31
	s_lshl_b64 s[4:5], s[24:25], 2
	s_add_u32 s4, s48, s4
	s_addc_u32 s5, s49, s5
	s_load_dword s3, s[4:5], 0x0
	s_waitcnt lgkmcnt(0)
	v_writelane_b32 v167, s3, 2
.LBB127_10:
	s_cmp_lt_i32 s34, 1
	s_cbranch_scc1 .LBB127_238
; %bb.11:
	s_sub_i32 s3, 0, s28
	s_mul_i32 s3, s3, s30
	s_mul_hi_u32 s3, s30, s3
	s_abs_i32 s6, s24
	s_add_i32 s30, s30, s3
	s_load_dwordx8 s[52:59], s[0:1], 0x2c
	s_load_dwordx2 s[14:15], s[0:1], 0x5c
	s_load_dwordx4 s[60:63], s[0:1], 0x4c
	s_load_dwordx4 s[64:67], s[0:1], 0x7c
	s_load_dwordx2 s[4:5], s[0:1], 0x6c
	s_load_dwordx2 s[20:21], s[0:1], 0xc8
	s_mul_hi_u32 s3, s6, s30
	s_load_dword s25, s[0:1], 0x28
	s_ashr_i32 s0, s24, 31
	s_ashr_i32 s1, s29, 31
	s_xor_b32 s0, s0, s1
	s_mul_i32 s1, s3, s28
	s_sub_i32 s1, s6, s1
	s_add_i32 s6, s3, 1
	s_sub_i32 s7, s1, s28
	s_cmp_ge_u32 s1, s28
	s_cselect_b32 s3, s6, s3
	s_cselect_b32 s1, s7, s1
	s_add_i32 s6, s3, 1
	s_cmp_ge_u32 s1, s28
	s_cselect_b32 s1, s6, s3
	s_xor_b32 s1, s1, s0
	s_waitcnt lgkmcnt(0)
	s_mul_i32 s6, s62, s2
	s_mov_b32 s7, 0
	s_sub_i32 s3, s1, s0
	s_lshl_b64 s[0:1], s[6:7], 1
	s_add_u32 s16, s44, s0
	s_mul_i32 s6, s63, s24
	s_addc_u32 s17, s45, s1
	s_lshl_b64 s[0:1], s[6:7], 1
	s_add_u32 s10, s16, s0
	s_mul_i32 s6, s14, s2
	s_addc_u32 s11, s17, s1
	s_lshl_b64 s[0:1], s[6:7], 1
	s_add_u32 s14, s46, s0
	s_mul_i32 s6, s15, s24
	s_addc_u32 s16, s47, s1
	s_lshl_b64 s[0:1], s[6:7], 1
	s_add_u32 s0, s14, s0
	s_addc_u32 s1, s16, s1
	v_writelane_b32 v167, s0, 4
	s_mul_i32 s6, s52, s24
	v_mbcnt_lo_u32_b32 v1, -1, 0
	v_writelane_b32 v167, s1, 5
	s_lshl_b64 s[0:1], s[6:7], 2
	s_add_u32 s0, s36, s0
	v_writelane_b32 v167, s0, 6
	s_addc_u32 s0, s37, s1
	s_mul_i32 s6, s54, s2
	v_writelane_b32 v167, s0, 7
	s_lshl_b64 s[0:1], s[6:7], 1
	s_add_u32 s8, s38, s0
	s_mul_i32 s6, s3, s57
	s_addc_u32 s9, s39, s1
	s_lshl_b64 s[0:1], s[6:7], 1
	s_add_u32 s0, s8, s0
	s_addc_u32 s1, s9, s1
	v_writelane_b32 v167, s0, 8
	v_lshlrev_b32_e32 v19, 4, v0
	v_mbcnt_hi_u32_b32 v18, -1, v1
	v_writelane_b32 v167, s1, 9
	v_writelane_b32 v167, s52, 10
	s_mul_i32 s6, s58, s2
	s_lshl_b64 s[0:1], s[6:7], 1
	v_writelane_b32 v167, s53, 11
	v_writelane_b32 v167, s54, 12
	;; [unrolled: 1-line block ×7, first 2 shown]
	s_add_u32 s8, s40, s0
	v_writelane_b32 v167, s60, 18
	s_mul_i32 s6, s3, s61
	s_addc_u32 s9, s41, s1
	v_writelane_b32 v167, s61, 19
	s_lshl_b64 s[0:1], s[6:7], 1
	v_writelane_b32 v167, s62, 20
	s_add_u32 s0, s8, s0
	v_writelane_b32 v167, s63, 21
	s_addc_u32 s1, s9, s1
	v_writelane_b32 v167, s0, 22
	s_mul_i32 s6, s26, s64
	v_and_b32_e32 v2, 0x400, v19
	v_writelane_b32 v167, s1, 23
	s_lshl_b64 s[0:1], s[6:7], 2
	v_writelane_b32 v167, s64, 24
	s_add_u32 s3, s20, s0
	s_mul_i32 s6, s65, s24
	v_writelane_b32 v167, s65, 25
	s_addc_u32 s8, s21, s1
	v_writelane_b32 v167, s66, 26
	s_lshl_b64 s[0:1], s[6:7], 2
	v_writelane_b32 v167, s67, 27
	s_add_u32 s0, s3, s0
	v_writelane_b32 v167, s0, 28
	s_addc_u32 s0, s8, s1
	v_writelane_b32 v167, s0, 29
	s_add_i32 s0, s34, 0x7ff
	s_lshr_b32 s1, s0, 11
	s_bitcmp1_b32 s25, 0
	v_or_b32_e32 v68, v18, v2
	s_cselect_b64 s[8:9], -1, 0
	v_lshrrev_b32_e32 v1, 5, v68
	v_writelane_b32 v167, s8, 30
	s_cmp_gt_i32 s35, 0
	v_and_b32_e32 v1, 34, v1
	v_and_b32_e32 v20, 64, v0
	v_writelane_b32 v167, s9, 31
	s_cselect_b64 s[8:9], -1, 0
	v_add_u32_e32 v69, 64, v68
	v_or_b32_e32 v70, 0x80, v68
	v_add_u32_e32 v71, 0xc0, v68
	v_or_b32_e32 v72, 0x100, v68
	;; [unrolled: 2-line block ×7, first 2 shown]
	v_add_u32_e32 v83, 0x3c0, v68
	v_add_u32_e32 v1, v1, v68
	v_add_u16_e32 v22, v18, v20
	v_writelane_b32 v167, s8, 32
	v_lshl_add_u32 v84, v1, 1, 0
	v_lshrrev_b32_e32 v1, 5, v69
	v_lshrrev_b32_e32 v3, 5, v70
	;; [unrolled: 1-line block ×15, first 2 shown]
	v_lshrrev_b16_e32 v22, 1, v22
	v_writelane_b32 v167, s9, 33
	v_and_b32_e32 v1, 38, v1
	v_and_b32_e32 v3, 38, v3
	;; [unrolled: 1-line block ×15, first 2 shown]
	v_add_lshl_u32 v21, v18, v20, 4
	v_and_b32_e32 v22, 0x7e, v22
	v_writelane_b32 v167, s34, 34
	v_add_lshl_u32 v1, v1, v68, 1
	v_add_lshl_u32 v3, v3, v68, 1
	;; [unrolled: 1-line block ×16, first 2 shown]
	s_add_i32 s0, 0, 0x1080
	v_writelane_b32 v167, s35, 35
	v_add_u32_e32 v101, s0, v1
	v_add_u32_e32 v102, s0, v3
	;; [unrolled: 1-line block ×16, first 2 shown]
	v_writelane_b32 v167, s1, 36
	s_add_i32 s0, s1, -1
	s_mul_i32 s6, s4, s2
	s_and_b32 s8, s34, 0x7ff
	v_writelane_b32 v167, s0, 37
	s_lshl_b64 s[0:1], s[6:7], 1
	s_add_u32 s2, s50, s0
	s_mul_i32 s6, s5, s24
	s_addc_u32 s3, s51, s1
	s_lshl_b64 s[0:1], s[6:7], 1
	s_add_u32 s2, s2, s0
	s_addc_u32 s3, s3, s1
	s_cmp_eq_u32 s8, 0
	s_cselect_b64 s[0:1], -1, 0
	v_add_u32_e32 v85, 0, v1
	v_writelane_b32 v167, s0, 38
	v_and_b32_e32 v1, 15, v18
	v_cmp_lt_u32_e64 s[4:5], 1, v1
	v_writelane_b32 v167, s1, 39
	v_cmp_eq_u32_e64 s[0:1], 0, v1
	v_writelane_b32 v167, s4, 40
	v_add_u32_e32 v86, 0, v3
	v_and_b32_e32 v3, 64, v18
	v_writelane_b32 v167, s5, 41
	v_cmp_lt_u32_e64 s[4:5], 3, v1
	v_mov_b32_e32 v17, 0
	v_add_u32_e32 v99, 0, v16
	v_writelane_b32 v167, s4, 42
	v_lshlrev_b32_e32 v16, 1, v18
	v_lshl_add_u32 v118, v0, 3, 0
	v_writelane_b32 v167, s5, 43
	v_cmp_lt_u32_e64 s[4:5], 7, v1
	v_and_b32_e32 v1, 16, v18
	v_cmp_lt_u32_e64 s[20:21], 63, v0
	v_writelane_b32 v167, s4, 44
	v_cmp_eq_u32_e64 s[22:23], 0, v0
	v_add_u32_e32 v87, 0, v4
	v_writelane_b32 v167, s5, 45
	v_cmp_ne_u32_e64 s[4:5], 0, v1
	v_or_b32_e32 v1, 63, v20
	v_add_u32_e32 v88, 0, v5
	v_writelane_b32 v167, s4, 46
	v_add_u32_e32 v89, 0, v6
	v_add_u32_e32 v90, 0, v7
	v_writelane_b32 v167, s5, 47
	v_cmp_lt_u32_e64 s[4:5], 31, v18
	v_add_u32_e32 v91, 0, v8
	v_add_u32_e32 v92, 0, v9
	v_writelane_b32 v167, s4, 48
	v_add_u32_e32 v93, 0, v10
	v_add_u32_e32 v94, 0, v11
	v_writelane_b32 v167, s5, 49
	v_cmp_eq_u32_e64 s[4:5], v1, v0
	v_lshrrev_b32_e32 v1, 3, v0
	v_and_b32_e32 v1, 8, v1
	v_writelane_b32 v167, s4, 50
	v_add_u32_e32 v117, 0, v1
	v_and_b32_e32 v1, 1, v18
	v_writelane_b32 v167, s5, 51
	v_cmp_gt_u32_e64 s[4:5], 2, v0
	v_add_u32_e32 v95, 0, v12
	v_add_u32_e32 v96, 0, v13
	v_writelane_b32 v167, s4, 52
	v_add_u32_e32 v97, 0, v14
	v_add_u32_e32 v98, 0, v15
	v_writelane_b32 v167, s5, 53
	v_cmp_eq_u32_e64 s[4:5], 0, v1
	v_add_u32_e32 v1, -1, v18
	v_cmp_lt_i32_e32 vcc, v1, v3
	v_writelane_b32 v167, s4, 54
	v_add_u32_e32 v100, 0, v21
	v_cndmask_b32_e32 v1, v1, v18, vcc
	v_writelane_b32 v167, s5, 55
	v_cmp_gt_u32_e64 s[4:5], 64, v0
	v_lshlrev_b32_e32 v119, 2, v1
	v_lshl_add_u64 v[0:1], s[2:3], 0, v[16:17]
	v_writelane_b32 v167, s4, 56
	v_lshlrev_b32_e32 v16, 1, v2
	s_add_i32 s2, 0, 0x2110
	v_writelane_b32 v167, s5, 57
	v_cmp_eq_u32_e64 s[24:25], 0, v18
	v_lshl_add_u64 v[20:21], v[0:1], 0, v[16:17]
	v_lshlrev_b32_e32 v22, 1, v2
	s_mov_b32 s6, 0x41a00000
	s_mov_b32 s8, 0x3fb8aa3b
	;; [unrolled: 1-line block ×8, first 2 shown]
	v_writelane_b32 v167, s2, 58
	s_mov_b32 s33, 0xc2fc0000
	s_mov_b32 s3, 0
	v_or_b32_e32 v134, 15, v19
	v_mov_b32_e32 v135, 0x3ecc95a3
	v_mov_b32_e32 v136, 0x7f800000
	;; [unrolled: 1-line block ×5, first 2 shown]
                                        ; implicit-def: $vgpr0
	s_branch .LBB127_13
.LBB127_12:                             ;   in Loop: Header=BB127_13 Depth=1
	s_or_b64 exec, exec, s[2:3]
	v_readlane_b32 s2, v167, 4
	v_readlane_b32 s3, v167, 5
	s_add_u32 s2, s2, 0x1000
	s_addc_u32 s3, s3, 0
	v_writelane_b32 v167, s2, 4
	s_add_u32 s10, s10, 0x1000
	s_addc_u32 s11, s11, 0
	v_writelane_b32 v167, s3, 5
	s_nop 0
	v_readlane_b32 s2, v167, 8
	v_readlane_b32 s3, v167, 9
	s_add_u32 s2, s2, 0x1000
	s_addc_u32 s3, s3, 0
	v_writelane_b32 v167, s2, 8
	s_nop 1
	v_writelane_b32 v167, s3, 9
	s_nop 0
	v_readlane_b32 s2, v167, 22
	v_readlane_b32 s3, v167, 23
	s_add_u32 s2, s2, 0x1000
	s_addc_u32 s3, s3, 0
	v_writelane_b32 v167, s2, 22
	s_nop 1
	v_writelane_b32 v167, s3, 23
	s_nop 0
	v_readlane_b32 s3, v167, 59
	s_add_i32 s3, s3, 1
	v_readlane_b32 s2, v167, 36
	s_cmp_eq_u32 s3, s2
	s_cbranch_scc1 .LBB127_238
.LBB127_13:                             ; =>This Loop Header: Depth=1
                                        ;     Child Loop BB127_110 Depth 2
	v_writelane_b32 v167, s3, 59
	s_lshl_b32 s18, s3, 11
	v_readlane_b32 s2, v167, 34
	s_mov_b32 s4, s18
	v_readlane_b32 s3, v167, 35
	v_writelane_b32 v167, s4, 60
	s_waitcnt lgkmcnt(14)
	v_lshlrev_b32_e32 v16, 1, v18
	s_sub_i32 s88, s2, s18
	v_writelane_b32 v167, s5, 61
	v_writelane_b32 v167, s10, 62
	v_mov_b32_e32 v23, v17
	v_cmp_gt_u32_e64 s[26:27], s88, v68
	v_lshl_add_u64 v[0:1], s[10:11], 0, v[16:17]
	v_writelane_b32 v167, s11, 63
	v_lshl_add_u64 v[0:1], v[0:1], 0, v[22:23]
	s_waitcnt lgkmcnt(0)
	v_mov_b32_e32 v2, 0
	s_barrier
	s_and_saveexec_b64 s[2:3], s[26:27]
	s_cbranch_execz .LBB127_15
; %bb.14:                               ;   in Loop: Header=BB127_13 Depth=1
	global_load_ushort v2, v[0:1], off
.LBB127_15:                             ;   in Loop: Header=BB127_13 Depth=1
	s_or_b64 exec, exec, s[2:3]
	v_cmp_gt_u32_e64 s[28:29], s88, v69
	v_mov_b32_e32 v3, 0
	v_mov_b32_e32 v4, 0
	s_and_saveexec_b64 s[2:3], s[28:29]
	s_cbranch_execz .LBB127_17
; %bb.16:                               ;   in Loop: Header=BB127_13 Depth=1
	global_load_ushort v4, v[0:1], off offset:128
.LBB127_17:                             ;   in Loop: Header=BB127_13 Depth=1
	s_or_b64 exec, exec, s[2:3]
	v_cmp_gt_u32_e64 s[30:31], s88, v70
	s_and_saveexec_b64 s[2:3], s[30:31]
	s_cbranch_execz .LBB127_19
; %bb.18:                               ;   in Loop: Header=BB127_13 Depth=1
	global_load_ushort v3, v[0:1], off offset:256
.LBB127_19:                             ;   in Loop: Header=BB127_13 Depth=1
	s_or_b64 exec, exec, s[2:3]
	v_cmp_gt_u32_e64 s[34:35], s88, v71
	v_mov_b32_e32 v5, 0
	v_mov_b32_e32 v6, 0
	s_and_saveexec_b64 s[2:3], s[34:35]
	s_cbranch_execz .LBB127_21
; %bb.20:                               ;   in Loop: Header=BB127_13 Depth=1
	global_load_ushort v6, v[0:1], off offset:384
.LBB127_21:                             ;   in Loop: Header=BB127_13 Depth=1
	s_or_b64 exec, exec, s[2:3]
	v_cmp_gt_u32_e64 s[36:37], s88, v72
	s_and_saveexec_b64 s[2:3], s[36:37]
	s_cbranch_execz .LBB127_23
; %bb.22:                               ;   in Loop: Header=BB127_13 Depth=1
	global_load_ushort v5, v[0:1], off offset:512
.LBB127_23:                             ;   in Loop: Header=BB127_13 Depth=1
	;; [unrolled: 16-line block ×7, first 2 shown]
	s_or_b64 exec, exec, s[2:3]
	v_cmp_gt_u32_e64 s[58:59], s88, v83
	v_mov_b32_e32 v10, 0
	v_mov_b32_e32 v26, 0
	s_and_saveexec_b64 s[2:3], s[58:59]
	s_cbranch_execz .LBB127_45
; %bb.44:                               ;   in Loop: Header=BB127_13 Depth=1
	global_load_ushort v26, v[0:1], off offset:1920
.LBB127_45:                             ;   in Loop: Header=BB127_13 Depth=1
	s_or_b64 exec, exec, s[2:3]
	s_waitcnt vmcnt(0)
	ds_write_b16 v84, v2
	ds_write_b16 v85, v4 offset:128
	ds_write_b16 v86, v3 offset:256
	;; [unrolled: 1-line block ×15, first 2 shown]
	; wave barrier
	ds_read_b128 v[0:3], v100
	ds_read_b128 v[4:7], v100 offset:16
	v_readlane_b32 s2, v167, 4
	v_readlane_b32 s3, v167, 5
	v_mov_b32_e32 v23, v17
	s_waitcnt lgkmcnt(0)
	v_lshl_add_u64 v[8:9], s[2:3], 0, v[16:17]
	v_lshl_add_u64 v[8:9], v[8:9], 0, v[22:23]
	s_barrier
	s_and_saveexec_b64 s[2:3], s[26:27]
	s_cbranch_execz .LBB127_47
; %bb.46:                               ;   in Loop: Header=BB127_13 Depth=1
	global_load_ushort v10, v[8:9], off
.LBB127_47:                             ;   in Loop: Header=BB127_13 Depth=1
	s_or_b64 exec, exec, s[2:3]
	v_mov_b32_e32 v11, 0
	v_mov_b32_e32 v12, 0
	s_and_saveexec_b64 s[2:3], s[28:29]
	s_cbranch_execz .LBB127_49
; %bb.48:                               ;   in Loop: Header=BB127_13 Depth=1
	global_load_ushort v12, v[8:9], off offset:128
.LBB127_49:                             ;   in Loop: Header=BB127_13 Depth=1
	s_or_b64 exec, exec, s[2:3]
	s_and_saveexec_b64 s[2:3], s[30:31]
	s_cbranch_execz .LBB127_51
; %bb.50:                               ;   in Loop: Header=BB127_13 Depth=1
	global_load_ushort v11, v[8:9], off offset:256
.LBB127_51:                             ;   in Loop: Header=BB127_13 Depth=1
	s_or_b64 exec, exec, s[2:3]
	v_mov_b32_e32 v13, 0
	v_mov_b32_e32 v14, 0
	s_and_saveexec_b64 s[2:3], s[34:35]
	s_cbranch_execz .LBB127_53
; %bb.52:                               ;   in Loop: Header=BB127_13 Depth=1
	global_load_ushort v14, v[8:9], off offset:384
.LBB127_53:                             ;   in Loop: Header=BB127_13 Depth=1
	s_or_b64 exec, exec, s[2:3]
	s_and_saveexec_b64 s[2:3], s[36:37]
	s_cbranch_execz .LBB127_55
; %bb.54:                               ;   in Loop: Header=BB127_13 Depth=1
	global_load_ushort v13, v[8:9], off offset:512
.LBB127_55:                             ;   in Loop: Header=BB127_13 Depth=1
	;; [unrolled: 14-line block ×6, first 2 shown]
	s_or_b64 exec, exec, s[2:3]
	v_mov_b32_e32 v31, 0
	v_mov_b32_e32 v32, 0
	s_and_saveexec_b64 s[2:3], s[54:55]
	s_cbranch_execnz .LBB127_221
; %bb.72:                               ;   in Loop: Header=BB127_13 Depth=1
	s_or_b64 exec, exec, s[2:3]
	s_and_saveexec_b64 s[2:3], s[56:57]
	s_cbranch_execnz .LBB127_222
.LBB127_73:                             ;   in Loop: Header=BB127_13 Depth=1
	s_or_b64 exec, exec, s[2:3]
	v_mov_b32_e32 v33, 0
	s_and_saveexec_b64 s[2:3], s[58:59]
	s_cbranch_execz .LBB127_75
.LBB127_74:                             ;   in Loop: Header=BB127_13 Depth=1
	global_load_ushort v33, v[8:9], off offset:1920
.LBB127_75:                             ;   in Loop: Header=BB127_13 Depth=1
	s_or_b64 exec, exec, s[2:3]
	s_waitcnt vmcnt(0)
	ds_write_b16 v84, v10
	ds_write_b16 v85, v12 offset:128
	ds_write_b16 v86, v11 offset:256
	;; [unrolled: 1-line block ×15, first 2 shown]
	; wave barrier
	ds_read_b128 v[12:15], v100
	ds_read_b128 v[8:11], v100 offset:16
	v_readlane_b32 s2, v167, 2
	s_waitcnt lgkmcnt(1)
	v_cvt_f32_f16_e32 v23, v12
	v_add_f32_e32 v139, s2, v23
	v_readlane_b32 s2, v167, 30
	v_cmp_ge_f32_e32 vcc, s6, v139
	v_readlane_b32 s3, v167, 31
	s_and_b64 s[2:3], s[2:3], vcc
	s_and_saveexec_b64 s[4:5], s[2:3]
	s_cbranch_execz .LBB127_77
; %bb.76:                               ;   in Loop: Header=BB127_13 Depth=1
	v_mul_f32_e32 v23, 0x3fb8aa3b, v139
	v_rndne_f32_e32 v25, v23
	v_sub_f32_e32 v26, v23, v25
	v_fma_f32 v23, v139, s8, -v23
	v_fmac_f32_e32 v23, 0x32a5705f, v139
	v_add_f32_e32 v23, v26, v23
	v_cvt_i32_f32_e32 v25, v25
	v_exp_f32_e32 v23, v23
	v_cmp_ngt_f32_e32 vcc, s9, v139
	v_ldexp_f32 v23, v23, v25
	s_nop 0
	v_cndmask_b32_e32 v23, 0, v23, vcc
	v_cmp_nlt_f32_e32 vcc, s12, v139
	s_nop 1
	v_cndmask_b32_e32 v42, v136, v23, vcc
	v_add_f32_e32 v23, 1.0, v42
	v_add_f32_e32 v25, -1.0, v23
	v_sub_f32_e32 v26, v25, v23
	v_add_f32_e32 v26, 1.0, v26
	v_sub_f32_e32 v25, v42, v25
	v_add_f32_e32 v25, v25, v26
	v_frexp_mant_f32_e32 v28, v23
	v_cvt_f64_f32_e32 v[26:27], v23
	v_frexp_exp_i32_f64_e32 v26, v[26:27]
	v_cmp_gt_f32_e32 vcc, s14, v28
	v_cmp_gt_f32_e64 s[60:61], s16, v42
	s_nop 0
	v_subbrev_co_u32_e32 v34, vcc, 0, v26, vcc
	v_sub_u32_e32 v26, 0, v34
	v_ldexp_f32 v23, v23, v26
	v_ldexp_f32 v25, v25, v26
	v_add_f32_e32 v26, -1.0, v23
	v_add_f32_e32 v27, 1.0, v26
	v_sub_f32_e32 v27, v23, v27
	v_add_f32_e32 v28, v25, v27
	v_add_f32_e32 v27, 1.0, v23
	v_add_f32_e32 v29, -1.0, v27
	v_sub_f32_e32 v23, v23, v29
	v_add_f32_e32 v23, v25, v23
	v_add_f32_e32 v25, v27, v23
	v_rcp_f32_e32 v35, v25
	v_sub_f32_e32 v27, v27, v25
	v_add_f32_e32 v23, v23, v27
	v_add_f32_e32 v27, v26, v28
	v_sub_f32_e32 v26, v26, v27
	v_mul_f32_e32 v37, v27, v35
	v_add_f32_e32 v36, v28, v26
	v_mul_f32_e32 v28, v25, v37
	v_fma_f32 v30, v37, v25, -v28
	v_fmac_f32_e32 v30, v37, v23
	v_add_f32_e32 v26, v28, v30
	v_sub_f32_e32 v29, v27, v26
	v_pk_add_f32 v[32:33], v[26:27], v[28:29] neg_lo:[0,1] neg_hi:[0,1]
	v_mov_b32_e32 v31, v26
	v_pk_add_f32 v[26:27], v[32:33], v[30:31] neg_lo:[0,1] neg_hi:[0,1]
	v_cmp_eq_f32_e32 vcc, s13, v42
	v_add_f32_e32 v27, v36, v27
	v_add_f32_e32 v26, v26, v27
	;; [unrolled: 1-line block ×3, first 2 shown]
	v_mul_f32_e32 v36, v35, v27
	v_mul_f32_e32 v28, v25, v36
	v_fma_f32 v30, v36, v25, -v28
	v_fmac_f32_e32 v30, v36, v23
	v_sub_f32_e32 v23, v29, v27
	v_add_f32_e32 v23, v26, v23
	v_add_f32_e32 v26, v28, v30
	v_sub_f32_e32 v29, v27, v26
	v_pk_add_f32 v[32:33], v[26:27], v[28:29] neg_lo:[0,1] neg_hi:[0,1]
	v_mov_b32_e32 v31, v26
	v_pk_add_f32 v[26:27], v[32:33], v[30:31] neg_lo:[0,1] neg_hi:[0,1]
	s_or_b64 vcc, s[60:61], vcc
	v_add_f32_e32 v23, v23, v27
	v_add_f32_e32 v23, v26, v23
	v_add_f32_e32 v27, v37, v36
	v_add_f32_e32 v23, v29, v23
	v_sub_f32_e32 v25, v27, v37
	v_mul_f32_e32 v23, v35, v23
	v_sub_f32_e32 v25, v36, v25
	v_add_f32_e32 v23, v25, v23
	v_add_f32_e32 v28, v27, v23
	v_cvt_f32_i32_e32 v26, v34
	v_mul_f32_e32 v30, v28, v28
	v_fmamk_f32 v25, v30, 0x3e9b6dac, v135
	v_sub_f32_e32 v27, v28, v27
	v_fmaak_f32 v25, v30, v25, 0x3f2aaada
	v_sub_f32_e32 v23, v23, v27
	v_mul_f32_e32 v27, v28, v30
	v_pk_mul_f32 v[30:31], v[26:27], v[24:25]
	v_ldexp_f32 v29, v28, 1
	v_fma_f32 v28, v26, s15, -v30
	v_fmac_f32_e32 v28, 0xb102e308, v26
	v_pk_add_f32 v[26:27], v[30:31], v[28:29]
	v_ldexp_f32 v23, v23, 1
	v_sub_f32_e32 v25, v27, v29
	v_sub_f32_e32 v25, v31, v25
	v_add_f32_e32 v33, v23, v25
	v_mov_b32_e32 v32, v30
	v_pk_add_f32 v[30:31], v[26:27], v[30:31] neg_lo:[0,1] neg_hi:[0,1]
	v_pk_add_f32 v[34:35], v[26:27], v[32:33]
	v_mov_b32_e32 v29, v26
	v_mov_b32_e32 v31, v35
	v_pk_add_f32 v[36:37], v[28:29], v[30:31] neg_lo:[0,1] neg_hi:[0,1]
	v_pk_add_f32 v[28:29], v[28:29], v[30:31]
	v_mov_b32_e32 v32, v33
	v_mov_b32_e32 v30, v29
	v_pk_add_f32 v[38:39], v[30:31], v[26:27] neg_lo:[0,1] neg_hi:[0,1]
	v_mov_b32_e32 v28, v35
	v_mov_b32_e32 v23, v38
	v_pk_add_f32 v[40:41], v[34:35], v[22:23] neg_lo:[0,1] neg_hi:[0,1]
	v_mov_b32_e32 v34, v27
	v_mov_b32_e32 v35, v38
	;; [unrolled: 1-line block ×3, first 2 shown]
	v_pk_add_f32 v[28:29], v[28:29], v[34:35] neg_lo:[0,1] neg_hi:[0,1]
	v_mov_b32_e32 v33, v26
	v_pk_add_f32 v[26:27], v[32:33], v[28:29] neg_lo:[0,1] neg_hi:[0,1]
	v_mov_b32_e32 v40, v36
	v_pk_add_f32 v[28:29], v[40:41], v[26:27]
	s_nop 0
	v_mov_b32_e32 v32, v29
	v_pk_add_f32 v[32:33], v[28:29], v[32:33]
	s_nop 0
	v_pk_add_f32 v[30:31], v[30:31], v[32:33]
	v_mov_b32_e32 v27, v32
	v_mov_b32_e32 v29, v30
	v_pk_add_f32 v[34:35], v[28:29], v[36:37] neg_lo:[0,1] neg_hi:[0,1]
	s_nop 0
	v_sub_f32_e32 v23, v28, v34
	v_pk_add_f32 v[26:27], v[26:27], v[34:35] neg_lo:[0,1] neg_hi:[0,1]
	v_sub_f32_e32 v23, v36, v23
	v_add_f32_e32 v23, v26, v23
	v_add_f32_e32 v23, v23, v27
	;; [unrolled: 1-line block ×3, first 2 shown]
	v_cndmask_b32_e32 v139, v23, v42, vcc
.LBB127_77:                             ;   in Loop: Header=BB127_13 Depth=1
	s_or_b64 exec, exec, s[4:5]
	v_cvt_f32_f16_sdwa v12, v12 dst_sel:DWORD dst_unused:UNUSED_PAD src0_sel:WORD_1
	v_readlane_b32 s2, v167, 2
	s_nop 1
	v_add_f32_e32 v140, s2, v12
	v_readlane_b32 s2, v167, 30
	v_cmp_ge_f32_e32 vcc, s6, v140
	v_readlane_b32 s3, v167, 31
	s_and_b64 s[2:3], s[2:3], vcc
	s_and_saveexec_b64 s[4:5], s[2:3]
	s_cbranch_execz .LBB127_79
; %bb.78:                               ;   in Loop: Header=BB127_13 Depth=1
	v_mul_f32_e32 v12, 0x3fb8aa3b, v140
	v_rndne_f32_e32 v23, v12
	v_sub_f32_e32 v25, v12, v23
	v_fma_f32 v12, v140, s8, -v12
	v_fmac_f32_e32 v12, 0x32a5705f, v140
	v_add_f32_e32 v12, v25, v12
	v_cvt_i32_f32_e32 v23, v23
	v_exp_f32_e32 v12, v12
	v_cmp_ngt_f32_e32 vcc, s9, v140
	v_ldexp_f32 v12, v12, v23
	s_nop 0
	v_cndmask_b32_e32 v12, 0, v12, vcc
	v_cmp_nlt_f32_e32 vcc, s12, v140
	s_nop 1
	v_cndmask_b32_e32 v40, v136, v12, vcc
	v_add_f32_e32 v12, 1.0, v40
	v_add_f32_e32 v23, -1.0, v12
	v_sub_f32_e32 v25, v23, v12
	v_add_f32_e32 v25, 1.0, v25
	v_sub_f32_e32 v23, v40, v23
	v_add_f32_e32 v23, v23, v25
	v_frexp_mant_f32_e32 v25, v12
	v_cvt_f64_f32_e32 v[26:27], v12
	v_frexp_exp_i32_f64_e32 v26, v[26:27]
	v_cmp_gt_f32_e32 vcc, s14, v25
	v_cmp_gt_f32_e64 s[60:61], s16, v40
	s_nop 0
	v_subbrev_co_u32_e32 v34, vcc, 0, v26, vcc
	v_sub_u32_e32 v25, 0, v34
	v_ldexp_f32 v12, v12, v25
	v_ldexp_f32 v23, v23, v25
	v_add_f32_e32 v25, -1.0, v12
	v_add_f32_e32 v27, 1.0, v12
	v_add_f32_e32 v26, 1.0, v25
	v_add_f32_e32 v28, -1.0, v27
	v_sub_f32_e32 v26, v12, v26
	v_sub_f32_e32 v12, v12, v28
	v_add_f32_e32 v12, v23, v12
	v_add_f32_e32 v26, v23, v26
	;; [unrolled: 1-line block ×3, first 2 shown]
	v_rcp_f32_e32 v35, v23
	v_sub_f32_e32 v27, v27, v23
	v_add_f32_e32 v12, v12, v27
	v_add_f32_e32 v27, v25, v26
	v_mul_f32_e32 v36, v27, v35
	v_mul_f32_e32 v28, v23, v36
	v_fma_f32 v30, v36, v23, -v28
	v_sub_f32_e32 v25, v25, v27
	v_fmac_f32_e32 v30, v36, v12
	v_add_f32_e32 v25, v26, v25
	v_add_f32_e32 v26, v28, v30
	v_sub_f32_e32 v29, v27, v26
	v_pk_add_f32 v[32:33], v[26:27], v[28:29] neg_lo:[0,1] neg_hi:[0,1]
	v_mov_b32_e32 v31, v26
	v_pk_add_f32 v[26:27], v[32:33], v[30:31] neg_lo:[0,1] neg_hi:[0,1]
	v_cmp_eq_f32_e32 vcc, s13, v40
	v_add_f32_e32 v25, v25, v27
	v_add_f32_e32 v25, v26, v25
	;; [unrolled: 1-line block ×3, first 2 shown]
	v_mul_f32_e32 v37, v35, v27
	v_mul_f32_e32 v28, v23, v37
	v_fma_f32 v30, v37, v23, -v28
	v_fmac_f32_e32 v30, v37, v12
	v_add_f32_e32 v26, v28, v30
	v_sub_f32_e32 v12, v29, v27
	v_sub_f32_e32 v29, v27, v26
	v_pk_add_f32 v[32:33], v[26:27], v[28:29] neg_lo:[0,1] neg_hi:[0,1]
	v_mov_b32_e32 v31, v26
	v_add_f32_e32 v12, v25, v12
	v_pk_add_f32 v[26:27], v[32:33], v[30:31] neg_lo:[0,1] neg_hi:[0,1]
	v_add_f32_e32 v23, v36, v37
	v_add_f32_e32 v12, v12, v27
	;; [unrolled: 1-line block ×4, first 2 shown]
	v_sub_f32_e32 v25, v23, v36
	v_mul_f32_e32 v12, v35, v12
	v_sub_f32_e32 v25, v37, v25
	v_add_f32_e32 v12, v25, v12
	v_add_f32_e32 v27, v23, v12
	v_cvt_f32_i32_e32 v26, v34
	v_mul_f32_e32 v28, v27, v27
	v_fmamk_f32 v25, v28, 0x3e9b6dac, v135
	v_fmaak_f32 v25, v28, v25, 0x3f2aaada
	v_sub_f32_e32 v23, v27, v23
	v_ldexp_f32 v29, v27, 1
	v_mul_f32_e32 v27, v27, v28
	v_pk_mul_f32 v[30:31], v[26:27], v[24:25]
	v_sub_f32_e32 v12, v12, v23
	v_fma_f32 v28, v26, s15, -v30
	v_fmac_f32_e32 v28, 0xb102e308, v26
	v_pk_add_f32 v[26:27], v[30:31], v[28:29]
	v_ldexp_f32 v12, v12, 1
	v_sub_f32_e32 v23, v27, v29
	v_sub_f32_e32 v23, v31, v23
	v_add_f32_e32 v33, v12, v23
	v_mov_b32_e32 v32, v30
	v_pk_add_f32 v[30:31], v[26:27], v[30:31] neg_lo:[0,1] neg_hi:[0,1]
	v_pk_add_f32 v[34:35], v[26:27], v[32:33]
	v_mov_b32_e32 v29, v26
	v_mov_b32_e32 v31, v35
	v_pk_add_f32 v[36:37], v[28:29], v[30:31] neg_lo:[0,1] neg_hi:[0,1]
	v_pk_add_f32 v[28:29], v[28:29], v[30:31]
	s_or_b64 vcc, s[60:61], vcc
	v_mov_b32_e32 v12, v29
	v_pk_add_f32 v[30:31], v[12:13], v[26:27] neg_lo:[0,1] neg_hi:[0,1]
	v_mov_b32_e32 v28, v35
	v_mov_b32_e32 v23, v30
	v_pk_add_f32 v[38:39], v[34:35], v[22:23] neg_lo:[0,1] neg_hi:[0,1]
	v_mov_b32_e32 v34, v27
	v_mov_b32_e32 v35, v30
	;; [unrolled: 1-line block ×3, first 2 shown]
	v_pk_add_f32 v[28:29], v[28:29], v[34:35] neg_lo:[0,1] neg_hi:[0,1]
	v_mov_b32_e32 v30, v33
	v_mov_b32_e32 v31, v26
	v_pk_add_f32 v[26:27], v[30:31], v[28:29] neg_lo:[0,1] neg_hi:[0,1]
	v_mov_b32_e32 v38, v36
	v_pk_add_f32 v[28:29], v[38:39], v[26:27]
	s_nop 0
	v_mov_b32_e32 v30, v29
	v_pk_add_f32 v[30:31], v[28:29], v[30:31]
	s_nop 0
	v_pk_add_f32 v[32:33], v[12:13], v[30:31]
	v_mov_b32_e32 v27, v30
	v_mov_b32_e32 v29, v32
	v_pk_add_f32 v[34:35], v[28:29], v[36:37] neg_lo:[0,1] neg_hi:[0,1]
	s_nop 0
	v_sub_f32_e32 v12, v28, v34
	v_pk_add_f32 v[26:27], v[26:27], v[34:35] neg_lo:[0,1] neg_hi:[0,1]
	v_sub_f32_e32 v12, v36, v12
	v_add_f32_e32 v12, v26, v12
	v_add_f32_e32 v12, v12, v27
	;; [unrolled: 1-line block ×3, first 2 shown]
	v_cndmask_b32_e32 v140, v12, v40, vcc
.LBB127_79:                             ;   in Loop: Header=BB127_13 Depth=1
	s_or_b64 exec, exec, s[4:5]
	v_cvt_f32_f16_e32 v12, v13
	v_readlane_b32 s2, v167, 2
	s_nop 1
	v_add_f32_e32 v141, s2, v12
	v_readlane_b32 s2, v167, 30
	v_cmp_ge_f32_e32 vcc, s6, v141
	v_readlane_b32 s3, v167, 31
	s_and_b64 s[2:3], s[2:3], vcc
	s_and_saveexec_b64 s[4:5], s[2:3]
	s_cbranch_execz .LBB127_81
; %bb.80:                               ;   in Loop: Header=BB127_13 Depth=1
	v_mul_f32_e32 v12, 0x3fb8aa3b, v141
	v_rndne_f32_e32 v23, v12
	v_sub_f32_e32 v25, v12, v23
	v_fma_f32 v12, v141, s8, -v12
	v_fmac_f32_e32 v12, 0x32a5705f, v141
	v_add_f32_e32 v12, v25, v12
	v_cvt_i32_f32_e32 v23, v23
	v_exp_f32_e32 v12, v12
	v_cmp_ngt_f32_e32 vcc, s9, v141
	v_ldexp_f32 v12, v12, v23
	s_nop 0
	v_cndmask_b32_e32 v12, 0, v12, vcc
	v_cmp_nlt_f32_e32 vcc, s12, v141
	s_nop 1
	v_cndmask_b32_e32 v40, v136, v12, vcc
	v_add_f32_e32 v12, 1.0, v40
	v_add_f32_e32 v23, -1.0, v12
	v_sub_f32_e32 v25, v23, v12
	v_add_f32_e32 v25, 1.0, v25
	v_sub_f32_e32 v23, v40, v23
	v_add_f32_e32 v23, v23, v25
	v_frexp_mant_f32_e32 v25, v12
	v_cvt_f64_f32_e32 v[26:27], v12
	v_frexp_exp_i32_f64_e32 v26, v[26:27]
	v_cmp_gt_f32_e32 vcc, s14, v25
	v_cmp_gt_f32_e64 s[60:61], s16, v40
	s_nop 0
	v_subbrev_co_u32_e32 v34, vcc, 0, v26, vcc
	v_sub_u32_e32 v25, 0, v34
	v_ldexp_f32 v12, v12, v25
	v_ldexp_f32 v23, v23, v25
	v_add_f32_e32 v25, -1.0, v12
	v_add_f32_e32 v27, 1.0, v12
	v_add_f32_e32 v26, 1.0, v25
	v_add_f32_e32 v28, -1.0, v27
	v_sub_f32_e32 v26, v12, v26
	v_sub_f32_e32 v12, v12, v28
	v_add_f32_e32 v12, v23, v12
	v_add_f32_e32 v26, v23, v26
	;; [unrolled: 1-line block ×3, first 2 shown]
	v_rcp_f32_e32 v35, v23
	v_sub_f32_e32 v27, v27, v23
	v_add_f32_e32 v12, v12, v27
	v_add_f32_e32 v27, v25, v26
	v_mul_f32_e32 v36, v27, v35
	v_mul_f32_e32 v28, v23, v36
	v_fma_f32 v30, v36, v23, -v28
	v_sub_f32_e32 v25, v25, v27
	v_fmac_f32_e32 v30, v36, v12
	v_add_f32_e32 v25, v26, v25
	v_add_f32_e32 v26, v28, v30
	v_sub_f32_e32 v29, v27, v26
	v_pk_add_f32 v[32:33], v[26:27], v[28:29] neg_lo:[0,1] neg_hi:[0,1]
	v_mov_b32_e32 v31, v26
	v_pk_add_f32 v[26:27], v[32:33], v[30:31] neg_lo:[0,1] neg_hi:[0,1]
	v_cmp_eq_f32_e32 vcc, s13, v40
	v_add_f32_e32 v25, v25, v27
	v_add_f32_e32 v25, v26, v25
	;; [unrolled: 1-line block ×3, first 2 shown]
	v_mul_f32_e32 v37, v35, v27
	v_mul_f32_e32 v28, v23, v37
	v_fma_f32 v30, v37, v23, -v28
	v_fmac_f32_e32 v30, v37, v12
	v_add_f32_e32 v26, v28, v30
	v_sub_f32_e32 v12, v29, v27
	v_sub_f32_e32 v29, v27, v26
	v_pk_add_f32 v[32:33], v[26:27], v[28:29] neg_lo:[0,1] neg_hi:[0,1]
	v_mov_b32_e32 v31, v26
	v_add_f32_e32 v12, v25, v12
	v_pk_add_f32 v[26:27], v[32:33], v[30:31] neg_lo:[0,1] neg_hi:[0,1]
	v_add_f32_e32 v23, v36, v37
	v_add_f32_e32 v12, v12, v27
	;; [unrolled: 1-line block ×4, first 2 shown]
	v_sub_f32_e32 v25, v23, v36
	v_mul_f32_e32 v12, v35, v12
	v_sub_f32_e32 v25, v37, v25
	v_add_f32_e32 v12, v25, v12
	v_add_f32_e32 v27, v23, v12
	v_cvt_f32_i32_e32 v26, v34
	v_mul_f32_e32 v28, v27, v27
	v_fmamk_f32 v25, v28, 0x3e9b6dac, v135
	v_fmaak_f32 v25, v28, v25, 0x3f2aaada
	v_sub_f32_e32 v23, v27, v23
	v_ldexp_f32 v29, v27, 1
	v_mul_f32_e32 v27, v27, v28
	v_pk_mul_f32 v[30:31], v[26:27], v[24:25]
	v_sub_f32_e32 v12, v12, v23
	v_fma_f32 v28, v26, s15, -v30
	v_fmac_f32_e32 v28, 0xb102e308, v26
	v_pk_add_f32 v[26:27], v[30:31], v[28:29]
	v_ldexp_f32 v12, v12, 1
	v_sub_f32_e32 v23, v27, v29
	v_sub_f32_e32 v23, v31, v23
	v_add_f32_e32 v33, v12, v23
	v_mov_b32_e32 v32, v30
	v_pk_add_f32 v[30:31], v[26:27], v[30:31] neg_lo:[0,1] neg_hi:[0,1]
	v_pk_add_f32 v[34:35], v[26:27], v[32:33]
	v_mov_b32_e32 v29, v26
	v_mov_b32_e32 v31, v35
	v_pk_add_f32 v[36:37], v[28:29], v[30:31] neg_lo:[0,1] neg_hi:[0,1]
	v_pk_add_f32 v[28:29], v[28:29], v[30:31]
	s_or_b64 vcc, s[60:61], vcc
	v_mov_b32_e32 v12, v29
	v_pk_add_f32 v[30:31], v[12:13], v[26:27] neg_lo:[0,1] neg_hi:[0,1]
	v_mov_b32_e32 v28, v35
	v_mov_b32_e32 v23, v30
	v_pk_add_f32 v[38:39], v[34:35], v[22:23] neg_lo:[0,1] neg_hi:[0,1]
	v_mov_b32_e32 v34, v27
	v_mov_b32_e32 v35, v30
	;; [unrolled: 1-line block ×3, first 2 shown]
	v_pk_add_f32 v[28:29], v[28:29], v[34:35] neg_lo:[0,1] neg_hi:[0,1]
	v_mov_b32_e32 v30, v33
	v_mov_b32_e32 v31, v26
	v_pk_add_f32 v[26:27], v[30:31], v[28:29] neg_lo:[0,1] neg_hi:[0,1]
	v_mov_b32_e32 v38, v36
	v_pk_add_f32 v[28:29], v[38:39], v[26:27]
	s_nop 0
	v_mov_b32_e32 v30, v29
	v_pk_add_f32 v[30:31], v[28:29], v[30:31]
	s_nop 0
	v_pk_add_f32 v[32:33], v[12:13], v[30:31]
	v_mov_b32_e32 v27, v30
	v_mov_b32_e32 v29, v32
	v_pk_add_f32 v[34:35], v[28:29], v[36:37] neg_lo:[0,1] neg_hi:[0,1]
	s_nop 0
	v_sub_f32_e32 v12, v28, v34
	v_pk_add_f32 v[26:27], v[26:27], v[34:35] neg_lo:[0,1] neg_hi:[0,1]
	v_sub_f32_e32 v12, v36, v12
	v_add_f32_e32 v12, v26, v12
	v_add_f32_e32 v12, v12, v27
	;; [unrolled: 1-line block ×3, first 2 shown]
	v_cndmask_b32_e32 v141, v12, v40, vcc
.LBB127_81:                             ;   in Loop: Header=BB127_13 Depth=1
	s_or_b64 exec, exec, s[4:5]
	v_cvt_f32_f16_sdwa v12, v13 dst_sel:DWORD dst_unused:UNUSED_PAD src0_sel:WORD_1
	v_readlane_b32 s2, v167, 2
	s_nop 1
	v_add_f32_e32 v142, s2, v12
	v_readlane_b32 s2, v167, 30
	v_cmp_ge_f32_e32 vcc, s6, v142
	v_readlane_b32 s3, v167, 31
	s_and_b64 s[2:3], s[2:3], vcc
	s_and_saveexec_b64 s[4:5], s[2:3]
	s_cbranch_execz .LBB127_83
; %bb.82:                               ;   in Loop: Header=BB127_13 Depth=1
	v_mul_f32_e32 v12, 0x3fb8aa3b, v142
	v_rndne_f32_e32 v13, v12
	v_sub_f32_e32 v23, v12, v13
	v_fma_f32 v12, v142, s8, -v12
	v_fmac_f32_e32 v12, 0x32a5705f, v142
	v_add_f32_e32 v12, v23, v12
	v_cvt_i32_f32_e32 v13, v13
	v_exp_f32_e32 v12, v12
	v_cmp_ngt_f32_e32 vcc, s9, v142
	v_ldexp_f32 v12, v12, v13
	s_nop 0
	v_cndmask_b32_e32 v12, 0, v12, vcc
	v_cmp_nlt_f32_e32 vcc, s12, v142
	s_nop 1
	v_cndmask_b32_e32 v40, v136, v12, vcc
	v_add_f32_e32 v23, 1.0, v40
	v_add_f32_e32 v12, -1.0, v23
	v_sub_f32_e32 v13, v12, v23
	v_add_f32_e32 v13, 1.0, v13
	v_sub_f32_e32 v12, v40, v12
	v_add_f32_e32 v25, v12, v13
	v_frexp_mant_f32_e32 v26, v23
	v_cvt_f64_f32_e32 v[12:13], v23
	v_frexp_exp_i32_f64_e32 v12, v[12:13]
	v_cmp_gt_f32_e32 vcc, s14, v26
	v_cmp_gt_f32_e64 s[60:61], s16, v40
	s_nop 0
	v_subbrev_co_u32_e32 v32, vcc, 0, v12, vcc
	v_sub_u32_e32 v12, 0, v32
	v_ldexp_f32 v13, v23, v12
	v_add_f32_e32 v23, -1.0, v13
	v_add_f32_e32 v26, 1.0, v13
	v_ldexp_f32 v12, v25, v12
	v_add_f32_e32 v25, 1.0, v23
	v_add_f32_e32 v27, -1.0, v26
	v_sub_f32_e32 v25, v13, v25
	v_sub_f32_e32 v13, v13, v27
	v_add_f32_e32 v25, v12, v25
	v_add_f32_e32 v12, v12, v13
	;; [unrolled: 1-line block ×3, first 2 shown]
	v_rcp_f32_e32 v35, v33
	v_sub_f32_e32 v13, v26, v33
	v_add_f32_e32 v34, v12, v13
	v_add_f32_e32 v13, v23, v25
	v_sub_f32_e32 v12, v23, v13
	v_add_f32_e32 v23, v25, v12
	v_mul_f32_e32 v25, v13, v35
	v_mul_f32_e32 v26, v33, v25
	v_fma_f32 v28, v25, v33, -v26
	v_fmac_f32_e32 v28, v25, v34
	v_add_f32_e32 v12, v26, v28
	v_sub_f32_e32 v27, v13, v12
	v_pk_add_f32 v[30:31], v[12:13], v[26:27] neg_lo:[0,1] neg_hi:[0,1]
	v_mov_b32_e32 v29, v12
	v_pk_add_f32 v[12:13], v[30:31], v[28:29] neg_lo:[0,1] neg_hi:[0,1]
	v_cmp_eq_f32_e32 vcc, s13, v40
	v_add_f32_e32 v13, v23, v13
	v_add_f32_e32 v12, v12, v13
	;; [unrolled: 1-line block ×3, first 2 shown]
	v_mul_f32_e32 v23, v35, v13
	v_mul_f32_e32 v26, v33, v23
	v_fma_f32 v28, v23, v33, -v26
	v_fmac_f32_e32 v28, v23, v34
	v_sub_f32_e32 v27, v27, v13
	v_add_f32_e32 v33, v12, v27
	v_add_f32_e32 v12, v26, v28
	v_sub_f32_e32 v27, v13, v12
	v_pk_add_f32 v[30:31], v[12:13], v[26:27] neg_lo:[0,1] neg_hi:[0,1]
	v_mov_b32_e32 v29, v12
	v_pk_add_f32 v[12:13], v[30:31], v[28:29] neg_lo:[0,1] neg_hi:[0,1]
	s_or_b64 vcc, s[60:61], vcc
	v_add_f32_e32 v13, v33, v13
	v_add_f32_e32 v12, v12, v13
	;; [unrolled: 1-line block ×4, first 2 shown]
	v_sub_f32_e32 v25, v13, v25
	v_mul_f32_e32 v12, v35, v12
	v_sub_f32_e32 v23, v23, v25
	v_add_f32_e32 v23, v23, v12
	v_add_f32_e32 v26, v13, v23
	v_mul_f32_e32 v28, v26, v26
	v_fmamk_f32 v12, v28, 0x3e9b6dac, v135
	v_fmaak_f32 v25, v28, v12, 0x3f2aaada
	v_cvt_f32_i32_e32 v12, v32
	v_sub_f32_e32 v13, v26, v13
	v_sub_f32_e32 v13, v23, v13
	v_ldexp_f32 v23, v13, 1
	v_mul_f32_e32 v13, v26, v28
	v_pk_mul_f32 v[28:29], v[12:13], v[24:25]
	v_ldexp_f32 v27, v26, 1
	v_fma_f32 v26, v12, s15, -v28
	v_fmac_f32_e32 v26, 0xb102e308, v12
	v_pk_add_f32 v[12:13], v[28:29], v[26:27]
	v_mov_b32_e32 v30, v28
	v_sub_f32_e32 v25, v13, v27
	v_sub_f32_e32 v25, v29, v25
	v_add_f32_e32 v31, v23, v25
	v_pk_add_f32 v[28:29], v[12:13], v[28:29] neg_lo:[0,1] neg_hi:[0,1]
	v_pk_add_f32 v[32:33], v[12:13], v[30:31]
	v_mov_b32_e32 v27, v12
	v_mov_b32_e32 v29, v33
	v_pk_add_f32 v[34:35], v[26:27], v[28:29] neg_lo:[0,1] neg_hi:[0,1]
	v_pk_add_f32 v[26:27], v[26:27], v[28:29]
	v_mov_b32_e32 v30, v31
	v_mov_b32_e32 v28, v27
	v_pk_add_f32 v[36:37], v[28:29], v[12:13] neg_lo:[0,1] neg_hi:[0,1]
	v_mov_b32_e32 v26, v33
	v_mov_b32_e32 v23, v36
	v_pk_add_f32 v[38:39], v[32:33], v[22:23] neg_lo:[0,1] neg_hi:[0,1]
	v_mov_b32_e32 v32, v13
	v_mov_b32_e32 v33, v36
	;; [unrolled: 1-line block ×3, first 2 shown]
	v_pk_add_f32 v[26:27], v[26:27], v[32:33] neg_lo:[0,1] neg_hi:[0,1]
	v_mov_b32_e32 v31, v12
	v_pk_add_f32 v[12:13], v[30:31], v[26:27] neg_lo:[0,1] neg_hi:[0,1]
	v_mov_b32_e32 v38, v34
	v_pk_add_f32 v[26:27], v[38:39], v[12:13]
	s_nop 0
	v_mov_b32_e32 v30, v27
	v_pk_add_f32 v[30:31], v[26:27], v[30:31]
	s_nop 0
	v_pk_add_f32 v[28:29], v[28:29], v[30:31]
	v_mov_b32_e32 v13, v30
	v_mov_b32_e32 v27, v28
	v_pk_add_f32 v[32:33], v[26:27], v[34:35] neg_lo:[0,1] neg_hi:[0,1]
	s_nop 0
	v_sub_f32_e32 v23, v26, v32
	v_pk_add_f32 v[12:13], v[12:13], v[32:33] neg_lo:[0,1] neg_hi:[0,1]
	v_sub_f32_e32 v23, v34, v23
	v_add_f32_e32 v12, v12, v23
	v_add_f32_e32 v12, v12, v13
	;; [unrolled: 1-line block ×3, first 2 shown]
	v_cndmask_b32_e32 v142, v12, v40, vcc
.LBB127_83:                             ;   in Loop: Header=BB127_13 Depth=1
	s_or_b64 exec, exec, s[4:5]
	v_cvt_f32_f16_e32 v12, v14
	v_readlane_b32 s2, v167, 2
	s_nop 1
	v_add_f32_e32 v143, s2, v12
	v_readlane_b32 s2, v167, 30
	v_cmp_ge_f32_e32 vcc, s6, v143
	v_readlane_b32 s3, v167, 31
	s_and_b64 s[2:3], s[2:3], vcc
	s_and_saveexec_b64 s[4:5], s[2:3]
	s_cbranch_execz .LBB127_85
; %bb.84:                               ;   in Loop: Header=BB127_13 Depth=1
	v_mul_f32_e32 v12, 0x3fb8aa3b, v143
	v_rndne_f32_e32 v13, v12
	v_sub_f32_e32 v23, v12, v13
	v_fma_f32 v12, v143, s8, -v12
	v_fmac_f32_e32 v12, 0x32a5705f, v143
	v_add_f32_e32 v12, v23, v12
	v_cvt_i32_f32_e32 v13, v13
	v_exp_f32_e32 v12, v12
	v_cmp_ngt_f32_e32 vcc, s9, v143
	v_ldexp_f32 v12, v12, v13
	s_nop 0
	v_cndmask_b32_e32 v12, 0, v12, vcc
	v_cmp_nlt_f32_e32 vcc, s12, v143
	s_nop 1
	v_cndmask_b32_e32 v40, v136, v12, vcc
	v_add_f32_e32 v23, 1.0, v40
	v_add_f32_e32 v12, -1.0, v23
	v_sub_f32_e32 v13, v12, v23
	v_add_f32_e32 v13, 1.0, v13
	v_sub_f32_e32 v12, v40, v12
	v_add_f32_e32 v25, v12, v13
	v_frexp_mant_f32_e32 v26, v23
	v_cvt_f64_f32_e32 v[12:13], v23
	v_frexp_exp_i32_f64_e32 v12, v[12:13]
	v_cmp_gt_f32_e32 vcc, s14, v26
	v_cmp_gt_f32_e64 s[60:61], s16, v40
	s_nop 0
	v_subbrev_co_u32_e32 v32, vcc, 0, v12, vcc
	v_sub_u32_e32 v12, 0, v32
	v_ldexp_f32 v13, v23, v12
	v_add_f32_e32 v23, -1.0, v13
	v_add_f32_e32 v26, 1.0, v13
	v_ldexp_f32 v12, v25, v12
	v_add_f32_e32 v25, 1.0, v23
	v_add_f32_e32 v27, -1.0, v26
	v_sub_f32_e32 v25, v13, v25
	v_sub_f32_e32 v13, v13, v27
	v_add_f32_e32 v25, v12, v25
	v_add_f32_e32 v12, v12, v13
	;; [unrolled: 1-line block ×3, first 2 shown]
	v_rcp_f32_e32 v35, v33
	v_sub_f32_e32 v13, v26, v33
	v_add_f32_e32 v34, v12, v13
	v_add_f32_e32 v13, v23, v25
	v_sub_f32_e32 v12, v23, v13
	v_add_f32_e32 v23, v25, v12
	v_mul_f32_e32 v25, v13, v35
	v_mul_f32_e32 v26, v33, v25
	v_fma_f32 v28, v25, v33, -v26
	v_fmac_f32_e32 v28, v25, v34
	v_add_f32_e32 v12, v26, v28
	v_sub_f32_e32 v27, v13, v12
	v_pk_add_f32 v[30:31], v[12:13], v[26:27] neg_lo:[0,1] neg_hi:[0,1]
	v_mov_b32_e32 v29, v12
	v_pk_add_f32 v[12:13], v[30:31], v[28:29] neg_lo:[0,1] neg_hi:[0,1]
	v_cmp_eq_f32_e32 vcc, s13, v40
	v_add_f32_e32 v13, v23, v13
	v_add_f32_e32 v12, v12, v13
	;; [unrolled: 1-line block ×3, first 2 shown]
	v_mul_f32_e32 v23, v35, v13
	v_mul_f32_e32 v26, v33, v23
	v_fma_f32 v28, v23, v33, -v26
	v_fmac_f32_e32 v28, v23, v34
	v_sub_f32_e32 v27, v27, v13
	v_add_f32_e32 v33, v12, v27
	v_add_f32_e32 v12, v26, v28
	v_sub_f32_e32 v27, v13, v12
	v_pk_add_f32 v[30:31], v[12:13], v[26:27] neg_lo:[0,1] neg_hi:[0,1]
	v_mov_b32_e32 v29, v12
	v_pk_add_f32 v[12:13], v[30:31], v[28:29] neg_lo:[0,1] neg_hi:[0,1]
	s_or_b64 vcc, s[60:61], vcc
	v_add_f32_e32 v13, v33, v13
	v_add_f32_e32 v12, v12, v13
	;; [unrolled: 1-line block ×4, first 2 shown]
	v_sub_f32_e32 v25, v13, v25
	v_mul_f32_e32 v12, v35, v12
	v_sub_f32_e32 v23, v23, v25
	v_add_f32_e32 v23, v23, v12
	v_add_f32_e32 v26, v13, v23
	v_mul_f32_e32 v28, v26, v26
	v_fmamk_f32 v12, v28, 0x3e9b6dac, v135
	v_fmaak_f32 v25, v28, v12, 0x3f2aaada
	v_cvt_f32_i32_e32 v12, v32
	v_sub_f32_e32 v13, v26, v13
	v_sub_f32_e32 v13, v23, v13
	v_ldexp_f32 v23, v13, 1
	v_mul_f32_e32 v13, v26, v28
	v_pk_mul_f32 v[28:29], v[12:13], v[24:25]
	v_ldexp_f32 v27, v26, 1
	v_fma_f32 v26, v12, s15, -v28
	v_fmac_f32_e32 v26, 0xb102e308, v12
	v_pk_add_f32 v[12:13], v[28:29], v[26:27]
	v_mov_b32_e32 v30, v28
	v_sub_f32_e32 v25, v13, v27
	v_sub_f32_e32 v25, v29, v25
	v_add_f32_e32 v31, v23, v25
	v_pk_add_f32 v[28:29], v[12:13], v[28:29] neg_lo:[0,1] neg_hi:[0,1]
	v_pk_add_f32 v[32:33], v[12:13], v[30:31]
	v_mov_b32_e32 v27, v12
	v_mov_b32_e32 v29, v33
	v_pk_add_f32 v[34:35], v[26:27], v[28:29] neg_lo:[0,1] neg_hi:[0,1]
	v_pk_add_f32 v[26:27], v[26:27], v[28:29]
	v_mov_b32_e32 v30, v31
	v_mov_b32_e32 v28, v27
	v_pk_add_f32 v[36:37], v[28:29], v[12:13] neg_lo:[0,1] neg_hi:[0,1]
	v_mov_b32_e32 v26, v33
	v_mov_b32_e32 v23, v36
	v_pk_add_f32 v[38:39], v[32:33], v[22:23] neg_lo:[0,1] neg_hi:[0,1]
	v_mov_b32_e32 v32, v13
	v_mov_b32_e32 v33, v36
	;; [unrolled: 1-line block ×3, first 2 shown]
	v_pk_add_f32 v[26:27], v[26:27], v[32:33] neg_lo:[0,1] neg_hi:[0,1]
	v_mov_b32_e32 v31, v12
	v_pk_add_f32 v[12:13], v[30:31], v[26:27] neg_lo:[0,1] neg_hi:[0,1]
	v_mov_b32_e32 v38, v34
	v_pk_add_f32 v[26:27], v[38:39], v[12:13]
	s_nop 0
	v_mov_b32_e32 v30, v27
	v_pk_add_f32 v[30:31], v[26:27], v[30:31]
	s_nop 0
	v_pk_add_f32 v[28:29], v[28:29], v[30:31]
	v_mov_b32_e32 v13, v30
	v_mov_b32_e32 v27, v28
	v_pk_add_f32 v[32:33], v[26:27], v[34:35] neg_lo:[0,1] neg_hi:[0,1]
	s_nop 0
	v_sub_f32_e32 v23, v26, v32
	v_pk_add_f32 v[12:13], v[12:13], v[32:33] neg_lo:[0,1] neg_hi:[0,1]
	v_sub_f32_e32 v23, v34, v23
	v_add_f32_e32 v12, v12, v23
	v_add_f32_e32 v12, v12, v13
	;; [unrolled: 1-line block ×3, first 2 shown]
	v_cndmask_b32_e32 v143, v12, v40, vcc
.LBB127_85:                             ;   in Loop: Header=BB127_13 Depth=1
	s_or_b64 exec, exec, s[4:5]
	v_cvt_f32_f16_sdwa v12, v14 dst_sel:DWORD dst_unused:UNUSED_PAD src0_sel:WORD_1
	v_readlane_b32 s2, v167, 2
	s_nop 1
	v_add_f32_e32 v144, s2, v12
	v_readlane_b32 s2, v167, 30
	v_cmp_ge_f32_e32 vcc, s6, v144
	v_readlane_b32 s3, v167, 31
	s_and_b64 s[2:3], s[2:3], vcc
	s_and_saveexec_b64 s[4:5], s[2:3]
	s_cbranch_execz .LBB127_87
; %bb.86:                               ;   in Loop: Header=BB127_13 Depth=1
	v_mul_f32_e32 v12, 0x3fb8aa3b, v144
	v_rndne_f32_e32 v13, v12
	v_sub_f32_e32 v14, v12, v13
	v_fma_f32 v12, v144, s8, -v12
	v_fmac_f32_e32 v12, 0x32a5705f, v144
	v_add_f32_e32 v12, v14, v12
	v_cvt_i32_f32_e32 v13, v13
	v_exp_f32_e32 v12, v12
	v_cmp_ngt_f32_e32 vcc, s9, v144
	v_ldexp_f32 v12, v12, v13
	s_nop 0
	v_cndmask_b32_e32 v12, 0, v12, vcc
	v_cmp_nlt_f32_e32 vcc, s12, v144
	s_nop 1
	v_cndmask_b32_e32 v38, v136, v12, vcc
	v_add_f32_e32 v14, 1.0, v38
	v_add_f32_e32 v12, -1.0, v14
	v_sub_f32_e32 v13, v12, v14
	v_add_f32_e32 v13, 1.0, v13
	v_sub_f32_e32 v12, v38, v12
	v_add_f32_e32 v23, v12, v13
	v_frexp_mant_f32_e32 v25, v14
	v_cvt_f64_f32_e32 v[12:13], v14
	v_frexp_exp_i32_f64_e32 v12, v[12:13]
	v_cmp_gt_f32_e32 vcc, s14, v25
	v_cmp_gt_f32_e64 s[60:61], s16, v38
	s_nop 0
	v_subbrev_co_u32_e32 v32, vcc, 0, v12, vcc
	v_sub_u32_e32 v12, 0, v32
	v_ldexp_f32 v13, v14, v12
	v_add_f32_e32 v14, -1.0, v13
	v_add_f32_e32 v25, 1.0, v13
	v_ldexp_f32 v12, v23, v12
	v_add_f32_e32 v23, 1.0, v14
	v_add_f32_e32 v26, -1.0, v25
	v_sub_f32_e32 v23, v13, v23
	v_sub_f32_e32 v13, v13, v26
	v_add_f32_e32 v23, v12, v23
	v_add_f32_e32 v12, v12, v13
	;; [unrolled: 1-line block ×3, first 2 shown]
	v_rcp_f32_e32 v34, v33
	v_sub_f32_e32 v13, v25, v33
	v_add_f32_e32 v25, v12, v13
	v_add_f32_e32 v13, v14, v23
	v_sub_f32_e32 v12, v14, v13
	v_add_f32_e32 v14, v23, v12
	v_mul_f32_e32 v23, v13, v34
	v_mul_f32_e32 v26, v33, v23
	v_fma_f32 v28, v23, v33, -v26
	v_fmac_f32_e32 v28, v23, v25
	v_add_f32_e32 v12, v26, v28
	v_sub_f32_e32 v27, v13, v12
	v_pk_add_f32 v[30:31], v[12:13], v[26:27] neg_lo:[0,1] neg_hi:[0,1]
	v_mov_b32_e32 v29, v12
	v_pk_add_f32 v[12:13], v[30:31], v[28:29] neg_lo:[0,1] neg_hi:[0,1]
	v_cmp_eq_f32_e32 vcc, s13, v38
	v_add_f32_e32 v13, v14, v13
	v_add_f32_e32 v12, v12, v13
	;; [unrolled: 1-line block ×3, first 2 shown]
	v_mul_f32_e32 v14, v34, v13
	v_mul_f32_e32 v26, v33, v14
	v_fma_f32 v28, v14, v33, -v26
	v_fmac_f32_e32 v28, v14, v25
	v_sub_f32_e32 v25, v27, v13
	v_add_f32_e32 v25, v12, v25
	v_add_f32_e32 v12, v26, v28
	v_sub_f32_e32 v27, v13, v12
	v_pk_add_f32 v[30:31], v[12:13], v[26:27] neg_lo:[0,1] neg_hi:[0,1]
	v_mov_b32_e32 v29, v12
	v_pk_add_f32 v[12:13], v[30:31], v[28:29] neg_lo:[0,1] neg_hi:[0,1]
	s_or_b64 vcc, s[60:61], vcc
	v_add_f32_e32 v13, v25, v13
	v_add_f32_e32 v12, v12, v13
	;; [unrolled: 1-line block ×4, first 2 shown]
	v_sub_f32_e32 v23, v13, v23
	v_mul_f32_e32 v12, v34, v12
	v_sub_f32_e32 v14, v14, v23
	v_add_f32_e32 v14, v14, v12
	v_add_f32_e32 v23, v13, v14
	v_mul_f32_e32 v26, v23, v23
	v_fmamk_f32 v12, v26, 0x3e9b6dac, v135
	v_fmaak_f32 v25, v26, v12, 0x3f2aaada
	v_cvt_f32_i32_e32 v12, v32
	v_sub_f32_e32 v13, v23, v13
	v_sub_f32_e32 v13, v14, v13
	v_ldexp_f32 v14, v13, 1
	v_mul_f32_e32 v13, v23, v26
	v_pk_mul_f32 v[28:29], v[12:13], v[24:25]
	v_ldexp_f32 v27, v23, 1
	v_fma_f32 v26, v12, s15, -v28
	v_fmac_f32_e32 v26, 0xb102e308, v12
	v_pk_add_f32 v[12:13], v[28:29], v[26:27]
	v_mov_b32_e32 v30, v28
	v_sub_f32_e32 v23, v13, v27
	v_sub_f32_e32 v23, v29, v23
	v_add_f32_e32 v31, v14, v23
	v_pk_add_f32 v[28:29], v[12:13], v[28:29] neg_lo:[0,1] neg_hi:[0,1]
	v_pk_add_f32 v[32:33], v[12:13], v[30:31]
	v_mov_b32_e32 v27, v12
	v_mov_b32_e32 v29, v33
	v_pk_add_f32 v[34:35], v[26:27], v[28:29] neg_lo:[0,1] neg_hi:[0,1]
	v_pk_add_f32 v[26:27], v[26:27], v[28:29]
	s_nop 0
	v_mov_b32_e32 v14, v27
	v_pk_add_f32 v[28:29], v[14:15], v[12:13] neg_lo:[0,1] neg_hi:[0,1]
	v_mov_b32_e32 v26, v33
	v_mov_b32_e32 v23, v28
	v_pk_add_f32 v[36:37], v[32:33], v[22:23] neg_lo:[0,1] neg_hi:[0,1]
	v_mov_b32_e32 v32, v13
	v_mov_b32_e32 v33, v28
	;; [unrolled: 1-line block ×3, first 2 shown]
	v_pk_add_f32 v[26:27], v[26:27], v[32:33] neg_lo:[0,1] neg_hi:[0,1]
	v_mov_b32_e32 v28, v31
	v_mov_b32_e32 v29, v12
	v_pk_add_f32 v[12:13], v[28:29], v[26:27] neg_lo:[0,1] neg_hi:[0,1]
	v_mov_b32_e32 v36, v34
	v_pk_add_f32 v[26:27], v[36:37], v[12:13]
	s_nop 0
	v_mov_b32_e32 v28, v27
	v_pk_add_f32 v[28:29], v[26:27], v[28:29]
	s_nop 0
	v_pk_add_f32 v[30:31], v[14:15], v[28:29]
	v_mov_b32_e32 v13, v28
	v_mov_b32_e32 v27, v30
	v_pk_add_f32 v[32:33], v[26:27], v[34:35] neg_lo:[0,1] neg_hi:[0,1]
	s_nop 0
	v_sub_f32_e32 v14, v26, v32
	v_pk_add_f32 v[12:13], v[12:13], v[32:33] neg_lo:[0,1] neg_hi:[0,1]
	v_sub_f32_e32 v14, v34, v14
	v_add_f32_e32 v12, v12, v14
	v_add_f32_e32 v12, v12, v13
	;; [unrolled: 1-line block ×3, first 2 shown]
	v_cndmask_b32_e32 v144, v12, v38, vcc
.LBB127_87:                             ;   in Loop: Header=BB127_13 Depth=1
	s_or_b64 exec, exec, s[4:5]
	v_cvt_f32_f16_e32 v12, v15
	v_readlane_b32 s2, v167, 2
	s_nop 1
	v_add_f32_e32 v145, s2, v12
	v_readlane_b32 s2, v167, 30
	v_cmp_ge_f32_e32 vcc, s6, v145
	v_readlane_b32 s3, v167, 31
	s_and_b64 s[2:3], s[2:3], vcc
	s_and_saveexec_b64 s[4:5], s[2:3]
	s_cbranch_execz .LBB127_89
; %bb.88:                               ;   in Loop: Header=BB127_13 Depth=1
	v_mul_f32_e32 v12, 0x3fb8aa3b, v145
	v_rndne_f32_e32 v13, v12
	v_sub_f32_e32 v14, v12, v13
	v_fma_f32 v12, v145, s8, -v12
	v_fmac_f32_e32 v12, 0x32a5705f, v145
	v_add_f32_e32 v12, v14, v12
	v_cvt_i32_f32_e32 v13, v13
	v_exp_f32_e32 v12, v12
	v_cmp_ngt_f32_e32 vcc, s9, v145
	v_ldexp_f32 v12, v12, v13
	s_nop 0
	v_cndmask_b32_e32 v12, 0, v12, vcc
	v_cmp_nlt_f32_e32 vcc, s12, v145
	s_nop 1
	v_cndmask_b32_e32 v38, v136, v12, vcc
	v_add_f32_e32 v14, 1.0, v38
	v_add_f32_e32 v12, -1.0, v14
	v_sub_f32_e32 v13, v12, v14
	v_add_f32_e32 v13, 1.0, v13
	v_sub_f32_e32 v12, v38, v12
	v_add_f32_e32 v23, v12, v13
	v_frexp_mant_f32_e32 v25, v14
	v_cvt_f64_f32_e32 v[12:13], v14
	v_frexp_exp_i32_f64_e32 v12, v[12:13]
	v_cmp_gt_f32_e32 vcc, s14, v25
	v_cmp_gt_f32_e64 s[60:61], s16, v38
	s_nop 0
	v_subbrev_co_u32_e32 v32, vcc, 0, v12, vcc
	v_sub_u32_e32 v12, 0, v32
	v_ldexp_f32 v13, v14, v12
	v_add_f32_e32 v14, -1.0, v13
	v_add_f32_e32 v25, 1.0, v13
	v_ldexp_f32 v12, v23, v12
	v_add_f32_e32 v23, 1.0, v14
	v_add_f32_e32 v26, -1.0, v25
	v_sub_f32_e32 v23, v13, v23
	v_sub_f32_e32 v13, v13, v26
	v_add_f32_e32 v23, v12, v23
	v_add_f32_e32 v12, v12, v13
	;; [unrolled: 1-line block ×3, first 2 shown]
	v_rcp_f32_e32 v34, v33
	v_sub_f32_e32 v13, v25, v33
	v_add_f32_e32 v25, v12, v13
	v_add_f32_e32 v13, v14, v23
	v_sub_f32_e32 v12, v14, v13
	v_add_f32_e32 v14, v23, v12
	v_mul_f32_e32 v23, v13, v34
	v_mul_f32_e32 v26, v33, v23
	v_fma_f32 v28, v23, v33, -v26
	v_fmac_f32_e32 v28, v23, v25
	v_add_f32_e32 v12, v26, v28
	v_sub_f32_e32 v27, v13, v12
	v_pk_add_f32 v[30:31], v[12:13], v[26:27] neg_lo:[0,1] neg_hi:[0,1]
	v_mov_b32_e32 v29, v12
	v_pk_add_f32 v[12:13], v[30:31], v[28:29] neg_lo:[0,1] neg_hi:[0,1]
	v_cmp_eq_f32_e32 vcc, s13, v38
	v_add_f32_e32 v13, v14, v13
	v_add_f32_e32 v12, v12, v13
	;; [unrolled: 1-line block ×3, first 2 shown]
	v_mul_f32_e32 v14, v34, v13
	v_mul_f32_e32 v26, v33, v14
	v_fma_f32 v28, v14, v33, -v26
	v_fmac_f32_e32 v28, v14, v25
	v_sub_f32_e32 v25, v27, v13
	v_add_f32_e32 v25, v12, v25
	v_add_f32_e32 v12, v26, v28
	v_sub_f32_e32 v27, v13, v12
	v_pk_add_f32 v[30:31], v[12:13], v[26:27] neg_lo:[0,1] neg_hi:[0,1]
	v_mov_b32_e32 v29, v12
	v_pk_add_f32 v[12:13], v[30:31], v[28:29] neg_lo:[0,1] neg_hi:[0,1]
	s_or_b64 vcc, s[60:61], vcc
	v_add_f32_e32 v13, v25, v13
	v_add_f32_e32 v12, v12, v13
	;; [unrolled: 1-line block ×4, first 2 shown]
	v_sub_f32_e32 v23, v13, v23
	v_mul_f32_e32 v12, v34, v12
	v_sub_f32_e32 v14, v14, v23
	v_add_f32_e32 v14, v14, v12
	v_add_f32_e32 v23, v13, v14
	v_mul_f32_e32 v26, v23, v23
	v_fmamk_f32 v12, v26, 0x3e9b6dac, v135
	v_fmaak_f32 v25, v26, v12, 0x3f2aaada
	v_cvt_f32_i32_e32 v12, v32
	v_sub_f32_e32 v13, v23, v13
	v_sub_f32_e32 v13, v14, v13
	v_ldexp_f32 v14, v13, 1
	v_mul_f32_e32 v13, v23, v26
	v_pk_mul_f32 v[28:29], v[12:13], v[24:25]
	v_ldexp_f32 v27, v23, 1
	v_fma_f32 v26, v12, s15, -v28
	v_fmac_f32_e32 v26, 0xb102e308, v12
	v_pk_add_f32 v[12:13], v[28:29], v[26:27]
	v_mov_b32_e32 v30, v28
	v_sub_f32_e32 v23, v13, v27
	v_sub_f32_e32 v23, v29, v23
	v_add_f32_e32 v31, v14, v23
	v_pk_add_f32 v[28:29], v[12:13], v[28:29] neg_lo:[0,1] neg_hi:[0,1]
	v_pk_add_f32 v[32:33], v[12:13], v[30:31]
	v_mov_b32_e32 v27, v12
	v_mov_b32_e32 v29, v33
	v_pk_add_f32 v[34:35], v[26:27], v[28:29] neg_lo:[0,1] neg_hi:[0,1]
	v_pk_add_f32 v[26:27], v[26:27], v[28:29]
	s_nop 0
	v_mov_b32_e32 v14, v27
	v_pk_add_f32 v[28:29], v[14:15], v[12:13] neg_lo:[0,1] neg_hi:[0,1]
	v_mov_b32_e32 v26, v33
	v_mov_b32_e32 v23, v28
	v_pk_add_f32 v[36:37], v[32:33], v[22:23] neg_lo:[0,1] neg_hi:[0,1]
	v_mov_b32_e32 v32, v13
	v_mov_b32_e32 v33, v28
	;; [unrolled: 1-line block ×3, first 2 shown]
	v_pk_add_f32 v[26:27], v[26:27], v[32:33] neg_lo:[0,1] neg_hi:[0,1]
	v_mov_b32_e32 v28, v31
	v_mov_b32_e32 v29, v12
	v_pk_add_f32 v[12:13], v[28:29], v[26:27] neg_lo:[0,1] neg_hi:[0,1]
	v_mov_b32_e32 v36, v34
	v_pk_add_f32 v[26:27], v[36:37], v[12:13]
	s_nop 0
	v_mov_b32_e32 v28, v27
	v_pk_add_f32 v[28:29], v[26:27], v[28:29]
	s_nop 0
	v_pk_add_f32 v[30:31], v[14:15], v[28:29]
	v_mov_b32_e32 v13, v28
	v_mov_b32_e32 v27, v30
	v_pk_add_f32 v[32:33], v[26:27], v[34:35] neg_lo:[0,1] neg_hi:[0,1]
	s_nop 0
	v_sub_f32_e32 v14, v26, v32
	v_pk_add_f32 v[12:13], v[12:13], v[32:33] neg_lo:[0,1] neg_hi:[0,1]
	v_sub_f32_e32 v14, v34, v14
	v_add_f32_e32 v12, v12, v14
	v_add_f32_e32 v12, v12, v13
	;; [unrolled: 1-line block ×3, first 2 shown]
	v_cndmask_b32_e32 v145, v12, v38, vcc
.LBB127_89:                             ;   in Loop: Header=BB127_13 Depth=1
	s_or_b64 exec, exec, s[4:5]
	v_cvt_f32_f16_sdwa v12, v15 dst_sel:DWORD dst_unused:UNUSED_PAD src0_sel:WORD_1
	v_readlane_b32 s2, v167, 2
	s_nop 1
	v_add_f32_e32 v146, s2, v12
	v_readlane_b32 s2, v167, 30
	v_cmp_ge_f32_e32 vcc, s6, v146
	v_readlane_b32 s3, v167, 31
	s_and_b64 s[2:3], s[2:3], vcc
	s_and_saveexec_b64 s[4:5], s[2:3]
	s_cbranch_execz .LBB127_91
; %bb.90:                               ;   in Loop: Header=BB127_13 Depth=1
	v_mul_f32_e32 v12, 0x3fb8aa3b, v146
	v_rndne_f32_e32 v13, v12
	v_sub_f32_e32 v14, v12, v13
	v_fma_f32 v12, v146, s8, -v12
	v_fmac_f32_e32 v12, 0x32a5705f, v146
	v_add_f32_e32 v12, v14, v12
	v_cvt_i32_f32_e32 v13, v13
	v_exp_f32_e32 v12, v12
	v_cmp_ngt_f32_e32 vcc, s9, v146
	v_ldexp_f32 v12, v12, v13
	s_nop 0
	v_cndmask_b32_e32 v12, 0, v12, vcc
	v_cmp_nlt_f32_e32 vcc, s12, v146
	s_nop 1
	v_cndmask_b32_e32 v38, v136, v12, vcc
	v_add_f32_e32 v14, 1.0, v38
	v_add_f32_e32 v12, -1.0, v14
	v_sub_f32_e32 v13, v12, v14
	v_add_f32_e32 v13, 1.0, v13
	v_sub_f32_e32 v12, v38, v12
	v_add_f32_e32 v15, v12, v13
	v_frexp_mant_f32_e32 v23, v14
	v_cvt_f64_f32_e32 v[12:13], v14
	v_frexp_exp_i32_f64_e32 v12, v[12:13]
	v_cmp_gt_f32_e32 vcc, s14, v23
	v_cmp_gt_f32_e64 s[60:61], s16, v38
	s_nop 0
	v_subbrev_co_u32_e32 v23, vcc, 0, v12, vcc
	v_sub_u32_e32 v12, 0, v23
	v_ldexp_f32 v13, v14, v12
	v_add_f32_e32 v14, -1.0, v13
	v_add_f32_e32 v25, 1.0, v13
	v_ldexp_f32 v12, v15, v12
	v_add_f32_e32 v15, 1.0, v14
	v_add_f32_e32 v26, -1.0, v25
	v_sub_f32_e32 v15, v13, v15
	v_sub_f32_e32 v13, v13, v26
	v_add_f32_e32 v15, v12, v15
	v_add_f32_e32 v12, v12, v13
	;; [unrolled: 1-line block ×3, first 2 shown]
	v_rcp_f32_e32 v31, v30
	v_sub_f32_e32 v13, v25, v30
	v_add_f32_e32 v25, v12, v13
	v_add_f32_e32 v13, v14, v15
	v_mul_f32_e32 v33, v13, v31
	v_sub_f32_e32 v12, v14, v13
	v_mul_f32_e32 v14, v30, v33
	v_fma_f32 v26, v33, v30, -v14
	v_fmac_f32_e32 v26, v33, v25
	v_add_f32_e32 v32, v15, v12
	v_add_f32_e32 v12, v14, v26
	v_sub_f32_e32 v15, v13, v12
	v_pk_add_f32 v[28:29], v[12:13], v[14:15] neg_lo:[0,1] neg_hi:[0,1]
	v_mov_b32_e32 v27, v12
	v_pk_add_f32 v[12:13], v[28:29], v[26:27] neg_lo:[0,1] neg_hi:[0,1]
	v_cmp_eq_f32_e32 vcc, s13, v38
	v_add_f32_e32 v13, v32, v13
	v_add_f32_e32 v12, v12, v13
	;; [unrolled: 1-line block ×3, first 2 shown]
	v_mul_f32_e32 v32, v31, v13
	v_mul_f32_e32 v14, v30, v32
	v_fma_f32 v26, v32, v30, -v14
	v_fmac_f32_e32 v26, v32, v25
	v_sub_f32_e32 v15, v15, v13
	v_add_f32_e32 v25, v12, v15
	v_add_f32_e32 v12, v14, v26
	v_sub_f32_e32 v15, v13, v12
	v_pk_add_f32 v[28:29], v[12:13], v[14:15] neg_lo:[0,1] neg_hi:[0,1]
	v_mov_b32_e32 v27, v12
	v_pk_add_f32 v[12:13], v[28:29], v[26:27] neg_lo:[0,1] neg_hi:[0,1]
	s_or_b64 vcc, s[60:61], vcc
	v_add_f32_e32 v13, v25, v13
	v_add_f32_e32 v12, v12, v13
	;; [unrolled: 1-line block ×4, first 2 shown]
	v_sub_f32_e32 v14, v13, v33
	v_mul_f32_e32 v12, v31, v12
	v_sub_f32_e32 v14, v32, v14
	v_add_f32_e32 v14, v14, v12
	v_add_f32_e32 v26, v13, v14
	v_mul_f32_e32 v27, v26, v26
	v_fmamk_f32 v12, v27, 0x3e9b6dac, v135
	v_fmaak_f32 v25, v27, v12, 0x3f2aaada
	v_cvt_f32_i32_e32 v12, v23
	v_sub_f32_e32 v13, v26, v13
	v_sub_f32_e32 v13, v14, v13
	v_ldexp_f32 v23, v13, 1
	v_mul_f32_e32 v13, v26, v27
	v_ldexp_f32 v15, v26, 1
	v_pk_mul_f32 v[26:27], v[12:13], v[24:25]
	s_nop 0
	v_fma_f32 v14, v12, s15, -v26
	v_fmac_f32_e32 v14, 0xb102e308, v12
	v_pk_add_f32 v[12:13], v[26:27], v[14:15]
	v_mov_b32_e32 v28, v26
	v_sub_f32_e32 v15, v13, v15
	v_sub_f32_e32 v15, v27, v15
	v_add_f32_e32 v29, v23, v15
	v_pk_add_f32 v[26:27], v[12:13], v[26:27] neg_lo:[0,1] neg_hi:[0,1]
	v_pk_add_f32 v[30:31], v[12:13], v[28:29]
	v_mov_b32_e32 v15, v12
	v_mov_b32_e32 v27, v31
	v_pk_add_f32 v[32:33], v[14:15], v[26:27] neg_lo:[0,1] neg_hi:[0,1]
	v_pk_add_f32 v[14:15], v[14:15], v[26:27]
	v_mov_b32_e32 v28, v29
	v_mov_b32_e32 v26, v15
	v_pk_add_f32 v[34:35], v[26:27], v[12:13] neg_lo:[0,1] neg_hi:[0,1]
	v_mov_b32_e32 v14, v31
	v_mov_b32_e32 v23, v34
	v_pk_add_f32 v[36:37], v[30:31], v[22:23] neg_lo:[0,1] neg_hi:[0,1]
	v_mov_b32_e32 v30, v13
	v_mov_b32_e32 v31, v34
	;; [unrolled: 1-line block ×3, first 2 shown]
	v_pk_add_f32 v[14:15], v[14:15], v[30:31] neg_lo:[0,1] neg_hi:[0,1]
	v_mov_b32_e32 v29, v12
	v_pk_add_f32 v[12:13], v[28:29], v[14:15] neg_lo:[0,1] neg_hi:[0,1]
	v_mov_b32_e32 v36, v32
	v_pk_add_f32 v[14:15], v[36:37], v[12:13]
	s_nop 0
	v_mov_b32_e32 v28, v15
	v_pk_add_f32 v[28:29], v[14:15], v[28:29]
	s_nop 0
	v_pk_add_f32 v[26:27], v[26:27], v[28:29]
	v_mov_b32_e32 v13, v28
	v_mov_b32_e32 v15, v26
	v_pk_add_f32 v[30:31], v[14:15], v[32:33] neg_lo:[0,1] neg_hi:[0,1]
	s_nop 0
	v_sub_f32_e32 v14, v14, v30
	v_pk_add_f32 v[12:13], v[12:13], v[30:31] neg_lo:[0,1] neg_hi:[0,1]
	v_sub_f32_e32 v14, v32, v14
	v_add_f32_e32 v12, v12, v14
	v_add_f32_e32 v12, v12, v13
	;; [unrolled: 1-line block ×3, first 2 shown]
	v_cndmask_b32_e32 v146, v12, v38, vcc
.LBB127_91:                             ;   in Loop: Header=BB127_13 Depth=1
	s_or_b64 exec, exec, s[4:5]
	s_waitcnt lgkmcnt(0)
	v_cvt_f32_f16_e32 v12, v8
	v_readlane_b32 s2, v167, 2
	s_nop 1
	v_add_f32_e32 v147, s2, v12
	v_readlane_b32 s2, v167, 30
	v_cmp_ge_f32_e32 vcc, s6, v147
	v_readlane_b32 s3, v167, 31
	s_and_b64 s[2:3], s[2:3], vcc
	s_and_saveexec_b64 s[4:5], s[2:3]
	s_cbranch_execz .LBB127_93
; %bb.92:                               ;   in Loop: Header=BB127_13 Depth=1
	v_mul_f32_e32 v12, 0x3fb8aa3b, v147
	v_rndne_f32_e32 v13, v12
	v_sub_f32_e32 v14, v12, v13
	v_fma_f32 v12, v147, s8, -v12
	v_fmac_f32_e32 v12, 0x32a5705f, v147
	v_add_f32_e32 v12, v14, v12
	v_cvt_i32_f32_e32 v13, v13
	v_exp_f32_e32 v12, v12
	v_cmp_ngt_f32_e32 vcc, s9, v147
	v_ldexp_f32 v12, v12, v13
	s_nop 0
	v_cndmask_b32_e32 v12, 0, v12, vcc
	v_cmp_nlt_f32_e32 vcc, s12, v147
	s_nop 1
	v_cndmask_b32_e32 v38, v136, v12, vcc
	v_add_f32_e32 v14, 1.0, v38
	v_add_f32_e32 v12, -1.0, v14
	v_sub_f32_e32 v13, v12, v14
	v_add_f32_e32 v13, 1.0, v13
	v_sub_f32_e32 v12, v38, v12
	v_add_f32_e32 v15, v12, v13
	v_frexp_mant_f32_e32 v23, v14
	v_cvt_f64_f32_e32 v[12:13], v14
	v_frexp_exp_i32_f64_e32 v12, v[12:13]
	v_cmp_gt_f32_e32 vcc, s14, v23
	v_cmp_gt_f32_e64 s[60:61], s16, v38
	s_nop 0
	v_subbrev_co_u32_e32 v23, vcc, 0, v12, vcc
	v_sub_u32_e32 v12, 0, v23
	v_ldexp_f32 v13, v14, v12
	v_add_f32_e32 v14, -1.0, v13
	v_add_f32_e32 v25, 1.0, v13
	v_ldexp_f32 v12, v15, v12
	v_add_f32_e32 v15, 1.0, v14
	v_add_f32_e32 v26, -1.0, v25
	v_sub_f32_e32 v15, v13, v15
	v_sub_f32_e32 v13, v13, v26
	v_add_f32_e32 v15, v12, v15
	v_add_f32_e32 v12, v12, v13
	;; [unrolled: 1-line block ×3, first 2 shown]
	v_rcp_f32_e32 v31, v30
	v_sub_f32_e32 v13, v25, v30
	v_add_f32_e32 v25, v12, v13
	v_add_f32_e32 v13, v14, v15
	v_mul_f32_e32 v33, v13, v31
	v_sub_f32_e32 v12, v14, v13
	v_mul_f32_e32 v14, v30, v33
	v_fma_f32 v26, v33, v30, -v14
	v_fmac_f32_e32 v26, v33, v25
	v_add_f32_e32 v32, v15, v12
	v_add_f32_e32 v12, v14, v26
	v_sub_f32_e32 v15, v13, v12
	v_pk_add_f32 v[28:29], v[12:13], v[14:15] neg_lo:[0,1] neg_hi:[0,1]
	v_mov_b32_e32 v27, v12
	v_pk_add_f32 v[12:13], v[28:29], v[26:27] neg_lo:[0,1] neg_hi:[0,1]
	v_cmp_eq_f32_e32 vcc, s13, v38
	v_add_f32_e32 v13, v32, v13
	v_add_f32_e32 v12, v12, v13
	;; [unrolled: 1-line block ×3, first 2 shown]
	v_mul_f32_e32 v32, v31, v13
	v_mul_f32_e32 v14, v30, v32
	v_fma_f32 v26, v32, v30, -v14
	v_fmac_f32_e32 v26, v32, v25
	v_sub_f32_e32 v15, v15, v13
	v_add_f32_e32 v25, v12, v15
	v_add_f32_e32 v12, v14, v26
	v_sub_f32_e32 v15, v13, v12
	v_pk_add_f32 v[28:29], v[12:13], v[14:15] neg_lo:[0,1] neg_hi:[0,1]
	v_mov_b32_e32 v27, v12
	v_pk_add_f32 v[12:13], v[28:29], v[26:27] neg_lo:[0,1] neg_hi:[0,1]
	s_or_b64 vcc, s[60:61], vcc
	v_add_f32_e32 v13, v25, v13
	v_add_f32_e32 v12, v12, v13
	;; [unrolled: 1-line block ×4, first 2 shown]
	v_sub_f32_e32 v14, v13, v33
	v_mul_f32_e32 v12, v31, v12
	v_sub_f32_e32 v14, v32, v14
	v_add_f32_e32 v14, v14, v12
	v_add_f32_e32 v26, v13, v14
	v_mul_f32_e32 v27, v26, v26
	v_fmamk_f32 v12, v27, 0x3e9b6dac, v135
	v_fmaak_f32 v25, v27, v12, 0x3f2aaada
	v_cvt_f32_i32_e32 v12, v23
	v_sub_f32_e32 v13, v26, v13
	v_sub_f32_e32 v13, v14, v13
	v_ldexp_f32 v23, v13, 1
	v_mul_f32_e32 v13, v26, v27
	v_ldexp_f32 v15, v26, 1
	v_pk_mul_f32 v[26:27], v[12:13], v[24:25]
	s_nop 0
	v_fma_f32 v14, v12, s15, -v26
	v_fmac_f32_e32 v14, 0xb102e308, v12
	v_pk_add_f32 v[12:13], v[26:27], v[14:15]
	v_mov_b32_e32 v28, v26
	v_sub_f32_e32 v15, v13, v15
	v_sub_f32_e32 v15, v27, v15
	v_add_f32_e32 v29, v23, v15
	v_pk_add_f32 v[26:27], v[12:13], v[26:27] neg_lo:[0,1] neg_hi:[0,1]
	v_pk_add_f32 v[30:31], v[12:13], v[28:29]
	v_mov_b32_e32 v15, v12
	v_mov_b32_e32 v27, v31
	v_pk_add_f32 v[32:33], v[14:15], v[26:27] neg_lo:[0,1] neg_hi:[0,1]
	v_pk_add_f32 v[14:15], v[14:15], v[26:27]
	v_mov_b32_e32 v28, v29
	v_mov_b32_e32 v26, v15
	v_pk_add_f32 v[34:35], v[26:27], v[12:13] neg_lo:[0,1] neg_hi:[0,1]
	v_mov_b32_e32 v14, v31
	v_mov_b32_e32 v23, v34
	v_pk_add_f32 v[36:37], v[30:31], v[22:23] neg_lo:[0,1] neg_hi:[0,1]
	v_mov_b32_e32 v30, v13
	v_mov_b32_e32 v31, v34
	;; [unrolled: 1-line block ×3, first 2 shown]
	v_pk_add_f32 v[14:15], v[14:15], v[30:31] neg_lo:[0,1] neg_hi:[0,1]
	v_mov_b32_e32 v29, v12
	v_pk_add_f32 v[12:13], v[28:29], v[14:15] neg_lo:[0,1] neg_hi:[0,1]
	v_mov_b32_e32 v36, v32
	v_pk_add_f32 v[14:15], v[36:37], v[12:13]
	s_nop 0
	v_mov_b32_e32 v28, v15
	v_pk_add_f32 v[28:29], v[14:15], v[28:29]
	s_nop 0
	v_pk_add_f32 v[26:27], v[26:27], v[28:29]
	v_mov_b32_e32 v13, v28
	v_mov_b32_e32 v15, v26
	v_pk_add_f32 v[30:31], v[14:15], v[32:33] neg_lo:[0,1] neg_hi:[0,1]
	s_nop 0
	v_sub_f32_e32 v14, v14, v30
	v_pk_add_f32 v[12:13], v[12:13], v[30:31] neg_lo:[0,1] neg_hi:[0,1]
	v_sub_f32_e32 v14, v32, v14
	v_add_f32_e32 v12, v12, v14
	v_add_f32_e32 v12, v12, v13
	;; [unrolled: 1-line block ×3, first 2 shown]
	v_cndmask_b32_e32 v147, v12, v38, vcc
.LBB127_93:                             ;   in Loop: Header=BB127_13 Depth=1
	s_or_b64 exec, exec, s[4:5]
	v_cvt_f32_f16_sdwa v8, v8 dst_sel:DWORD dst_unused:UNUSED_PAD src0_sel:WORD_1
	v_readlane_b32 s2, v167, 2
	s_nop 1
	v_add_f32_e32 v148, s2, v8
	v_readlane_b32 s2, v167, 30
	v_cmp_ge_f32_e32 vcc, s6, v148
	v_readlane_b32 s3, v167, 31
	s_and_b64 s[2:3], s[2:3], vcc
	s_and_saveexec_b64 s[4:5], s[2:3]
	s_cbranch_execz .LBB127_95
; %bb.94:                               ;   in Loop: Header=BB127_13 Depth=1
	v_mul_f32_e32 v8, 0x3fb8aa3b, v148
	v_rndne_f32_e32 v12, v8
	v_sub_f32_e32 v13, v8, v12
	v_fma_f32 v8, v148, s8, -v8
	v_fmac_f32_e32 v8, 0x32a5705f, v148
	v_add_f32_e32 v8, v13, v8
	v_cvt_i32_f32_e32 v12, v12
	v_exp_f32_e32 v8, v8
	v_cmp_ngt_f32_e32 vcc, s9, v148
	v_ldexp_f32 v8, v8, v12
	s_nop 0
	v_cndmask_b32_e32 v8, 0, v8, vcc
	v_cmp_nlt_f32_e32 vcc, s12, v148
	s_nop 1
	v_cndmask_b32_e32 v36, v136, v8, vcc
	v_add_f32_e32 v8, 1.0, v36
	v_add_f32_e32 v12, -1.0, v8
	v_sub_f32_e32 v13, v12, v8
	v_add_f32_e32 v13, 1.0, v13
	v_sub_f32_e32 v12, v36, v12
	v_add_f32_e32 v14, v12, v13
	v_frexp_mant_f32_e32 v15, v8
	v_cvt_f64_f32_e32 v[12:13], v8
	v_frexp_exp_i32_f64_e32 v12, v[12:13]
	v_cmp_gt_f32_e32 vcc, s14, v15
	v_cmp_gt_f32_e64 s[60:61], s16, v36
	s_nop 0
	v_subbrev_co_u32_e32 v23, vcc, 0, v12, vcc
	v_sub_u32_e32 v12, 0, v23
	v_ldexp_f32 v8, v8, v12
	v_ldexp_f32 v12, v14, v12
	v_add_f32_e32 v14, -1.0, v8
	v_add_f32_e32 v13, 1.0, v14
	v_sub_f32_e32 v13, v8, v13
	v_add_f32_e32 v15, v12, v13
	v_add_f32_e32 v13, 1.0, v8
	v_add_f32_e32 v25, -1.0, v13
	v_sub_f32_e32 v8, v8, v25
	v_add_f32_e32 v8, v12, v8
	v_add_f32_e32 v25, v13, v8
	v_rcp_f32_e32 v30, v25
	v_sub_f32_e32 v12, v13, v25
	v_add_f32_e32 v13, v14, v15
	v_add_f32_e32 v8, v8, v12
	v_mul_f32_e32 v32, v13, v30
	v_sub_f32_e32 v12, v14, v13
	v_mul_f32_e32 v14, v25, v32
	v_fma_f32 v26, v32, v25, -v14
	v_fmac_f32_e32 v26, v32, v8
	v_add_f32_e32 v31, v15, v12
	v_add_f32_e32 v12, v14, v26
	v_sub_f32_e32 v15, v13, v12
	v_pk_add_f32 v[28:29], v[12:13], v[14:15] neg_lo:[0,1] neg_hi:[0,1]
	v_mov_b32_e32 v27, v12
	v_pk_add_f32 v[12:13], v[28:29], v[26:27] neg_lo:[0,1] neg_hi:[0,1]
	v_cmp_eq_f32_e32 vcc, s13, v36
	v_add_f32_e32 v13, v31, v13
	v_add_f32_e32 v12, v12, v13
	;; [unrolled: 1-line block ×3, first 2 shown]
	v_mul_f32_e32 v31, v30, v13
	v_mul_f32_e32 v14, v25, v31
	v_fma_f32 v26, v31, v25, -v14
	v_fmac_f32_e32 v26, v31, v8
	v_sub_f32_e32 v8, v15, v13
	v_add_f32_e32 v8, v12, v8
	v_add_f32_e32 v12, v14, v26
	v_sub_f32_e32 v15, v13, v12
	v_pk_add_f32 v[28:29], v[12:13], v[14:15] neg_lo:[0,1] neg_hi:[0,1]
	v_mov_b32_e32 v27, v12
	v_pk_add_f32 v[12:13], v[28:29], v[26:27] neg_lo:[0,1] neg_hi:[0,1]
	s_or_b64 vcc, s[60:61], vcc
	v_add_f32_e32 v8, v8, v13
	v_add_f32_e32 v8, v12, v8
	;; [unrolled: 1-line block ×4, first 2 shown]
	v_sub_f32_e32 v12, v13, v32
	v_mul_f32_e32 v8, v30, v8
	v_sub_f32_e32 v12, v31, v12
	v_add_f32_e32 v8, v12, v8
	v_add_f32_e32 v14, v13, v8
	v_mul_f32_e32 v26, v14, v14
	v_fmamk_f32 v12, v26, 0x3e9b6dac, v135
	v_fmaak_f32 v25, v26, v12, 0x3f2aaada
	v_cvt_f32_i32_e32 v12, v23
	v_sub_f32_e32 v13, v14, v13
	v_sub_f32_e32 v8, v8, v13
	v_mul_f32_e32 v13, v14, v26
	v_pk_mul_f32 v[26:27], v[12:13], v[24:25]
	v_ldexp_f32 v15, v14, 1
	v_fma_f32 v14, v12, s15, -v26
	v_fmac_f32_e32 v14, 0xb102e308, v12
	v_pk_add_f32 v[12:13], v[26:27], v[14:15]
	v_ldexp_f32 v8, v8, 1
	v_sub_f32_e32 v15, v13, v15
	v_sub_f32_e32 v15, v27, v15
	v_add_f32_e32 v29, v8, v15
	v_mov_b32_e32 v28, v26
	v_pk_add_f32 v[26:27], v[12:13], v[26:27] neg_lo:[0,1] neg_hi:[0,1]
	v_pk_add_f32 v[30:31], v[12:13], v[28:29]
	v_mov_b32_e32 v15, v12
	v_mov_b32_e32 v27, v31
	v_pk_add_f32 v[32:33], v[14:15], v[26:27] neg_lo:[0,1] neg_hi:[0,1]
	v_pk_add_f32 v[14:15], v[14:15], v[26:27]
	s_nop 0
	v_mov_b32_e32 v8, v15
	v_pk_add_f32 v[26:27], v[8:9], v[12:13] neg_lo:[0,1] neg_hi:[0,1]
	v_mov_b32_e32 v14, v31
	v_mov_b32_e32 v23, v26
	v_pk_add_f32 v[34:35], v[30:31], v[22:23] neg_lo:[0,1] neg_hi:[0,1]
	v_mov_b32_e32 v30, v13
	v_mov_b32_e32 v31, v26
	;; [unrolled: 1-line block ×3, first 2 shown]
	v_pk_add_f32 v[14:15], v[14:15], v[30:31] neg_lo:[0,1] neg_hi:[0,1]
	v_mov_b32_e32 v26, v29
	v_mov_b32_e32 v27, v12
	v_pk_add_f32 v[12:13], v[26:27], v[14:15] neg_lo:[0,1] neg_hi:[0,1]
	v_mov_b32_e32 v34, v32
	v_pk_add_f32 v[14:15], v[34:35], v[12:13]
	s_nop 0
	v_mov_b32_e32 v26, v15
	v_pk_add_f32 v[26:27], v[14:15], v[26:27]
	s_nop 0
	v_pk_add_f32 v[28:29], v[8:9], v[26:27]
	v_mov_b32_e32 v13, v26
	v_mov_b32_e32 v15, v28
	v_pk_add_f32 v[30:31], v[14:15], v[32:33] neg_lo:[0,1] neg_hi:[0,1]
	s_nop 0
	v_sub_f32_e32 v8, v14, v30
	v_pk_add_f32 v[12:13], v[12:13], v[30:31] neg_lo:[0,1] neg_hi:[0,1]
	v_sub_f32_e32 v8, v32, v8
	v_add_f32_e32 v8, v12, v8
	v_add_f32_e32 v8, v8, v13
	;; [unrolled: 1-line block ×3, first 2 shown]
	v_cndmask_b32_e32 v148, v8, v36, vcc
.LBB127_95:                             ;   in Loop: Header=BB127_13 Depth=1
	s_or_b64 exec, exec, s[4:5]
	v_cvt_f32_f16_e32 v8, v9
	v_readlane_b32 s2, v167, 2
	s_nop 1
	v_add_f32_e32 v149, s2, v8
	v_readlane_b32 s2, v167, 30
	v_cmp_ge_f32_e32 vcc, s6, v149
	v_readlane_b32 s3, v167, 31
	s_and_b64 s[2:3], s[2:3], vcc
	s_and_saveexec_b64 s[4:5], s[2:3]
	s_cbranch_execz .LBB127_97
; %bb.96:                               ;   in Loop: Header=BB127_13 Depth=1
	v_mul_f32_e32 v8, 0x3fb8aa3b, v149
	v_rndne_f32_e32 v12, v8
	v_sub_f32_e32 v13, v8, v12
	v_fma_f32 v8, v149, s8, -v8
	v_fmac_f32_e32 v8, 0x32a5705f, v149
	v_add_f32_e32 v8, v13, v8
	v_cvt_i32_f32_e32 v12, v12
	v_exp_f32_e32 v8, v8
	v_cmp_ngt_f32_e32 vcc, s9, v149
	v_ldexp_f32 v8, v8, v12
	s_nop 0
	v_cndmask_b32_e32 v8, 0, v8, vcc
	v_cmp_nlt_f32_e32 vcc, s12, v149
	s_nop 1
	v_cndmask_b32_e32 v36, v136, v8, vcc
	v_add_f32_e32 v8, 1.0, v36
	v_add_f32_e32 v12, -1.0, v8
	v_sub_f32_e32 v13, v12, v8
	v_add_f32_e32 v13, 1.0, v13
	v_sub_f32_e32 v12, v36, v12
	v_add_f32_e32 v14, v12, v13
	v_frexp_mant_f32_e32 v15, v8
	v_cvt_f64_f32_e32 v[12:13], v8
	v_frexp_exp_i32_f64_e32 v12, v[12:13]
	v_cmp_gt_f32_e32 vcc, s14, v15
	v_cmp_gt_f32_e64 s[60:61], s16, v36
	s_nop 0
	v_subbrev_co_u32_e32 v23, vcc, 0, v12, vcc
	v_sub_u32_e32 v12, 0, v23
	v_ldexp_f32 v8, v8, v12
	v_ldexp_f32 v12, v14, v12
	v_add_f32_e32 v14, -1.0, v8
	v_add_f32_e32 v13, 1.0, v14
	v_sub_f32_e32 v13, v8, v13
	v_add_f32_e32 v15, v12, v13
	v_add_f32_e32 v13, 1.0, v8
	v_add_f32_e32 v25, -1.0, v13
	v_sub_f32_e32 v8, v8, v25
	v_add_f32_e32 v8, v12, v8
	v_add_f32_e32 v25, v13, v8
	v_rcp_f32_e32 v30, v25
	v_sub_f32_e32 v12, v13, v25
	v_add_f32_e32 v13, v14, v15
	v_add_f32_e32 v8, v8, v12
	v_mul_f32_e32 v32, v13, v30
	v_sub_f32_e32 v12, v14, v13
	v_mul_f32_e32 v14, v25, v32
	v_fma_f32 v26, v32, v25, -v14
	v_fmac_f32_e32 v26, v32, v8
	v_add_f32_e32 v31, v15, v12
	v_add_f32_e32 v12, v14, v26
	v_sub_f32_e32 v15, v13, v12
	v_pk_add_f32 v[28:29], v[12:13], v[14:15] neg_lo:[0,1] neg_hi:[0,1]
	v_mov_b32_e32 v27, v12
	v_pk_add_f32 v[12:13], v[28:29], v[26:27] neg_lo:[0,1] neg_hi:[0,1]
	v_cmp_eq_f32_e32 vcc, s13, v36
	v_add_f32_e32 v13, v31, v13
	v_add_f32_e32 v12, v12, v13
	;; [unrolled: 1-line block ×3, first 2 shown]
	v_mul_f32_e32 v31, v30, v13
	v_mul_f32_e32 v14, v25, v31
	v_fma_f32 v26, v31, v25, -v14
	v_fmac_f32_e32 v26, v31, v8
	v_sub_f32_e32 v8, v15, v13
	v_add_f32_e32 v8, v12, v8
	v_add_f32_e32 v12, v14, v26
	v_sub_f32_e32 v15, v13, v12
	v_pk_add_f32 v[28:29], v[12:13], v[14:15] neg_lo:[0,1] neg_hi:[0,1]
	v_mov_b32_e32 v27, v12
	v_pk_add_f32 v[12:13], v[28:29], v[26:27] neg_lo:[0,1] neg_hi:[0,1]
	s_or_b64 vcc, s[60:61], vcc
	v_add_f32_e32 v8, v8, v13
	v_add_f32_e32 v8, v12, v8
	;; [unrolled: 1-line block ×4, first 2 shown]
	v_sub_f32_e32 v12, v13, v32
	v_mul_f32_e32 v8, v30, v8
	v_sub_f32_e32 v12, v31, v12
	v_add_f32_e32 v8, v12, v8
	v_add_f32_e32 v14, v13, v8
	v_mul_f32_e32 v26, v14, v14
	v_fmamk_f32 v12, v26, 0x3e9b6dac, v135
	v_fmaak_f32 v25, v26, v12, 0x3f2aaada
	v_cvt_f32_i32_e32 v12, v23
	v_sub_f32_e32 v13, v14, v13
	v_sub_f32_e32 v8, v8, v13
	v_mul_f32_e32 v13, v14, v26
	v_pk_mul_f32 v[26:27], v[12:13], v[24:25]
	v_ldexp_f32 v15, v14, 1
	v_fma_f32 v14, v12, s15, -v26
	v_fmac_f32_e32 v14, 0xb102e308, v12
	v_pk_add_f32 v[12:13], v[26:27], v[14:15]
	v_ldexp_f32 v8, v8, 1
	v_sub_f32_e32 v15, v13, v15
	v_sub_f32_e32 v15, v27, v15
	v_add_f32_e32 v29, v8, v15
	v_mov_b32_e32 v28, v26
	v_pk_add_f32 v[26:27], v[12:13], v[26:27] neg_lo:[0,1] neg_hi:[0,1]
	v_pk_add_f32 v[30:31], v[12:13], v[28:29]
	v_mov_b32_e32 v15, v12
	v_mov_b32_e32 v27, v31
	v_pk_add_f32 v[32:33], v[14:15], v[26:27] neg_lo:[0,1] neg_hi:[0,1]
	v_pk_add_f32 v[14:15], v[14:15], v[26:27]
	s_nop 0
	v_mov_b32_e32 v8, v15
	v_pk_add_f32 v[26:27], v[8:9], v[12:13] neg_lo:[0,1] neg_hi:[0,1]
	v_mov_b32_e32 v14, v31
	v_mov_b32_e32 v23, v26
	v_pk_add_f32 v[34:35], v[30:31], v[22:23] neg_lo:[0,1] neg_hi:[0,1]
	v_mov_b32_e32 v30, v13
	v_mov_b32_e32 v31, v26
	;; [unrolled: 1-line block ×3, first 2 shown]
	v_pk_add_f32 v[14:15], v[14:15], v[30:31] neg_lo:[0,1] neg_hi:[0,1]
	v_mov_b32_e32 v26, v29
	v_mov_b32_e32 v27, v12
	v_pk_add_f32 v[12:13], v[26:27], v[14:15] neg_lo:[0,1] neg_hi:[0,1]
	v_mov_b32_e32 v34, v32
	v_pk_add_f32 v[14:15], v[34:35], v[12:13]
	s_nop 0
	v_mov_b32_e32 v26, v15
	v_pk_add_f32 v[26:27], v[14:15], v[26:27]
	s_nop 0
	v_pk_add_f32 v[28:29], v[8:9], v[26:27]
	v_mov_b32_e32 v13, v26
	v_mov_b32_e32 v15, v28
	v_pk_add_f32 v[30:31], v[14:15], v[32:33] neg_lo:[0,1] neg_hi:[0,1]
	s_nop 0
	v_sub_f32_e32 v8, v14, v30
	v_pk_add_f32 v[12:13], v[12:13], v[30:31] neg_lo:[0,1] neg_hi:[0,1]
	v_sub_f32_e32 v8, v32, v8
	v_add_f32_e32 v8, v12, v8
	v_add_f32_e32 v8, v8, v13
	v_add_f32_e32 v8, v28, v8
	v_cndmask_b32_e32 v149, v8, v36, vcc
.LBB127_97:                             ;   in Loop: Header=BB127_13 Depth=1
	s_or_b64 exec, exec, s[4:5]
	v_cvt_f32_f16_sdwa v8, v9 dst_sel:DWORD dst_unused:UNUSED_PAD src0_sel:WORD_1
	v_readlane_b32 s2, v167, 2
	s_nop 1
	v_add_f32_e32 v150, s2, v8
	v_readlane_b32 s2, v167, 30
	v_cmp_ge_f32_e32 vcc, s6, v150
	v_readlane_b32 s3, v167, 31
	s_and_b64 s[2:3], s[2:3], vcc
	s_and_saveexec_b64 s[4:5], s[2:3]
	s_cbranch_execz .LBB127_99
; %bb.98:                               ;   in Loop: Header=BB127_13 Depth=1
	v_mul_f32_e32 v8, 0x3fb8aa3b, v150
	v_rndne_f32_e32 v9, v8
	v_sub_f32_e32 v12, v8, v9
	v_fma_f32 v8, v150, s8, -v8
	v_fmac_f32_e32 v8, 0x32a5705f, v150
	v_add_f32_e32 v8, v12, v8
	v_cvt_i32_f32_e32 v9, v9
	v_exp_f32_e32 v8, v8
	v_cmp_ngt_f32_e32 vcc, s9, v150
	v_ldexp_f32 v8, v8, v9
	s_nop 0
	v_cndmask_b32_e32 v8, 0, v8, vcc
	v_cmp_nlt_f32_e32 vcc, s12, v150
	s_nop 1
	v_cndmask_b32_e32 v23, v136, v8, vcc
	v_add_f32_e32 v12, 1.0, v23
	v_add_f32_e32 v8, -1.0, v12
	v_sub_f32_e32 v9, v8, v12
	v_add_f32_e32 v9, 1.0, v9
	v_sub_f32_e32 v8, v23, v8
	v_add_f32_e32 v13, v8, v9
	v_frexp_mant_f32_e32 v14, v12
	v_cvt_f64_f32_e32 v[8:9], v12
	v_frexp_exp_i32_f64_e32 v8, v[8:9]
	v_cmp_gt_f32_e32 vcc, s14, v14
	v_cmp_gt_f32_e64 s[60:61], s16, v23
	s_nop 0
	v_subbrev_co_u32_e32 v28, vcc, 0, v8, vcc
	v_sub_u32_e32 v8, 0, v28
	v_ldexp_f32 v9, v12, v8
	v_add_f32_e32 v12, -1.0, v9
	v_add_f32_e32 v14, 1.0, v9
	v_ldexp_f32 v8, v13, v8
	v_add_f32_e32 v13, 1.0, v12
	v_add_f32_e32 v15, -1.0, v14
	v_sub_f32_e32 v13, v9, v13
	v_sub_f32_e32 v9, v9, v15
	v_add_f32_e32 v13, v8, v13
	v_add_f32_e32 v8, v8, v9
	;; [unrolled: 1-line block ×3, first 2 shown]
	v_rcp_f32_e32 v30, v25
	v_sub_f32_e32 v9, v14, v25
	v_add_f32_e32 v29, v8, v9
	v_add_f32_e32 v9, v12, v13
	v_mul_f32_e32 v32, v9, v30
	v_sub_f32_e32 v8, v12, v9
	v_mul_f32_e32 v12, v25, v32
	v_fma_f32 v14, v32, v25, -v12
	v_fmac_f32_e32 v14, v32, v29
	v_add_f32_e32 v31, v13, v8
	v_add_f32_e32 v8, v12, v14
	v_sub_f32_e32 v13, v9, v8
	v_pk_add_f32 v[26:27], v[8:9], v[12:13] neg_lo:[0,1] neg_hi:[0,1]
	v_mov_b32_e32 v15, v8
	v_pk_add_f32 v[8:9], v[26:27], v[14:15] neg_lo:[0,1] neg_hi:[0,1]
	v_cmp_eq_f32_e32 vcc, s13, v23
	v_add_f32_e32 v9, v31, v9
	v_add_f32_e32 v8, v8, v9
	;; [unrolled: 1-line block ×3, first 2 shown]
	v_mul_f32_e32 v31, v30, v9
	v_mul_f32_e32 v12, v25, v31
	v_fma_f32 v14, v31, v25, -v12
	v_fmac_f32_e32 v14, v31, v29
	v_sub_f32_e32 v13, v13, v9
	v_add_f32_e32 v25, v8, v13
	v_add_f32_e32 v8, v12, v14
	v_sub_f32_e32 v13, v9, v8
	v_pk_add_f32 v[26:27], v[8:9], v[12:13] neg_lo:[0,1] neg_hi:[0,1]
	v_mov_b32_e32 v15, v8
	v_pk_add_f32 v[8:9], v[26:27], v[14:15] neg_lo:[0,1] neg_hi:[0,1]
	s_or_b64 vcc, s[60:61], vcc
	v_add_f32_e32 v9, v25, v9
	v_add_f32_e32 v8, v8, v9
	;; [unrolled: 1-line block ×4, first 2 shown]
	v_sub_f32_e32 v12, v9, v32
	v_mul_f32_e32 v8, v30, v8
	v_sub_f32_e32 v12, v31, v12
	v_add_f32_e32 v12, v12, v8
	v_add_f32_e32 v14, v9, v12
	v_mul_f32_e32 v15, v14, v14
	v_fmamk_f32 v8, v15, 0x3e9b6dac, v135
	v_fmaak_f32 v25, v15, v8, 0x3f2aaada
	v_cvt_f32_i32_e32 v8, v28
	v_sub_f32_e32 v9, v14, v9
	v_sub_f32_e32 v9, v12, v9
	v_ldexp_f32 v26, v9, 1
	v_mul_f32_e32 v9, v14, v15
	v_ldexp_f32 v13, v14, 1
	v_pk_mul_f32 v[14:15], v[8:9], v[24:25]
	s_nop 0
	v_fma_f32 v12, v8, s15, -v14
	v_fmac_f32_e32 v12, 0xb102e308, v8
	v_pk_add_f32 v[8:9], v[14:15], v[12:13]
	s_nop 0
	v_sub_f32_e32 v13, v9, v13
	v_sub_f32_e32 v13, v15, v13
	v_add_f32_e32 v27, v26, v13
	v_mov_b32_e32 v26, v14
	v_pk_add_f32 v[14:15], v[8:9], v[14:15] neg_lo:[0,1] neg_hi:[0,1]
	v_pk_add_f32 v[28:29], v[8:9], v[26:27]
	v_mov_b32_e32 v13, v8
	v_mov_b32_e32 v15, v29
	v_pk_add_f32 v[30:31], v[12:13], v[14:15] neg_lo:[0,1] neg_hi:[0,1]
	v_pk_add_f32 v[12:13], v[12:13], v[14:15]
	v_mov_b32_e32 v26, v27
	v_mov_b32_e32 v14, v13
	v_pk_add_f32 v[32:33], v[14:15], v[8:9] neg_lo:[0,1] neg_hi:[0,1]
	v_mov_b32_e32 v12, v29
	v_mov_b32_e32 v15, v32
	v_pk_add_f32 v[34:35], v[28:29], v[14:15] neg_lo:[0,1] neg_hi:[0,1]
	v_mov_b32_e32 v28, v9
	v_mov_b32_e32 v29, v32
	;; [unrolled: 1-line block ×3, first 2 shown]
	v_pk_add_f32 v[12:13], v[12:13], v[28:29] neg_lo:[0,1] neg_hi:[0,1]
	v_mov_b32_e32 v27, v8
	v_pk_add_f32 v[8:9], v[26:27], v[12:13] neg_lo:[0,1] neg_hi:[0,1]
	v_mov_b32_e32 v34, v30
	v_pk_add_f32 v[12:13], v[34:35], v[8:9]
	s_nop 0
	v_mov_b32_e32 v26, v13
	v_pk_add_f32 v[26:27], v[12:13], v[26:27]
	s_nop 0
	v_pk_add_f32 v[14:15], v[14:15], v[26:27]
	v_mov_b32_e32 v9, v26
	v_mov_b32_e32 v13, v14
	v_pk_add_f32 v[28:29], v[12:13], v[30:31] neg_lo:[0,1] neg_hi:[0,1]
	s_nop 0
	v_sub_f32_e32 v12, v12, v28
	v_pk_add_f32 v[8:9], v[8:9], v[28:29] neg_lo:[0,1] neg_hi:[0,1]
	v_sub_f32_e32 v12, v30, v12
	v_add_f32_e32 v8, v8, v12
	v_add_f32_e32 v8, v8, v9
	;; [unrolled: 1-line block ×3, first 2 shown]
	v_cndmask_b32_e32 v150, v8, v23, vcc
.LBB127_99:                             ;   in Loop: Header=BB127_13 Depth=1
	s_or_b64 exec, exec, s[4:5]
	v_cvt_f32_f16_e32 v8, v10
	v_readlane_b32 s2, v167, 2
	s_nop 1
	v_add_f32_e32 v151, s2, v8
	v_readlane_b32 s2, v167, 30
	v_cmp_ge_f32_e32 vcc, s6, v151
	v_readlane_b32 s3, v167, 31
	s_and_b64 s[2:3], s[2:3], vcc
	s_and_saveexec_b64 s[4:5], s[2:3]
	s_cbranch_execz .LBB127_101
; %bb.100:                              ;   in Loop: Header=BB127_13 Depth=1
	v_mul_f32_e32 v8, 0x3fb8aa3b, v151
	v_rndne_f32_e32 v9, v8
	v_sub_f32_e32 v12, v8, v9
	v_fma_f32 v8, v151, s8, -v8
	v_fmac_f32_e32 v8, 0x32a5705f, v151
	v_add_f32_e32 v8, v12, v8
	v_cvt_i32_f32_e32 v9, v9
	v_exp_f32_e32 v8, v8
	v_cmp_ngt_f32_e32 vcc, s9, v151
	v_ldexp_f32 v8, v8, v9
	s_nop 0
	v_cndmask_b32_e32 v8, 0, v8, vcc
	v_cmp_nlt_f32_e32 vcc, s12, v151
	s_nop 1
	v_cndmask_b32_e32 v23, v136, v8, vcc
	v_add_f32_e32 v12, 1.0, v23
	v_add_f32_e32 v8, -1.0, v12
	v_sub_f32_e32 v9, v8, v12
	v_add_f32_e32 v9, 1.0, v9
	v_sub_f32_e32 v8, v23, v8
	v_add_f32_e32 v13, v8, v9
	v_frexp_mant_f32_e32 v14, v12
	v_cvt_f64_f32_e32 v[8:9], v12
	v_frexp_exp_i32_f64_e32 v8, v[8:9]
	v_cmp_gt_f32_e32 vcc, s14, v14
	v_cmp_gt_f32_e64 s[60:61], s16, v23
	s_nop 0
	v_subbrev_co_u32_e32 v28, vcc, 0, v8, vcc
	v_sub_u32_e32 v8, 0, v28
	v_ldexp_f32 v9, v12, v8
	v_add_f32_e32 v12, -1.0, v9
	v_add_f32_e32 v14, 1.0, v9
	v_ldexp_f32 v8, v13, v8
	v_add_f32_e32 v13, 1.0, v12
	v_add_f32_e32 v15, -1.0, v14
	v_sub_f32_e32 v13, v9, v13
	v_sub_f32_e32 v9, v9, v15
	v_add_f32_e32 v13, v8, v13
	v_add_f32_e32 v8, v8, v9
	;; [unrolled: 1-line block ×3, first 2 shown]
	v_rcp_f32_e32 v30, v25
	v_sub_f32_e32 v9, v14, v25
	v_add_f32_e32 v29, v8, v9
	v_add_f32_e32 v9, v12, v13
	v_mul_f32_e32 v32, v9, v30
	v_sub_f32_e32 v8, v12, v9
	v_mul_f32_e32 v12, v25, v32
	v_fma_f32 v14, v32, v25, -v12
	v_fmac_f32_e32 v14, v32, v29
	v_add_f32_e32 v31, v13, v8
	v_add_f32_e32 v8, v12, v14
	v_sub_f32_e32 v13, v9, v8
	v_pk_add_f32 v[26:27], v[8:9], v[12:13] neg_lo:[0,1] neg_hi:[0,1]
	v_mov_b32_e32 v15, v8
	v_pk_add_f32 v[8:9], v[26:27], v[14:15] neg_lo:[0,1] neg_hi:[0,1]
	v_cmp_eq_f32_e32 vcc, s13, v23
	v_add_f32_e32 v9, v31, v9
	v_add_f32_e32 v8, v8, v9
	;; [unrolled: 1-line block ×3, first 2 shown]
	v_mul_f32_e32 v31, v30, v9
	v_mul_f32_e32 v12, v25, v31
	v_fma_f32 v14, v31, v25, -v12
	v_fmac_f32_e32 v14, v31, v29
	v_sub_f32_e32 v13, v13, v9
	v_add_f32_e32 v25, v8, v13
	v_add_f32_e32 v8, v12, v14
	v_sub_f32_e32 v13, v9, v8
	v_pk_add_f32 v[26:27], v[8:9], v[12:13] neg_lo:[0,1] neg_hi:[0,1]
	v_mov_b32_e32 v15, v8
	v_pk_add_f32 v[8:9], v[26:27], v[14:15] neg_lo:[0,1] neg_hi:[0,1]
	s_or_b64 vcc, s[60:61], vcc
	v_add_f32_e32 v9, v25, v9
	v_add_f32_e32 v8, v8, v9
	;; [unrolled: 1-line block ×4, first 2 shown]
	v_sub_f32_e32 v12, v9, v32
	v_mul_f32_e32 v8, v30, v8
	v_sub_f32_e32 v12, v31, v12
	v_add_f32_e32 v12, v12, v8
	v_add_f32_e32 v14, v9, v12
	v_mul_f32_e32 v15, v14, v14
	v_fmamk_f32 v8, v15, 0x3e9b6dac, v135
	v_fmaak_f32 v25, v15, v8, 0x3f2aaada
	v_cvt_f32_i32_e32 v8, v28
	v_sub_f32_e32 v9, v14, v9
	v_sub_f32_e32 v9, v12, v9
	v_ldexp_f32 v26, v9, 1
	v_mul_f32_e32 v9, v14, v15
	v_ldexp_f32 v13, v14, 1
	v_pk_mul_f32 v[14:15], v[8:9], v[24:25]
	s_nop 0
	v_fma_f32 v12, v8, s15, -v14
	v_fmac_f32_e32 v12, 0xb102e308, v8
	v_pk_add_f32 v[8:9], v[14:15], v[12:13]
	s_nop 0
	v_sub_f32_e32 v13, v9, v13
	v_sub_f32_e32 v13, v15, v13
	v_add_f32_e32 v27, v26, v13
	v_mov_b32_e32 v26, v14
	v_pk_add_f32 v[14:15], v[8:9], v[14:15] neg_lo:[0,1] neg_hi:[0,1]
	v_pk_add_f32 v[28:29], v[8:9], v[26:27]
	v_mov_b32_e32 v13, v8
	v_mov_b32_e32 v15, v29
	v_pk_add_f32 v[30:31], v[12:13], v[14:15] neg_lo:[0,1] neg_hi:[0,1]
	v_pk_add_f32 v[12:13], v[12:13], v[14:15]
	v_mov_b32_e32 v26, v27
	v_mov_b32_e32 v14, v13
	v_pk_add_f32 v[32:33], v[14:15], v[8:9] neg_lo:[0,1] neg_hi:[0,1]
	v_mov_b32_e32 v12, v29
	v_mov_b32_e32 v15, v32
	v_pk_add_f32 v[34:35], v[28:29], v[14:15] neg_lo:[0,1] neg_hi:[0,1]
	v_mov_b32_e32 v28, v9
	v_mov_b32_e32 v29, v32
	;; [unrolled: 1-line block ×3, first 2 shown]
	v_pk_add_f32 v[12:13], v[12:13], v[28:29] neg_lo:[0,1] neg_hi:[0,1]
	v_mov_b32_e32 v27, v8
	v_pk_add_f32 v[8:9], v[26:27], v[12:13] neg_lo:[0,1] neg_hi:[0,1]
	v_mov_b32_e32 v34, v30
	v_pk_add_f32 v[12:13], v[34:35], v[8:9]
	s_nop 0
	v_mov_b32_e32 v26, v13
	v_pk_add_f32 v[26:27], v[12:13], v[26:27]
	s_nop 0
	v_pk_add_f32 v[14:15], v[14:15], v[26:27]
	v_mov_b32_e32 v9, v26
	v_mov_b32_e32 v13, v14
	v_pk_add_f32 v[28:29], v[12:13], v[30:31] neg_lo:[0,1] neg_hi:[0,1]
	s_nop 0
	v_sub_f32_e32 v12, v12, v28
	v_pk_add_f32 v[8:9], v[8:9], v[28:29] neg_lo:[0,1] neg_hi:[0,1]
	v_sub_f32_e32 v12, v30, v12
	v_add_f32_e32 v8, v8, v12
	v_add_f32_e32 v8, v8, v9
	;; [unrolled: 1-line block ×3, first 2 shown]
	v_cndmask_b32_e32 v151, v8, v23, vcc
.LBB127_101:                            ;   in Loop: Header=BB127_13 Depth=1
	s_or_b64 exec, exec, s[4:5]
	v_cvt_f32_f16_sdwa v8, v10 dst_sel:DWORD dst_unused:UNUSED_PAD src0_sel:WORD_1
	v_readlane_b32 s2, v167, 2
	s_nop 1
	v_add_f32_e32 v152, s2, v8
	v_readlane_b32 s2, v167, 30
	v_cmp_ge_f32_e32 vcc, s6, v152
	v_readlane_b32 s3, v167, 31
	s_and_b64 s[2:3], s[2:3], vcc
	s_and_saveexec_b64 s[4:5], s[2:3]
	s_cbranch_execz .LBB127_103
; %bb.102:                              ;   in Loop: Header=BB127_13 Depth=1
	v_mul_f32_e32 v8, 0x3fb8aa3b, v152
	v_rndne_f32_e32 v9, v8
	v_sub_f32_e32 v10, v8, v9
	v_fma_f32 v8, v152, s8, -v8
	v_fmac_f32_e32 v8, 0x32a5705f, v152
	v_add_f32_e32 v8, v10, v8
	v_cvt_i32_f32_e32 v9, v9
	v_exp_f32_e32 v8, v8
	v_cmp_ngt_f32_e32 vcc, s9, v152
	v_ldexp_f32 v8, v8, v9
	s_nop 0
	v_cndmask_b32_e32 v8, 0, v8, vcc
	v_cmp_nlt_f32_e32 vcc, s12, v152
	s_nop 1
	v_cndmask_b32_e32 v23, v136, v8, vcc
	v_add_f32_e32 v10, 1.0, v23
	v_add_f32_e32 v8, -1.0, v10
	v_sub_f32_e32 v9, v8, v10
	v_add_f32_e32 v9, 1.0, v9
	v_sub_f32_e32 v8, v23, v8
	v_add_f32_e32 v12, v8, v9
	v_frexp_mant_f32_e32 v13, v10
	v_cvt_f64_f32_e32 v[8:9], v10
	v_frexp_exp_i32_f64_e32 v8, v[8:9]
	v_cmp_gt_f32_e32 vcc, s14, v13
	v_cmp_gt_f32_e64 s[60:61], s16, v23
	s_nop 0
	v_subbrev_co_u32_e32 v28, vcc, 0, v8, vcc
	v_sub_u32_e32 v8, 0, v28
	v_ldexp_f32 v9, v10, v8
	v_add_f32_e32 v10, -1.0, v9
	v_add_f32_e32 v13, 1.0, v9
	v_ldexp_f32 v8, v12, v8
	v_add_f32_e32 v12, 1.0, v10
	v_add_f32_e32 v14, -1.0, v13
	v_sub_f32_e32 v12, v9, v12
	v_sub_f32_e32 v9, v9, v14
	v_add_f32_e32 v12, v8, v12
	v_add_f32_e32 v8, v8, v9
	;; [unrolled: 1-line block ×3, first 2 shown]
	v_rcp_f32_e32 v30, v25
	v_sub_f32_e32 v9, v13, v25
	v_add_f32_e32 v29, v8, v9
	v_add_f32_e32 v9, v10, v12
	v_sub_f32_e32 v8, v10, v9
	v_mul_f32_e32 v31, v9, v30
	v_add_f32_e32 v10, v12, v8
	v_mul_f32_e32 v12, v25, v31
	v_fma_f32 v14, v31, v25, -v12
	v_fmac_f32_e32 v14, v31, v29
	v_add_f32_e32 v8, v12, v14
	v_sub_f32_e32 v13, v9, v8
	v_pk_add_f32 v[26:27], v[8:9], v[12:13] neg_lo:[0,1] neg_hi:[0,1]
	v_mov_b32_e32 v15, v8
	v_pk_add_f32 v[8:9], v[26:27], v[14:15] neg_lo:[0,1] neg_hi:[0,1]
	v_cmp_eq_f32_e32 vcc, s13, v23
	v_add_f32_e32 v9, v10, v9
	v_add_f32_e32 v8, v8, v9
	;; [unrolled: 1-line block ×3, first 2 shown]
	v_mul_f32_e32 v10, v30, v9
	v_mul_f32_e32 v12, v25, v10
	v_fma_f32 v14, v10, v25, -v12
	v_fmac_f32_e32 v14, v10, v29
	v_sub_f32_e32 v13, v13, v9
	v_add_f32_e32 v25, v8, v13
	v_add_f32_e32 v8, v12, v14
	v_sub_f32_e32 v13, v9, v8
	v_pk_add_f32 v[26:27], v[8:9], v[12:13] neg_lo:[0,1] neg_hi:[0,1]
	v_mov_b32_e32 v15, v8
	v_pk_add_f32 v[8:9], v[26:27], v[14:15] neg_lo:[0,1] neg_hi:[0,1]
	s_or_b64 vcc, s[60:61], vcc
	v_add_f32_e32 v9, v25, v9
	v_add_f32_e32 v8, v8, v9
	;; [unrolled: 1-line block ×4, first 2 shown]
	v_sub_f32_e32 v12, v9, v31
	v_mul_f32_e32 v8, v30, v8
	v_sub_f32_e32 v10, v10, v12
	v_add_f32_e32 v10, v10, v8
	v_add_f32_e32 v12, v9, v10
	v_mul_f32_e32 v14, v12, v12
	v_fmamk_f32 v8, v14, 0x3e9b6dac, v135
	v_fmaak_f32 v25, v14, v8, 0x3f2aaada
	v_cvt_f32_i32_e32 v8, v28
	v_sub_f32_e32 v9, v12, v9
	v_sub_f32_e32 v9, v10, v9
	v_ldexp_f32 v10, v9, 1
	v_mul_f32_e32 v9, v12, v14
	v_pk_mul_f32 v[14:15], v[8:9], v[24:25]
	v_ldexp_f32 v13, v12, 1
	v_fma_f32 v12, v8, s15, -v14
	v_fmac_f32_e32 v12, 0xb102e308, v8
	v_pk_add_f32 v[8:9], v[14:15], v[12:13]
	v_mov_b32_e32 v26, v14
	v_sub_f32_e32 v13, v9, v13
	v_sub_f32_e32 v13, v15, v13
	v_add_f32_e32 v27, v10, v13
	v_pk_add_f32 v[14:15], v[8:9], v[14:15] neg_lo:[0,1] neg_hi:[0,1]
	v_pk_add_f32 v[28:29], v[8:9], v[26:27]
	v_mov_b32_e32 v13, v8
	v_mov_b32_e32 v15, v29
	v_pk_add_f32 v[30:31], v[12:13], v[14:15] neg_lo:[0,1] neg_hi:[0,1]
	v_pk_add_f32 v[12:13], v[12:13], v[14:15]
	s_nop 0
	v_mov_b32_e32 v10, v13
	v_pk_add_f32 v[14:15], v[10:11], v[8:9] neg_lo:[0,1] neg_hi:[0,1]
	v_mov_b32_e32 v12, v29
	v_mov_b32_e32 v15, v14
	v_pk_add_f32 v[32:33], v[28:29], v[14:15] neg_lo:[0,1] neg_hi:[0,1]
	v_mov_b32_e32 v28, v9
	v_mov_b32_e32 v29, v14
	;; [unrolled: 1-line block ×3, first 2 shown]
	v_pk_add_f32 v[12:13], v[12:13], v[28:29] neg_lo:[0,1] neg_hi:[0,1]
	v_mov_b32_e32 v14, v27
	v_mov_b32_e32 v15, v8
	v_pk_add_f32 v[8:9], v[14:15], v[12:13] neg_lo:[0,1] neg_hi:[0,1]
	v_mov_b32_e32 v32, v30
	v_pk_add_f32 v[12:13], v[32:33], v[8:9]
	s_nop 0
	v_mov_b32_e32 v14, v13
	v_pk_add_f32 v[14:15], v[12:13], v[14:15]
	s_nop 0
	v_pk_add_f32 v[26:27], v[10:11], v[14:15]
	v_mov_b32_e32 v9, v14
	v_mov_b32_e32 v13, v26
	v_pk_add_f32 v[28:29], v[12:13], v[30:31] neg_lo:[0,1] neg_hi:[0,1]
	s_nop 0
	v_sub_f32_e32 v10, v12, v28
	v_pk_add_f32 v[8:9], v[8:9], v[28:29] neg_lo:[0,1] neg_hi:[0,1]
	v_sub_f32_e32 v10, v30, v10
	v_add_f32_e32 v8, v8, v10
	v_add_f32_e32 v8, v8, v9
	;; [unrolled: 1-line block ×3, first 2 shown]
	v_cndmask_b32_e32 v152, v8, v23, vcc
.LBB127_103:                            ;   in Loop: Header=BB127_13 Depth=1
	s_or_b64 exec, exec, s[4:5]
	v_cvt_f32_f16_e32 v8, v11
	v_readlane_b32 s2, v167, 2
	s_nop 1
	v_add_f32_e32 v26, s2, v8
	v_readlane_b32 s2, v167, 30
	v_cmp_ge_f32_e32 vcc, s6, v26
	v_readlane_b32 s3, v167, 31
	s_and_b64 s[2:3], s[2:3], vcc
	s_and_saveexec_b64 s[4:5], s[2:3]
	s_cbranch_execz .LBB127_105
; %bb.104:                              ;   in Loop: Header=BB127_13 Depth=1
	v_mul_f32_e32 v8, 0x3fb8aa3b, v26
	v_rndne_f32_e32 v9, v8
	v_sub_f32_e32 v10, v8, v9
	v_fma_f32 v8, v26, s8, -v8
	v_fmac_f32_e32 v8, 0x32a5705f, v26
	v_add_f32_e32 v8, v10, v8
	v_cvt_i32_f32_e32 v9, v9
	v_exp_f32_e32 v8, v8
	v_cmp_ngt_f32_e32 vcc, s9, v26
	v_ldexp_f32 v8, v8, v9
	s_nop 0
	v_cndmask_b32_e32 v8, 0, v8, vcc
	v_cmp_nlt_f32_e32 vcc, s12, v26
	s_nop 1
	v_cndmask_b32_e32 v23, v136, v8, vcc
	v_add_f32_e32 v10, 1.0, v23
	v_add_f32_e32 v8, -1.0, v10
	v_sub_f32_e32 v9, v8, v10
	v_add_f32_e32 v9, 1.0, v9
	v_sub_f32_e32 v8, v23, v8
	v_add_f32_e32 v12, v8, v9
	v_frexp_mant_f32_e32 v13, v10
	v_cvt_f64_f32_e32 v[8:9], v10
	v_frexp_exp_i32_f64_e32 v8, v[8:9]
	v_cmp_gt_f32_e32 vcc, s14, v13
	v_cmp_gt_f32_e64 s[60:61], s16, v23
	s_nop 0
	v_subbrev_co_u32_e32 v28, vcc, 0, v8, vcc
	v_sub_u32_e32 v8, 0, v28
	v_ldexp_f32 v9, v10, v8
	v_add_f32_e32 v10, -1.0, v9
	v_add_f32_e32 v13, 1.0, v9
	v_ldexp_f32 v8, v12, v8
	v_add_f32_e32 v12, 1.0, v10
	v_add_f32_e32 v14, -1.0, v13
	v_sub_f32_e32 v12, v9, v12
	v_sub_f32_e32 v9, v9, v14
	v_add_f32_e32 v12, v8, v12
	v_add_f32_e32 v8, v8, v9
	;; [unrolled: 1-line block ×3, first 2 shown]
	v_rcp_f32_e32 v30, v25
	v_sub_f32_e32 v9, v13, v25
	v_add_f32_e32 v29, v8, v9
	v_add_f32_e32 v9, v10, v12
	v_sub_f32_e32 v8, v10, v9
	v_mul_f32_e32 v31, v9, v30
	v_add_f32_e32 v10, v12, v8
	v_mul_f32_e32 v12, v25, v31
	v_fma_f32 v14, v31, v25, -v12
	v_fmac_f32_e32 v14, v31, v29
	v_add_f32_e32 v8, v12, v14
	v_sub_f32_e32 v13, v9, v8
	v_pk_add_f32 v[26:27], v[8:9], v[12:13] neg_lo:[0,1] neg_hi:[0,1]
	v_mov_b32_e32 v15, v8
	v_pk_add_f32 v[8:9], v[26:27], v[14:15] neg_lo:[0,1] neg_hi:[0,1]
	v_cmp_eq_f32_e32 vcc, s13, v23
	v_add_f32_e32 v9, v10, v9
	v_add_f32_e32 v8, v8, v9
	;; [unrolled: 1-line block ×3, first 2 shown]
	v_mul_f32_e32 v10, v30, v9
	v_mul_f32_e32 v12, v25, v10
	v_fma_f32 v14, v10, v25, -v12
	v_fmac_f32_e32 v14, v10, v29
	v_sub_f32_e32 v13, v13, v9
	v_add_f32_e32 v25, v8, v13
	v_add_f32_e32 v8, v12, v14
	v_sub_f32_e32 v13, v9, v8
	v_pk_add_f32 v[26:27], v[8:9], v[12:13] neg_lo:[0,1] neg_hi:[0,1]
	v_mov_b32_e32 v15, v8
	v_pk_add_f32 v[8:9], v[26:27], v[14:15] neg_lo:[0,1] neg_hi:[0,1]
	s_or_b64 vcc, s[60:61], vcc
	v_add_f32_e32 v9, v25, v9
	v_add_f32_e32 v8, v8, v9
	;; [unrolled: 1-line block ×4, first 2 shown]
	v_sub_f32_e32 v12, v9, v31
	v_mul_f32_e32 v8, v30, v8
	v_sub_f32_e32 v10, v10, v12
	v_add_f32_e32 v10, v10, v8
	v_add_f32_e32 v12, v9, v10
	v_mul_f32_e32 v14, v12, v12
	v_fmamk_f32 v8, v14, 0x3e9b6dac, v135
	v_fmaak_f32 v25, v14, v8, 0x3f2aaada
	v_cvt_f32_i32_e32 v8, v28
	v_sub_f32_e32 v9, v12, v9
	v_sub_f32_e32 v9, v10, v9
	v_ldexp_f32 v10, v9, 1
	v_mul_f32_e32 v9, v12, v14
	v_pk_mul_f32 v[14:15], v[8:9], v[24:25]
	v_ldexp_f32 v13, v12, 1
	v_fma_f32 v12, v8, s15, -v14
	v_fmac_f32_e32 v12, 0xb102e308, v8
	v_pk_add_f32 v[8:9], v[14:15], v[12:13]
	v_mov_b32_e32 v26, v14
	v_sub_f32_e32 v13, v9, v13
	v_sub_f32_e32 v13, v15, v13
	v_add_f32_e32 v27, v10, v13
	v_pk_add_f32 v[14:15], v[8:9], v[14:15] neg_lo:[0,1] neg_hi:[0,1]
	v_pk_add_f32 v[28:29], v[8:9], v[26:27]
	v_mov_b32_e32 v13, v8
	v_mov_b32_e32 v15, v29
	v_pk_add_f32 v[30:31], v[12:13], v[14:15] neg_lo:[0,1] neg_hi:[0,1]
	v_pk_add_f32 v[12:13], v[12:13], v[14:15]
	s_nop 0
	v_mov_b32_e32 v10, v13
	v_pk_add_f32 v[14:15], v[10:11], v[8:9] neg_lo:[0,1] neg_hi:[0,1]
	v_mov_b32_e32 v12, v29
	v_mov_b32_e32 v15, v14
	v_pk_add_f32 v[32:33], v[28:29], v[14:15] neg_lo:[0,1] neg_hi:[0,1]
	v_mov_b32_e32 v28, v9
	v_mov_b32_e32 v29, v14
	;; [unrolled: 1-line block ×3, first 2 shown]
	v_pk_add_f32 v[12:13], v[12:13], v[28:29] neg_lo:[0,1] neg_hi:[0,1]
	v_mov_b32_e32 v14, v27
	v_mov_b32_e32 v15, v8
	v_pk_add_f32 v[8:9], v[14:15], v[12:13] neg_lo:[0,1] neg_hi:[0,1]
	v_mov_b32_e32 v32, v30
	v_pk_add_f32 v[12:13], v[32:33], v[8:9]
	s_nop 0
	v_mov_b32_e32 v14, v13
	v_pk_add_f32 v[14:15], v[12:13], v[14:15]
	s_nop 0
	v_pk_add_f32 v[26:27], v[10:11], v[14:15]
	v_mov_b32_e32 v9, v14
	v_mov_b32_e32 v13, v26
	v_pk_add_f32 v[28:29], v[12:13], v[30:31] neg_lo:[0,1] neg_hi:[0,1]
	s_nop 0
	v_sub_f32_e32 v10, v12, v28
	v_pk_add_f32 v[8:9], v[8:9], v[28:29] neg_lo:[0,1] neg_hi:[0,1]
	v_sub_f32_e32 v10, v30, v10
	v_add_f32_e32 v8, v8, v10
	v_add_f32_e32 v8, v8, v9
	;; [unrolled: 1-line block ×3, first 2 shown]
	v_cndmask_b32_e32 v26, v8, v23, vcc
.LBB127_105:                            ;   in Loop: Header=BB127_13 Depth=1
	s_or_b64 exec, exec, s[4:5]
	v_cvt_f32_f16_sdwa v8, v11 dst_sel:DWORD dst_unused:UNUSED_PAD src0_sel:WORD_1
	v_readlane_b32 s2, v167, 2
	s_nop 1
	v_add_f32_e32 v27, s2, v8
	v_readlane_b32 s2, v167, 30
	v_cmp_ge_f32_e32 vcc, s6, v27
	v_readlane_b32 s3, v167, 31
	s_and_b64 s[2:3], s[2:3], vcc
	s_and_saveexec_b64 s[4:5], s[2:3]
	s_cbranch_execz .LBB127_107
; %bb.106:                              ;   in Loop: Header=BB127_13 Depth=1
	v_mul_f32_e32 v8, 0x3fb8aa3b, v27
	v_rndne_f32_e32 v9, v8
	v_sub_f32_e32 v10, v8, v9
	v_fma_f32 v8, v27, s8, -v8
	v_fmac_f32_e32 v8, 0x32a5705f, v27
	v_add_f32_e32 v8, v10, v8
	v_cvt_i32_f32_e32 v9, v9
	v_exp_f32_e32 v8, v8
	v_cmp_ngt_f32_e32 vcc, s9, v27
	v_ldexp_f32 v8, v8, v9
	s_nop 0
	v_cndmask_b32_e32 v8, 0, v8, vcc
	v_cmp_nlt_f32_e32 vcc, s12, v27
	s_nop 1
	v_cndmask_b32_e32 v23, v136, v8, vcc
	v_add_f32_e32 v10, 1.0, v23
	v_add_f32_e32 v8, -1.0, v10
	v_sub_f32_e32 v9, v8, v10
	v_add_f32_e32 v9, 1.0, v9
	v_sub_f32_e32 v8, v23, v8
	v_add_f32_e32 v11, v8, v9
	v_frexp_mant_f32_e32 v12, v10
	v_cvt_f64_f32_e32 v[8:9], v10
	v_frexp_exp_i32_f64_e32 v8, v[8:9]
	v_cmp_gt_f32_e32 vcc, s14, v12
	v_cmp_gt_f32_e64 s[60:61], s16, v23
	s_nop 0
	v_subbrev_co_u32_e32 v27, vcc, 0, v8, vcc
	v_sub_u32_e32 v8, 0, v27
	v_ldexp_f32 v9, v10, v8
	v_add_f32_e32 v10, -1.0, v9
	v_add_f32_e32 v12, 1.0, v9
	v_ldexp_f32 v8, v11, v8
	v_add_f32_e32 v11, 1.0, v10
	v_add_f32_e32 v13, -1.0, v12
	v_sub_f32_e32 v11, v9, v11
	v_sub_f32_e32 v9, v9, v13
	v_add_f32_e32 v11, v8, v11
	v_add_f32_e32 v8, v8, v9
	;; [unrolled: 1-line block ×3, first 2 shown]
	v_rcp_f32_e32 v29, v25
	v_sub_f32_e32 v9, v12, v25
	v_add_f32_e32 v28, v8, v9
	v_add_f32_e32 v9, v10, v11
	v_mul_f32_e32 v31, v9, v29
	v_sub_f32_e32 v8, v10, v9
	v_mul_f32_e32 v10, v25, v31
	v_fma_f32 v12, v31, v25, -v10
	v_fmac_f32_e32 v12, v31, v28
	v_add_f32_e32 v30, v11, v8
	v_add_f32_e32 v8, v10, v12
	v_sub_f32_e32 v11, v9, v8
	v_pk_add_f32 v[14:15], v[8:9], v[10:11] neg_lo:[0,1] neg_hi:[0,1]
	v_mov_b32_e32 v13, v8
	v_pk_add_f32 v[8:9], v[14:15], v[12:13] neg_lo:[0,1] neg_hi:[0,1]
	v_cmp_eq_f32_e32 vcc, s13, v23
	v_add_f32_e32 v9, v30, v9
	v_add_f32_e32 v8, v8, v9
	;; [unrolled: 1-line block ×3, first 2 shown]
	v_mul_f32_e32 v30, v29, v9
	v_mul_f32_e32 v10, v25, v30
	v_fma_f32 v12, v30, v25, -v10
	v_fmac_f32_e32 v12, v30, v28
	v_sub_f32_e32 v11, v11, v9
	v_add_f32_e32 v25, v8, v11
	v_add_f32_e32 v8, v10, v12
	v_sub_f32_e32 v11, v9, v8
	v_pk_add_f32 v[14:15], v[8:9], v[10:11] neg_lo:[0,1] neg_hi:[0,1]
	v_mov_b32_e32 v13, v8
	v_pk_add_f32 v[8:9], v[14:15], v[12:13] neg_lo:[0,1] neg_hi:[0,1]
	s_or_b64 vcc, s[60:61], vcc
	v_add_f32_e32 v9, v25, v9
	v_add_f32_e32 v8, v8, v9
	;; [unrolled: 1-line block ×4, first 2 shown]
	v_sub_f32_e32 v10, v9, v31
	v_mul_f32_e32 v8, v29, v8
	v_sub_f32_e32 v10, v30, v10
	v_add_f32_e32 v10, v10, v8
	v_add_f32_e32 v12, v9, v10
	v_mul_f32_e32 v13, v12, v12
	v_fmamk_f32 v8, v13, 0x3e9b6dac, v135
	v_fmaak_f32 v25, v13, v8, 0x3f2aaada
	v_cvt_f32_i32_e32 v8, v27
	v_sub_f32_e32 v9, v12, v9
	v_sub_f32_e32 v9, v10, v9
	v_ldexp_f32 v14, v9, 1
	v_mul_f32_e32 v9, v12, v13
	v_ldexp_f32 v11, v12, 1
	v_pk_mul_f32 v[12:13], v[8:9], v[24:25]
	s_nop 0
	v_fma_f32 v10, v8, s15, -v12
	v_fmac_f32_e32 v10, 0xb102e308, v8
	v_pk_add_f32 v[8:9], v[12:13], v[10:11]
	s_nop 0
	v_sub_f32_e32 v11, v9, v11
	v_sub_f32_e32 v11, v13, v11
	v_add_f32_e32 v15, v14, v11
	v_mov_b32_e32 v14, v12
	v_pk_add_f32 v[12:13], v[8:9], v[12:13] neg_lo:[0,1] neg_hi:[0,1]
	v_pk_add_f32 v[28:29], v[8:9], v[14:15]
	v_mov_b32_e32 v11, v8
	v_mov_b32_e32 v13, v29
	v_pk_add_f32 v[30:31], v[10:11], v[12:13] neg_lo:[0,1] neg_hi:[0,1]
	v_pk_add_f32 v[10:11], v[10:11], v[12:13]
	v_mov_b32_e32 v14, v15
	v_mov_b32_e32 v12, v11
	v_pk_add_f32 v[32:33], v[12:13], v[8:9] neg_lo:[0,1] neg_hi:[0,1]
	v_mov_b32_e32 v10, v29
	v_mov_b32_e32 v13, v32
	v_pk_add_f32 v[34:35], v[28:29], v[12:13] neg_lo:[0,1] neg_hi:[0,1]
	v_mov_b32_e32 v28, v9
	v_mov_b32_e32 v29, v32
	;; [unrolled: 1-line block ×3, first 2 shown]
	v_pk_add_f32 v[10:11], v[10:11], v[28:29] neg_lo:[0,1] neg_hi:[0,1]
	v_mov_b32_e32 v15, v8
	v_pk_add_f32 v[8:9], v[14:15], v[10:11] neg_lo:[0,1] neg_hi:[0,1]
	v_mov_b32_e32 v34, v30
	v_pk_add_f32 v[10:11], v[34:35], v[8:9]
	s_nop 0
	v_mov_b32_e32 v14, v11
	v_pk_add_f32 v[14:15], v[10:11], v[14:15]
	s_nop 0
	v_pk_add_f32 v[12:13], v[12:13], v[14:15]
	v_mov_b32_e32 v9, v14
	v_mov_b32_e32 v11, v12
	v_pk_add_f32 v[28:29], v[10:11], v[30:31] neg_lo:[0,1] neg_hi:[0,1]
	s_nop 0
	v_sub_f32_e32 v10, v10, v28
	v_pk_add_f32 v[8:9], v[8:9], v[28:29] neg_lo:[0,1] neg_hi:[0,1]
	v_sub_f32_e32 v10, v30, v10
	v_add_f32_e32 v8, v8, v10
	v_add_f32_e32 v8, v8, v9
	;; [unrolled: 1-line block ×3, first 2 shown]
	v_cndmask_b32_e32 v27, v8, v23, vcc
.LBB127_107:                            ;   in Loop: Header=BB127_13 Depth=1
	s_or_b64 exec, exec, s[4:5]
	v_cvt_f32_f16_e32 v8, v7
	v_cvt_f32_f16_sdwa v9, v6 dst_sel:DWORD dst_unused:UNUSED_PAD src0_sel:WORD_1
	v_cvt_f32_f16_e32 v6, v6
	v_cvt_f32_f16_sdwa v13, v7 dst_sel:DWORD dst_unused:UNUSED_PAD src0_sel:WORD_1
	v_cvt_f32_f16_sdwa v7, v5 dst_sel:DWORD dst_unused:UNUSED_PAD src0_sel:WORD_1
	v_cvt_f32_f16_e32 v5, v5
	v_cvt_f32_f16_sdwa v10, v4 dst_sel:DWORD dst_unused:UNUSED_PAD src0_sel:WORD_1
	v_cvt_f32_f16_e32 v4, v4
	;; [unrolled: 2-line block ×6, first 2 shown]
	v_readlane_b32 s2, v167, 3
	s_barrier
	s_nop 0
	v_mul_f32_e32 v28, s2, v8
	v_mul_f32_e32 v31, s2, v9
	;; [unrolled: 1-line block ×16, first 2 shown]
	v_readlane_b32 s2, v167, 32
	v_readlane_b32 s3, v167, 33
	s_and_b64 vcc, exec, s[2:3]
	s_cbranch_vccz .LBB127_204
; %bb.108:                              ;   in Loop: Header=BB127_13 Depth=1
	v_readlane_b32 s2, v167, 8
	v_readlane_b32 s3, v167, 9
	v_mul_f32_e32 v165, v139, v0
	v_cmp_gt_u32_e32 vcc, s88, v19
	v_lshl_add_u64 v[44:45], s[2:3], 0, v[16:17]
	v_readlane_b32 s2, v167, 22
	v_readlane_b32 s3, v167, 23
	v_or_b32_e32 v0, 1, v19
	v_mov_b32_e32 v23, v17
	v_lshl_add_u64 v[46:47], s[2:3], 0, v[16:17]
	v_readlane_b32 s3, v167, 59
	s_cmp_lg_u32 s3, 0
	v_readlane_b32 s2, v167, 37
	s_cselect_b64 s[94:95], -1, 0
	s_cmp_eq_u32 s3, s2
	v_readlane_b32 s2, v167, 38
	v_readlane_b32 s3, v167, 39
	s_cselect_b64 s[96:97], -1, 0
	s_or_b64 s[60:61], s[2:3], vcc
	v_cmp_gt_u32_e32 vcc, s88, v0
	v_or_b32_e32 v0, 2, v19
	s_or_b64 s[62:63], s[2:3], vcc
	v_cmp_gt_u32_e32 vcc, s88, v0
	v_or_b32_e32 v0, 3, v19
	s_or_b64 s[64:65], s[2:3], vcc
	v_cmp_gt_u32_e32 vcc, s88, v0
	v_or_b32_e32 v0, 4, v19
	s_or_b64 s[66:67], s[2:3], vcc
	v_cmp_gt_u32_e32 vcc, s88, v0
	v_or_b32_e32 v0, 5, v19
	s_or_b64 s[68:69], s[2:3], vcc
	v_cmp_gt_u32_e32 vcc, s88, v0
	v_or_b32_e32 v0, 6, v19
	s_or_b64 s[70:71], s[2:3], vcc
	v_cmp_gt_u32_e32 vcc, s88, v0
	v_or_b32_e32 v0, 7, v19
	s_or_b64 s[72:73], s[2:3], vcc
	v_cmp_gt_u32_e32 vcc, s88, v0
	v_or_b32_e32 v0, 8, v19
	s_or_b64 s[74:75], s[2:3], vcc
	v_cmp_gt_u32_e32 vcc, s88, v0
	v_or_b32_e32 v0, 9, v19
	s_or_b64 s[76:77], s[2:3], vcc
	v_cmp_gt_u32_e32 vcc, s88, v0
	v_or_b32_e32 v0, 10, v19
	s_or_b64 s[78:79], s[2:3], vcc
	v_cmp_gt_u32_e32 vcc, s88, v0
	v_or_b32_e32 v0, 11, v19
	s_or_b64 s[80:81], s[2:3], vcc
	v_cmp_gt_u32_e32 vcc, s88, v0
	v_or_b32_e32 v0, 12, v19
	s_or_b64 s[82:83], s[2:3], vcc
	v_cmp_gt_u32_e32 vcc, s88, v0
	v_or_b32_e32 v0, 13, v19
	s_or_b64 s[84:85], s[2:3], vcc
	v_cmp_gt_u32_e32 vcc, s88, v0
	v_or_b32_e32 v0, 14, v19
	s_or_b64 s[86:87], s[2:3], vcc
	v_cmp_gt_u32_e32 vcc, s88, v0
	v_cmp_gt_u32_e64 s[88:89], s88, v134
	s_or_b64 s[88:89], s[2:3], s[88:89]
	s_or_b64 s[90:91], s[2:3], vcc
	v_readlane_b32 s2, v167, 34
	s_mov_b32 s6, 0
	v_readlane_b32 s3, v167, 35
	v_mul_f32_e32 v25, v27, v13
	v_lshl_add_u64 v[44:45], v[44:45], 0, v[22:23]
	v_lshl_add_u64 v[46:47], v[46:47], 0, v[22:23]
	v_mul_f32_e32 v16, v26, v8
	v_mul_f32_e32 v23, v152, v9
	;; [unrolled: 1-line block ×14, first 2 shown]
	s_mov_b32 s92, s6
	s_mov_b32 s98, s6
	;; [unrolled: 1-line block ×4, first 2 shown]
	v_readlane_b32 s9, v167, 58
	s_branch .LBB127_110
.LBB127_109:                            ;   in Loop: Header=BB127_110 Depth=2
	s_or_b64 exec, exec, s[2:3]
	v_cndmask_b32_e64 v8, v8, v67, s[24:25]
	v_cndmask_b32_e64 v48, v58, v66, s[24:25]
	v_mul_f32_e32 v48, v48, v120
	v_fma_f32 v8, v8, v120, v166
	v_cndmask_b32_e64 v8, v8, v166, s[22:23]
	v_cndmask_b32_e64 v48, v48, v120, s[22:23]
	s_waitcnt lgkmcnt(0)
	v_fmac_f32_e32 v8, v61, v48
	v_fmac_f32_e32 v9, v8, v121
	;; [unrolled: 1-line block ×13, first 2 shown]
	v_readlane_b32 s12, v167, 24
	v_fmac_f32_e32 v53, v52, v56
	v_readlane_b32 s13, v167, 25
	v_readlane_b32 s14, v167, 26
	;; [unrolled: 1-line block ×3, first 2 shown]
	v_fmac_f32_e32 v57, v53, v62
	s_add_i32 s4, s4, s14
	v_readlane_b32 s12, v167, 18
	v_fmac_f32_e32 v59, v57, v63
	v_cvt_f32_f16_sdwa v49, v4 dst_sel:DWORD dst_unused:UNUSED_PAD src0_sel:WORD_1
	v_cvt_f32_f16_sdwa v61, v5 dst_sel:DWORD dst_unused:UNUSED_PAD src0_sel:WORD_1
	v_cvt_f32_f16_e32 v48, v4
	v_cvt_f32_f16_e32 v60, v5
	v_cvt_f32_f16_sdwa v5, v6 dst_sel:DWORD dst_unused:UNUSED_PAD src0_sel:WORD_1
	v_cvt_f32_f16_sdwa v63, v7 dst_sel:DWORD dst_unused:UNUSED_PAD src0_sel:WORD_1
	v_cvt_f32_f16_e32 v4, v6
	v_cvt_f32_f16_e32 v62, v7
	;; [unrolled: 4-line block ×4, first 2 shown]
	v_readlane_b32 s13, v167, 19
	v_readlane_b32 s14, v167, 20
	;; [unrolled: 1-line block ×3, first 2 shown]
	s_add_i32 s98, s98, s12
	v_readlane_b32 s12, v167, 10
	v_readlane_b32 s13, v167, 11
	;; [unrolled: 1-line block ×3, first 2 shown]
	v_mov_b32_e32 v58, v57
	s_add_i32 s9, s9, 8
	s_add_i32 s8, s8, -1
	s_add_i32 s92, s92, s16
	s_add_i32 s6, s6, s13
	v_pk_fma_f32 v[40:41], v[10:11], v[60:61], v[40:41]
	v_pk_fma_f32 v[42:43], v[8:9], v[48:49], v[42:43]
	;; [unrolled: 1-line block ×7, first 2 shown]
	s_cmp_eq_u32 s8, 0
	v_pk_fma_f32 v[30:31], v[52:53], v[0:1], v[30:31]
	v_readlane_b32 s14, v167, 12
	v_readlane_b32 s15, v167, 13
	;; [unrolled: 1-line block ×5, first 2 shown]
	s_cbranch_scc1 .LBB127_203
.LBB127_110:                            ;   Parent Loop BB127_13 Depth=1
                                        ; =>  This Inner Loop Header: Depth=2
	s_lshl_b64 s[2:3], s[6:7], 2
	v_readlane_b32 s5, v167, 6
	s_add_u32 s2, s5, s2
	v_readlane_b32 s5, v167, 7
	s_addc_u32 s3, s5, s3
	global_load_dword v50, v17, s[2:3]
	s_mov_b32 s93, s7
	v_lshl_add_u64 v[0:1], s[92:93], 1, v[44:45]
	v_mov_b32_e32 v2, 0
	v_mov_b32_e32 v3, 0
	s_and_saveexec_b64 s[2:3], s[26:27]
	s_cbranch_execnz .LBB127_146
; %bb.111:                              ;   in Loop: Header=BB127_110 Depth=2
	s_or_b64 exec, exec, s[2:3]
	s_and_saveexec_b64 s[2:3], s[28:29]
	s_cbranch_execnz .LBB127_147
.LBB127_112:                            ;   in Loop: Header=BB127_110 Depth=2
	s_or_b64 exec, exec, s[2:3]
	v_mov_b32_e32 v4, 0
	s_and_saveexec_b64 s[2:3], s[30:31]
	s_cbranch_execnz .LBB127_148
.LBB127_113:                            ;   in Loop: Header=BB127_110 Depth=2
	s_or_b64 exec, exec, s[2:3]
	s_and_saveexec_b64 s[2:3], s[34:35]
	s_cbranch_execnz .LBB127_149
.LBB127_114:                            ;   in Loop: Header=BB127_110 Depth=2
	s_or_b64 exec, exec, s[2:3]
	v_mov_b32_e32 v5, 0
	s_and_saveexec_b64 s[2:3], s[36:37]
	s_cbranch_execnz .LBB127_150
.LBB127_115:                            ;   in Loop: Header=BB127_110 Depth=2
	s_or_b64 exec, exec, s[2:3]
	s_and_saveexec_b64 s[2:3], s[38:39]
	s_cbranch_execnz .LBB127_151
.LBB127_116:                            ;   in Loop: Header=BB127_110 Depth=2
	s_or_b64 exec, exec, s[2:3]
	v_mov_b32_e32 v6, 0
	s_and_saveexec_b64 s[2:3], s[40:41]
	s_cbranch_execnz .LBB127_152
.LBB127_117:                            ;   in Loop: Header=BB127_110 Depth=2
	s_or_b64 exec, exec, s[2:3]
	s_and_saveexec_b64 s[2:3], s[42:43]
	s_cbranch_execnz .LBB127_153
.LBB127_118:                            ;   in Loop: Header=BB127_110 Depth=2
	s_or_b64 exec, exec, s[2:3]
	v_mov_b32_e32 v7, 0
	s_and_saveexec_b64 s[2:3], s[44:45]
	s_cbranch_execnz .LBB127_154
.LBB127_119:                            ;   in Loop: Header=BB127_110 Depth=2
	s_or_b64 exec, exec, s[2:3]
	s_and_saveexec_b64 s[2:3], s[46:47]
	s_cbranch_execnz .LBB127_155
.LBB127_120:                            ;   in Loop: Header=BB127_110 Depth=2
	s_or_b64 exec, exec, s[2:3]
	v_mov_b32_e32 v8, 0
	s_and_saveexec_b64 s[2:3], s[48:49]
	s_cbranch_execnz .LBB127_156
.LBB127_121:                            ;   in Loop: Header=BB127_110 Depth=2
	s_or_b64 exec, exec, s[2:3]
	s_and_saveexec_b64 s[2:3], s[50:51]
	s_cbranch_execnz .LBB127_157
.LBB127_122:                            ;   in Loop: Header=BB127_110 Depth=2
	s_or_b64 exec, exec, s[2:3]
	v_mov_b32_e32 v9, 0
	s_and_saveexec_b64 s[2:3], s[52:53]
	s_cbranch_execnz .LBB127_158
.LBB127_123:                            ;   in Loop: Header=BB127_110 Depth=2
	s_or_b64 exec, exec, s[2:3]
	s_and_saveexec_b64 s[2:3], s[54:55]
	s_cbranch_execnz .LBB127_159
.LBB127_124:                            ;   in Loop: Header=BB127_110 Depth=2
	s_or_b64 exec, exec, s[2:3]
	v_mov_b32_e32 v10, 0
	s_and_saveexec_b64 s[2:3], s[56:57]
	s_cbranch_execnz .LBB127_160
.LBB127_125:                            ;   in Loop: Header=BB127_110 Depth=2
	s_or_b64 exec, exec, s[2:3]
	s_and_saveexec_b64 s[2:3], s[58:59]
	s_cbranch_execz .LBB127_127
.LBB127_126:                            ;   in Loop: Header=BB127_110 Depth=2
	global_load_ushort v0, v[0:1], off offset:1920
	s_waitcnt vmcnt(0)
	v_lshl_or_b32 v10, v0, 16, v10
.LBB127_127:                            ;   in Loop: Header=BB127_110 Depth=2
	s_or_b64 exec, exec, s[2:3]
	s_waitcnt vmcnt(0)
	ds_write_b16 v84, v3
	ds_write_b16 v85, v2 offset:128
	ds_write_b16 v86, v4 offset:256
	ds_write_b16_d16_hi v87, v4 offset:384
	ds_write_b16 v88, v5 offset:512
	ds_write_b16_d16_hi v89, v5 offset:640
	;; [unrolled: 2-line block ×7, first 2 shown]
	; wave barrier
	ds_read_b128 v[12:15], v100
	ds_read_b128 v[8:11], v100 offset:16
	s_mov_b32 s99, s7
	v_lshl_add_u64 v[0:1], s[98:99], 1, v[46:47]
	v_mov_b32_e32 v2, 0
	v_mov_b32_e32 v3, 0
	s_and_saveexec_b64 s[2:3], s[26:27]
	s_cbranch_execnz .LBB127_161
; %bb.128:                              ;   in Loop: Header=BB127_110 Depth=2
	s_or_b64 exec, exec, s[2:3]
	s_and_saveexec_b64 s[2:3], s[28:29]
	s_cbranch_execnz .LBB127_162
.LBB127_129:                            ;   in Loop: Header=BB127_110 Depth=2
	s_or_b64 exec, exec, s[2:3]
	v_mov_b32_e32 v4, 0
	s_and_saveexec_b64 s[2:3], s[30:31]
	s_cbranch_execnz .LBB127_163
.LBB127_130:                            ;   in Loop: Header=BB127_110 Depth=2
	s_or_b64 exec, exec, s[2:3]
	s_and_saveexec_b64 s[2:3], s[34:35]
	s_cbranch_execnz .LBB127_164
.LBB127_131:                            ;   in Loop: Header=BB127_110 Depth=2
	s_or_b64 exec, exec, s[2:3]
	v_mov_b32_e32 v5, 0
	s_and_saveexec_b64 s[2:3], s[36:37]
	s_cbranch_execnz .LBB127_165
.LBB127_132:                            ;   in Loop: Header=BB127_110 Depth=2
	s_or_b64 exec, exec, s[2:3]
	s_and_saveexec_b64 s[2:3], s[38:39]
	s_cbranch_execnz .LBB127_166
.LBB127_133:                            ;   in Loop: Header=BB127_110 Depth=2
	s_or_b64 exec, exec, s[2:3]
	v_mov_b32_e32 v6, 0
	s_and_saveexec_b64 s[2:3], s[40:41]
	s_cbranch_execnz .LBB127_167
.LBB127_134:                            ;   in Loop: Header=BB127_110 Depth=2
	s_or_b64 exec, exec, s[2:3]
	s_and_saveexec_b64 s[2:3], s[42:43]
	s_cbranch_execnz .LBB127_168
.LBB127_135:                            ;   in Loop: Header=BB127_110 Depth=2
	s_or_b64 exec, exec, s[2:3]
	v_mov_b32_e32 v7, 0
	s_and_saveexec_b64 s[2:3], s[44:45]
	s_cbranch_execnz .LBB127_169
.LBB127_136:                            ;   in Loop: Header=BB127_110 Depth=2
	s_or_b64 exec, exec, s[2:3]
	s_and_saveexec_b64 s[2:3], s[46:47]
	s_cbranch_execnz .LBB127_170
.LBB127_137:                            ;   in Loop: Header=BB127_110 Depth=2
	s_or_b64 exec, exec, s[2:3]
	v_mov_b32_e32 v48, 0
	s_and_saveexec_b64 s[2:3], s[48:49]
	s_cbranch_execnz .LBB127_171
.LBB127_138:                            ;   in Loop: Header=BB127_110 Depth=2
	s_or_b64 exec, exec, s[2:3]
	s_and_saveexec_b64 s[2:3], s[50:51]
	s_cbranch_execnz .LBB127_172
.LBB127_139:                            ;   in Loop: Header=BB127_110 Depth=2
	s_or_b64 exec, exec, s[2:3]
	v_mov_b32_e32 v49, 0
	s_and_saveexec_b64 s[2:3], s[52:53]
	s_cbranch_execnz .LBB127_173
.LBB127_140:                            ;   in Loop: Header=BB127_110 Depth=2
	s_or_b64 exec, exec, s[2:3]
	s_and_saveexec_b64 s[2:3], s[54:55]
	s_cbranch_execnz .LBB127_174
.LBB127_141:                            ;   in Loop: Header=BB127_110 Depth=2
	s_or_b64 exec, exec, s[2:3]
	v_mov_b32_e32 v51, 0
	s_and_saveexec_b64 s[2:3], s[56:57]
	s_cbranch_execnz .LBB127_175
.LBB127_142:                            ;   in Loop: Header=BB127_110 Depth=2
	s_or_b64 exec, exec, s[2:3]
	s_and_saveexec_b64 s[2:3], s[58:59]
	s_cbranch_execz .LBB127_144
.LBB127_143:                            ;   in Loop: Header=BB127_110 Depth=2
	global_load_ushort v0, v[0:1], off offset:1920
	s_waitcnt vmcnt(0)
	v_lshl_or_b32 v51, v0, 16, v51
.LBB127_144:                            ;   in Loop: Header=BB127_110 Depth=2
	s_or_b64 exec, exec, s[2:3]
	s_waitcnt vmcnt(0)
	ds_write_b16 v84, v3 offset:4224
	ds_write_b16 v101, v2 offset:128
	;; [unrolled: 1-line block ×3, first 2 shown]
	ds_write_b16_d16_hi v103, v4 offset:384
	ds_write_b16 v104, v5 offset:512
	ds_write_b16_d16_hi v105, v5 offset:640
	ds_write_b16 v106, v6 offset:768
	;; [unrolled: 2-line block ×6, first 2 shown]
	ds_write_b16_d16_hi v115, v51 offset:1920
	; wave barrier
	ds_read_b128 v[4:7], v100 offset:4224
	ds_read_b128 v[0:3], v116 offset:16
	s_andn2_b64 vcc, exec, s[94:95]
	s_cbranch_vccnz .LBB127_176
; %bb.145:                              ;   in Loop: Header=BB127_110 Depth=2
	v_mov_b32_e32 v48, s9
	ds_read_b64 v[48:49], v48
	s_cbranch_execz .LBB127_177
	s_branch .LBB127_180
.LBB127_146:                            ;   in Loop: Header=BB127_110 Depth=2
	global_load_ushort v3, v[0:1], off
	s_or_b64 exec, exec, s[2:3]
	s_and_saveexec_b64 s[2:3], s[28:29]
	s_cbranch_execz .LBB127_112
.LBB127_147:                            ;   in Loop: Header=BB127_110 Depth=2
	global_load_ushort v2, v[0:1], off offset:128
	s_or_b64 exec, exec, s[2:3]
	v_mov_b32_e32 v4, 0
	s_and_saveexec_b64 s[2:3], s[30:31]
	s_cbranch_execz .LBB127_113
.LBB127_148:                            ;   in Loop: Header=BB127_110 Depth=2
	global_load_ushort v4, v[0:1], off offset:256
	s_or_b64 exec, exec, s[2:3]
	s_and_saveexec_b64 s[2:3], s[34:35]
	s_cbranch_execz .LBB127_114
.LBB127_149:                            ;   in Loop: Header=BB127_110 Depth=2
	global_load_ushort v5, v[0:1], off offset:384
	s_waitcnt vmcnt(0)
	v_lshl_or_b32 v4, v5, 16, v4
	s_or_b64 exec, exec, s[2:3]
	v_mov_b32_e32 v5, 0
	s_and_saveexec_b64 s[2:3], s[36:37]
	s_cbranch_execz .LBB127_115
.LBB127_150:                            ;   in Loop: Header=BB127_110 Depth=2
	global_load_ushort v5, v[0:1], off offset:512
	s_or_b64 exec, exec, s[2:3]
	s_and_saveexec_b64 s[2:3], s[38:39]
	s_cbranch_execz .LBB127_116
.LBB127_151:                            ;   in Loop: Header=BB127_110 Depth=2
	global_load_ushort v6, v[0:1], off offset:640
	s_waitcnt vmcnt(0)
	v_lshl_or_b32 v5, v6, 16, v5
	s_or_b64 exec, exec, s[2:3]
	v_mov_b32_e32 v6, 0
	s_and_saveexec_b64 s[2:3], s[40:41]
	s_cbranch_execz .LBB127_117
.LBB127_152:                            ;   in Loop: Header=BB127_110 Depth=2
	global_load_ushort v6, v[0:1], off offset:768
	s_or_b64 exec, exec, s[2:3]
	s_and_saveexec_b64 s[2:3], s[42:43]
	s_cbranch_execz .LBB127_118
.LBB127_153:                            ;   in Loop: Header=BB127_110 Depth=2
	global_load_ushort v7, v[0:1], off offset:896
	s_waitcnt vmcnt(0)
	v_lshl_or_b32 v6, v7, 16, v6
	s_or_b64 exec, exec, s[2:3]
	v_mov_b32_e32 v7, 0
	s_and_saveexec_b64 s[2:3], s[44:45]
	s_cbranch_execz .LBB127_119
.LBB127_154:                            ;   in Loop: Header=BB127_110 Depth=2
	global_load_ushort v7, v[0:1], off offset:1024
	s_or_b64 exec, exec, s[2:3]
	s_and_saveexec_b64 s[2:3], s[46:47]
	s_cbranch_execz .LBB127_120
.LBB127_155:                            ;   in Loop: Header=BB127_110 Depth=2
	global_load_ushort v8, v[0:1], off offset:1152
	s_waitcnt vmcnt(0)
	v_lshl_or_b32 v7, v8, 16, v7
	s_or_b64 exec, exec, s[2:3]
	v_mov_b32_e32 v8, 0
	s_and_saveexec_b64 s[2:3], s[48:49]
	s_cbranch_execz .LBB127_121
.LBB127_156:                            ;   in Loop: Header=BB127_110 Depth=2
	global_load_ushort v8, v[0:1], off offset:1280
	s_or_b64 exec, exec, s[2:3]
	s_and_saveexec_b64 s[2:3], s[50:51]
	s_cbranch_execz .LBB127_122
.LBB127_157:                            ;   in Loop: Header=BB127_110 Depth=2
	global_load_ushort v9, v[0:1], off offset:1408
	s_waitcnt vmcnt(0)
	v_lshl_or_b32 v8, v9, 16, v8
	s_or_b64 exec, exec, s[2:3]
	v_mov_b32_e32 v9, 0
	s_and_saveexec_b64 s[2:3], s[52:53]
	s_cbranch_execz .LBB127_123
.LBB127_158:                            ;   in Loop: Header=BB127_110 Depth=2
	global_load_ushort v9, v[0:1], off offset:1536
	s_or_b64 exec, exec, s[2:3]
	s_and_saveexec_b64 s[2:3], s[54:55]
	s_cbranch_execz .LBB127_124
.LBB127_159:                            ;   in Loop: Header=BB127_110 Depth=2
	global_load_ushort v10, v[0:1], off offset:1664
	s_waitcnt vmcnt(0)
	v_lshl_or_b32 v9, v10, 16, v9
	s_or_b64 exec, exec, s[2:3]
	v_mov_b32_e32 v10, 0
	s_and_saveexec_b64 s[2:3], s[56:57]
	s_cbranch_execz .LBB127_125
.LBB127_160:                            ;   in Loop: Header=BB127_110 Depth=2
	global_load_ushort v10, v[0:1], off offset:1792
	s_or_b64 exec, exec, s[2:3]
	s_and_saveexec_b64 s[2:3], s[58:59]
	s_cbranch_execnz .LBB127_126
	s_branch .LBB127_127
.LBB127_161:                            ;   in Loop: Header=BB127_110 Depth=2
	global_load_ushort v3, v[0:1], off
	s_or_b64 exec, exec, s[2:3]
	s_and_saveexec_b64 s[2:3], s[28:29]
	s_cbranch_execz .LBB127_129
.LBB127_162:                            ;   in Loop: Header=BB127_110 Depth=2
	global_load_ushort v2, v[0:1], off offset:128
	s_or_b64 exec, exec, s[2:3]
	v_mov_b32_e32 v4, 0
	s_and_saveexec_b64 s[2:3], s[30:31]
	s_cbranch_execz .LBB127_130
.LBB127_163:                            ;   in Loop: Header=BB127_110 Depth=2
	global_load_ushort v4, v[0:1], off offset:256
	s_or_b64 exec, exec, s[2:3]
	s_and_saveexec_b64 s[2:3], s[34:35]
	s_cbranch_execz .LBB127_131
.LBB127_164:                            ;   in Loop: Header=BB127_110 Depth=2
	global_load_ushort v5, v[0:1], off offset:384
	s_waitcnt vmcnt(0)
	v_lshl_or_b32 v4, v5, 16, v4
	s_or_b64 exec, exec, s[2:3]
	v_mov_b32_e32 v5, 0
	s_and_saveexec_b64 s[2:3], s[36:37]
	s_cbranch_execz .LBB127_132
.LBB127_165:                            ;   in Loop: Header=BB127_110 Depth=2
	global_load_ushort v5, v[0:1], off offset:512
	s_or_b64 exec, exec, s[2:3]
	s_and_saveexec_b64 s[2:3], s[38:39]
	s_cbranch_execz .LBB127_133
.LBB127_166:                            ;   in Loop: Header=BB127_110 Depth=2
	global_load_ushort v6, v[0:1], off offset:640
	s_waitcnt vmcnt(0)
	v_lshl_or_b32 v5, v6, 16, v5
	s_or_b64 exec, exec, s[2:3]
	v_mov_b32_e32 v6, 0
	s_and_saveexec_b64 s[2:3], s[40:41]
	s_cbranch_execz .LBB127_134
.LBB127_167:                            ;   in Loop: Header=BB127_110 Depth=2
	global_load_ushort v6, v[0:1], off offset:768
	s_or_b64 exec, exec, s[2:3]
	s_and_saveexec_b64 s[2:3], s[42:43]
	s_cbranch_execz .LBB127_135
.LBB127_168:                            ;   in Loop: Header=BB127_110 Depth=2
	global_load_ushort v7, v[0:1], off offset:896
	s_waitcnt vmcnt(0)
	v_lshl_or_b32 v6, v7, 16, v6
	s_or_b64 exec, exec, s[2:3]
	v_mov_b32_e32 v7, 0
	s_and_saveexec_b64 s[2:3], s[44:45]
	s_cbranch_execz .LBB127_136
.LBB127_169:                            ;   in Loop: Header=BB127_110 Depth=2
	global_load_ushort v7, v[0:1], off offset:1024
	s_or_b64 exec, exec, s[2:3]
	s_and_saveexec_b64 s[2:3], s[46:47]
	s_cbranch_execz .LBB127_137
.LBB127_170:                            ;   in Loop: Header=BB127_110 Depth=2
	global_load_ushort v48, v[0:1], off offset:1152
	s_waitcnt vmcnt(0)
	v_lshl_or_b32 v7, v48, 16, v7
	s_or_b64 exec, exec, s[2:3]
	v_mov_b32_e32 v48, 0
	s_and_saveexec_b64 s[2:3], s[48:49]
	s_cbranch_execz .LBB127_138
.LBB127_171:                            ;   in Loop: Header=BB127_110 Depth=2
	global_load_ushort v48, v[0:1], off offset:1280
	s_or_b64 exec, exec, s[2:3]
	s_and_saveexec_b64 s[2:3], s[50:51]
	s_cbranch_execz .LBB127_139
.LBB127_172:                            ;   in Loop: Header=BB127_110 Depth=2
	global_load_ushort v49, v[0:1], off offset:1408
	s_waitcnt vmcnt(0)
	v_lshl_or_b32 v48, v49, 16, v48
	s_or_b64 exec, exec, s[2:3]
	v_mov_b32_e32 v49, 0
	s_and_saveexec_b64 s[2:3], s[52:53]
	s_cbranch_execz .LBB127_140
.LBB127_173:                            ;   in Loop: Header=BB127_110 Depth=2
	global_load_ushort v49, v[0:1], off offset:1536
	s_or_b64 exec, exec, s[2:3]
	s_and_saveexec_b64 s[2:3], s[54:55]
	s_cbranch_execz .LBB127_141
.LBB127_174:                            ;   in Loop: Header=BB127_110 Depth=2
	global_load_ushort v51, v[0:1], off offset:1664
	s_waitcnt vmcnt(0)
	v_lshl_or_b32 v49, v51, 16, v49
	s_or_b64 exec, exec, s[2:3]
	v_mov_b32_e32 v51, 0
	s_and_saveexec_b64 s[2:3], s[56:57]
	s_cbranch_execz .LBB127_142
.LBB127_175:                            ;   in Loop: Header=BB127_110 Depth=2
	global_load_ushort v51, v[0:1], off offset:1792
	s_or_b64 exec, exec, s[2:3]
	s_and_saveexec_b64 s[2:3], s[58:59]
	s_cbranch_execnz .LBB127_143
	s_branch .LBB127_144
.LBB127_176:                            ;   in Loop: Header=BB127_110 Depth=2
                                        ; implicit-def: $vgpr49
.LBB127_177:                            ;   in Loop: Header=BB127_110 Depth=2
	v_readlane_b32 s2, v167, 0
	v_readlane_b32 s3, v167, 1
	s_andn2_b64 vcc, exec, s[2:3]
	s_waitcnt lgkmcnt(0)
	v_mov_b32_e32 v49, 0
	s_cbranch_vccnz .LBB127_179
; %bb.178:                              ;   in Loop: Header=BB127_110 Depth=2
	s_mov_b32 s5, s7
	s_lshl_b64 s[2:3], s[4:5], 2
	v_readlane_b32 s5, v167, 28
	s_add_u32 s2, s5, s2
	v_readlane_b32 s5, v167, 29
	s_addc_u32 s3, s5, s3
	global_load_dword v49, v17, s[2:3]
.LBB127_179:                            ;   in Loop: Header=BB127_110 Depth=2
	v_mov_b32_e32 v48, 1.0
.LBB127_180:                            ;   in Loop: Header=BB127_110 Depth=2
	s_waitcnt lgkmcnt(14)
	v_cvt_f32_f16_e32 v55, v8
	v_cvt_f32_f16_sdwa v56, v8 dst_sel:DWORD dst_unused:UNUSED_PAD src0_sel:WORD_1
	v_mul_f32_e32 v8, 0x3fb8aa3b, v50
	v_cvt_f32_f16_e32 v57, v9
	v_cvt_f32_f16_sdwa v59, v9 dst_sel:DWORD dst_unused:UNUSED_PAD src0_sel:WORD_1
	v_mul_f32_e32 v9, v8, v139
	v_cmp_gt_f32_e32 vcc, s33, v9
	v_cvt_f32_f16_e32 v60, v10
	v_cvt_f32_f16_sdwa v61, v10 dst_sel:DWORD dst_unused:UNUSED_PAD src0_sel:WORD_1
	v_cndmask_b32_e32 v9, 0, v137, vcc
	v_fmac_f32_e32 v9, v8, v139
	v_exp_f32_e32 v9, v9
	v_cndmask_b32_e32 v10, 1.0, v138, vcc
	v_cvt_f32_f16_e32 v51, v12
	v_cvt_f32_f16_e32 v64, v11
	v_mul_f32_e32 v9, v9, v10
	v_cndmask_b32_e64 v120, 1.0, v9, s[60:61]
	v_mul_f32_e32 v9, v8, v140
	v_cmp_gt_f32_e32 vcc, s33, v9
	v_mul_f32_e32 v10, v165, v51
	v_cndmask_b32_e64 v166, 0, v10, s[60:61]
	v_cndmask_b32_e32 v9, 0, v137, vcc
	v_fmac_f32_e32 v9, v8, v140
	v_exp_f32_e32 v9, v9
	v_cndmask_b32_e32 v10, 1.0, v138, vcc
	v_cvt_f32_f16_sdwa v58, v11 dst_sel:DWORD dst_unused:UNUSED_PAD src0_sel:WORD_1
	v_cvt_f32_f16_sdwa v12, v12 dst_sel:DWORD dst_unused:UNUSED_PAD src0_sel:WORD_1
	v_mul_f32_e32 v10, v9, v10
	v_cndmask_b32_e64 v121, 1.0, v10, s[62:63]
	v_mul_f32_e32 v10, v8, v141
	v_cmp_gt_f32_e32 vcc, s33, v10
	v_mul_f32_e32 v9, v164, v12
	v_cvt_f32_f16_e32 v52, v13
	v_cndmask_b32_e32 v10, 0, v137, vcc
	v_fmac_f32_e32 v10, v8, v141
	v_exp_f32_e32 v10, v10
	v_cndmask_b32_e32 v11, 1.0, v138, vcc
	v_cvt_f32_f16_sdwa v13, v13 dst_sel:DWORD dst_unused:UNUSED_PAD src0_sel:WORD_1
	v_cvt_f32_f16_e32 v53, v14
	v_mul_f32_e32 v11, v10, v11
	v_cndmask_b32_e64 v122, 1.0, v11, s[64:65]
	v_mul_f32_e32 v11, v8, v142
	v_cmp_gt_f32_e32 vcc, s33, v11
	v_cvt_f32_f16_sdwa v14, v14 dst_sel:DWORD dst_unused:UNUSED_PAD src0_sel:WORD_1
	v_mul_f32_e32 v10, v163, v52
	v_cndmask_b32_e32 v11, 0, v137, vcc
	v_fmac_f32_e32 v11, v8, v142
	v_exp_f32_e32 v11, v11
	v_cndmask_b32_e32 v12, 1.0, v138, vcc
	v_cvt_f32_f16_e32 v54, v15
	v_cndmask_b32_e64 v9, 0, v9, s[62:63]
	v_mul_f32_e32 v12, v11, v12
	v_cndmask_b32_e64 v123, 1.0, v12, s[66:67]
	v_mul_f32_e32 v12, v8, v143
	v_cmp_gt_f32_e32 vcc, s33, v12
	v_mul_f32_e32 v11, v162, v13
	v_pk_mul_f32 v[62:63], v[8:9], v[26:27] op_sel_hi:[0,1]
	v_cndmask_b32_e32 v12, 0, v137, vcc
	v_fmac_f32_e32 v12, v8, v143
	v_exp_f32_e32 v12, v12
	v_cndmask_b32_e32 v13, 1.0, v138, vcc
	v_mul_f32_e32 v58, v25, v58
	v_cvt_f32_f16_sdwa v15, v15 dst_sel:DWORD dst_unused:UNUSED_PAD src0_sel:WORD_1
	v_mul_f32_e32 v13, v12, v13
	v_cndmask_b32_e64 v124, 1.0, v13, s[68:69]
	v_mul_f32_e32 v13, v8, v144
	v_cmp_gt_f32_e32 vcc, s33, v13
	v_mul_f32_e32 v12, v161, v53
	v_cndmask_b32_e64 v10, 0, v10, s[64:65]
	v_cndmask_b32_e32 v13, 0, v137, vcc
	v_fmac_f32_e32 v13, v8, v144
	v_exp_f32_e32 v13, v13
	v_cndmask_b32_e32 v50, 1.0, v138, vcc
	v_cndmask_b32_e64 v11, 0, v11, s[66:67]
	v_cndmask_b32_e64 v12, 0, v12, s[68:69]
	v_mul_f32_e32 v50, v13, v50
	v_mul_f32_e32 v13, v160, v14
	;; [unrolled: 1-line block ×3, first 2 shown]
	v_cmp_gt_f32_e32 vcc, s33, v14
	v_cndmask_b32_e64 v125, 1.0, v50, s[70:71]
	v_cndmask_b32_e64 v13, 0, v13, s[70:71]
	v_cndmask_b32_e32 v14, 0, v137, vcc
	v_fmac_f32_e32 v14, v8, v145
	v_exp_f32_e32 v14, v14
	v_cndmask_b32_e32 v50, 1.0, v138, vcc
	v_mul_f32_e32 v15, v158, v15
	v_cndmask_b32_e64 v15, 0, v15, s[74:75]
	v_mul_f32_e32 v50, v14, v50
	v_cndmask_b32_e64 v126, 1.0, v50, s[72:73]
	v_mul_f32_e32 v50, v8, v146
	v_cmp_gt_f32_e32 vcc, s33, v50
	v_mul_f32_e32 v14, v159, v54
	v_cndmask_b32_e64 v14, 0, v14, s[72:73]
	v_cndmask_b32_e32 v50, 0, v137, vcc
	v_fmac_f32_e32 v50, v8, v146
	v_exp_f32_e32 v50, v50
	v_cndmask_b32_e32 v51, 1.0, v138, vcc
	v_readlane_b32 s10, v167, 40
	v_readlane_b32 s11, v167, 41
	v_mul_f32_e32 v50, v50, v51
	v_cndmask_b32_e64 v127, 1.0, v50, s[74:75]
	v_mul_f32_e32 v50, v8, v147
	v_cmp_gt_f32_e32 vcc, s33, v50
	s_nop 1
	v_cndmask_b32_e32 v50, 0, v137, vcc
	v_fmac_f32_e32 v50, v8, v147
	v_exp_f32_e32 v50, v50
	v_cndmask_b32_e32 v51, 1.0, v138, vcc
	v_mul_f32_e32 v51, v50, v51
	v_cndmask_b32_e64 v128, 1.0, v51, s[76:77]
	v_mul_f32_e32 v51, v8, v148
	v_cmp_gt_f32_e32 vcc, s33, v51
	v_mul_f32_e32 v50, v157, v55
	v_cndmask_b32_e64 v50, 0, v50, s[76:77]
	v_cndmask_b32_e32 v51, 0, v137, vcc
	v_fmac_f32_e32 v51, v8, v148
	v_exp_f32_e32 v51, v51
	v_cndmask_b32_e32 v52, 1.0, v138, vcc
	v_mul_f32_e32 v52, v51, v52
	v_cndmask_b32_e64 v129, 1.0, v52, s[78:79]
	v_mul_f32_e32 v52, v8, v149
	v_cmp_gt_f32_e32 vcc, s33, v52
	v_mul_f32_e32 v51, v156, v56
	v_cndmask_b32_e64 v51, 0, v51, s[78:79]
	;; [unrolled: 10-line block ×4, first 2 shown]
	v_cndmask_b32_e32 v52, 0, v137, vcc
	v_fmac_f32_e32 v52, v8, v151
	v_exp_f32_e32 v52, v52
	v_cndmask_b32_e32 v53, 1.0, v138, vcc
	v_mul_f32_e32 v53, v52, v53
	v_mul_f32_e32 v52, v153, v60
	v_cndmask_b32_e64 v60, 1.0, v53, s[84:85]
	v_mul_f32_e32 v53, v8, v152
	v_cmp_gt_f32_e32 vcc, s33, v53
	v_cndmask_b32_e64 v52, 0, v52, s[84:85]
	s_nop 0
	v_cndmask_b32_e32 v53, 0, v137, vcc
	v_fmac_f32_e32 v53, v8, v152
	v_cndmask_b32_e32 v56, 1.0, v138, vcc
	v_mul_f32_e32 v8, v16, v64
	v_cmp_gt_f32_e32 vcc, s33, v62
	v_cndmask_b32_e64 v57, 0, v8, s[90:91]
	v_exp_f32_e32 v53, v53
	v_cndmask_b32_e32 v8, 0, v137, vcc
	v_add_f32_e32 v8, v62, v8
	v_exp_f32_e32 v8, v8
	v_cndmask_b32_e32 v59, 1.0, v138, vcc
	v_cmp_gt_f32_e32 vcc, s33, v63
	v_mul_f32_e32 v56, v53, v56
	v_mul_f32_e32 v8, v8, v59
	v_cndmask_b32_e32 v59, 0, v137, vcc
	v_add_f32_e32 v59, v63, v59
	v_exp_f32_e32 v59, v59
	v_mul_f32_e32 v53, v23, v61
	v_cndmask_b32_e32 v61, 1.0, v138, vcc
	v_cndmask_b32_e64 v62, 1.0, v8, s[90:91]
	v_mul_f32_e32 v61, v59, v61
	v_cndmask_b32_e64 v59, 0, v58, s[88:89]
	v_mul_f32_e32 v8, v121, v120
	v_fma_f32 v58, v121, v166, v9
	v_mul_f32_e32 v8, v8, v122
	v_fma_f32 v58, v58, v122, v10
	;; [unrolled: 2-line block ×11, first 2 shown]
	v_cndmask_b32_e64 v53, 0, v53, s[86:87]
	v_cndmask_b32_e64 v56, 1.0, v56, s[86:87]
	v_fma_f32 v8, v8, v60, v52
	v_cndmask_b32_e64 v63, 1.0, v61, s[88:89]
	v_fma_f32 v65, v8, v56, v53
	v_mov_b32_e32 v61, v62
	v_pk_mul_f32 v[132:133], v[64:65], v[60:61]
	v_pk_fma_f32 v[64:65], v[64:65], v[60:61], v[56:57]
	v_pk_mul_f32 v[132:133], v[132:133], v[56:57]
	v_mov_b32_e32 v66, v63
	v_mov_b32_e32 v133, v65
	;; [unrolled: 1-line block ×3, first 2 shown]
	v_pk_mul_f32 v[64:65], v[132:133], v[62:63]
	v_mov_b32_e32 v58, v63
	v_pk_mul_f32 v[66:67], v[64:65], v[66:67]
	v_pk_fma_f32 v[64:65], v[132:133], v[62:63], v[58:59]
	s_nop 0
	v_mov_b32_dpp v8, v66 row_shr:1 row_mask:0xf bank_mask:0xf
	v_mov_b32_dpp v58, v65 row_shr:1 row_mask:0xf bank_mask:0xf
	v_mul_f32_e32 v61, v66, v8
	v_fma_f32 v58, v66, v58, v65
	v_cndmask_b32_e64 v64, v61, v66, s[0:1]
	v_cndmask_b32_e64 v67, v58, v65, s[0:1]
	;; [unrolled: 1-line block ×4, first 2 shown]
	v_mov_b32_dpp v61, v67 row_shr:2 row_mask:0xf bank_mask:0xf
	v_mov_b32_dpp v58, v66 row_shr:2 row_mask:0xf bank_mask:0xf
	s_and_saveexec_b64 s[2:3], s[10:11]
; %bb.181:                              ;   in Loop: Header=BB127_110 Depth=2
	v_fmac_f32_e32 v67, v66, v61
	v_mul_f32_e32 v66, v66, v58
	v_mov_b32_e32 v64, v66
	v_mov_b32_e32 v8, v67
; %bb.182:                              ;   in Loop: Header=BB127_110 Depth=2
	s_or_b64 exec, exec, s[2:3]
	v_readlane_b32 s10, v167, 42
	v_mov_b32_dpp v58, v66 row_shr:4 row_mask:0xf bank_mask:0xf
	v_mov_b32_dpp v61, v67 row_shr:4 row_mask:0xf bank_mask:0xf
	v_readlane_b32 s11, v167, 43
	s_and_saveexec_b64 s[2:3], s[10:11]
; %bb.183:                              ;   in Loop: Header=BB127_110 Depth=2
	v_fmac_f32_e32 v67, v66, v61
	v_mul_f32_e32 v66, v66, v58
	v_mov_b32_e32 v64, v66
	v_mov_b32_e32 v8, v67
; %bb.184:                              ;   in Loop: Header=BB127_110 Depth=2
	s_or_b64 exec, exec, s[2:3]
	v_readlane_b32 s10, v167, 44
	v_mov_b32_dpp v58, v66 row_shr:8 row_mask:0xf bank_mask:0xf
	v_mov_b32_dpp v61, v67 row_shr:8 row_mask:0xf bank_mask:0xf
	v_readlane_b32 s11, v167, 45
	s_and_saveexec_b64 s[2:3], s[10:11]
; %bb.185:                              ;   in Loop: Header=BB127_110 Depth=2
	v_fmac_f32_e32 v67, v66, v61
	v_mul_f32_e32 v66, v66, v58
	v_mov_b32_e32 v64, v66
	v_mov_b32_e32 v8, v67
; %bb.186:                              ;   in Loop: Header=BB127_110 Depth=2
	s_or_b64 exec, exec, s[2:3]
	v_readlane_b32 s10, v167, 46
	v_mov_b32_dpp v58, v66 row_bcast:15 row_mask:0xf bank_mask:0xf
	v_mov_b32_dpp v61, v67 row_bcast:15 row_mask:0xf bank_mask:0xf
	v_readlane_b32 s11, v167, 47
	s_and_saveexec_b64 s[2:3], s[10:11]
; %bb.187:                              ;   in Loop: Header=BB127_110 Depth=2
	v_fmac_f32_e32 v67, v66, v61
	v_mul_f32_e32 v66, v66, v58
	v_mov_b32_e32 v64, v66
	v_mov_b32_e32 v8, v67
; %bb.188:                              ;   in Loop: Header=BB127_110 Depth=2
	s_or_b64 exec, exec, s[2:3]
	v_readlane_b32 s10, v167, 48
	v_mov_b32_dpp v61, v66 row_bcast:31 row_mask:0xf bank_mask:0xf
	v_mov_b32_dpp v58, v67 row_bcast:31 row_mask:0xf bank_mask:0xf
	v_readlane_b32 s11, v167, 49
	s_and_saveexec_b64 s[2:3], s[10:11]
; %bb.189:                              ;   in Loop: Header=BB127_110 Depth=2
	v_fmac_f32_e32 v67, v66, v58
	v_mul_f32_e32 v64, v66, v61
	v_mov_b32_e32 v65, v67
	v_mov_b32_e32 v8, v67
	v_mov_b64_e32 v[66:67], v[64:65]
; %bb.190:                              ;   in Loop: Header=BB127_110 Depth=2
	s_or_b64 exec, exec, s[2:3]
	v_readlane_b32 s10, v167, 50
	v_readlane_b32 s11, v167, 51
	s_and_saveexec_b64 s[2:3], s[10:11]
	s_cbranch_execz .LBB127_192
; %bb.191:                              ;   in Loop: Header=BB127_110 Depth=2
	ds_write_b64 v117, v[66:67] offset:8448
.LBB127_192:                            ;   in Loop: Header=BB127_110 Depth=2
	s_or_b64 exec, exec, s[2:3]
	v_readlane_b32 s10, v167, 52
	v_readlane_b32 s11, v167, 53
	s_waitcnt lgkmcnt(0)
	s_barrier
	s_and_saveexec_b64 s[2:3], s[10:11]
	s_cbranch_execz .LBB127_194
; %bb.193:                              ;   in Loop: Header=BB127_110 Depth=2
	ds_read_b64 v[66:67], v118 offset:8448
	v_readlane_b32 s10, v167, 54
	v_readlane_b32 s11, v167, 55
	s_waitcnt lgkmcnt(0)
	v_mov_b32_dpp v58, v66 row_shr:1 row_mask:0xf bank_mask:0xf
	v_mov_b32_dpp v61, v67 row_shr:1 row_mask:0xf bank_mask:0xf
	v_fma_f32 v61, v66, v61, v67
	v_mul_f32_e32 v58, v66, v58
	v_cndmask_b32_e64 v66, v58, v66, s[10:11]
	v_cndmask_b32_e64 v67, v61, v67, s[10:11]
	ds_write_b64 v118, v[66:67] offset:8448
.LBB127_194:                            ;   in Loop: Header=BB127_110 Depth=2
	s_or_b64 exec, exec, s[2:3]
	s_waitcnt lgkmcnt(0)
	s_barrier
	s_waitcnt lgkmcnt(0)
                                        ; implicit-def: $vgpr66
	s_and_saveexec_b64 s[2:3], s[20:21]
	s_cbranch_execz .LBB127_196
; %bb.195:                              ;   in Loop: Header=BB127_110 Depth=2
	ds_read_b64 v[66:67], v117 offset:8440
	s_waitcnt lgkmcnt(0)
	v_mul_f32_e32 v58, v64, v66
	v_fmac_f32_e32 v8, v64, v67
	v_mov_b32_e32 v64, v58
.LBB127_196:                            ;   in Loop: Header=BB127_110 Depth=2
	s_or_b64 exec, exec, s[2:3]
	ds_bpermute_b32 v58, v119, v64
	ds_bpermute_b32 v8, v119, v8
	v_readlane_b32 s10, v167, 56
	s_waitcnt vmcnt(0)
	v_mov_b32_e32 v65, v49
	v_readlane_b32 s11, v167, 57
	s_and_saveexec_b64 s[2:3], s[10:11]
	s_cbranch_execz .LBB127_200
; %bb.197:                              ;   in Loop: Header=BB127_110 Depth=2
	ds_read_b64 v[64:65], v17 offset:8456
	s_and_saveexec_b64 vcc, s[22:23]
	s_cbranch_execz .LBB127_199
; %bb.198:                              ;   in Loop: Header=BB127_110 Depth=2
	ds_write_b64 v17, v[48:49] offset:8456
.LBB127_199:                            ;   in Loop: Header=BB127_110 Depth=2
	s_or_b64 exec, exec, vcc
	s_waitcnt lgkmcnt(0)
	v_fmac_f32_e32 v65, v49, v64
	v_mul_f32_e32 v48, v48, v64
	v_mov_b32_e32 v49, v65
.LBB127_200:                            ;   in Loop: Header=BB127_110 Depth=2
	s_or_b64 exec, exec, s[2:3]
	s_waitcnt lgkmcnt(0)
	s_barrier
	ds_read_b32 v61, v17 offset:8460
	s_and_saveexec_b64 s[2:3], s[22:23]
	s_cbranch_execz .LBB127_109
; %bb.201:                              ;   in Loop: Header=BB127_110 Depth=2
	v_mov_b32_e32 v64, s9
	s_andn2_b64 vcc, exec, s[96:97]
	ds_write_b64 v64, v[48:49]
	s_cbranch_vccnz .LBB127_109
; %bb.202:                              ;   in Loop: Header=BB127_110 Depth=2
	s_mov_b32 s5, s7
	s_lshl_b64 s[10:11], s[4:5], 2
	v_readlane_b32 s5, v167, 28
	s_add_u32 s10, s5, s10
	v_readlane_b32 s5, v167, 29
	s_addc_u32 s11, s5, s11
	global_store_dword v17, v65, s[10:11]
	s_branch .LBB127_109
.LBB127_203:                            ;   in Loop: Header=BB127_13 Depth=1
	s_mov_b32 s6, 0x41a00000
	s_mov_b32 s8, 0x3fb8aa3b
	;; [unrolled: 1-line block ×8, first 2 shown]
.LBB127_204:                            ;   in Loop: Header=BB127_13 Depth=1
	v_cvt_f16_f32_e32 v0, v43
	v_cvt_f16_f32_e32 v4, v42
	;; [unrolled: 1-line block ×16, first 2 shown]
	v_pack_b32_f16 v3, v7, v3
	v_pack_b32_f16 v2, v6, v2
	;; [unrolled: 1-line block ×4, first 2 shown]
	s_barrier
	ds_write_b128 v100, v[0:3]
	v_pack_b32_f16 v3, v15, v14
	v_pack_b32_f16 v2, v13, v12
	;; [unrolled: 1-line block ×4, first 2 shown]
	ds_write_b128 v100, v[0:3] offset:16
	; wave barrier
	ds_read_u16 v16, v85 offset:128
	ds_read_u16 v15, v86 offset:256
	;; [unrolled: 1-line block ×15, first 2 shown]
	v_readlane_b32 s2, v167, 60
	v_readlane_b32 s3, v167, 61
	s_mov_b32 s3, s7
	s_nop 0
	v_lshl_add_u64 v[0:1], s[2:3], 1, v[20:21]
	s_and_saveexec_b64 s[2:3], s[26:27]
	s_cbranch_execz .LBB127_206
; %bb.205:                              ;   in Loop: Header=BB127_13 Depth=1
	ds_read_u16 v23, v84
	s_waitcnt lgkmcnt(0)
	global_store_short v[0:1], v23, off
.LBB127_206:                            ;   in Loop: Header=BB127_13 Depth=1
	s_or_b64 exec, exec, s[2:3]
	s_and_saveexec_b64 s[2:3], s[28:29]
	v_readlane_b32 s10, v167, 62
	v_readlane_b32 s11, v167, 63
	s_cbranch_execnz .LBB127_223
; %bb.207:                              ;   in Loop: Header=BB127_13 Depth=1
	s_or_b64 exec, exec, s[2:3]
	s_and_saveexec_b64 s[2:3], s[30:31]
	s_cbranch_execnz .LBB127_224
.LBB127_208:                            ;   in Loop: Header=BB127_13 Depth=1
	s_or_b64 exec, exec, s[2:3]
	s_and_saveexec_b64 s[2:3], s[34:35]
	s_cbranch_execnz .LBB127_225
.LBB127_209:                            ;   in Loop: Header=BB127_13 Depth=1
	s_or_b64 exec, exec, s[2:3]
	s_and_saveexec_b64 s[2:3], s[36:37]
	s_cbranch_execnz .LBB127_226
.LBB127_210:                            ;   in Loop: Header=BB127_13 Depth=1
	s_or_b64 exec, exec, s[2:3]
	s_and_saveexec_b64 s[2:3], s[38:39]
	s_cbranch_execnz .LBB127_227
.LBB127_211:                            ;   in Loop: Header=BB127_13 Depth=1
	s_or_b64 exec, exec, s[2:3]
	s_and_saveexec_b64 s[2:3], s[40:41]
	s_cbranch_execnz .LBB127_228
.LBB127_212:                            ;   in Loop: Header=BB127_13 Depth=1
	s_or_b64 exec, exec, s[2:3]
	s_and_saveexec_b64 s[2:3], s[42:43]
	s_cbranch_execnz .LBB127_229
.LBB127_213:                            ;   in Loop: Header=BB127_13 Depth=1
	s_or_b64 exec, exec, s[2:3]
	s_and_saveexec_b64 s[2:3], s[44:45]
	s_cbranch_execnz .LBB127_230
.LBB127_214:                            ;   in Loop: Header=BB127_13 Depth=1
	s_or_b64 exec, exec, s[2:3]
	s_and_saveexec_b64 s[2:3], s[46:47]
	s_cbranch_execnz .LBB127_231
.LBB127_215:                            ;   in Loop: Header=BB127_13 Depth=1
	s_or_b64 exec, exec, s[2:3]
	s_and_saveexec_b64 s[2:3], s[48:49]
	s_cbranch_execnz .LBB127_232
.LBB127_216:                            ;   in Loop: Header=BB127_13 Depth=1
	s_or_b64 exec, exec, s[2:3]
	s_and_saveexec_b64 s[2:3], s[50:51]
	s_cbranch_execnz .LBB127_233
.LBB127_217:                            ;   in Loop: Header=BB127_13 Depth=1
	s_or_b64 exec, exec, s[2:3]
	s_and_saveexec_b64 s[2:3], s[52:53]
	s_cbranch_execnz .LBB127_234
.LBB127_218:                            ;   in Loop: Header=BB127_13 Depth=1
	s_or_b64 exec, exec, s[2:3]
	s_and_saveexec_b64 s[2:3], s[54:55]
	s_cbranch_execnz .LBB127_235
.LBB127_219:                            ;   in Loop: Header=BB127_13 Depth=1
	s_or_b64 exec, exec, s[2:3]
	s_and_saveexec_b64 s[2:3], s[56:57]
	s_cbranch_execnz .LBB127_236
.LBB127_220:                            ;   in Loop: Header=BB127_13 Depth=1
	s_or_b64 exec, exec, s[2:3]
	s_and_saveexec_b64 s[2:3], s[58:59]
	s_cbranch_execz .LBB127_12
	s_branch .LBB127_237
.LBB127_221:                            ;   in Loop: Header=BB127_13 Depth=1
	global_load_ushort v32, v[8:9], off offset:1664
	s_or_b64 exec, exec, s[2:3]
	s_and_saveexec_b64 s[2:3], s[56:57]
	s_cbranch_execz .LBB127_73
.LBB127_222:                            ;   in Loop: Header=BB127_13 Depth=1
	global_load_ushort v31, v[8:9], off offset:1792
	s_or_b64 exec, exec, s[2:3]
	v_mov_b32_e32 v33, 0
	s_and_saveexec_b64 s[2:3], s[58:59]
	s_cbranch_execnz .LBB127_74
	s_branch .LBB127_75
.LBB127_223:                            ;   in Loop: Header=BB127_13 Depth=1
	s_waitcnt lgkmcnt(14)
	global_store_short v[0:1], v16, off offset:128
	s_or_b64 exec, exec, s[2:3]
	s_and_saveexec_b64 s[2:3], s[30:31]
	s_cbranch_execz .LBB127_208
.LBB127_224:                            ;   in Loop: Header=BB127_13 Depth=1
	s_waitcnt lgkmcnt(13)
	global_store_short v[0:1], v15, off offset:256
	s_or_b64 exec, exec, s[2:3]
	s_and_saveexec_b64 s[2:3], s[34:35]
	s_cbranch_execz .LBB127_209
.LBB127_225:                            ;   in Loop: Header=BB127_13 Depth=1
	s_waitcnt lgkmcnt(12)
	global_store_short v[0:1], v14, off offset:384
	s_or_b64 exec, exec, s[2:3]
	s_and_saveexec_b64 s[2:3], s[36:37]
	s_cbranch_execz .LBB127_210
.LBB127_226:                            ;   in Loop: Header=BB127_13 Depth=1
	s_waitcnt lgkmcnt(11)
	global_store_short v[0:1], v13, off offset:512
	s_or_b64 exec, exec, s[2:3]
	s_and_saveexec_b64 s[2:3], s[38:39]
	s_cbranch_execz .LBB127_211
.LBB127_227:                            ;   in Loop: Header=BB127_13 Depth=1
	s_waitcnt lgkmcnt(10)
	global_store_short v[0:1], v12, off offset:640
	s_or_b64 exec, exec, s[2:3]
	s_and_saveexec_b64 s[2:3], s[40:41]
	s_cbranch_execz .LBB127_212
.LBB127_228:                            ;   in Loop: Header=BB127_13 Depth=1
	s_waitcnt lgkmcnt(9)
	global_store_short v[0:1], v11, off offset:768
	s_or_b64 exec, exec, s[2:3]
	s_and_saveexec_b64 s[2:3], s[42:43]
	s_cbranch_execz .LBB127_213
.LBB127_229:                            ;   in Loop: Header=BB127_13 Depth=1
	s_waitcnt lgkmcnt(8)
	global_store_short v[0:1], v10, off offset:896
	s_or_b64 exec, exec, s[2:3]
	s_and_saveexec_b64 s[2:3], s[44:45]
	s_cbranch_execz .LBB127_214
.LBB127_230:                            ;   in Loop: Header=BB127_13 Depth=1
	s_waitcnt lgkmcnt(7)
	global_store_short v[0:1], v9, off offset:1024
	s_or_b64 exec, exec, s[2:3]
	s_and_saveexec_b64 s[2:3], s[46:47]
	s_cbranch_execz .LBB127_215
.LBB127_231:                            ;   in Loop: Header=BB127_13 Depth=1
	s_waitcnt lgkmcnt(6)
	global_store_short v[0:1], v8, off offset:1152
	s_or_b64 exec, exec, s[2:3]
	s_and_saveexec_b64 s[2:3], s[48:49]
	s_cbranch_execz .LBB127_216
.LBB127_232:                            ;   in Loop: Header=BB127_13 Depth=1
	s_waitcnt lgkmcnt(5)
	global_store_short v[0:1], v7, off offset:1280
	s_or_b64 exec, exec, s[2:3]
	s_and_saveexec_b64 s[2:3], s[50:51]
	s_cbranch_execz .LBB127_217
.LBB127_233:                            ;   in Loop: Header=BB127_13 Depth=1
	s_waitcnt lgkmcnt(4)
	global_store_short v[0:1], v6, off offset:1408
	s_or_b64 exec, exec, s[2:3]
	s_and_saveexec_b64 s[2:3], s[52:53]
	s_cbranch_execz .LBB127_218
.LBB127_234:                            ;   in Loop: Header=BB127_13 Depth=1
	s_waitcnt lgkmcnt(3)
	global_store_short v[0:1], v5, off offset:1536
	s_or_b64 exec, exec, s[2:3]
	s_and_saveexec_b64 s[2:3], s[54:55]
	s_cbranch_execz .LBB127_219
.LBB127_235:                            ;   in Loop: Header=BB127_13 Depth=1
	s_waitcnt lgkmcnt(2)
	global_store_short v[0:1], v4, off offset:1664
	s_or_b64 exec, exec, s[2:3]
	s_and_saveexec_b64 s[2:3], s[56:57]
	s_cbranch_execz .LBB127_220
.LBB127_236:                            ;   in Loop: Header=BB127_13 Depth=1
	s_waitcnt lgkmcnt(1)
	global_store_short v[0:1], v3, off offset:1792
	s_or_b64 exec, exec, s[2:3]
	s_and_saveexec_b64 s[2:3], s[58:59]
	s_cbranch_execz .LBB127_12
.LBB127_237:                            ;   in Loop: Header=BB127_13 Depth=1
	s_waitcnt lgkmcnt(0)
	global_store_short v[0:1], v2, off offset:1920
	s_branch .LBB127_12
.LBB127_238:
	s_endpgm
	.section	.rodata,"a",@progbits
	.p2align	6, 0x0
	.amdhsa_kernel _Z25selective_scan_fwd_kernelI32Selective_Scan_fwd_kernel_traitsILi128ELi16ELi1ELb0ELb1ELb1ELb0ELb0EN3c104HalfEffEEv13SSMParamsBase
		.amdhsa_group_segment_fixed_size 0
		.amdhsa_private_segment_fixed_size 0
		.amdhsa_kernarg_size 248
		.amdhsa_user_sgpr_count 2
		.amdhsa_user_sgpr_dispatch_ptr 0
		.amdhsa_user_sgpr_queue_ptr 0
		.amdhsa_user_sgpr_kernarg_segment_ptr 1
		.amdhsa_user_sgpr_dispatch_id 0
		.amdhsa_user_sgpr_kernarg_preload_length 0
		.amdhsa_user_sgpr_kernarg_preload_offset 0
		.amdhsa_user_sgpr_private_segment_size 0
		.amdhsa_uses_dynamic_stack 0
		.amdhsa_enable_private_segment 0
		.amdhsa_system_sgpr_workgroup_id_x 1
		.amdhsa_system_sgpr_workgroup_id_y 1
		.amdhsa_system_sgpr_workgroup_id_z 0
		.amdhsa_system_sgpr_workgroup_info 0
		.amdhsa_system_vgpr_workitem_id 0
		.amdhsa_next_free_vgpr 168
		.amdhsa_next_free_sgpr 100
		.amdhsa_accum_offset 168
		.amdhsa_reserve_vcc 1
		.amdhsa_float_round_mode_32 0
		.amdhsa_float_round_mode_16_64 0
		.amdhsa_float_denorm_mode_32 3
		.amdhsa_float_denorm_mode_16_64 3
		.amdhsa_dx10_clamp 1
		.amdhsa_ieee_mode 1
		.amdhsa_fp16_overflow 0
		.amdhsa_tg_split 0
		.amdhsa_exception_fp_ieee_invalid_op 0
		.amdhsa_exception_fp_denorm_src 0
		.amdhsa_exception_fp_ieee_div_zero 0
		.amdhsa_exception_fp_ieee_overflow 0
		.amdhsa_exception_fp_ieee_underflow 0
		.amdhsa_exception_fp_ieee_inexact 0
		.amdhsa_exception_int_div_zero 0
	.end_amdhsa_kernel
	.section	.text._Z25selective_scan_fwd_kernelI32Selective_Scan_fwd_kernel_traitsILi128ELi16ELi1ELb0ELb1ELb1ELb0ELb0EN3c104HalfEffEEv13SSMParamsBase,"axG",@progbits,_Z25selective_scan_fwd_kernelI32Selective_Scan_fwd_kernel_traitsILi128ELi16ELi1ELb0ELb1ELb1ELb0ELb0EN3c104HalfEffEEv13SSMParamsBase,comdat
.Lfunc_end127:
	.size	_Z25selective_scan_fwd_kernelI32Selective_Scan_fwd_kernel_traitsILi128ELi16ELi1ELb0ELb1ELb1ELb0ELb0EN3c104HalfEffEEv13SSMParamsBase, .Lfunc_end127-_Z25selective_scan_fwd_kernelI32Selective_Scan_fwd_kernel_traitsILi128ELi16ELi1ELb0ELb1ELb1ELb0ELb0EN3c104HalfEffEEv13SSMParamsBase
                                        ; -- End function
	.section	.AMDGPU.csdata,"",@progbits
; Kernel info:
; codeLenInByte = 20952
; NumSgprs: 106
; NumVgprs: 168
; NumAgprs: 0
; TotalNumVgprs: 168
; ScratchSize: 0
; MemoryBound: 0
; FloatMode: 240
; IeeeMode: 1
; LDSByteSize: 0 bytes/workgroup (compile time only)
; SGPRBlocks: 13
; VGPRBlocks: 20
; NumSGPRsForWavesPerEU: 106
; NumVGPRsForWavesPerEU: 168
; AccumOffset: 168
; Occupancy: 3
; WaveLimiterHint : 0
; COMPUTE_PGM_RSRC2:SCRATCH_EN: 0
; COMPUTE_PGM_RSRC2:USER_SGPR: 2
; COMPUTE_PGM_RSRC2:TRAP_HANDLER: 0
; COMPUTE_PGM_RSRC2:TGID_X_EN: 1
; COMPUTE_PGM_RSRC2:TGID_Y_EN: 1
; COMPUTE_PGM_RSRC2:TGID_Z_EN: 0
; COMPUTE_PGM_RSRC2:TIDIG_COMP_CNT: 0
; COMPUTE_PGM_RSRC3_GFX90A:ACCUM_OFFSET: 41
; COMPUTE_PGM_RSRC3_GFX90A:TG_SPLIT: 0
	.section	.text._Z25selective_scan_fwd_kernelI32Selective_Scan_fwd_kernel_traitsILi64ELi4ELi1ELb1ELb1ELb1ELb1ELb1EfffEEv13SSMParamsBase,"axG",@progbits,_Z25selective_scan_fwd_kernelI32Selective_Scan_fwd_kernel_traitsILi64ELi4ELi1ELb1ELb1ELb1ELb1ELb1EfffEEv13SSMParamsBase,comdat
	.protected	_Z25selective_scan_fwd_kernelI32Selective_Scan_fwd_kernel_traitsILi64ELi4ELi1ELb1ELb1ELb1ELb1ELb1EfffEEv13SSMParamsBase ; -- Begin function _Z25selective_scan_fwd_kernelI32Selective_Scan_fwd_kernel_traitsILi64ELi4ELi1ELb1ELb1ELb1ELb1ELb1EfffEEv13SSMParamsBase
	.globl	_Z25selective_scan_fwd_kernelI32Selective_Scan_fwd_kernel_traitsILi64ELi4ELi1ELb1ELb1ELb1ELb1ELb1EfffEEv13SSMParamsBase
	.p2align	8
	.type	_Z25selective_scan_fwd_kernelI32Selective_Scan_fwd_kernel_traitsILi64ELi4ELi1ELb1ELb1ELb1ELb1ELb1EfffEEv13SSMParamsBase,@function
_Z25selective_scan_fwd_kernelI32Selective_Scan_fwd_kernel_traitsILi64ELi4ELi1ELb1ELb1ELb1ELb1ELb1EfffEEv13SSMParamsBase: ; @_Z25selective_scan_fwd_kernelI32Selective_Scan_fwd_kernel_traitsILi64ELi4ELi1ELb1ELb1ELb1ELb1ELb1EfffEEv13SSMParamsBase
; %bb.0:
	s_load_dword s37, s[0:1], 0x18
	s_load_dwordx4 s[4:7], s[0:1], 0xe8
	s_load_dwordx8 s[20:27], s[0:1], 0xc8
	s_mov_b32 s34, s3
	s_ashr_i32 s3, s2, 31
	s_lshl_b64 s[8:9], s[2:3], 2
	s_waitcnt lgkmcnt(0)
	s_abs_i32 s36, s37
	v_cvt_f32_u32_e32 v1, s36
	s_add_u32 s28, s26, s8
	s_addc_u32 s29, s27, s9
	s_cmp_eq_u64 s[6:7], 0
	v_rcp_iflag_f32_e32 v1, v1
	s_nop 0
	v_mul_f32_e32 v1, 0x4f7ffffe, v1
	v_cvt_u32_f32_e32 v1, v1
	s_nop 0
	v_readfirstlane_b32 s56, v1
	s_cbranch_scc1 .LBB128_102
; %bb.1:
	s_add_u32 s6, s6, s2
	s_addc_u32 s7, s7, s3
	v_mov_b32_e32 v1, 0
	global_load_ubyte v1, v1, s[6:7]
	s_waitcnt vmcnt(0)
	v_and_b32_e32 v1, 1, v1
	v_cmp_eq_u32_e64 s[38:39], 1, v1
	s_load_dwordx2 s[6:7], s[0:1], 0x20
	s_cmp_eq_u64 s[4:5], 0
	s_cbranch_scc1 .LBB128_3
.LBB128_2:
	s_add_u32 s2, s4, s8
	s_addc_u32 s3, s5, s9
	s_load_dword s2, s[2:3], 0x0
	s_waitcnt lgkmcnt(0)
	s_ashr_i32 s3, s2, 31
.LBB128_3:
	s_waitcnt lgkmcnt(0)
	s_cmp_eq_u64 s[6:7], s[2:3]
	s_cbranch_scc1 .LBB128_101
; %bb.4:
	s_load_dwordx16 s[4:19], s[0:1], 0x88
	s_load_dwordx2 s[26:27], s[28:29], 0x0
	s_mov_b32 s33, 0
	s_mov_b32 s78, 0
	s_waitcnt lgkmcnt(0)
	s_cmp_eq_u64 s[10:11], 0
	s_cbranch_scc1 .LBB128_6
; %bb.5:
	s_ashr_i32 s35, s34, 31
	s_lshl_b64 s[28:29], s[34:35], 2
	s_add_u32 s10, s10, s28
	s_addc_u32 s11, s11, s29
	s_load_dword s78, s[10:11], 0x0
.LBB128_6:
	s_cmp_eq_u64 s[16:17], 0
	s_cbranch_scc1 .LBB128_8
; %bb.7:
	s_ashr_i32 s35, s34, 31
	s_lshl_b64 s[10:11], s[34:35], 2
	s_add_u32 s10, s16, s10
	s_addc_u32 s11, s17, s11
	s_load_dword s33, s[10:11], 0x0
.LBB128_8:
	s_sub_i32 s79, s27, s26
	s_cmp_lt_i32 s79, 1
	s_cbranch_scc1 .LBB128_101
; %bb.9:
	s_sub_i32 s3, 0, s36
	s_mul_i32 s3, s3, s56
	s_mul_hi_u32 s3, s56, s3
	s_abs_i32 s16, s34
	s_add_i32 s56, s56, s3
	s_mul_hi_u32 s3, s16, s56
	s_ashr_i32 s17, s34, 31
	s_ashr_i32 s35, s37, 31
	s_xor_b32 s17, s17, s35
	s_mul_i32 s35, s3, s36
	s_sub_i32 s16, s16, s35
	s_add_i32 s35, s3, 1
	s_sub_i32 s37, s16, s36
	s_load_dwordx8 s[40:47], s[0:1], 0x2c
	s_load_dwordx2 s[10:11], s[0:1], 0x7c
	s_load_dwordx4 s[28:31], s[0:1], 0x6c
	s_load_dwordx8 s[48:55], s[0:1], 0x4c
	s_cmp_ge_u32 s16, s36
	s_cselect_b32 s3, s35, s3
	s_cselect_b32 s16, s37, s16
	s_add_i32 s35, s3, 1
	s_cmp_ge_u32 s16, s36
	s_cselect_b32 s3, s35, s3
	s_xor_b32 s3, s3, s17
	s_waitcnt lgkmcnt(0)
	s_mul_i32 s88, s26, s50
	s_mov_b32 s89, 0
	s_sub_i32 s3, s3, s17
	s_lshl_b64 s[16:17], s[88:89], 2
	s_add_u32 s16, s12, s16
	s_mul_i32 s88, s51, s34
	s_addc_u32 s17, s13, s17
	s_lshl_b64 s[12:13], s[88:89], 2
	s_add_u32 s50, s16, s12
	s_mul_i32 s88, s26, s52
	s_addc_u32 s51, s17, s13
	;; [unrolled: 4-line block ×9, first 2 shown]
	s_lshl_b64 s[2:3], s[88:89], 2
	s_load_dword s65, s[0:1], 0xc
	s_load_dword s27, s[0:1], 0x28
	s_add_u32 s4, s20, s2
	s_mul_i32 s88, s11, s34
	s_addc_u32 s5, s21, s3
	s_lshl_b64 s[2:3], s[88:89], 2
	s_add_u32 s45, s4, s2
	s_addc_u32 s49, s5, s3
	s_add_i32 s2, s79, 0x7ff
	s_lshr_b32 s82, s2, 11
	s_waitcnt lgkmcnt(0)
	s_bitcmp1_b32 s27, 0
	s_cselect_b64 s[62:63], -1, 0
	s_cmp_gt_i32 s65, 0
	s_cselect_b64 s[2:3], -1, 0
                                        ; implicit-def: $vgpr70 : SGPR spill to VGPR lane
	s_mul_i32 s88, s26, s28
	v_writelane_b32 v70, s2, 0
	s_add_i32 s4, 0, 0x420
	s_and_b32 s5, s79, 0xff
	v_writelane_b32 v70, s3, 1
	s_add_i32 s2, s82, -1
	v_writelane_b32 v70, s2, 2
	s_lshl_b64 s[2:3], s[88:89], 2
	s_add_u32 s2, s18, s2
	s_mul_i32 s88, s29, s34
	s_addc_u32 s3, s19, s3
	s_load_dword s84, s[0:1], 0x84
	s_lshl_b64 s[0:1], s[88:89], 2
	s_add_u32 s18, s2, s0
	s_mul_i32 s88, s26, s54
	s_addc_u32 s19, s3, s1
	s_lshl_b64 s[0:1], s[88:89], 2
	s_add_u32 s2, s22, s0
	s_mul_i32 s88, s55, s34
	v_mbcnt_lo_u32_b32 v1, -1, 0
	s_addc_u32 s3, s23, s1
	s_lshl_b64 s[0:1], s[88:89], 2
	v_mbcnt_hi_u32_b32 v8, -1, v1
	s_add_u32 s20, s2, s0
	s_mul_i32 s88, s26, s30
	v_or_b32_e32 v43, 0x80, v8
	v_lshrrev_b32_e32 v1, 5, v8
	s_addc_u32 s21, s3, s1
	s_lshl_b64 s[0:1], s[88:89], 2
	v_add_u32_e32 v42, 64, v8
	v_add_u32_e32 v44, 0xc0, v8
	;; [unrolled: 1-line block ×3, first 2 shown]
	v_lshrrev_b32_e32 v2, 5, v43
	s_add_u32 s2, s24, s0
	s_mul_i32 s88, s31, s34
	v_lshl_add_u32 v45, v1, 2, 0
	v_lshrrev_b32_e32 v1, 5, v42
	v_add_lshl_u32 v4, v2, v8, 2
	v_lshrrev_b32_e32 v2, 5, v44
	s_addc_u32 s3, s25, s1
	s_lshl_b64 s[0:1], s[88:89], 2
	v_add_lshl_u32 v1, v1, v8, 2
	v_add_lshl_u32 v5, v2, v8, 2
	v_bfe_u32 v6, v8, 3, 27
	v_lshlrev_b32_e32 v2, 2, v8
	s_add_u32 s22, s2, s0
	v_add_u32_e32 v46, 0, v1
	v_add_lshl_u32 v6, v6, v2, 2
	v_add_u32_e32 v50, s4, v1
	s_addc_u32 s23, s3, s1
	v_and_b32_e32 v1, 15, v8
	v_add_u32_e32 v51, s4, v4
	v_add_u32_e32 v52, s4, v5
	v_add_u32_e32 v53, s4, v6
	s_cmp_eq_u32 s5, 0
	v_cmp_eq_u32_e64 s[0:1], 0, v1
	v_cmp_lt_u32_e64 s[2:3], 1, v1
	v_cmp_lt_u32_e64 s[4:5], 3, v1
	v_cmp_lt_u32_e64 s[6:7], 7, v1
	v_and_b32_e32 v1, 16, v8
	v_add_u32_e32 v47, 0, v4
	v_cmp_ne_u32_e64 s[8:9], 0, v1
	v_add_u32_e32 v1, -1, v8
	v_and_b32_e32 v4, 64, v8
	v_cmp_lt_i32_e32 vcc, v1, v4
	v_mov_b32_e32 v3, 0
	v_lshlrev_b32_e32 v15, 2, v0
	v_cndmask_b32_e32 v1, v1, v8, vcc
	v_add_u32_e32 v48, 0, v5
	v_add_u32_e32 v49, 0, v6
	s_cselect_b64 s[66:67], -1, 0
	v_cmp_lt_u32_e64 s[10:11], 31, v8
	v_cmp_eq_u32_e64 s[12:13], 63, v0
	v_lshlrev_b32_e32 v54, 2, v1
	v_cmp_gt_u32_e64 s[14:15], 64, v0
	v_cmp_eq_u32_e64 s[16:17], 0, v0
	v_lshl_add_u64 v[0:1], s[18:19], 0, v[2:3]
	v_lshl_add_u64 v[10:11], s[20:21], 0, v[2:3]
	;; [unrolled: 1-line block ×3, first 2 shown]
	v_or_b32_e32 v9, 1, v15
	v_or_b32_e32 v14, 2, v15
	;; [unrolled: 1-line block ×3, first 2 shown]
	v_lshlrev_b32_e32 v2, 2, v8
	s_mov_b32 s85, 0x41a00000
	s_mov_b32 s86, 0x3fb8aa3b
	;; [unrolled: 1-line block ×6, first 2 shown]
	v_mov_b32_e32 v56, 0x3ecc95a3
	s_mov_b32 s64, 0x3f317218
	s_mov_b32 s92, 0x33800000
	s_add_i32 s18, 0, 0x848
	s_mov_b32 s94, 0xc2fc0000
	s_mov_b32 s95, 0xbfb8aa3b
	;; [unrolled: 1-line block ×4, first 2 shown]
	v_mov_b32_e32 v57, 0x7f800000
	v_mov_b32_e32 v16, 0x3f317218
	;; [unrolled: 1-line block ×4, first 2 shown]
	s_mov_b32 s98, 0
                                        ; implicit-def: $vgpr4
	v_writelane_b32 v70, s18, 3
	s_branch .LBB128_11
.LBB128_10:                             ;   in Loop: Header=BB128_11 Depth=1
	s_or_b64 exec, exec, s[18:19]
	s_add_u32 s60, s60, 0x400
	s_addc_u32 s61, s61, 0
	s_add_u32 s50, s50, 0x400
	s_addc_u32 s51, s51, 0
	;; [unrolled: 2-line block ×4, first 2 shown]
	s_add_i32 s98, s98, 1
	s_cmp_lg_u32 s98, s82
	s_cbranch_scc0 .LBB128_101
.LBB128_11:                             ; =>This Loop Header: Depth=1
                                        ;     Child Loop BB128_36 Depth 2
	s_lshl_b32 s68, s98, 8
	s_sub_i32 s34, s79, s68
	v_lshl_add_u64 v[4:5], s[50:51], 0, v[2:3]
	v_cmp_gt_u32_e64 s[18:19], s34, v8
	s_waitcnt lgkmcnt(0)
	v_mov_b32_e32 v6, v3
	s_waitcnt lgkmcnt(0)
	; wave barrier
	s_waitcnt lgkmcnt(0)
	s_and_saveexec_b64 s[20:21], s[18:19]
	s_cbranch_execz .LBB128_13
; %bb.12:                               ;   in Loop: Header=BB128_11 Depth=1
	global_load_dword v6, v[4:5], off
.LBB128_13:                             ;   in Loop: Header=BB128_11 Depth=1
	s_or_b64 exec, exec, s[20:21]
	v_cmp_gt_u32_e64 s[20:21], s34, v42
	v_mov_b32_e32 v7, 0
	v_mov_b32_e32 v18, 0
	s_and_saveexec_b64 s[22:23], s[20:21]
	s_cbranch_execz .LBB128_15
; %bb.14:                               ;   in Loop: Header=BB128_11 Depth=1
	global_load_dword v18, v[4:5], off offset:256
.LBB128_15:                             ;   in Loop: Header=BB128_11 Depth=1
	s_or_b64 exec, exec, s[22:23]
	v_cmp_gt_u32_e64 s[22:23], s34, v43
	s_and_saveexec_b64 s[24:25], s[22:23]
	s_cbranch_execz .LBB128_17
; %bb.16:                               ;   in Loop: Header=BB128_11 Depth=1
	global_load_dword v7, v[4:5], off offset:512
.LBB128_17:                             ;   in Loop: Header=BB128_11 Depth=1
	s_or_b64 exec, exec, s[24:25]
	v_cmp_gt_u32_e64 s[24:25], s34, v44
	v_mov_b32_e32 v17, 0
	v_mov_b32_e32 v19, 0
	s_and_saveexec_b64 s[26:27], s[24:25]
	s_cbranch_execz .LBB128_19
; %bb.18:                               ;   in Loop: Header=BB128_11 Depth=1
	global_load_dword v19, v[4:5], off offset:768
.LBB128_19:                             ;   in Loop: Header=BB128_11 Depth=1
	s_or_b64 exec, exec, s[26:27]
	s_waitcnt vmcnt(0)
	ds_write_b32 v45, v6
	ds_write_b32 v46, v18 offset:256
	ds_write_b32 v47, v7 offset:512
	;; [unrolled: 1-line block ×3, first 2 shown]
	; wave barrier
	ds_read2_b32 v[4:5], v49 offset1:1
	ds_read2_b32 v[6:7], v49 offset0:2 offset1:3
	v_lshl_add_u64 v[18:19], s[60:61], 0, v[2:3]
	s_waitcnt lgkmcnt(0)
	; wave barrier
	s_waitcnt lgkmcnt(0)
	s_and_saveexec_b64 s[26:27], s[18:19]
	s_cbranch_execz .LBB128_21
; %bb.20:                               ;   in Loop: Header=BB128_11 Depth=1
	global_load_dword v17, v[18:19], off
.LBB128_21:                             ;   in Loop: Header=BB128_11 Depth=1
	s_or_b64 exec, exec, s[26:27]
	v_mov_b32_e32 v20, 0
	v_mov_b32_e32 v21, 0
	s_and_saveexec_b64 s[26:27], s[20:21]
	s_cbranch_execnz .LBB128_89
; %bb.22:                               ;   in Loop: Header=BB128_11 Depth=1
	s_or_b64 exec, exec, s[26:27]
	s_and_saveexec_b64 s[26:27], s[22:23]
	s_cbranch_execnz .LBB128_90
.LBB128_23:                             ;   in Loop: Header=BB128_11 Depth=1
	s_or_b64 exec, exec, s[26:27]
	v_mov_b32_e32 v22, 0
	s_and_saveexec_b64 s[26:27], s[24:25]
	s_cbranch_execz .LBB128_25
.LBB128_24:                             ;   in Loop: Header=BB128_11 Depth=1
	global_load_dword v22, v[18:19], off offset:768
.LBB128_25:                             ;   in Loop: Header=BB128_11 Depth=1
	s_or_b64 exec, exec, s[26:27]
	s_waitcnt vmcnt(0)
	ds_write_b32 v45, v17
	ds_write_b32 v46, v21 offset:256
	ds_write_b32 v47, v20 offset:512
	;; [unrolled: 1-line block ×3, first 2 shown]
	; wave barrier
	ds_read2_b32 v[20:21], v49 offset1:1
	ds_read2_b32 v[18:19], v49 offset0:2 offset1:3
	s_waitcnt lgkmcnt(1)
	v_add_f32_e32 v60, s33, v20
	v_cmp_ge_f32_e32 vcc, s85, v60
	s_and_b64 s[26:27], s[62:63], vcc
	s_and_saveexec_b64 s[28:29], s[26:27]
	s_cbranch_execz .LBB128_27
; %bb.26:                               ;   in Loop: Header=BB128_11 Depth=1
	v_mul_f32_e32 v17, 0x3fb8aa3b, v60
	v_rndne_f32_e32 v20, v17
	v_sub_f32_e32 v22, v17, v20
	v_fma_f32 v17, v60, s86, -v17
	v_fmac_f32_e32 v17, 0x32a5705f, v60
	v_add_f32_e32 v17, v22, v17
	v_cvt_i32_f32_e32 v20, v20
	v_exp_f32_e32 v17, v17
	v_cmp_ngt_f32_e32 vcc, s87, v60
	v_ldexp_f32 v17, v17, v20
	s_nop 0
	v_cndmask_b32_e32 v17, 0, v17, vcc
	v_cmp_nlt_f32_e32 vcc, s80, v60
	s_nop 1
	v_cndmask_b32_e32 v36, v57, v17, vcc
	v_add_f32_e32 v17, 1.0, v36
	v_add_f32_e32 v20, -1.0, v17
	v_sub_f32_e32 v22, v20, v17
	v_add_f32_e32 v22, 1.0, v22
	v_sub_f32_e32 v20, v36, v20
	v_add_f32_e32 v20, v20, v22
	v_frexp_mant_f32_e32 v24, v17
	v_cvt_f64_f32_e32 v[22:23], v17
	v_frexp_exp_i32_f64_e32 v22, v[22:23]
	v_cmp_gt_f32_e32 vcc, s93, v24
	v_cmp_gt_f32_e64 s[26:27], s92, v36
	s_nop 0
	v_subbrev_co_u32_e32 v30, vcc, 0, v22, vcc
	v_sub_u32_e32 v22, 0, v30
	v_ldexp_f32 v17, v17, v22
	v_ldexp_f32 v20, v20, v22
	v_add_f32_e32 v22, -1.0, v17
	v_add_f32_e32 v23, 1.0, v22
	v_sub_f32_e32 v23, v17, v23
	v_add_f32_e32 v24, v20, v23
	v_add_f32_e32 v23, 1.0, v17
	v_add_f32_e32 v25, -1.0, v23
	v_sub_f32_e32 v17, v17, v25
	v_add_f32_e32 v17, v20, v17
	v_add_f32_e32 v20, v23, v17
	v_rcp_f32_e32 v31, v20
	v_sub_f32_e32 v23, v23, v20
	v_add_f32_e32 v17, v17, v23
	v_add_f32_e32 v23, v22, v24
	v_sub_f32_e32 v22, v22, v23
	v_mul_f32_e32 v33, v23, v31
	v_add_f32_e32 v32, v24, v22
	v_mul_f32_e32 v24, v20, v33
	v_fma_f32 v26, v33, v20, -v24
	v_fmac_f32_e32 v26, v33, v17
	v_add_f32_e32 v22, v24, v26
	v_sub_f32_e32 v25, v23, v22
	v_pk_add_f32 v[28:29], v[22:23], v[24:25] neg_lo:[0,1] neg_hi:[0,1]
	v_mov_b32_e32 v27, v22
	v_pk_add_f32 v[22:23], v[28:29], v[26:27] neg_lo:[0,1] neg_hi:[0,1]
	v_cmp_eq_f32_e32 vcc, s83, v36
	v_add_f32_e32 v23, v32, v23
	v_add_f32_e32 v22, v22, v23
	;; [unrolled: 1-line block ×3, first 2 shown]
	v_mul_f32_e32 v32, v31, v23
	v_mul_f32_e32 v24, v20, v32
	v_fma_f32 v26, v32, v20, -v24
	v_fmac_f32_e32 v26, v32, v17
	v_sub_f32_e32 v17, v25, v23
	v_add_f32_e32 v17, v22, v17
	v_add_f32_e32 v22, v24, v26
	v_sub_f32_e32 v25, v23, v22
	v_pk_add_f32 v[28:29], v[22:23], v[24:25] neg_lo:[0,1] neg_hi:[0,1]
	v_mov_b32_e32 v27, v22
	v_pk_add_f32 v[22:23], v[28:29], v[26:27] neg_lo:[0,1] neg_hi:[0,1]
	v_add_f32_e32 v20, v33, v32
	v_add_f32_e32 v17, v17, v23
	;; [unrolled: 1-line block ×4, first 2 shown]
	v_sub_f32_e32 v22, v20, v33
	v_mul_f32_e32 v17, v31, v17
	v_sub_f32_e32 v22, v32, v22
	v_add_f32_e32 v23, v22, v17
	v_add_f32_e32 v24, v20, v23
	v_cvt_f32_i32_e32 v22, v30
	v_mul_f32_e32 v26, v24, v24
	v_fmamk_f32 v17, v26, 0x3e9b6dac, v56
	v_sub_f32_e32 v20, v24, v20
	v_fmaak_f32 v17, v26, v17, 0x3f2aaada
	v_sub_f32_e32 v20, v23, v20
	v_mul_f32_e32 v23, v24, v26
	v_pk_mul_f32 v[26:27], v[22:23], v[16:17]
	v_ldexp_f32 v25, v24, 1
	v_fma_f32 v24, v22, s64, -v26
	v_fmac_f32_e32 v24, 0xb102e308, v22
	v_pk_add_f32 v[22:23], v[26:27], v[24:25]
	v_ldexp_f32 v20, v20, 1
	v_sub_f32_e32 v17, v23, v25
	v_sub_f32_e32 v17, v27, v17
	v_add_f32_e32 v29, v20, v17
	v_mov_b32_e32 v28, v26
	v_pk_add_f32 v[26:27], v[22:23], v[26:27] neg_lo:[0,1] neg_hi:[0,1]
	v_pk_add_f32 v[30:31], v[22:23], v[28:29]
	v_mov_b32_e32 v25, v22
	v_mov_b32_e32 v27, v31
	v_pk_add_f32 v[32:33], v[24:25], v[26:27] neg_lo:[0,1] neg_hi:[0,1]
	v_pk_add_f32 v[24:25], v[24:25], v[26:27]
	s_or_b64 vcc, s[26:27], vcc
	v_mov_b32_e32 v20, v25
	v_pk_add_f32 v[26:27], v[20:21], v[22:23] neg_lo:[0,1] neg_hi:[0,1]
	v_mov_b32_e32 v24, v31
	v_mov_b32_e32 v17, v26
	v_pk_add_f32 v[34:35], v[30:31], v[16:17] neg_lo:[0,1] neg_hi:[0,1]
	v_mov_b32_e32 v30, v23
	v_mov_b32_e32 v31, v26
	;; [unrolled: 1-line block ×3, first 2 shown]
	v_pk_add_f32 v[24:25], v[24:25], v[30:31] neg_lo:[0,1] neg_hi:[0,1]
	v_mov_b32_e32 v26, v29
	v_mov_b32_e32 v27, v22
	v_pk_add_f32 v[22:23], v[26:27], v[24:25] neg_lo:[0,1] neg_hi:[0,1]
	v_mov_b32_e32 v34, v32
	v_pk_add_f32 v[24:25], v[34:35], v[22:23]
	s_nop 0
	v_mov_b32_e32 v26, v25
	v_pk_add_f32 v[26:27], v[24:25], v[26:27]
	s_nop 0
	v_pk_add_f32 v[28:29], v[20:21], v[26:27]
	v_mov_b32_e32 v23, v26
	v_mov_b32_e32 v25, v28
	v_pk_add_f32 v[30:31], v[24:25], v[32:33] neg_lo:[0,1] neg_hi:[0,1]
	s_nop 0
	v_sub_f32_e32 v17, v24, v30
	v_pk_add_f32 v[22:23], v[22:23], v[30:31] neg_lo:[0,1] neg_hi:[0,1]
	v_sub_f32_e32 v17, v32, v17
	v_add_f32_e32 v17, v22, v17
	v_add_f32_e32 v17, v17, v23
	;; [unrolled: 1-line block ×3, first 2 shown]
	v_cndmask_b32_e32 v60, v17, v36, vcc
.LBB128_27:                             ;   in Loop: Header=BB128_11 Depth=1
	s_or_b64 exec, exec, s[28:29]
	v_add_f32_e32 v61, s33, v21
	v_cmp_ge_f32_e32 vcc, s85, v61
	s_and_b64 s[26:27], s[62:63], vcc
	s_and_saveexec_b64 s[28:29], s[26:27]
	s_cbranch_execz .LBB128_29
; %bb.28:                               ;   in Loop: Header=BB128_11 Depth=1
	v_mul_f32_e32 v17, 0x3fb8aa3b, v61
	v_rndne_f32_e32 v20, v17
	v_sub_f32_e32 v21, v17, v20
	v_fma_f32 v17, v61, s86, -v17
	v_fmac_f32_e32 v17, 0x32a5705f, v61
	v_add_f32_e32 v17, v21, v17
	v_cvt_i32_f32_e32 v20, v20
	v_exp_f32_e32 v17, v17
	v_cmp_ngt_f32_e32 vcc, s87, v61
	v_ldexp_f32 v17, v17, v20
	s_nop 0
	v_cndmask_b32_e32 v17, 0, v17, vcc
	v_cmp_nlt_f32_e32 vcc, s80, v61
	s_nop 1
	v_cndmask_b32_e32 v36, v57, v17, vcc
	v_add_f32_e32 v17, 1.0, v36
	v_add_f32_e32 v20, -1.0, v17
	v_sub_f32_e32 v21, v20, v17
	v_add_f32_e32 v21, 1.0, v21
	v_sub_f32_e32 v20, v36, v20
	v_add_f32_e32 v22, v20, v21
	v_frexp_mant_f32_e32 v23, v17
	v_cvt_f64_f32_e32 v[20:21], v17
	v_frexp_exp_i32_f64_e32 v20, v[20:21]
	v_cmp_gt_f32_e32 vcc, s93, v23
	v_cmp_gt_f32_e64 s[26:27], s92, v36
	s_nop 0
	v_subbrev_co_u32_e32 v28, vcc, 0, v20, vcc
	v_sub_u32_e32 v20, 0, v28
	v_ldexp_f32 v17, v17, v20
	v_ldexp_f32 v20, v22, v20
	v_add_f32_e32 v22, -1.0, v17
	v_add_f32_e32 v21, 1.0, v22
	v_sub_f32_e32 v21, v17, v21
	v_add_f32_e32 v23, v20, v21
	v_add_f32_e32 v21, 1.0, v17
	v_add_f32_e32 v24, -1.0, v21
	v_sub_f32_e32 v17, v17, v24
	v_add_f32_e32 v17, v20, v17
	v_add_f32_e32 v29, v21, v17
	v_rcp_f32_e32 v30, v29
	v_sub_f32_e32 v20, v21, v29
	v_add_f32_e32 v21, v22, v23
	v_add_f32_e32 v17, v17, v20
	v_mul_f32_e32 v32, v21, v30
	v_sub_f32_e32 v20, v22, v21
	v_mul_f32_e32 v22, v29, v32
	v_fma_f32 v24, v32, v29, -v22
	v_fmac_f32_e32 v24, v32, v17
	v_add_f32_e32 v31, v23, v20
	v_add_f32_e32 v20, v22, v24
	v_sub_f32_e32 v23, v21, v20
	v_pk_add_f32 v[26:27], v[20:21], v[22:23] neg_lo:[0,1] neg_hi:[0,1]
	v_mov_b32_e32 v25, v20
	v_pk_add_f32 v[20:21], v[26:27], v[24:25] neg_lo:[0,1] neg_hi:[0,1]
	v_cmp_eq_f32_e32 vcc, s83, v36
	v_add_f32_e32 v21, v31, v21
	v_add_f32_e32 v20, v20, v21
	;; [unrolled: 1-line block ×3, first 2 shown]
	v_mul_f32_e32 v31, v30, v21
	v_mul_f32_e32 v22, v29, v31
	v_fma_f32 v24, v31, v29, -v22
	v_fmac_f32_e32 v24, v31, v17
	v_sub_f32_e32 v17, v23, v21
	v_add_f32_e32 v17, v20, v17
	v_add_f32_e32 v20, v22, v24
	v_sub_f32_e32 v23, v21, v20
	v_pk_add_f32 v[26:27], v[20:21], v[22:23] neg_lo:[0,1] neg_hi:[0,1]
	v_mov_b32_e32 v25, v20
	v_pk_add_f32 v[20:21], v[26:27], v[24:25] neg_lo:[0,1] neg_hi:[0,1]
	s_or_b64 vcc, s[26:27], vcc
	v_add_f32_e32 v17, v17, v21
	v_add_f32_e32 v17, v20, v17
	;; [unrolled: 1-line block ×4, first 2 shown]
	v_sub_f32_e32 v20, v21, v32
	v_mul_f32_e32 v17, v30, v17
	v_sub_f32_e32 v20, v31, v20
	v_add_f32_e32 v22, v20, v17
	v_add_f32_e32 v24, v21, v22
	v_cvt_f32_i32_e32 v20, v28
	v_mul_f32_e32 v25, v24, v24
	v_sub_f32_e32 v21, v24, v21
	v_fmamk_f32 v17, v25, 0x3e9b6dac, v56
	v_sub_f32_e32 v21, v22, v21
	v_fmaak_f32 v17, v25, v17, 0x3f2aaada
	v_ldexp_f32 v26, v21, 1
	v_mul_f32_e32 v21, v24, v25
	v_ldexp_f32 v23, v24, 1
	v_pk_mul_f32 v[24:25], v[20:21], v[16:17]
	s_nop 0
	v_fma_f32 v22, v20, s64, -v24
	v_fmac_f32_e32 v22, 0xb102e308, v20
	v_pk_add_f32 v[20:21], v[24:25], v[22:23]
	s_nop 0
	v_sub_f32_e32 v17, v21, v23
	v_sub_f32_e32 v17, v25, v17
	v_add_f32_e32 v27, v26, v17
	v_mov_b32_e32 v26, v24
	v_pk_add_f32 v[24:25], v[20:21], v[24:25] neg_lo:[0,1] neg_hi:[0,1]
	v_pk_add_f32 v[28:29], v[20:21], v[26:27]
	v_mov_b32_e32 v23, v20
	v_mov_b32_e32 v25, v29
	v_pk_add_f32 v[30:31], v[22:23], v[24:25] neg_lo:[0,1] neg_hi:[0,1]
	v_pk_add_f32 v[22:23], v[22:23], v[24:25]
	v_mov_b32_e32 v26, v27
	v_mov_b32_e32 v24, v23
	v_pk_add_f32 v[32:33], v[24:25], v[20:21] neg_lo:[0,1] neg_hi:[0,1]
	v_mov_b32_e32 v22, v29
	v_mov_b32_e32 v17, v32
	v_pk_add_f32 v[34:35], v[28:29], v[16:17] neg_lo:[0,1] neg_hi:[0,1]
	v_mov_b32_e32 v28, v21
	v_mov_b32_e32 v29, v32
	;; [unrolled: 1-line block ×3, first 2 shown]
	v_pk_add_f32 v[22:23], v[22:23], v[28:29] neg_lo:[0,1] neg_hi:[0,1]
	v_mov_b32_e32 v27, v20
	v_pk_add_f32 v[20:21], v[26:27], v[22:23] neg_lo:[0,1] neg_hi:[0,1]
	v_mov_b32_e32 v34, v30
	v_pk_add_f32 v[22:23], v[34:35], v[20:21]
	s_nop 0
	v_mov_b32_e32 v26, v23
	v_pk_add_f32 v[26:27], v[22:23], v[26:27]
	s_nop 0
	v_pk_add_f32 v[24:25], v[24:25], v[26:27]
	v_mov_b32_e32 v21, v26
	v_mov_b32_e32 v23, v24
	v_pk_add_f32 v[28:29], v[22:23], v[30:31] neg_lo:[0,1] neg_hi:[0,1]
	s_nop 0
	v_sub_f32_e32 v17, v22, v28
	v_pk_add_f32 v[20:21], v[20:21], v[28:29] neg_lo:[0,1] neg_hi:[0,1]
	v_sub_f32_e32 v17, v30, v17
	v_add_f32_e32 v17, v20, v17
	v_add_f32_e32 v17, v17, v21
	v_add_f32_e32 v17, v24, v17
	v_cndmask_b32_e32 v61, v17, v36, vcc
.LBB128_29:                             ;   in Loop: Header=BB128_11 Depth=1
	s_or_b64 exec, exec, s[28:29]
	s_waitcnt lgkmcnt(0)
	v_add_f32_e32 v23, s33, v18
	v_cmp_ge_f32_e32 vcc, s85, v23
	s_and_b64 s[26:27], s[62:63], vcc
	s_and_saveexec_b64 s[28:29], s[26:27]
	s_cbranch_execz .LBB128_31
; %bb.30:                               ;   in Loop: Header=BB128_11 Depth=1
	v_mul_f32_e32 v17, 0x3fb8aa3b, v23
	v_rndne_f32_e32 v18, v17
	v_sub_f32_e32 v20, v17, v18
	v_fma_f32 v17, v23, s86, -v17
	v_fmac_f32_e32 v17, 0x32a5705f, v23
	v_add_f32_e32 v17, v20, v17
	v_cvt_i32_f32_e32 v18, v18
	v_exp_f32_e32 v17, v17
	v_cmp_ngt_f32_e32 vcc, s87, v23
	v_ldexp_f32 v17, v17, v18
	s_nop 0
	v_cndmask_b32_e32 v17, 0, v17, vcc
	v_cmp_nlt_f32_e32 vcc, s80, v23
	s_nop 1
	v_cndmask_b32_e32 v34, v57, v17, vcc
	v_add_f32_e32 v17, 1.0, v34
	v_add_f32_e32 v18, -1.0, v17
	v_sub_f32_e32 v20, v18, v17
	v_add_f32_e32 v20, 1.0, v20
	v_sub_f32_e32 v18, v34, v18
	v_add_f32_e32 v18, v18, v20
	v_frexp_mant_f32_e32 v22, v17
	v_cvt_f64_f32_e32 v[20:21], v17
	v_frexp_exp_i32_f64_e32 v20, v[20:21]
	v_cmp_gt_f32_e32 vcc, s93, v22
	v_cmp_gt_f32_e64 s[26:27], s92, v34
	s_nop 0
	v_subbrev_co_u32_e32 v28, vcc, 0, v20, vcc
	v_sub_u32_e32 v20, 0, v28
	v_ldexp_f32 v17, v17, v20
	v_ldexp_f32 v18, v18, v20
	v_add_f32_e32 v20, -1.0, v17
	v_add_f32_e32 v21, 1.0, v20
	v_sub_f32_e32 v21, v17, v21
	v_add_f32_e32 v22, v18, v21
	v_add_f32_e32 v21, 1.0, v17
	v_add_f32_e32 v23, -1.0, v21
	v_sub_f32_e32 v17, v17, v23
	v_add_f32_e32 v17, v18, v17
	v_add_f32_e32 v18, v21, v17
	v_rcp_f32_e32 v29, v18
	v_sub_f32_e32 v21, v21, v18
	v_add_f32_e32 v17, v17, v21
	v_add_f32_e32 v21, v20, v22
	v_sub_f32_e32 v20, v20, v21
	v_mul_f32_e32 v31, v21, v29
	v_add_f32_e32 v30, v22, v20
	v_mul_f32_e32 v22, v18, v31
	v_fma_f32 v24, v31, v18, -v22
	v_fmac_f32_e32 v24, v31, v17
	v_add_f32_e32 v20, v22, v24
	v_sub_f32_e32 v23, v21, v20
	v_pk_add_f32 v[26:27], v[20:21], v[22:23] neg_lo:[0,1] neg_hi:[0,1]
	v_mov_b32_e32 v25, v20
	v_pk_add_f32 v[20:21], v[26:27], v[24:25] neg_lo:[0,1] neg_hi:[0,1]
	v_cmp_eq_f32_e32 vcc, s83, v34
	v_add_f32_e32 v21, v30, v21
	v_add_f32_e32 v20, v20, v21
	;; [unrolled: 1-line block ×3, first 2 shown]
	v_mul_f32_e32 v30, v29, v21
	v_mul_f32_e32 v22, v18, v30
	v_fma_f32 v24, v30, v18, -v22
	v_fmac_f32_e32 v24, v30, v17
	v_sub_f32_e32 v17, v23, v21
	v_add_f32_e32 v17, v20, v17
	v_add_f32_e32 v20, v22, v24
	v_sub_f32_e32 v23, v21, v20
	v_pk_add_f32 v[26:27], v[20:21], v[22:23] neg_lo:[0,1] neg_hi:[0,1]
	v_mov_b32_e32 v25, v20
	v_pk_add_f32 v[20:21], v[26:27], v[24:25] neg_lo:[0,1] neg_hi:[0,1]
	v_add_f32_e32 v18, v31, v30
	v_add_f32_e32 v17, v17, v21
	;; [unrolled: 1-line block ×4, first 2 shown]
	v_sub_f32_e32 v20, v18, v31
	v_mul_f32_e32 v17, v29, v17
	v_sub_f32_e32 v20, v30, v20
	v_add_f32_e32 v21, v20, v17
	v_add_f32_e32 v22, v18, v21
	v_cvt_f32_i32_e32 v20, v28
	v_mul_f32_e32 v24, v22, v22
	v_fmamk_f32 v17, v24, 0x3e9b6dac, v56
	v_sub_f32_e32 v18, v22, v18
	v_fmaak_f32 v17, v24, v17, 0x3f2aaada
	v_sub_f32_e32 v18, v21, v18
	v_mul_f32_e32 v21, v22, v24
	v_pk_mul_f32 v[24:25], v[20:21], v[16:17]
	v_ldexp_f32 v23, v22, 1
	v_fma_f32 v22, v20, s64, -v24
	v_fmac_f32_e32 v22, 0xb102e308, v20
	v_pk_add_f32 v[20:21], v[24:25], v[22:23]
	v_ldexp_f32 v18, v18, 1
	v_sub_f32_e32 v17, v21, v23
	v_sub_f32_e32 v17, v25, v17
	v_add_f32_e32 v27, v18, v17
	v_mov_b32_e32 v26, v24
	v_pk_add_f32 v[24:25], v[20:21], v[24:25] neg_lo:[0,1] neg_hi:[0,1]
	v_pk_add_f32 v[28:29], v[20:21], v[26:27]
	v_mov_b32_e32 v23, v20
	v_mov_b32_e32 v25, v29
	v_pk_add_f32 v[30:31], v[22:23], v[24:25] neg_lo:[0,1] neg_hi:[0,1]
	v_pk_add_f32 v[22:23], v[22:23], v[24:25]
	s_or_b64 vcc, s[26:27], vcc
	v_mov_b32_e32 v18, v23
	v_pk_add_f32 v[24:25], v[18:19], v[20:21] neg_lo:[0,1] neg_hi:[0,1]
	v_mov_b32_e32 v22, v29
	v_mov_b32_e32 v17, v24
	v_pk_add_f32 v[32:33], v[28:29], v[16:17] neg_lo:[0,1] neg_hi:[0,1]
	v_mov_b32_e32 v28, v21
	v_mov_b32_e32 v29, v24
	;; [unrolled: 1-line block ×3, first 2 shown]
	v_pk_add_f32 v[22:23], v[22:23], v[28:29] neg_lo:[0,1] neg_hi:[0,1]
	v_mov_b32_e32 v24, v27
	v_mov_b32_e32 v25, v20
	v_pk_add_f32 v[20:21], v[24:25], v[22:23] neg_lo:[0,1] neg_hi:[0,1]
	v_mov_b32_e32 v32, v30
	v_pk_add_f32 v[22:23], v[32:33], v[20:21]
	s_nop 0
	v_mov_b32_e32 v24, v23
	v_pk_add_f32 v[24:25], v[22:23], v[24:25]
	s_nop 0
	v_pk_add_f32 v[26:27], v[18:19], v[24:25]
	v_mov_b32_e32 v21, v24
	v_mov_b32_e32 v23, v26
	v_pk_add_f32 v[28:29], v[22:23], v[30:31] neg_lo:[0,1] neg_hi:[0,1]
	s_nop 0
	v_sub_f32_e32 v17, v22, v28
	v_pk_add_f32 v[20:21], v[20:21], v[28:29] neg_lo:[0,1] neg_hi:[0,1]
	v_sub_f32_e32 v17, v30, v17
	v_add_f32_e32 v17, v20, v17
	v_add_f32_e32 v17, v17, v21
	;; [unrolled: 1-line block ×3, first 2 shown]
	v_cndmask_b32_e32 v23, v17, v34, vcc
.LBB128_31:                             ;   in Loop: Header=BB128_11 Depth=1
	s_or_b64 exec, exec, s[28:29]
	v_add_f32_e32 v22, s33, v19
	v_cmp_ge_f32_e32 vcc, s85, v22
	s_and_b64 s[26:27], s[62:63], vcc
	s_and_saveexec_b64 s[28:29], s[26:27]
	s_cbranch_execz .LBB128_33
; %bb.32:                               ;   in Loop: Header=BB128_11 Depth=1
	v_mul_f32_e32 v17, 0x3fb8aa3b, v22
	v_rndne_f32_e32 v18, v17
	v_sub_f32_e32 v19, v17, v18
	v_fma_f32 v17, v22, s86, -v17
	v_fmac_f32_e32 v17, 0x32a5705f, v22
	v_add_f32_e32 v17, v19, v17
	v_cvt_i32_f32_e32 v18, v18
	v_exp_f32_e32 v17, v17
	v_cmp_ngt_f32_e32 vcc, s87, v22
	v_ldexp_f32 v17, v17, v18
	s_nop 0
	v_cndmask_b32_e32 v17, 0, v17, vcc
	v_cmp_nlt_f32_e32 vcc, s80, v22
	s_nop 1
	v_cndmask_b32_e32 v34, v57, v17, vcc
	v_add_f32_e32 v17, 1.0, v34
	v_add_f32_e32 v18, -1.0, v17
	v_sub_f32_e32 v19, v18, v17
	v_add_f32_e32 v19, 1.0, v19
	v_sub_f32_e32 v18, v34, v18
	v_add_f32_e32 v20, v18, v19
	v_frexp_mant_f32_e32 v21, v17
	v_cvt_f64_f32_e32 v[18:19], v17
	v_frexp_exp_i32_f64_e32 v18, v[18:19]
	v_cmp_gt_f32_e32 vcc, s93, v21
	v_cmp_gt_f32_e64 s[26:27], s92, v34
	s_nop 0
	v_subbrev_co_u32_e32 v22, vcc, 0, v18, vcc
	v_sub_u32_e32 v18, 0, v22
	v_ldexp_f32 v17, v17, v18
	v_ldexp_f32 v18, v20, v18
	v_add_f32_e32 v20, -1.0, v17
	v_add_f32_e32 v19, 1.0, v20
	v_sub_f32_e32 v19, v17, v19
	v_add_f32_e32 v21, v18, v19
	v_add_f32_e32 v19, 1.0, v17
	v_add_f32_e32 v24, -1.0, v19
	v_sub_f32_e32 v17, v17, v24
	v_add_f32_e32 v17, v18, v17
	v_add_f32_e32 v28, v19, v17
	v_rcp_f32_e32 v29, v28
	v_sub_f32_e32 v18, v19, v28
	v_add_f32_e32 v19, v20, v21
	v_add_f32_e32 v17, v17, v18
	v_mul_f32_e32 v31, v19, v29
	v_sub_f32_e32 v18, v20, v19
	v_mul_f32_e32 v20, v28, v31
	v_fma_f32 v24, v31, v28, -v20
	v_fmac_f32_e32 v24, v31, v17
	v_add_f32_e32 v30, v21, v18
	v_add_f32_e32 v18, v20, v24
	v_sub_f32_e32 v21, v19, v18
	v_pk_add_f32 v[26:27], v[18:19], v[20:21] neg_lo:[0,1] neg_hi:[0,1]
	v_mov_b32_e32 v25, v18
	v_pk_add_f32 v[18:19], v[26:27], v[24:25] neg_lo:[0,1] neg_hi:[0,1]
	v_cmp_eq_f32_e32 vcc, s83, v34
	v_add_f32_e32 v19, v30, v19
	v_add_f32_e32 v18, v18, v19
	;; [unrolled: 1-line block ×3, first 2 shown]
	v_mul_f32_e32 v30, v29, v19
	v_mul_f32_e32 v20, v28, v30
	v_fma_f32 v24, v30, v28, -v20
	v_fmac_f32_e32 v24, v30, v17
	v_sub_f32_e32 v17, v21, v19
	v_add_f32_e32 v17, v18, v17
	v_add_f32_e32 v18, v20, v24
	v_sub_f32_e32 v21, v19, v18
	v_pk_add_f32 v[26:27], v[18:19], v[20:21] neg_lo:[0,1] neg_hi:[0,1]
	v_mov_b32_e32 v25, v18
	v_pk_add_f32 v[18:19], v[26:27], v[24:25] neg_lo:[0,1] neg_hi:[0,1]
	s_or_b64 vcc, s[26:27], vcc
	v_add_f32_e32 v17, v17, v19
	v_add_f32_e32 v17, v18, v17
	;; [unrolled: 1-line block ×4, first 2 shown]
	v_sub_f32_e32 v18, v19, v31
	v_mul_f32_e32 v17, v29, v17
	v_sub_f32_e32 v18, v30, v18
	v_add_f32_e32 v20, v18, v17
	v_add_f32_e32 v24, v19, v20
	v_cvt_f32_i32_e32 v18, v22
	v_mul_f32_e32 v25, v24, v24
	v_sub_f32_e32 v19, v24, v19
	v_fmamk_f32 v17, v25, 0x3e9b6dac, v56
	v_sub_f32_e32 v19, v20, v19
	v_fmaak_f32 v17, v25, v17, 0x3f2aaada
	v_ldexp_f32 v22, v19, 1
	v_mul_f32_e32 v19, v24, v25
	v_ldexp_f32 v21, v24, 1
	v_pk_mul_f32 v[24:25], v[18:19], v[16:17]
	s_nop 0
	v_fma_f32 v20, v18, s64, -v24
	v_fmac_f32_e32 v20, 0xb102e308, v18
	v_pk_add_f32 v[18:19], v[24:25], v[20:21]
	v_mov_b32_e32 v26, v24
	v_sub_f32_e32 v17, v19, v21
	v_sub_f32_e32 v17, v25, v17
	v_add_f32_e32 v27, v22, v17
	v_pk_add_f32 v[24:25], v[18:19], v[24:25] neg_lo:[0,1] neg_hi:[0,1]
	v_pk_add_f32 v[28:29], v[18:19], v[26:27]
	v_mov_b32_e32 v21, v18
	v_mov_b32_e32 v25, v29
	v_pk_add_f32 v[30:31], v[20:21], v[24:25] neg_lo:[0,1] neg_hi:[0,1]
	v_pk_add_f32 v[20:21], v[20:21], v[24:25]
	s_nop 0
	v_mov_b32_e32 v22, v21
	v_pk_add_f32 v[24:25], v[22:23], v[18:19] neg_lo:[0,1] neg_hi:[0,1]
	v_mov_b32_e32 v20, v29
	v_mov_b32_e32 v17, v24
	v_pk_add_f32 v[32:33], v[28:29], v[16:17] neg_lo:[0,1] neg_hi:[0,1]
	v_mov_b32_e32 v28, v19
	v_mov_b32_e32 v29, v24
	;; [unrolled: 1-line block ×3, first 2 shown]
	v_pk_add_f32 v[20:21], v[20:21], v[28:29] neg_lo:[0,1] neg_hi:[0,1]
	v_mov_b32_e32 v24, v27
	v_mov_b32_e32 v25, v18
	v_pk_add_f32 v[18:19], v[24:25], v[20:21] neg_lo:[0,1] neg_hi:[0,1]
	v_mov_b32_e32 v32, v30
	v_pk_add_f32 v[20:21], v[32:33], v[18:19]
	s_nop 0
	v_mov_b32_e32 v24, v21
	v_pk_add_f32 v[24:25], v[20:21], v[24:25]
	s_nop 0
	v_pk_add_f32 v[26:27], v[22:23], v[24:25]
	v_mov_b32_e32 v19, v24
	v_mov_b32_e32 v21, v26
	v_pk_add_f32 v[28:29], v[20:21], v[30:31] neg_lo:[0,1] neg_hi:[0,1]
	s_nop 0
	v_sub_f32_e32 v17, v20, v28
	v_pk_add_f32 v[18:19], v[18:19], v[28:29] neg_lo:[0,1] neg_hi:[0,1]
	v_sub_f32_e32 v17, v30, v17
	v_add_f32_e32 v17, v18, v17
	v_add_f32_e32 v17, v17, v19
	v_add_f32_e32 v17, v26, v17
	v_cndmask_b32_e32 v22, v17, v34, vcc
.LBB128_33:                             ;   in Loop: Header=BB128_11 Depth=1
	s_or_b64 exec, exec, s[28:29]
	v_readlane_b32 s26, v70, 0
	v_readlane_b32 s27, v70, 1
	v_mul_f32_e32 v18, s78, v6
	v_mul_f32_e32 v21, s78, v5
	;; [unrolled: 1-line block ×4, first 2 shown]
	s_and_b64 vcc, exec, s[26:27]
	s_waitcnt lgkmcnt(0)
	; wave barrier
	s_cbranch_vccz .LBB128_75
; %bb.34:                               ;   in Loop: Header=BB128_11 Depth=1
	s_cmp_lg_u32 s98, 0
	v_readlane_b32 s26, v70, 2
	s_cselect_b64 s[90:91], -1, 0
	s_cmp_eq_u32 s98, s26
	v_cmp_gt_u32_e32 vcc, s34, v15
	s_cselect_b64 s[70:71], -1, 0
	s_or_b64 s[26:27], s[66:67], vcc
	v_cmp_gt_u32_e32 vcc, s34, v14
	s_mov_b32 s52, 0
	v_cmp_gt_u32_e64 s[28:29], s34, v9
	s_or_b64 s[30:31], s[66:67], vcc
	v_cmp_gt_u32_e32 vcc, s34, v55
	v_mul_f32_e32 v17, v7, v22
	v_lshl_add_u64 v[24:25], s[42:43], 0, v[2:3]
	v_lshl_add_u64 v[26:27], s[46:47], 0, v[2:3]
	v_mul_f32_e32 v62, v6, v23
	v_mul_f32_e32 v63, v5, v61
	;; [unrolled: 1-line block ×3, first 2 shown]
	s_or_b64 s[28:29], s[66:67], s[28:29]
	s_or_b64 s[34:35], s[66:67], vcc
	s_mov_b32 s88, s52
	s_mov_b32 s72, 0
	;; [unrolled: 1-line block ×5, first 2 shown]
	v_readlane_b32 s99, v70, 3
	s_branch .LBB128_36
.LBB128_35:                             ;   in Loop: Header=BB128_36 Depth=2
	s_or_b64 exec, exec, s[36:37]
	v_mul_f32_e32 v28, v35, v34
	v_fma_f32 v29, v35, v37, v32
	v_cndmask_b32_e64 v32, v29, v32, s[16:17]
	v_cndmask_b32_e64 v28, v28, v35, s[16:17]
	s_waitcnt lgkmcnt(0)
	v_fmac_f32_e32 v32, v40, v28
	v_fmac_f32_e32 v33, v32, v31
	;; [unrolled: 1-line block ×4, first 2 shown]
	v_mov_b32_e32 v31, v36
	s_add_i32 s99, s99, 8
	s_add_i32 s69, s69, -1
	s_add_i32 s76, s76, s84
	s_add_i32 s74, s74, s48
	;; [unrolled: 1-line block ×4, first 2 shown]
	v_pk_fma_f32 v[20:21], v[6:7], v[32:33], v[20:21]
	s_cmp_eq_u32 s69, 0
	v_pk_fma_f32 v[18:19], v[4:5], v[30:31], v[18:19]
	s_cbranch_scc1 .LBB128_75
.LBB128_36:                             ;   Parent Loop BB128_11 Depth=1
                                        ; =>  This Inner Loop Header: Depth=2
	s_lshl_b64 s[36:37], s[88:89], 2
	s_add_u32 s36, s40, s36
	s_addc_u32 s37, s81, s37
	global_load_dword v32, v3, s[36:37]
	s_mov_b32 s53, s52
	s_mov_b32 s73, s89
	;; [unrolled: 1-line block ×4, first 2 shown]
	v_mov_b64_e32 v[4:5], s[52:53]
	v_lshl_add_u64 v[28:29], s[72:73], 2, v[24:25]
	v_mov_b64_e32 v[6:7], s[54:55]
	v_mov_b32_e32 v30, 0
	s_and_saveexec_b64 s[36:37], s[18:19]
	s_cbranch_execnz .LBB128_48
; %bb.37:                               ;   in Loop: Header=BB128_36 Depth=2
	s_or_b64 exec, exec, s[36:37]
	s_and_saveexec_b64 s[36:37], s[20:21]
	s_cbranch_execnz .LBB128_49
.LBB128_38:                             ;   in Loop: Header=BB128_36 Depth=2
	s_or_b64 exec, exec, s[36:37]
	s_and_saveexec_b64 s[36:37], s[22:23]
	s_cbranch_execnz .LBB128_50
.LBB128_39:                             ;   in Loop: Header=BB128_36 Depth=2
	s_or_b64 exec, exec, s[36:37]
	s_and_saveexec_b64 s[36:37], s[24:25]
	s_cbranch_execz .LBB128_41
.LBB128_40:                             ;   in Loop: Header=BB128_36 Depth=2
	global_load_dword v7, v[28:29], off offset:768
.LBB128_41:                             ;   in Loop: Header=BB128_36 Depth=2
	s_or_b64 exec, exec, s[36:37]
	s_waitcnt vmcnt(0)
	ds_write_b32 v45, v30
	ds_write_b32 v46, v5 offset:256
	ds_write_b32 v47, v6 offset:512
	;; [unrolled: 1-line block ×3, first 2 shown]
	; wave barrier
	ds_read2_b32 v[30:31], v49 offset1:1
	ds_read2_b32 v[36:37], v49 offset0:2 offset1:3
	s_mov_b32 s56, s89
	s_mov_b32 s57, s89
	;; [unrolled: 1-line block ×5, first 2 shown]
	v_mov_b64_e32 v[4:5], s[56:57]
	v_lshl_add_u64 v[28:29], s[74:75], 2, v[26:27]
	v_mov_b64_e32 v[6:7], s[58:59]
	v_mov_b32_e32 v33, 0
	s_and_saveexec_b64 s[36:37], s[18:19]
	s_cbranch_execnz .LBB128_51
; %bb.42:                               ;   in Loop: Header=BB128_36 Depth=2
	s_or_b64 exec, exec, s[36:37]
	s_and_saveexec_b64 s[36:37], s[20:21]
	s_cbranch_execnz .LBB128_52
.LBB128_43:                             ;   in Loop: Header=BB128_36 Depth=2
	s_or_b64 exec, exec, s[36:37]
	s_and_saveexec_b64 s[36:37], s[22:23]
	s_cbranch_execnz .LBB128_53
.LBB128_44:                             ;   in Loop: Header=BB128_36 Depth=2
	s_or_b64 exec, exec, s[36:37]
	s_and_saveexec_b64 s[36:37], s[24:25]
	s_cbranch_execz .LBB128_46
.LBB128_45:                             ;   in Loop: Header=BB128_36 Depth=2
	global_load_dword v7, v[28:29], off offset:768
.LBB128_46:                             ;   in Loop: Header=BB128_36 Depth=2
	s_or_b64 exec, exec, s[36:37]
	v_add_u32_e32 v4, 0x420, v49
	s_waitcnt vmcnt(0)
	ds_write_b32 v45, v33 offset:1056
	ds_write_b32 v50, v5 offset:256
	;; [unrolled: 1-line block ×4, first 2 shown]
	; wave barrier
	ds_read2_b32 v[6:7], v4 offset1:1
	ds_read2_b32 v[4:5], v53 offset0:2 offset1:3
	s_andn2_b64 vcc, exec, s[90:91]
	s_cbranch_vccnz .LBB128_54
; %bb.47:                               ;   in Loop: Header=BB128_36 Depth=2
	v_mov_b32_e32 v28, s99
	ds_read_b64 v[28:29], v28
	s_cbranch_execz .LBB128_55
	s_branch .LBB128_58
.LBB128_48:                             ;   in Loop: Header=BB128_36 Depth=2
	global_load_dword v30, v[28:29], off
	v_mov_b32_e32 v4, v3
	v_mov_b32_e32 v5, v3
	v_mov_b64_e32 v[6:7], v[4:5]
	v_mov_b64_e32 v[4:5], v[2:3]
	s_or_b64 exec, exec, s[36:37]
	s_and_saveexec_b64 s[36:37], s[20:21]
	s_cbranch_execz .LBB128_38
.LBB128_49:                             ;   in Loop: Header=BB128_36 Depth=2
	global_load_dword v5, v[28:29], off offset:256
	s_or_b64 exec, exec, s[36:37]
	s_and_saveexec_b64 s[36:37], s[22:23]
	s_cbranch_execz .LBB128_39
.LBB128_50:                             ;   in Loop: Header=BB128_36 Depth=2
	global_load_dword v6, v[28:29], off offset:512
	s_or_b64 exec, exec, s[36:37]
	s_and_saveexec_b64 s[36:37], s[24:25]
	s_cbranch_execnz .LBB128_40
	s_branch .LBB128_41
.LBB128_51:                             ;   in Loop: Header=BB128_36 Depth=2
	global_load_dword v33, v[28:29], off
	v_mov_b32_e32 v4, v3
	v_mov_b32_e32 v5, v3
	v_mov_b64_e32 v[6:7], v[4:5]
	v_mov_b64_e32 v[4:5], v[2:3]
	s_or_b64 exec, exec, s[36:37]
	s_and_saveexec_b64 s[36:37], s[20:21]
	s_cbranch_execz .LBB128_43
.LBB128_52:                             ;   in Loop: Header=BB128_36 Depth=2
	global_load_dword v5, v[28:29], off offset:256
	s_or_b64 exec, exec, s[36:37]
	s_and_saveexec_b64 s[36:37], s[22:23]
	s_cbranch_execz .LBB128_44
.LBB128_53:                             ;   in Loop: Header=BB128_36 Depth=2
	global_load_dword v6, v[28:29], off offset:512
	s_or_b64 exec, exec, s[36:37]
	s_and_saveexec_b64 s[36:37], s[24:25]
	s_cbranch_execnz .LBB128_45
	s_branch .LBB128_46
.LBB128_54:                             ;   in Loop: Header=BB128_36 Depth=2
                                        ; implicit-def: $vgpr29
.LBB128_55:                             ;   in Loop: Header=BB128_36 Depth=2
	s_andn2_b64 vcc, exec, s[38:39]
	s_waitcnt lgkmcnt(0)
	v_mov_b32_e32 v29, 0
	s_cbranch_vccnz .LBB128_57
; %bb.56:                               ;   in Loop: Header=BB128_36 Depth=2
	s_mov_b32 s77, s89
	s_lshl_b64 s[36:37], s[76:77], 2
	s_add_u32 s36, s45, s36
	s_addc_u32 s37, s49, s37
	global_load_dword v29, v3, s[36:37]
.LBB128_57:                             ;   in Loop: Header=BB128_36 Depth=2
	v_mov_b32_e32 v28, 1.0
.LBB128_58:                             ;   in Loop: Header=BB128_36 Depth=2
	v_mul_f32_e32 v34, 0x3fb8aa3b, v32
	v_mul_f32_e32 v32, v34, v60
	v_cmp_gt_f32_e32 vcc, s94, v32
	v_mul_f32_e32 v33, v34, v61
	s_waitcnt lgkmcnt(7)
	v_mul_f32_e32 v30, v30, v64
	v_cndmask_b32_e32 v32, 0, v58, vcc
	v_fmac_f32_e32 v32, v34, v60
	v_exp_f32_e32 v32, v32
	v_cndmask_b32_e32 v35, 1.0, v59, vcc
	v_cmp_gt_f32_e32 vcc, s94, v33
	v_mul_f32_e32 v31, v31, v63
	v_mul_f32_e32 v35, v32, v35
	v_cndmask_b32_e32 v32, 0, v58, vcc
	v_fmac_f32_e32 v32, v34, v61
	v_exp_f32_e32 v33, v32
	v_cndmask_b32_e64 v35, 1.0, v35, s[26:27]
	v_cndmask_b32_e64 v32, 0, v30, s[26:27]
	v_cndmask_b32_e32 v30, 1.0, v59, vcc
	v_pk_mul_f32 v[38:39], v[34:35], v[22:23] op_sel_hi:[0,1]
	v_mul_f32_e32 v30, v33, v30
	s_waitcnt lgkmcnt(6)
	v_mul_f32_e32 v34, v36, v62
	v_cmp_gt_f32_e32 vcc, s94, v38
	v_cndmask_b32_e64 v33, 0, v31, s[28:29]
	v_cndmask_b32_e64 v31, 1.0, v30, s[28:29]
	v_cndmask_b32_e64 v30, 0, v34, s[30:31]
	v_cndmask_b32_e32 v34, 0, v58, vcc
	v_cmp_gt_f32_e64 s[36:37], s94, v39
	v_add_f32_e32 v34, v38, v34
	v_exp_f32_e32 v34, v34
	v_cndmask_b32_e64 v36, 0, v58, s[36:37]
	v_add_f32_e32 v36, v39, v36
	v_exp_f32_e32 v36, v36
	v_cndmask_b32_e32 v38, 1.0, v59, vcc
	v_mul_f32_e32 v34, v34, v38
	v_cndmask_b32_e64 v38, 1.0, v59, s[36:37]
	v_mul_f32_e32 v38, v36, v38
	v_cndmask_b32_e64 v39, 1.0, v38, s[30:31]
	v_cndmask_b32_e64 v38, 1.0, v34, s[34:35]
	v_fma_f32 v34, v31, v32, v33
	v_mul_f32_e32 v34, v34, v39
	v_pk_add_f32 v[40:41], v[34:35], v[30:31]
	v_pk_mul_f32 v[66:67], v[34:35], v[30:31]
	v_mul_f32_e32 v36, v37, v17
	v_mov_b32_e32 v41, v67
	v_cndmask_b32_e64 v36, 0, v36, s[34:35]
	v_pk_mul_f32 v[66:67], v[40:41], v[38:39]
	v_mov_b32_e32 v37, v38
	v_pk_fma_f32 v[68:69], v[40:41], v[38:39], v[36:37]
	v_pk_mul_f32 v[66:67], v[66:67], v[36:37]
	s_nop 0
	v_mov_b32_dpp v37, v68 row_shr:1 row_mask:0xf bank_mask:0xf
	v_mov_b32_dpp v34, v67 row_shr:1 row_mask:0xf bank_mask:0xf
	v_mul_f32_e32 v65, v67, v34
	v_fma_f32 v34, v67, v37, v68
	v_cndmask_b32_e64 v41, v34, v68, s[0:1]
	v_cndmask_b32_e64 v34, v34, v68, s[0:1]
	;; [unrolled: 1-line block ×4, first 2 shown]
	v_mov_b32_dpp v66, v34 row_shr:2 row_mask:0xf bank_mask:0xf
	v_mov_b32_dpp v65, v37 row_shr:2 row_mask:0xf bank_mask:0xf
	s_and_saveexec_b64 s[36:37], s[2:3]
; %bb.59:                               ;   in Loop: Header=BB128_36 Depth=2
	v_fmac_f32_e32 v34, v37, v66
	v_mul_f32_e32 v37, v37, v65
	v_mov_b32_e32 v40, v37
	v_mov_b32_e32 v41, v34
; %bb.60:                               ;   in Loop: Header=BB128_36 Depth=2
	s_or_b64 exec, exec, s[36:37]
	v_mov_b32_dpp v65, v37 row_shr:4 row_mask:0xf bank_mask:0xf
	v_mov_b32_dpp v66, v34 row_shr:4 row_mask:0xf bank_mask:0xf
	s_and_saveexec_b64 s[36:37], s[4:5]
; %bb.61:                               ;   in Loop: Header=BB128_36 Depth=2
	v_fmac_f32_e32 v34, v37, v66
	v_mul_f32_e32 v37, v37, v65
	v_mov_b32_e32 v40, v37
	v_mov_b32_e32 v41, v34
; %bb.62:                               ;   in Loop: Header=BB128_36 Depth=2
	s_or_b64 exec, exec, s[36:37]
	;; [unrolled: 10-line block ×3, first 2 shown]
	v_mov_b32_dpp v65, v37 row_bcast:15 row_mask:0xf bank_mask:0xf
	v_mov_b32_dpp v66, v34 row_bcast:15 row_mask:0xf bank_mask:0xf
	s_and_saveexec_b64 s[36:37], s[8:9]
; %bb.65:                               ;   in Loop: Header=BB128_36 Depth=2
	v_fmac_f32_e32 v34, v37, v66
	v_mul_f32_e32 v37, v37, v65
	v_mov_b32_e32 v40, v37
	v_mov_b32_e32 v41, v34
; %bb.66:                               ;   in Loop: Header=BB128_36 Depth=2
	s_or_b64 exec, exec, s[36:37]
	v_mov_b32_dpp v65, v37 row_bcast:31 row_mask:0xf bank_mask:0xf
	v_mov_b32_dpp v66, v34 row_bcast:31 row_mask:0xf bank_mask:0xf
	v_mul_f32_e32 v65, v37, v65
	v_fmac_f32_e32 v34, v37, v66
	v_cndmask_b32_e64 v40, v40, v65, s[10:11]
	v_cndmask_b32_e64 v41, v41, v34, s[10:11]
	s_and_saveexec_b64 s[36:37], s[12:13]
	s_cbranch_execz .LBB128_68
; %bb.67:                               ;   in Loop: Header=BB128_36 Depth=2
	ds_write_b64 v3, v[40:41] offset:2112
.LBB128_68:                             ;   in Loop: Header=BB128_36 Depth=2
	s_or_b64 exec, exec, s[36:37]
	ds_bpermute_b32 v34, v54, v40
	ds_bpermute_b32 v37, v54, v41
	s_waitcnt vmcnt(0) lgkmcnt(2)
	v_mov_b32_e32 v41, v29
	s_waitcnt lgkmcnt(0)
	; wave barrier
	s_waitcnt lgkmcnt(0)
	s_and_saveexec_b64 s[36:37], s[14:15]
	s_cbranch_execz .LBB128_72
; %bb.69:                               ;   in Loop: Header=BB128_36 Depth=2
	ds_read_b64 v[40:41], v3 offset:2112
	s_and_saveexec_b64 s[54:55], s[16:17]
	s_cbranch_execz .LBB128_71
; %bb.70:                               ;   in Loop: Header=BB128_36 Depth=2
	ds_write_b64 v3, v[28:29] offset:2112
.LBB128_71:                             ;   in Loop: Header=BB128_36 Depth=2
	s_or_b64 exec, exec, s[54:55]
	s_waitcnt lgkmcnt(0)
	v_fmac_f32_e32 v41, v29, v40
	v_mul_f32_e32 v28, v28, v40
	v_mov_b32_e32 v29, v41
.LBB128_72:                             ;   in Loop: Header=BB128_36 Depth=2
	s_or_b64 exec, exec, s[36:37]
	s_waitcnt lgkmcnt(0)
	; wave barrier
	ds_read_b32 v40, v3 offset:2116
	s_and_saveexec_b64 s[36:37], s[16:17]
	s_cbranch_execz .LBB128_35
; %bb.73:                               ;   in Loop: Header=BB128_36 Depth=2
	v_mov_b32_e32 v65, s99
	s_andn2_b64 vcc, exec, s[70:71]
	ds_write_b64 v65, v[28:29]
	s_cbranch_vccnz .LBB128_35
; %bb.74:                               ;   in Loop: Header=BB128_36 Depth=2
	s_mov_b32 s77, s89
	s_lshl_b64 s[54:55], s[76:77], 2
	s_add_u32 s54, s45, s54
	s_addc_u32 s55, s49, s55
	global_store_dword v3, v41, s[54:55]
	s_branch .LBB128_35
.LBB128_75:                             ;   in Loop: Header=BB128_11 Depth=1
	s_waitcnt lgkmcnt(0)
	; wave barrier
	ds_write2_b32 v49, v20, v21 offset1:1
	ds_write2_b32 v49, v18, v19 offset0:2 offset1:3
	; wave barrier
	ds_read_b32 v17, v46 offset:256
	ds_read_b32 v7, v47 offset:512
	;; [unrolled: 1-line block ×3, first 2 shown]
	s_mov_b32 s69, s89
	v_lshl_add_u64 v[4:5], s[68:69], 2, v[0:1]
	s_and_saveexec_b64 s[26:27], s[18:19]
	s_cbranch_execnz .LBB128_91
; %bb.76:                               ;   in Loop: Header=BB128_11 Depth=1
	s_or_b64 exec, exec, s[26:27]
	s_and_saveexec_b64 s[26:27], s[20:21]
	s_cbranch_execnz .LBB128_92
.LBB128_77:                             ;   in Loop: Header=BB128_11 Depth=1
	s_or_b64 exec, exec, s[26:27]
	s_and_saveexec_b64 s[26:27], s[22:23]
	s_cbranch_execnz .LBB128_93
.LBB128_78:                             ;   in Loop: Header=BB128_11 Depth=1
	s_or_b64 exec, exec, s[26:27]
	s_and_saveexec_b64 s[26:27], s[24:25]
	s_cbranch_execz .LBB128_80
.LBB128_79:                             ;   in Loop: Header=BB128_11 Depth=1
	s_waitcnt lgkmcnt(0)
	global_store_dword v[4:5], v6, off offset:768
.LBB128_80:                             ;   in Loop: Header=BB128_11 Depth=1
	s_or_b64 exec, exec, s[26:27]
	s_mov_b32 s88, s89
	s_mov_b32 s90, s89
	;; [unrolled: 1-line block ×3, first 2 shown]
	s_waitcnt lgkmcnt(0)
	v_mov_b64_e32 v[4:5], s[88:89]
	v_lshl_add_u64 v[22:23], s[68:69], 2, v[10:11]
	v_mov_b64_e32 v[6:7], s[90:91]
	v_mov_b32_e32 v17, 0
	s_waitcnt lgkmcnt(0)
	; wave barrier
	s_and_saveexec_b64 s[26:27], s[18:19]
	s_cbranch_execnz .LBB128_94
; %bb.81:                               ;   in Loop: Header=BB128_11 Depth=1
	s_or_b64 exec, exec, s[26:27]
	s_and_saveexec_b64 s[26:27], s[20:21]
	s_cbranch_execnz .LBB128_95
.LBB128_82:                             ;   in Loop: Header=BB128_11 Depth=1
	s_or_b64 exec, exec, s[26:27]
	s_and_saveexec_b64 s[26:27], s[22:23]
	s_cbranch_execnz .LBB128_96
.LBB128_83:                             ;   in Loop: Header=BB128_11 Depth=1
	s_or_b64 exec, exec, s[26:27]
	s_and_saveexec_b64 s[26:27], s[24:25]
	s_cbranch_execz .LBB128_85
.LBB128_84:                             ;   in Loop: Header=BB128_11 Depth=1
	global_load_dword v7, v[22:23], off offset:768
.LBB128_85:                             ;   in Loop: Header=BB128_11 Depth=1
	s_or_b64 exec, exec, s[26:27]
	s_waitcnt vmcnt(0)
	ds_write_b32 v45, v17
	ds_write_b32 v46, v5 offset:256
	ds_write_b32 v47, v6 offset:512
	;; [unrolled: 1-line block ×3, first 2 shown]
	; wave barrier
	ds_read2_b32 v[4:5], v49 offset1:1
	ds_read2_b32 v[6:7], v49 offset0:2 offset1:3
	s_waitcnt lgkmcnt(0)
	; wave barrier
	s_waitcnt lgkmcnt(0)
	v_mul_f32_e32 v17, 0xbfb8aa3b, v5
	v_rndne_f32_e32 v22, v17
	v_sub_f32_e32 v23, v17, v22
	v_fma_f32 v17, v5, s95, -v17
	v_fmac_f32_e32 v17, 0xb2a5705f, v5
	v_add_f32_e32 v17, v23, v17
	v_exp_f32_e32 v17, v17
	v_cvt_i32_f32_e32 v22, v22
	v_cmp_nlt_f32_e32 vcc, s96, v5
	v_ldexp_f32 v17, v17, v22
	v_mul_f32_e32 v22, 0xbfb8aa3b, v4
	v_rndne_f32_e32 v23, v22
	v_sub_f32_e32 v24, v22, v23
	v_fma_f32 v22, v4, s95, -v22
	v_fmac_f32_e32 v22, 0xb2a5705f, v4
	v_add_f32_e32 v22, v24, v22
	v_exp_f32_e32 v22, v22
	v_cvt_i32_f32_e32 v24, v23
	v_cndmask_b32_e32 v17, 0, v17, vcc
	v_cmp_ngt_f32_e32 vcc, s97, v5
	s_nop 1
	v_cndmask_b32_e32 v23, v57, v17, vcc
	v_ldexp_f32 v17, v22, v24
	v_cmp_nlt_f32_e32 vcc, s96, v4
	s_nop 1
	v_cndmask_b32_e32 v17, 0, v17, vcc
	v_cmp_ngt_f32_e32 vcc, s97, v4
	s_nop 1
	v_cndmask_b32_e32 v22, v57, v17, vcc
	v_pk_add_f32 v[22:23], v[22:23], 1.0 op_sel_hi:[1,0]
	s_nop 0
	v_div_scale_f32 v17, s[26:27], v23, v23, v5
	v_rcp_f32_e32 v24, v17
	s_nop 0
	v_fma_f32 v25, -v17, v24, 1.0
	v_fmac_f32_e32 v24, v25, v24
	v_div_scale_f32 v25, vcc, v5, v23, v5
	v_mul_f32_e32 v26, v25, v24
	v_fma_f32 v27, -v17, v26, v25
	v_fmac_f32_e32 v26, v27, v24
	v_fma_f32 v17, -v17, v26, v25
	v_div_scale_f32 v25, s[26:27], v22, v22, v4
	v_rcp_f32_e32 v27, v25
	v_div_fmas_f32 v17, v17, v24, v26
	v_mul_f32_e32 v24, 0xbfb8aa3b, v7
	v_rndne_f32_e32 v26, v24
	v_sub_f32_e32 v28, v24, v26
	v_fma_f32 v24, v7, s95, -v24
	v_div_fixup_f32 v5, v17, v23, v5
	v_fma_f32 v17, -v25, v27, 1.0
	v_fmac_f32_e32 v24, 0xb2a5705f, v7
	v_fmac_f32_e32 v27, v17, v27
	v_div_scale_f32 v17, vcc, v4, v22, v4
	v_add_f32_e32 v24, v28, v24
	v_mul_f32_e32 v23, v17, v27
	v_exp_f32_e32 v24, v24
	v_cvt_i32_f32_e32 v26, v26
	v_fma_f32 v28, -v25, v23, v17
	v_fmac_f32_e32 v23, v28, v27
	v_fma_f32 v17, -v25, v23, v17
	v_mul_f32_e32 v25, 0xbfb8aa3b, v6
	v_ldexp_f32 v24, v24, v26
	v_rndne_f32_e32 v26, v25
	v_sub_f32_e32 v28, v25, v26
	v_fma_f32 v25, v6, s95, -v25
	v_fmac_f32_e32 v25, 0xb2a5705f, v6
	v_add_f32_e32 v25, v28, v25
	v_exp_f32_e32 v28, v25
	v_cvt_i32_f32_e32 v26, v26
	v_cmp_nlt_f32_e64 s[26:27], s96, v7
	v_div_fmas_f32 v17, v17, v27, v23
	v_div_fixup_f32 v4, v17, v22, v4
	v_cndmask_b32_e64 v24, 0, v24, s[26:27]
	v_cmp_ngt_f32_e64 s[26:27], s97, v7
	v_pk_mul_f32 v[4:5], v[4:5], v[20:21]
	s_nop 0
	v_cndmask_b32_e64 v25, v57, v24, s[26:27]
	v_ldexp_f32 v24, v28, v26
	v_cmp_nlt_f32_e64 s[26:27], s96, v6
	s_nop 1
	v_cndmask_b32_e64 v24, 0, v24, s[26:27]
	v_cmp_ngt_f32_e64 s[26:27], s97, v6
	s_nop 1
	v_cndmask_b32_e64 v24, v57, v24, s[26:27]
	v_pk_add_f32 v[24:25], v[24:25], 1.0 op_sel_hi:[1,0]
	s_nop 0
	v_div_scale_f32 v26, s[26:27], v25, v25, v7
	v_rcp_f32_e32 v28, v26
	s_nop 0
	v_fma_f32 v17, -v26, v28, 1.0
	v_fmac_f32_e32 v28, v17, v28
	v_div_scale_f32 v17, vcc, v7, v25, v7
	v_mul_f32_e32 v20, v17, v28
	v_fma_f32 v21, -v26, v20, v17
	v_fmac_f32_e32 v20, v21, v28
	v_div_scale_f32 v21, s[26:27], v24, v24, v6
	v_rcp_f32_e32 v22, v21
	v_fma_f32 v17, -v26, v20, v17
	v_div_fmas_f32 v17, v17, v28, v20
	v_div_fixup_f32 v7, v17, v25, v7
	v_fma_f32 v17, -v21, v22, 1.0
	v_fmac_f32_e32 v22, v17, v22
	v_div_scale_f32 v17, vcc, v6, v24, v6
	v_mul_f32_e32 v20, v17, v22
	v_fma_f32 v23, -v21, v20, v17
	v_fmac_f32_e32 v20, v23, v22
	v_fma_f32 v17, -v21, v20, v17
	v_div_fmas_f32 v17, v17, v22, v20
	v_div_fixup_f32 v6, v17, v24, v6
	v_pk_mul_f32 v[6:7], v[6:7], v[18:19]
	ds_write2_b32 v49, v4, v5 offset1:1
	ds_write2_b32 v49, v6, v7 offset0:2 offset1:3
	; wave barrier
	ds_read_b32 v17, v46 offset:256
	ds_read_b32 v7, v47 offset:512
	;; [unrolled: 1-line block ×3, first 2 shown]
	v_lshl_add_u64 v[4:5], s[68:69], 2, v[12:13]
	s_and_saveexec_b64 s[26:27], s[18:19]
	s_cbranch_execnz .LBB128_97
; %bb.86:                               ;   in Loop: Header=BB128_11 Depth=1
	s_or_b64 exec, exec, s[26:27]
	s_and_saveexec_b64 s[18:19], s[20:21]
	s_cbranch_execnz .LBB128_98
.LBB128_87:                             ;   in Loop: Header=BB128_11 Depth=1
	s_or_b64 exec, exec, s[18:19]
	s_and_saveexec_b64 s[18:19], s[22:23]
	s_cbranch_execnz .LBB128_99
.LBB128_88:                             ;   in Loop: Header=BB128_11 Depth=1
	s_or_b64 exec, exec, s[18:19]
	s_and_saveexec_b64 s[18:19], s[24:25]
	s_cbranch_execz .LBB128_10
	s_branch .LBB128_100
.LBB128_89:                             ;   in Loop: Header=BB128_11 Depth=1
	global_load_dword v21, v[18:19], off offset:256
	s_or_b64 exec, exec, s[26:27]
	s_and_saveexec_b64 s[26:27], s[22:23]
	s_cbranch_execz .LBB128_23
.LBB128_90:                             ;   in Loop: Header=BB128_11 Depth=1
	global_load_dword v20, v[18:19], off offset:512
	s_or_b64 exec, exec, s[26:27]
	v_mov_b32_e32 v22, 0
	s_and_saveexec_b64 s[26:27], s[24:25]
	s_cbranch_execnz .LBB128_24
	s_branch .LBB128_25
.LBB128_91:                             ;   in Loop: Header=BB128_11 Depth=1
	ds_read_b32 v22, v45
	s_waitcnt lgkmcnt(0)
	global_store_dword v[4:5], v22, off
	s_or_b64 exec, exec, s[26:27]
	s_and_saveexec_b64 s[26:27], s[20:21]
	s_cbranch_execz .LBB128_77
.LBB128_92:                             ;   in Loop: Header=BB128_11 Depth=1
	s_waitcnt lgkmcnt(2)
	global_store_dword v[4:5], v17, off offset:256
	s_or_b64 exec, exec, s[26:27]
	s_and_saveexec_b64 s[26:27], s[22:23]
	s_cbranch_execz .LBB128_78
.LBB128_93:                             ;   in Loop: Header=BB128_11 Depth=1
	s_waitcnt lgkmcnt(1)
	global_store_dword v[4:5], v7, off offset:512
	s_or_b64 exec, exec, s[26:27]
	s_and_saveexec_b64 s[26:27], s[24:25]
	s_cbranch_execnz .LBB128_79
	s_branch .LBB128_80
.LBB128_94:                             ;   in Loop: Header=BB128_11 Depth=1
	global_load_dword v17, v[22:23], off
	v_mov_b32_e32 v4, v3
	v_mov_b32_e32 v5, v3
	v_mov_b64_e32 v[6:7], v[4:5]
	v_mov_b64_e32 v[4:5], v[2:3]
	s_or_b64 exec, exec, s[26:27]
	s_and_saveexec_b64 s[26:27], s[20:21]
	s_cbranch_execz .LBB128_82
.LBB128_95:                             ;   in Loop: Header=BB128_11 Depth=1
	global_load_dword v5, v[22:23], off offset:256
	s_or_b64 exec, exec, s[26:27]
	s_and_saveexec_b64 s[26:27], s[22:23]
	s_cbranch_execz .LBB128_83
.LBB128_96:                             ;   in Loop: Header=BB128_11 Depth=1
	global_load_dword v6, v[22:23], off offset:512
	s_or_b64 exec, exec, s[26:27]
	s_and_saveexec_b64 s[26:27], s[24:25]
	s_cbranch_execnz .LBB128_84
	s_branch .LBB128_85
.LBB128_97:                             ;   in Loop: Header=BB128_11 Depth=1
	ds_read_b32 v18, v45
	s_waitcnt lgkmcnt(0)
	global_store_dword v[4:5], v18, off
	s_or_b64 exec, exec, s[26:27]
	s_and_saveexec_b64 s[18:19], s[20:21]
	s_cbranch_execz .LBB128_87
.LBB128_98:                             ;   in Loop: Header=BB128_11 Depth=1
	s_waitcnt lgkmcnt(2)
	global_store_dword v[4:5], v17, off offset:256
	s_or_b64 exec, exec, s[18:19]
	s_and_saveexec_b64 s[18:19], s[22:23]
	s_cbranch_execz .LBB128_88
.LBB128_99:                             ;   in Loop: Header=BB128_11 Depth=1
	s_waitcnt lgkmcnt(1)
	global_store_dword v[4:5], v7, off offset:512
	s_or_b64 exec, exec, s[18:19]
	s_and_saveexec_b64 s[18:19], s[24:25]
	s_cbranch_execz .LBB128_10
.LBB128_100:                            ;   in Loop: Header=BB128_11 Depth=1
	s_waitcnt lgkmcnt(0)
	global_store_dword v[4:5], v6, off offset:768
	s_branch .LBB128_10
.LBB128_101:
	s_endpgm
.LBB128_102:
	s_mov_b64 s[38:39], 0
	s_load_dwordx2 s[6:7], s[0:1], 0x20
	s_cmp_eq_u64 s[4:5], 0
	s_cbranch_scc0 .LBB128_2
	s_branch .LBB128_3
	.section	.rodata,"a",@progbits
	.p2align	6, 0x0
	.amdhsa_kernel _Z25selective_scan_fwd_kernelI32Selective_Scan_fwd_kernel_traitsILi64ELi4ELi1ELb1ELb1ELb1ELb1ELb1EfffEEv13SSMParamsBase
		.amdhsa_group_segment_fixed_size 0
		.amdhsa_private_segment_fixed_size 0
		.amdhsa_kernarg_size 248
		.amdhsa_user_sgpr_count 2
		.amdhsa_user_sgpr_dispatch_ptr 0
		.amdhsa_user_sgpr_queue_ptr 0
		.amdhsa_user_sgpr_kernarg_segment_ptr 1
		.amdhsa_user_sgpr_dispatch_id 0
		.amdhsa_user_sgpr_kernarg_preload_length 0
		.amdhsa_user_sgpr_kernarg_preload_offset 0
		.amdhsa_user_sgpr_private_segment_size 0
		.amdhsa_uses_dynamic_stack 0
		.amdhsa_enable_private_segment 0
		.amdhsa_system_sgpr_workgroup_id_x 1
		.amdhsa_system_sgpr_workgroup_id_y 1
		.amdhsa_system_sgpr_workgroup_id_z 0
		.amdhsa_system_sgpr_workgroup_info 0
		.amdhsa_system_vgpr_workitem_id 0
		.amdhsa_next_free_vgpr 71
		.amdhsa_next_free_sgpr 100
		.amdhsa_accum_offset 72
		.amdhsa_reserve_vcc 1
		.amdhsa_float_round_mode_32 0
		.amdhsa_float_round_mode_16_64 0
		.amdhsa_float_denorm_mode_32 3
		.amdhsa_float_denorm_mode_16_64 3
		.amdhsa_dx10_clamp 1
		.amdhsa_ieee_mode 1
		.amdhsa_fp16_overflow 0
		.amdhsa_tg_split 0
		.amdhsa_exception_fp_ieee_invalid_op 0
		.amdhsa_exception_fp_denorm_src 0
		.amdhsa_exception_fp_ieee_div_zero 0
		.amdhsa_exception_fp_ieee_overflow 0
		.amdhsa_exception_fp_ieee_underflow 0
		.amdhsa_exception_fp_ieee_inexact 0
		.amdhsa_exception_int_div_zero 0
	.end_amdhsa_kernel
	.section	.text._Z25selective_scan_fwd_kernelI32Selective_Scan_fwd_kernel_traitsILi64ELi4ELi1ELb1ELb1ELb1ELb1ELb1EfffEEv13SSMParamsBase,"axG",@progbits,_Z25selective_scan_fwd_kernelI32Selective_Scan_fwd_kernel_traitsILi64ELi4ELi1ELb1ELb1ELb1ELb1ELb1EfffEEv13SSMParamsBase,comdat
.Lfunc_end128:
	.size	_Z25selective_scan_fwd_kernelI32Selective_Scan_fwd_kernel_traitsILi64ELi4ELi1ELb1ELb1ELb1ELb1ELb1EfffEEv13SSMParamsBase, .Lfunc_end128-_Z25selective_scan_fwd_kernelI32Selective_Scan_fwd_kernel_traitsILi64ELi4ELi1ELb1ELb1ELb1ELb1ELb1EfffEEv13SSMParamsBase
                                        ; -- End function
	.section	.AMDGPU.csdata,"",@progbits
; Kernel info:
; codeLenInByte = 7364
; NumSgprs: 106
; NumVgprs: 71
; NumAgprs: 0
; TotalNumVgprs: 71
; ScratchSize: 0
; MemoryBound: 0
; FloatMode: 240
; IeeeMode: 1
; LDSByteSize: 0 bytes/workgroup (compile time only)
; SGPRBlocks: 13
; VGPRBlocks: 8
; NumSGPRsForWavesPerEU: 106
; NumVGPRsForWavesPerEU: 71
; AccumOffset: 72
; Occupancy: 7
; WaveLimiterHint : 1
; COMPUTE_PGM_RSRC2:SCRATCH_EN: 0
; COMPUTE_PGM_RSRC2:USER_SGPR: 2
; COMPUTE_PGM_RSRC2:TRAP_HANDLER: 0
; COMPUTE_PGM_RSRC2:TGID_X_EN: 1
; COMPUTE_PGM_RSRC2:TGID_Y_EN: 1
; COMPUTE_PGM_RSRC2:TGID_Z_EN: 0
; COMPUTE_PGM_RSRC2:TIDIG_COMP_CNT: 0
; COMPUTE_PGM_RSRC3_GFX90A:ACCUM_OFFSET: 17
; COMPUTE_PGM_RSRC3_GFX90A:TG_SPLIT: 0
	.section	.text._Z25selective_scan_fwd_kernelI32Selective_Scan_fwd_kernel_traitsILi64ELi4ELi1ELb1ELb1ELb1ELb1ELb0EfffEEv13SSMParamsBase,"axG",@progbits,_Z25selective_scan_fwd_kernelI32Selective_Scan_fwd_kernel_traitsILi64ELi4ELi1ELb1ELb1ELb1ELb1ELb0EfffEEv13SSMParamsBase,comdat
	.protected	_Z25selective_scan_fwd_kernelI32Selective_Scan_fwd_kernel_traitsILi64ELi4ELi1ELb1ELb1ELb1ELb1ELb0EfffEEv13SSMParamsBase ; -- Begin function _Z25selective_scan_fwd_kernelI32Selective_Scan_fwd_kernel_traitsILi64ELi4ELi1ELb1ELb1ELb1ELb1ELb0EfffEEv13SSMParamsBase
	.globl	_Z25selective_scan_fwd_kernelI32Selective_Scan_fwd_kernel_traitsILi64ELi4ELi1ELb1ELb1ELb1ELb1ELb0EfffEEv13SSMParamsBase
	.p2align	8
	.type	_Z25selective_scan_fwd_kernelI32Selective_Scan_fwd_kernel_traitsILi64ELi4ELi1ELb1ELb1ELb1ELb1ELb0EfffEEv13SSMParamsBase,@function
_Z25selective_scan_fwd_kernelI32Selective_Scan_fwd_kernel_traitsILi64ELi4ELi1ELb1ELb1ELb1ELb1ELb0EfffEEv13SSMParamsBase: ; @_Z25selective_scan_fwd_kernelI32Selective_Scan_fwd_kernel_traitsILi64ELi4ELi1ELb1ELb1ELb1ELb1ELb0EfffEEv13SSMParamsBase
; %bb.0:
	s_load_dword s35, s[0:1], 0x18
	s_load_dwordx4 s[4:7], s[0:1], 0xe8
	s_mov_b32 s56, s3
	s_waitcnt lgkmcnt(0)
	s_abs_i32 s34, s35
	v_cvt_f32_u32_e32 v1, s34
	s_cmp_eq_u64 s[6:7], 0
	v_rcp_iflag_f32_e32 v1, v1
	s_nop 0
	v_mul_f32_e32 v1, 0x4f7ffffe, v1
	v_cvt_u32_f32_e32 v1, v1
	s_nop 0
	v_readfirstlane_b32 s20, v1
	s_cbranch_scc1 .LBB129_3
; %bb.1:
	s_ashr_i32 s3, s2, 31
	s_add_u32 s6, s6, s2
	s_addc_u32 s7, s7, s3
	v_mov_b32_e32 v1, 0
	global_load_ubyte v1, v1, s[6:7]
	s_waitcnt vmcnt(0)
	v_and_b32_e32 v1, 1, v1
	v_cmp_eq_u32_e64 s[28:29], 1, v1
	s_load_dwordx2 s[6:7], s[0:1], 0x20
	s_cmp_eq_u64 s[4:5], 0
	s_cbranch_scc1 .LBB129_4
.LBB129_2:
	s_ashr_i32 s3, s2, 31
	s_lshl_b64 s[8:9], s[2:3], 2
	s_add_u32 s4, s4, s8
	s_addc_u32 s5, s5, s9
	s_load_dword s52, s[4:5], 0x0
	s_waitcnt lgkmcnt(0)
	s_ashr_i32 s53, s52, 31
	s_cmp_eq_u64 s[6:7], s[52:53]
	s_cbranch_scc0 .LBB129_5
	s_branch .LBB129_50
.LBB129_3:
	s_mov_b64 s[28:29], 0
	s_load_dwordx2 s[6:7], s[0:1], 0x20
	s_cmp_eq_u64 s[4:5], 0
	s_cbranch_scc0 .LBB129_2
.LBB129_4:
	s_mov_b32 s52, s2
	s_ashr_i32 s53, s52, 31
	s_waitcnt lgkmcnt(0)
	s_cmp_eq_u64 s[6:7], s[52:53]
	s_cbranch_scc1 .LBB129_50
.LBB129_5:
	s_load_dwordx16 s[4:19], s[0:1], 0x88
	s_load_dwordx2 s[30:31], s[0:1], 0x8
	s_mov_b32 s33, 0
	s_mov_b32 s70, 0
	s_waitcnt lgkmcnt(0)
	s_cmp_eq_u64 s[10:11], 0
	s_cbranch_scc1 .LBB129_7
; %bb.6:
	s_ashr_i32 s57, s56, 31
	s_lshl_b64 s[22:23], s[56:57], 2
	s_add_u32 s10, s10, s22
	s_addc_u32 s11, s11, s23
	s_load_dword s70, s[10:11], 0x0
.LBB129_7:
	s_cmp_eq_u64 s[16:17], 0
	s_cbranch_scc1 .LBB129_9
; %bb.8:
	s_ashr_i32 s57, s56, 31
	s_lshl_b64 s[10:11], s[56:57], 2
	s_add_u32 s10, s16, s10
	s_addc_u32 s11, s17, s11
	s_load_dword s33, s[10:11], 0x0
.LBB129_9:
	s_cmp_lt_i32 s30, 1
	s_cbranch_scc1 .LBB129_50
; %bb.10:
	s_sub_i32 s3, 0, s34
	s_mul_i32 s3, s3, s20
	s_mul_hi_u32 s3, s20, s3
	s_load_dwordx8 s[36:43], s[0:1], 0x2c
	s_load_dwordx2 s[16:17], s[0:1], 0x7c
	s_load_dwordx4 s[24:27], s[0:1], 0x6c
	s_load_dwordx8 s[44:51], s[0:1], 0x4c
	s_load_dwordx2 s[10:11], s[0:1], 0xd8
	s_waitcnt lgkmcnt(0)
	s_abs_i32 s39, s56
	s_add_i32 s3, s20, s3
	s_load_dwordx4 s[20:23], s[0:1], 0xc8
	s_load_dword s71, s[0:1], 0x84
	s_mul_hi_u32 s3, s39, s3
	s_load_dword s53, s[0:1], 0x28
	s_ashr_i32 s0, s56, 31
	s_ashr_i32 s1, s35, 31
	s_xor_b32 s0, s0, s1
	s_mul_i32 s1, s3, s34
	s_sub_i32 s1, s39, s1
	s_add_i32 s35, s3, 1
	s_sub_i32 s39, s1, s34
	s_cmp_ge_u32 s1, s34
	s_cselect_b32 s3, s35, s3
	s_cselect_b32 s1, s39, s1
	s_add_i32 s35, s3, 1
	s_cmp_ge_u32 s1, s34
	s_cselect_b32 s1, s35, s3
	s_xor_b32 s1, s1, s0
	s_mul_i32 s34, s46, s2
	s_mov_b32 s35, 0
	s_sub_i32 s3, s1, s0
	s_lshl_b64 s[0:1], s[34:35], 2
	s_add_u32 s12, s12, s0
	s_mul_i32 s34, s47, s56
	s_addc_u32 s13, s13, s1
	s_lshl_b64 s[0:1], s[34:35], 2
	s_add_u32 s46, s12, s0
	s_mul_i32 s34, s48, s2
	s_addc_u32 s47, s13, s1
	;; [unrolled: 4-line block ×9, first 2 shown]
	s_lshl_b64 s[0:1], s[34:35], 2
	s_waitcnt lgkmcnt(0)
	s_add_u32 s3, s20, s0
	s_mul_i32 s34, s17, s56
	s_addc_u32 s4, s21, s1
	s_lshl_b64 s[0:1], s[34:35], 2
	s_add_u32 s41, s3, s0
	s_addc_u32 s45, s4, s1
	s_add_i32 s0, s30, 0x7ff
	s_lshr_b32 s73, s0, 11
	s_bitcmp1_b32 s53, 0
	s_cselect_b64 s[52:53], -1, 0
	s_cmp_gt_i32 s31, 0
	s_mul_i32 s34, s24, s2
	s_cselect_b64 s[54:55], -1, 0
	s_and_b32 s12, s30, 0xff
	s_add_i32 s74, s73, -1
	s_lshl_b64 s[4:5], s[34:35], 2
	s_add_u32 s3, s18, s4
	s_mul_i32 s34, s25, s56
	s_addc_u32 s7, s19, s5
	s_lshl_b64 s[4:5], s[34:35], 2
	s_add_u32 s6, s3, s4
	s_mul_i32 s34, s26, s2
	s_addc_u32 s7, s7, s5
	;; [unrolled: 4-line block ×5, first 2 shown]
	s_lshl_b64 s[2:3], s[34:35], 2
	s_add_u32 s10, s4, s2
	v_mov_b32_e32 v25, 0
	s_addc_u32 s11, s5, s3
	v_lshlrev_b32_e32 v24, 4, v0
	v_cmp_gt_u32_e64 s[0:1], 64, v0
	s_cmp_eq_u32 s12, 0
	v_lshlrev_b32_e32 v52, 2, v0
	v_cmp_eq_u32_e64 s[2:3], 63, v0
	v_cmp_eq_u32_e64 s[4:5], 0, v0
	v_lshl_add_u64 v[26:27], s[6:7], 0, v[24:25]
	v_lshl_add_u64 v[28:29], s[10:11], 0, v[24:25]
	;; [unrolled: 1-line block ×3, first 2 shown]
	v_lshlrev_b32_e32 v24, 4, v0
	v_mbcnt_lo_u32_b32 v0, -1, 0
	s_cselect_b64 s[50:51], -1, 0
	v_or_b32_e32 v33, 1, v52
	v_or_b32_e32 v32, 2, v52
	;; [unrolled: 1-line block ×3, first 2 shown]
	s_mov_b32 s75, 0x41a00000
	s_mov_b32 s76, 0x3fb8aa3b
	;; [unrolled: 1-line block ×6, first 2 shown]
	v_mov_b32_e32 v54, 0x3ecc95a3
                                        ; implicit-def: $vgpr1
	s_mov_b32 s81, 0x3f317218
	s_mov_b32 s82, 0x33800000
	s_add_i32 s83, 0, 0x848
	s_mov_b32 s84, 0xc2fc0000
	s_mov_b32 s85, 0xbfb8aa3b
	;; [unrolled: 1-line block ×4, first 2 shown]
	v_mov_b32_e32 v55, 0x7f800000
	v_mov_b32_e32 v34, 0x3f317218
	v_mbcnt_hi_u32_b32 v56, -1, v0
	v_mov_b32_e32 v57, 0x42800000
	v_mov_b32_e32 v58, 0x1f800000
	s_mov_b32 s88, 0
                                        ; implicit-def: $vgpr0_vgpr1
                                        ; implicit-def: $vgpr10_vgpr11
                                        ; implicit-def: $vgpr4_vgpr5
	s_branch .LBB129_12
.LBB129_11:                             ;   in Loop: Header=BB129_12 Depth=1
	s_or_b64 exec, exec, s[6:7]
	s_waitcnt vmcnt(0)
	v_mul_f32_e32 v16, 0xbfb8aa3b, v1
	v_rndne_f32_e32 v17, v16
	v_sub_f32_e32 v18, v16, v17
	v_fma_f32 v16, v1, s85, -v16
	v_fmac_f32_e32 v16, 0xb2a5705f, v1
	v_add_f32_e32 v16, v18, v16
	v_exp_f32_e32 v16, v16
	v_cvt_i32_f32_e32 v17, v17
	v_cmp_nlt_f32_e32 vcc, s86, v1
	s_add_u32 s48, s48, 0x400
	s_addc_u32 s49, s49, 0
	v_ldexp_f32 v16, v16, v17
	v_mul_f32_e32 v17, 0xbfb8aa3b, v0
	v_rndne_f32_e32 v18, v17
	v_sub_f32_e32 v19, v17, v18
	v_fma_f32 v17, v0, s85, -v17
	v_fmac_f32_e32 v17, 0xb2a5705f, v0
	v_add_f32_e32 v17, v19, v17
	v_exp_f32_e32 v19, v17
	v_cvt_i32_f32_e32 v18, v18
	v_cndmask_b32_e32 v16, 0, v16, vcc
	v_cmp_ngt_f32_e32 vcc, s87, v1
	s_add_u32 s46, s46, 0x400
	s_addc_u32 s47, s47, 0
	v_cndmask_b32_e32 v17, v55, v16, vcc
	v_ldexp_f32 v16, v19, v18
	v_cmp_nlt_f32_e32 vcc, s86, v0
	s_add_u32 s38, s38, 0x400
	s_addc_u32 s39, s39, 0
	v_cndmask_b32_e32 v16, 0, v16, vcc
	v_cmp_ngt_f32_e32 vcc, s87, v0
	s_add_u32 s42, s42, 0x400
	s_addc_u32 s43, s43, 0
	v_cndmask_b32_e32 v16, v55, v16, vcc
	v_pk_add_f32 v[18:19], v[16:17], 1.0 op_sel_hi:[1,0]
	s_add_i32 s88, s88, 1
	v_div_scale_f32 v20, s[6:7], v19, v19, v1
	v_rcp_f32_e32 v21, v20
	v_lshl_add_u64 v[16:17], s[56:57], 2, v[30:31]
	s_cmp_eq_u32 s88, s73
	v_fma_f32 v22, -v20, v21, 1.0
	v_fmac_f32_e32 v21, v22, v21
	v_div_scale_f32 v22, vcc, v1, v19, v1
	v_mul_f32_e32 v23, v22, v21
	v_fma_f32 v35, -v20, v23, v22
	v_fmac_f32_e32 v23, v35, v21
	v_fma_f32 v20, -v20, v23, v22
	v_div_scale_f32 v22, s[6:7], v18, v18, v0
	v_rcp_f32_e32 v35, v22
	v_div_fmas_f32 v20, v20, v21, v23
	v_mul_f32_e32 v21, 0xbfb8aa3b, v3
	v_rndne_f32_e32 v36, v21
	v_sub_f32_e32 v37, v21, v36
	v_fma_f32 v21, v3, s85, -v21
	v_fmac_f32_e32 v21, 0xb2a5705f, v3
	v_div_fixup_f32 v19, v20, v19, v1
	v_fma_f32 v20, -v22, v35, 1.0
	v_add_f32_e32 v21, v37, v21
	v_fmac_f32_e32 v35, v20, v35
	v_div_scale_f32 v20, vcc, v0, v18, v0
	v_exp_f32_e32 v21, v21
	v_cvt_i32_f32_e32 v36, v36
	v_mul_f32_e32 v23, v20, v35
	v_fma_f32 v37, -v22, v23, v20
	v_fmac_f32_e32 v23, v37, v35
	v_fma_f32 v22, -v22, v23, v20
	v_ldexp_f32 v20, v21, v36
	v_mul_f32_e32 v21, 0xbfb8aa3b, v2
	v_rndne_f32_e32 v36, v21
	v_sub_f32_e32 v37, v21, v36
	v_fma_f32 v21, v2, s85, -v21
	v_fmac_f32_e32 v21, 0xb2a5705f, v2
	v_add_f32_e32 v21, v37, v21
	v_exp_f32_e32 v37, v21
	v_cvt_i32_f32_e32 v36, v36
	v_cmp_nlt_f32_e64 s[6:7], s86, v3
	v_div_fmas_f32 v22, v22, v35, v23
	v_div_fixup_f32 v18, v22, v18, v0
	v_cndmask_b32_e64 v20, 0, v20, s[6:7]
	v_cmp_ngt_f32_e64 s[6:7], s87, v3
	v_pk_mul_f32 v[12:13], v[12:13], v[18:19]
	; wave barrier
	s_nop 0
	v_cndmask_b32_e64 v21, v55, v20, s[6:7]
	v_ldexp_f32 v20, v37, v36
	v_cmp_nlt_f32_e64 s[6:7], s86, v2
	s_nop 1
	v_cndmask_b32_e64 v20, 0, v20, s[6:7]
	v_cmp_ngt_f32_e64 s[6:7], s87, v2
	s_nop 1
	v_cndmask_b32_e64 v20, v55, v20, s[6:7]
	v_pk_add_f32 v[20:21], v[20:21], 1.0 op_sel_hi:[1,0]
	s_nop 0
	v_div_scale_f32 v36, s[6:7], v21, v21, v3
	v_rcp_f32_e32 v37, v36
	s_nop 0
	v_fma_f32 v18, -v36, v37, 1.0
	v_fmac_f32_e32 v37, v18, v37
	v_div_scale_f32 v18, vcc, v3, v21, v3
	v_mul_f32_e32 v19, v18, v37
	v_fma_f32 v22, -v36, v19, v18
	v_fmac_f32_e32 v19, v22, v37
	v_div_scale_f32 v22, s[6:7], v20, v20, v2
	v_rcp_f32_e32 v23, v22
	v_fma_f32 v18, -v36, v19, v18
	v_div_fmas_f32 v18, v18, v37, v19
	v_div_fixup_f32 v19, v18, v21, v3
	v_fma_f32 v18, -v22, v23, 1.0
	v_fmac_f32_e32 v23, v18, v23
	v_div_scale_f32 v18, vcc, v2, v20, v2
	v_mul_f32_e32 v21, v18, v23
	v_fma_f32 v35, -v22, v21, v18
	v_fmac_f32_e32 v21, v35, v23
	v_fma_f32 v18, -v22, v21, v18
	v_div_fmas_f32 v18, v18, v23, v21
	v_div_fixup_f32 v18, v18, v20, v2
	v_pk_mul_f32 v[14:15], v[14:15], v[18:19]
	global_store_dwordx4 v[16:17], v[12:15], off
	s_cbranch_scc1 .LBB129_50
.LBB129_12:                             ; =>This Loop Header: Depth=1
                                        ;     Child Loop BB129_25 Depth 2
	s_waitcnt lgkmcnt(0)
	; wave barrier
	s_and_saveexec_b64 s[6:7], s[0:1]
	s_cbranch_execz .LBB129_14
; %bb.13:                               ;   in Loop: Header=BB129_12 Depth=1
	global_load_dwordx4 v[4:7], v24, s[46:47]
	global_load_dwordx4 v[8:11], v24, s[48:49]
.LBB129_14:                             ;   in Loop: Header=BB129_12 Depth=1
	s_or_b64 exec, exec, s[6:7]
	s_waitcnt vmcnt(0)
	v_add_f32_e32 v59, s33, v8
	v_cmp_ge_f32_e32 vcc, s75, v59
	s_and_b64 s[6:7], s[52:53], vcc
	s_and_saveexec_b64 s[8:9], s[6:7]
	s_cbranch_execz .LBB129_16
; %bb.15:                               ;   in Loop: Header=BB129_12 Depth=1
	v_mul_f32_e32 v12, 0x3fb8aa3b, v59
	v_rndne_f32_e32 v13, v12
	v_sub_f32_e32 v14, v12, v13
	v_fma_f32 v12, v59, s76, -v12
	v_fmac_f32_e32 v12, 0x32a5705f, v59
	v_add_f32_e32 v12, v14, v12
	v_cvt_i32_f32_e32 v13, v13
	v_exp_f32_e32 v12, v12
	v_cmp_ngt_f32_e32 vcc, s77, v59
	v_ldexp_f32 v12, v12, v13
	s_nop 0
	v_cndmask_b32_e32 v12, 0, v12, vcc
	v_cmp_nlt_f32_e32 vcc, s78, v59
	s_nop 1
	v_cndmask_b32_e32 v40, v55, v12, vcc
	v_add_f32_e32 v14, 1.0, v40
	v_add_f32_e32 v12, -1.0, v14
	v_sub_f32_e32 v13, v12, v14
	v_add_f32_e32 v13, 1.0, v13
	v_sub_f32_e32 v12, v40, v12
	v_add_f32_e32 v15, v12, v13
	v_frexp_mant_f32_e32 v16, v14
	v_cvt_f64_f32_e32 v[12:13], v14
	v_frexp_exp_i32_f64_e32 v12, v[12:13]
	v_cmp_gt_f32_e32 vcc, s80, v16
	v_cmp_gt_f32_e64 s[6:7], s82, v40
	s_nop 0
	v_subbrev_co_u32_e32 v20, vcc, 0, v12, vcc
	v_sub_u32_e32 v12, 0, v20
	v_ldexp_f32 v13, v14, v12
	v_add_f32_e32 v14, -1.0, v13
	v_add_f32_e32 v16, 1.0, v13
	v_ldexp_f32 v12, v15, v12
	v_add_f32_e32 v15, 1.0, v14
	v_add_f32_e32 v17, -1.0, v16
	v_sub_f32_e32 v15, v13, v15
	v_sub_f32_e32 v13, v13, v17
	v_add_f32_e32 v15, v12, v15
	v_add_f32_e32 v12, v12, v13
	;; [unrolled: 1-line block ×3, first 2 shown]
	v_rcp_f32_e32 v23, v21
	v_sub_f32_e32 v13, v16, v21
	v_add_f32_e32 v22, v12, v13
	v_add_f32_e32 v13, v14, v15
	v_mul_f32_e32 v36, v13, v23
	v_sub_f32_e32 v12, v14, v13
	v_mul_f32_e32 v14, v21, v36
	v_fma_f32 v16, v36, v21, -v14
	v_fmac_f32_e32 v16, v36, v22
	v_add_f32_e32 v35, v15, v12
	v_add_f32_e32 v12, v14, v16
	v_sub_f32_e32 v15, v13, v12
	v_pk_add_f32 v[18:19], v[12:13], v[14:15] neg_lo:[0,1] neg_hi:[0,1]
	v_mov_b32_e32 v17, v12
	v_pk_add_f32 v[12:13], v[18:19], v[16:17] neg_lo:[0,1] neg_hi:[0,1]
	v_cmp_eq_f32_e32 vcc, s79, v40
	v_add_f32_e32 v13, v35, v13
	v_add_f32_e32 v12, v12, v13
	;; [unrolled: 1-line block ×3, first 2 shown]
	v_mul_f32_e32 v35, v23, v13
	v_mul_f32_e32 v14, v21, v35
	v_fma_f32 v16, v35, v21, -v14
	v_fmac_f32_e32 v16, v35, v22
	v_sub_f32_e32 v15, v15, v13
	v_add_f32_e32 v21, v12, v15
	v_add_f32_e32 v12, v14, v16
	v_sub_f32_e32 v15, v13, v12
	v_pk_add_f32 v[18:19], v[12:13], v[14:15] neg_lo:[0,1] neg_hi:[0,1]
	v_mov_b32_e32 v17, v12
	v_pk_add_f32 v[12:13], v[18:19], v[16:17] neg_lo:[0,1] neg_hi:[0,1]
	s_or_b64 vcc, s[6:7], vcc
	v_add_f32_e32 v13, v21, v13
	v_add_f32_e32 v12, v12, v13
	;; [unrolled: 1-line block ×4, first 2 shown]
	v_sub_f32_e32 v14, v13, v36
	v_mul_f32_e32 v12, v23, v12
	v_sub_f32_e32 v14, v35, v14
	v_add_f32_e32 v14, v14, v12
	v_add_f32_e32 v16, v13, v14
	v_mul_f32_e32 v17, v16, v16
	v_fmamk_f32 v12, v17, 0x3e9b6dac, v54
	v_fmaak_f32 v35, v17, v12, 0x3f2aaada
	v_cvt_f32_i32_e32 v12, v20
	v_sub_f32_e32 v13, v16, v13
	v_sub_f32_e32 v13, v14, v13
	v_ldexp_f32 v18, v13, 1
	v_mul_f32_e32 v13, v16, v17
	v_ldexp_f32 v15, v16, 1
	v_pk_mul_f32 v[16:17], v[12:13], v[34:35]
	s_nop 0
	v_fma_f32 v14, v12, s81, -v16
	v_fmac_f32_e32 v14, 0xb102e308, v12
	v_pk_add_f32 v[12:13], v[16:17], v[14:15]
	s_nop 0
	v_sub_f32_e32 v15, v13, v15
	v_sub_f32_e32 v15, v17, v15
	v_add_f32_e32 v19, v18, v15
	v_mov_b32_e32 v18, v16
	v_pk_add_f32 v[16:17], v[12:13], v[16:17] neg_lo:[0,1] neg_hi:[0,1]
	v_pk_add_f32 v[20:21], v[12:13], v[18:19]
	v_mov_b32_e32 v15, v12
	v_mov_b32_e32 v17, v21
	v_pk_add_f32 v[22:23], v[14:15], v[16:17] neg_lo:[0,1] neg_hi:[0,1]
	v_pk_add_f32 v[14:15], v[14:15], v[16:17]
	v_mov_b32_e32 v18, v19
	v_mov_b32_e32 v16, v15
	v_pk_add_f32 v[36:37], v[16:17], v[12:13] neg_lo:[0,1] neg_hi:[0,1]
	v_mov_b32_e32 v14, v21
	v_mov_b32_e32 v17, v36
	v_pk_add_f32 v[38:39], v[20:21], v[16:17] neg_lo:[0,1] neg_hi:[0,1]
	v_mov_b32_e32 v20, v13
	v_mov_b32_e32 v21, v36
	;; [unrolled: 1-line block ×3, first 2 shown]
	v_pk_add_f32 v[14:15], v[14:15], v[20:21] neg_lo:[0,1] neg_hi:[0,1]
	v_mov_b32_e32 v19, v12
	v_pk_add_f32 v[12:13], v[18:19], v[14:15] neg_lo:[0,1] neg_hi:[0,1]
	v_mov_b32_e32 v38, v22
	v_pk_add_f32 v[14:15], v[38:39], v[12:13]
	s_nop 0
	v_mov_b32_e32 v18, v15
	v_pk_add_f32 v[18:19], v[14:15], v[18:19]
	s_nop 0
	v_pk_add_f32 v[16:17], v[16:17], v[18:19]
	v_mov_b32_e32 v13, v18
	v_mov_b32_e32 v15, v16
	v_pk_add_f32 v[20:21], v[14:15], v[22:23] neg_lo:[0,1] neg_hi:[0,1]
	s_nop 0
	v_sub_f32_e32 v14, v14, v20
	v_pk_add_f32 v[12:13], v[12:13], v[20:21] neg_lo:[0,1] neg_hi:[0,1]
	v_sub_f32_e32 v14, v22, v14
	v_add_f32_e32 v12, v12, v14
	v_add_f32_e32 v12, v12, v13
	;; [unrolled: 1-line block ×3, first 2 shown]
	v_cndmask_b32_e32 v59, v12, v40, vcc
.LBB129_16:                             ;   in Loop: Header=BB129_12 Depth=1
	s_or_b64 exec, exec, s[8:9]
	v_add_f32_e32 v60, s33, v9
	v_cmp_ge_f32_e32 vcc, s75, v60
	s_and_b64 s[6:7], s[52:53], vcc
	s_and_saveexec_b64 s[8:9], s[6:7]
	s_cbranch_execz .LBB129_18
; %bb.17:                               ;   in Loop: Header=BB129_12 Depth=1
	v_mul_f32_e32 v12, 0x3fb8aa3b, v60
	v_rndne_f32_e32 v13, v12
	v_sub_f32_e32 v14, v12, v13
	v_fma_f32 v12, v60, s76, -v12
	v_fmac_f32_e32 v12, 0x32a5705f, v60
	v_add_f32_e32 v12, v14, v12
	v_cvt_i32_f32_e32 v13, v13
	v_exp_f32_e32 v12, v12
	v_cmp_ngt_f32_e32 vcc, s77, v60
	v_ldexp_f32 v12, v12, v13
	s_nop 0
	v_cndmask_b32_e32 v12, 0, v12, vcc
	v_cmp_nlt_f32_e32 vcc, s78, v60
	s_nop 1
	v_cndmask_b32_e32 v40, v55, v12, vcc
	v_add_f32_e32 v14, 1.0, v40
	v_add_f32_e32 v12, -1.0, v14
	v_sub_f32_e32 v13, v12, v14
	v_add_f32_e32 v13, 1.0, v13
	v_sub_f32_e32 v12, v40, v12
	v_add_f32_e32 v15, v12, v13
	v_frexp_mant_f32_e32 v16, v14
	v_cvt_f64_f32_e32 v[12:13], v14
	v_frexp_exp_i32_f64_e32 v12, v[12:13]
	v_cmp_gt_f32_e32 vcc, s80, v16
	v_cmp_gt_f32_e64 s[6:7], s82, v40
	s_nop 0
	v_subbrev_co_u32_e32 v20, vcc, 0, v12, vcc
	v_sub_u32_e32 v12, 0, v20
	v_ldexp_f32 v13, v14, v12
	v_add_f32_e32 v14, -1.0, v13
	v_add_f32_e32 v16, 1.0, v13
	v_ldexp_f32 v12, v15, v12
	v_add_f32_e32 v15, 1.0, v14
	v_add_f32_e32 v17, -1.0, v16
	v_sub_f32_e32 v15, v13, v15
	v_sub_f32_e32 v13, v13, v17
	v_add_f32_e32 v15, v12, v15
	v_add_f32_e32 v12, v12, v13
	;; [unrolled: 1-line block ×3, first 2 shown]
	v_rcp_f32_e32 v23, v21
	v_sub_f32_e32 v13, v16, v21
	v_add_f32_e32 v22, v12, v13
	v_add_f32_e32 v13, v14, v15
	v_mul_f32_e32 v36, v13, v23
	v_sub_f32_e32 v12, v14, v13
	v_mul_f32_e32 v14, v21, v36
	v_fma_f32 v16, v36, v21, -v14
	v_fmac_f32_e32 v16, v36, v22
	v_add_f32_e32 v35, v15, v12
	v_add_f32_e32 v12, v14, v16
	v_sub_f32_e32 v15, v13, v12
	v_pk_add_f32 v[18:19], v[12:13], v[14:15] neg_lo:[0,1] neg_hi:[0,1]
	v_mov_b32_e32 v17, v12
	v_pk_add_f32 v[12:13], v[18:19], v[16:17] neg_lo:[0,1] neg_hi:[0,1]
	v_cmp_eq_f32_e32 vcc, s79, v40
	v_add_f32_e32 v13, v35, v13
	v_add_f32_e32 v12, v12, v13
	v_add_f32_e32 v13, v15, v12
	v_mul_f32_e32 v35, v23, v13
	v_mul_f32_e32 v14, v21, v35
	v_fma_f32 v16, v35, v21, -v14
	v_fmac_f32_e32 v16, v35, v22
	v_sub_f32_e32 v15, v15, v13
	v_add_f32_e32 v21, v12, v15
	v_add_f32_e32 v12, v14, v16
	v_sub_f32_e32 v15, v13, v12
	v_pk_add_f32 v[18:19], v[12:13], v[14:15] neg_lo:[0,1] neg_hi:[0,1]
	v_mov_b32_e32 v17, v12
	v_pk_add_f32 v[12:13], v[18:19], v[16:17] neg_lo:[0,1] neg_hi:[0,1]
	s_or_b64 vcc, s[6:7], vcc
	v_add_f32_e32 v13, v21, v13
	v_add_f32_e32 v12, v12, v13
	v_add_f32_e32 v13, v36, v35
	v_add_f32_e32 v12, v15, v12
	v_sub_f32_e32 v14, v13, v36
	v_mul_f32_e32 v12, v23, v12
	v_sub_f32_e32 v14, v35, v14
	v_add_f32_e32 v14, v14, v12
	v_add_f32_e32 v16, v13, v14
	v_mul_f32_e32 v17, v16, v16
	v_fmamk_f32 v12, v17, 0x3e9b6dac, v54
	v_fmaak_f32 v35, v17, v12, 0x3f2aaada
	v_cvt_f32_i32_e32 v12, v20
	v_sub_f32_e32 v13, v16, v13
	v_sub_f32_e32 v13, v14, v13
	v_ldexp_f32 v18, v13, 1
	v_mul_f32_e32 v13, v16, v17
	v_ldexp_f32 v15, v16, 1
	v_pk_mul_f32 v[16:17], v[12:13], v[34:35]
	s_nop 0
	v_fma_f32 v14, v12, s81, -v16
	v_fmac_f32_e32 v14, 0xb102e308, v12
	v_pk_add_f32 v[12:13], v[16:17], v[14:15]
	s_nop 0
	v_sub_f32_e32 v15, v13, v15
	v_sub_f32_e32 v15, v17, v15
	v_add_f32_e32 v19, v18, v15
	v_mov_b32_e32 v18, v16
	v_pk_add_f32 v[16:17], v[12:13], v[16:17] neg_lo:[0,1] neg_hi:[0,1]
	v_pk_add_f32 v[20:21], v[12:13], v[18:19]
	v_mov_b32_e32 v15, v12
	v_mov_b32_e32 v17, v21
	v_pk_add_f32 v[22:23], v[14:15], v[16:17] neg_lo:[0,1] neg_hi:[0,1]
	v_pk_add_f32 v[14:15], v[14:15], v[16:17]
	v_mov_b32_e32 v18, v19
	v_mov_b32_e32 v16, v15
	v_pk_add_f32 v[36:37], v[16:17], v[12:13] neg_lo:[0,1] neg_hi:[0,1]
	v_mov_b32_e32 v14, v21
	v_mov_b32_e32 v17, v36
	v_pk_add_f32 v[38:39], v[20:21], v[16:17] neg_lo:[0,1] neg_hi:[0,1]
	v_mov_b32_e32 v20, v13
	v_mov_b32_e32 v21, v36
	;; [unrolled: 1-line block ×3, first 2 shown]
	v_pk_add_f32 v[14:15], v[14:15], v[20:21] neg_lo:[0,1] neg_hi:[0,1]
	v_mov_b32_e32 v19, v12
	v_pk_add_f32 v[12:13], v[18:19], v[14:15] neg_lo:[0,1] neg_hi:[0,1]
	v_mov_b32_e32 v38, v22
	v_pk_add_f32 v[14:15], v[38:39], v[12:13]
	s_nop 0
	v_mov_b32_e32 v18, v15
	v_pk_add_f32 v[18:19], v[14:15], v[18:19]
	s_nop 0
	v_pk_add_f32 v[16:17], v[16:17], v[18:19]
	v_mov_b32_e32 v13, v18
	v_mov_b32_e32 v15, v16
	v_pk_add_f32 v[20:21], v[14:15], v[22:23] neg_lo:[0,1] neg_hi:[0,1]
	s_nop 0
	v_sub_f32_e32 v14, v14, v20
	v_pk_add_f32 v[12:13], v[12:13], v[20:21] neg_lo:[0,1] neg_hi:[0,1]
	v_sub_f32_e32 v14, v22, v14
	v_add_f32_e32 v12, v12, v14
	v_add_f32_e32 v12, v12, v13
	;; [unrolled: 1-line block ×3, first 2 shown]
	v_cndmask_b32_e32 v60, v12, v40, vcc
.LBB129_18:                             ;   in Loop: Header=BB129_12 Depth=1
	s_or_b64 exec, exec, s[8:9]
	v_add_f32_e32 v37, s33, v10
	v_cmp_ge_f32_e32 vcc, s75, v37
	s_and_b64 s[6:7], s[52:53], vcc
	s_and_saveexec_b64 s[8:9], s[6:7]
	s_cbranch_execz .LBB129_20
; %bb.19:                               ;   in Loop: Header=BB129_12 Depth=1
	v_mul_f32_e32 v12, 0x3fb8aa3b, v37
	v_rndne_f32_e32 v13, v12
	v_sub_f32_e32 v14, v12, v13
	v_fma_f32 v12, v37, s76, -v12
	v_fmac_f32_e32 v12, 0x32a5705f, v37
	v_add_f32_e32 v12, v14, v12
	v_cvt_i32_f32_e32 v13, v13
	v_exp_f32_e32 v12, v12
	v_cmp_ngt_f32_e32 vcc, s77, v37
	v_ldexp_f32 v12, v12, v13
	s_nop 0
	v_cndmask_b32_e32 v12, 0, v12, vcc
	v_cmp_nlt_f32_e32 vcc, s78, v37
	s_nop 1
	v_cndmask_b32_e32 v40, v55, v12, vcc
	v_add_f32_e32 v14, 1.0, v40
	v_add_f32_e32 v12, -1.0, v14
	v_sub_f32_e32 v13, v12, v14
	v_add_f32_e32 v13, 1.0, v13
	v_sub_f32_e32 v12, v40, v12
	v_add_f32_e32 v15, v12, v13
	v_frexp_mant_f32_e32 v16, v14
	v_cvt_f64_f32_e32 v[12:13], v14
	v_frexp_exp_i32_f64_e32 v12, v[12:13]
	v_cmp_gt_f32_e32 vcc, s80, v16
	v_cmp_gt_f32_e64 s[6:7], s82, v40
	s_nop 0
	v_subbrev_co_u32_e32 v20, vcc, 0, v12, vcc
	v_sub_u32_e32 v12, 0, v20
	v_ldexp_f32 v13, v14, v12
	v_add_f32_e32 v14, -1.0, v13
	v_add_f32_e32 v16, 1.0, v13
	v_ldexp_f32 v12, v15, v12
	v_add_f32_e32 v15, 1.0, v14
	v_add_f32_e32 v17, -1.0, v16
	v_sub_f32_e32 v15, v13, v15
	v_sub_f32_e32 v13, v13, v17
	v_add_f32_e32 v15, v12, v15
	v_add_f32_e32 v12, v12, v13
	;; [unrolled: 1-line block ×3, first 2 shown]
	v_rcp_f32_e32 v23, v21
	v_sub_f32_e32 v13, v16, v21
	v_add_f32_e32 v22, v12, v13
	v_add_f32_e32 v13, v14, v15
	v_mul_f32_e32 v36, v13, v23
	v_sub_f32_e32 v12, v14, v13
	v_mul_f32_e32 v14, v21, v36
	v_fma_f32 v16, v36, v21, -v14
	v_fmac_f32_e32 v16, v36, v22
	v_add_f32_e32 v35, v15, v12
	v_add_f32_e32 v12, v14, v16
	v_sub_f32_e32 v15, v13, v12
	v_pk_add_f32 v[18:19], v[12:13], v[14:15] neg_lo:[0,1] neg_hi:[0,1]
	v_mov_b32_e32 v17, v12
	v_pk_add_f32 v[12:13], v[18:19], v[16:17] neg_lo:[0,1] neg_hi:[0,1]
	v_cmp_eq_f32_e32 vcc, s79, v40
	v_add_f32_e32 v13, v35, v13
	v_add_f32_e32 v12, v12, v13
	;; [unrolled: 1-line block ×3, first 2 shown]
	v_mul_f32_e32 v35, v23, v13
	v_mul_f32_e32 v14, v21, v35
	v_fma_f32 v16, v35, v21, -v14
	v_fmac_f32_e32 v16, v35, v22
	v_sub_f32_e32 v15, v15, v13
	v_add_f32_e32 v21, v12, v15
	v_add_f32_e32 v12, v14, v16
	v_sub_f32_e32 v15, v13, v12
	v_pk_add_f32 v[18:19], v[12:13], v[14:15] neg_lo:[0,1] neg_hi:[0,1]
	v_mov_b32_e32 v17, v12
	v_pk_add_f32 v[12:13], v[18:19], v[16:17] neg_lo:[0,1] neg_hi:[0,1]
	s_or_b64 vcc, s[6:7], vcc
	v_add_f32_e32 v13, v21, v13
	v_add_f32_e32 v12, v12, v13
	;; [unrolled: 1-line block ×4, first 2 shown]
	v_sub_f32_e32 v14, v13, v36
	v_mul_f32_e32 v12, v23, v12
	v_sub_f32_e32 v14, v35, v14
	v_add_f32_e32 v14, v14, v12
	v_add_f32_e32 v16, v13, v14
	v_mul_f32_e32 v17, v16, v16
	v_fmamk_f32 v12, v17, 0x3e9b6dac, v54
	v_fmaak_f32 v35, v17, v12, 0x3f2aaada
	v_cvt_f32_i32_e32 v12, v20
	v_sub_f32_e32 v13, v16, v13
	v_sub_f32_e32 v13, v14, v13
	v_ldexp_f32 v18, v13, 1
	v_mul_f32_e32 v13, v16, v17
	v_ldexp_f32 v15, v16, 1
	v_pk_mul_f32 v[16:17], v[12:13], v[34:35]
	s_nop 0
	v_fma_f32 v14, v12, s81, -v16
	v_fmac_f32_e32 v14, 0xb102e308, v12
	v_pk_add_f32 v[12:13], v[16:17], v[14:15]
	s_nop 0
	v_sub_f32_e32 v15, v13, v15
	v_sub_f32_e32 v15, v17, v15
	v_add_f32_e32 v19, v18, v15
	v_mov_b32_e32 v18, v16
	v_pk_add_f32 v[16:17], v[12:13], v[16:17] neg_lo:[0,1] neg_hi:[0,1]
	v_pk_add_f32 v[20:21], v[12:13], v[18:19]
	v_mov_b32_e32 v15, v12
	v_mov_b32_e32 v17, v21
	v_pk_add_f32 v[22:23], v[14:15], v[16:17] neg_lo:[0,1] neg_hi:[0,1]
	v_pk_add_f32 v[14:15], v[14:15], v[16:17]
	v_mov_b32_e32 v18, v19
	v_mov_b32_e32 v16, v15
	v_pk_add_f32 v[36:37], v[16:17], v[12:13] neg_lo:[0,1] neg_hi:[0,1]
	v_mov_b32_e32 v14, v21
	v_mov_b32_e32 v17, v36
	v_pk_add_f32 v[38:39], v[20:21], v[16:17] neg_lo:[0,1] neg_hi:[0,1]
	v_mov_b32_e32 v20, v13
	v_mov_b32_e32 v21, v36
	;; [unrolled: 1-line block ×3, first 2 shown]
	v_pk_add_f32 v[14:15], v[14:15], v[20:21] neg_lo:[0,1] neg_hi:[0,1]
	v_mov_b32_e32 v19, v12
	v_pk_add_f32 v[12:13], v[18:19], v[14:15] neg_lo:[0,1] neg_hi:[0,1]
	v_mov_b32_e32 v38, v22
	v_pk_add_f32 v[14:15], v[38:39], v[12:13]
	s_nop 0
	v_mov_b32_e32 v18, v15
	v_pk_add_f32 v[18:19], v[14:15], v[18:19]
	s_nop 0
	v_pk_add_f32 v[16:17], v[16:17], v[18:19]
	v_mov_b32_e32 v13, v18
	v_mov_b32_e32 v15, v16
	v_pk_add_f32 v[20:21], v[14:15], v[22:23] neg_lo:[0,1] neg_hi:[0,1]
	s_nop 0
	v_sub_f32_e32 v14, v14, v20
	v_pk_add_f32 v[12:13], v[12:13], v[20:21] neg_lo:[0,1] neg_hi:[0,1]
	v_sub_f32_e32 v14, v22, v14
	v_add_f32_e32 v12, v12, v14
	v_add_f32_e32 v12, v12, v13
	;; [unrolled: 1-line block ×3, first 2 shown]
	v_cndmask_b32_e32 v37, v12, v40, vcc
.LBB129_20:                             ;   in Loop: Header=BB129_12 Depth=1
	s_or_b64 exec, exec, s[8:9]
	v_add_f32_e32 v36, s33, v11
	v_cmp_ge_f32_e32 vcc, s75, v36
	s_and_b64 s[6:7], s[52:53], vcc
	s_and_saveexec_b64 s[8:9], s[6:7]
	s_cbranch_execz .LBB129_22
; %bb.21:                               ;   in Loop: Header=BB129_12 Depth=1
	v_mul_f32_e32 v12, 0x3fb8aa3b, v36
	v_rndne_f32_e32 v13, v12
	v_sub_f32_e32 v14, v12, v13
	v_fma_f32 v12, v36, s76, -v12
	v_fmac_f32_e32 v12, 0x32a5705f, v36
	v_add_f32_e32 v12, v14, v12
	v_cvt_i32_f32_e32 v13, v13
	v_exp_f32_e32 v12, v12
	v_cmp_ngt_f32_e32 vcc, s77, v36
	v_ldexp_f32 v12, v12, v13
	s_nop 0
	v_cndmask_b32_e32 v12, 0, v12, vcc
	v_cmp_nlt_f32_e32 vcc, s78, v36
	s_nop 1
	v_cndmask_b32_e32 v36, v55, v12, vcc
	v_add_f32_e32 v14, 1.0, v36
	v_add_f32_e32 v12, -1.0, v14
	v_sub_f32_e32 v13, v12, v14
	v_add_f32_e32 v13, 1.0, v13
	v_sub_f32_e32 v12, v36, v12
	v_add_f32_e32 v15, v12, v13
	v_frexp_mant_f32_e32 v16, v14
	v_cvt_f64_f32_e32 v[12:13], v14
	v_frexp_exp_i32_f64_e32 v12, v[12:13]
	v_cmp_gt_f32_e32 vcc, s80, v16
	v_cmp_gt_f32_e64 s[6:7], s82, v36
	s_nop 0
	v_subbrev_co_u32_e32 v20, vcc, 0, v12, vcc
	v_sub_u32_e32 v12, 0, v20
	v_ldexp_f32 v13, v14, v12
	v_add_f32_e32 v14, -1.0, v13
	v_add_f32_e32 v16, 1.0, v13
	v_ldexp_f32 v12, v15, v12
	v_add_f32_e32 v15, 1.0, v14
	v_add_f32_e32 v17, -1.0, v16
	v_sub_f32_e32 v15, v13, v15
	v_sub_f32_e32 v13, v13, v17
	v_add_f32_e32 v15, v12, v15
	v_add_f32_e32 v12, v12, v13
	;; [unrolled: 1-line block ×3, first 2 shown]
	v_rcp_f32_e32 v23, v21
	v_sub_f32_e32 v13, v16, v21
	v_add_f32_e32 v22, v12, v13
	v_add_f32_e32 v13, v14, v15
	v_mul_f32_e32 v38, v13, v23
	v_sub_f32_e32 v12, v14, v13
	v_mul_f32_e32 v14, v21, v38
	v_fma_f32 v16, v38, v21, -v14
	v_fmac_f32_e32 v16, v38, v22
	v_add_f32_e32 v35, v15, v12
	v_add_f32_e32 v12, v14, v16
	v_sub_f32_e32 v15, v13, v12
	v_pk_add_f32 v[18:19], v[12:13], v[14:15] neg_lo:[0,1] neg_hi:[0,1]
	v_mov_b32_e32 v17, v12
	v_pk_add_f32 v[12:13], v[18:19], v[16:17] neg_lo:[0,1] neg_hi:[0,1]
	v_cmp_eq_f32_e32 vcc, s79, v36
	v_add_f32_e32 v13, v35, v13
	v_add_f32_e32 v12, v12, v13
	;; [unrolled: 1-line block ×3, first 2 shown]
	v_mul_f32_e32 v35, v23, v13
	v_mul_f32_e32 v14, v21, v35
	v_fma_f32 v16, v35, v21, -v14
	v_fmac_f32_e32 v16, v35, v22
	v_sub_f32_e32 v15, v15, v13
	v_add_f32_e32 v21, v12, v15
	v_add_f32_e32 v12, v14, v16
	v_sub_f32_e32 v15, v13, v12
	v_pk_add_f32 v[18:19], v[12:13], v[14:15] neg_lo:[0,1] neg_hi:[0,1]
	v_mov_b32_e32 v17, v12
	v_pk_add_f32 v[12:13], v[18:19], v[16:17] neg_lo:[0,1] neg_hi:[0,1]
	s_or_b64 vcc, s[6:7], vcc
	v_add_f32_e32 v13, v21, v13
	v_add_f32_e32 v12, v12, v13
	;; [unrolled: 1-line block ×4, first 2 shown]
	v_sub_f32_e32 v14, v13, v38
	v_mul_f32_e32 v12, v23, v12
	v_sub_f32_e32 v14, v35, v14
	v_add_f32_e32 v14, v14, v12
	v_add_f32_e32 v16, v13, v14
	v_mul_f32_e32 v17, v16, v16
	v_fmamk_f32 v12, v17, 0x3e9b6dac, v54
	v_fmaak_f32 v35, v17, v12, 0x3f2aaada
	v_cvt_f32_i32_e32 v12, v20
	v_sub_f32_e32 v13, v16, v13
	v_sub_f32_e32 v13, v14, v13
	v_ldexp_f32 v18, v13, 1
	v_mul_f32_e32 v13, v16, v17
	v_ldexp_f32 v15, v16, 1
	v_pk_mul_f32 v[16:17], v[12:13], v[34:35]
	s_nop 0
	v_fma_f32 v14, v12, s81, -v16
	v_fmac_f32_e32 v14, 0xb102e308, v12
	v_pk_add_f32 v[12:13], v[16:17], v[14:15]
	s_nop 0
	v_sub_f32_e32 v15, v13, v15
	v_sub_f32_e32 v15, v17, v15
	v_add_f32_e32 v19, v18, v15
	v_mov_b32_e32 v18, v16
	v_pk_add_f32 v[16:17], v[12:13], v[16:17] neg_lo:[0,1] neg_hi:[0,1]
	v_pk_add_f32 v[20:21], v[12:13], v[18:19]
	v_mov_b32_e32 v15, v12
	v_mov_b32_e32 v17, v21
	v_pk_add_f32 v[22:23], v[14:15], v[16:17] neg_lo:[0,1] neg_hi:[0,1]
	v_pk_add_f32 v[14:15], v[14:15], v[16:17]
	v_mov_b32_e32 v18, v19
	v_mov_b32_e32 v16, v15
	v_pk_add_f32 v[38:39], v[16:17], v[12:13] neg_lo:[0,1] neg_hi:[0,1]
	v_mov_b32_e32 v14, v21
	v_mov_b32_e32 v17, v38
	v_pk_add_f32 v[40:41], v[20:21], v[16:17] neg_lo:[0,1] neg_hi:[0,1]
	v_mov_b32_e32 v20, v13
	v_mov_b32_e32 v21, v38
	;; [unrolled: 1-line block ×3, first 2 shown]
	v_pk_add_f32 v[14:15], v[14:15], v[20:21] neg_lo:[0,1] neg_hi:[0,1]
	v_mov_b32_e32 v19, v12
	v_pk_add_f32 v[12:13], v[18:19], v[14:15] neg_lo:[0,1] neg_hi:[0,1]
	v_mov_b32_e32 v40, v22
	v_pk_add_f32 v[14:15], v[40:41], v[12:13]
	s_nop 0
	v_mov_b32_e32 v18, v15
	v_pk_add_f32 v[18:19], v[14:15], v[18:19]
	s_nop 0
	v_pk_add_f32 v[16:17], v[16:17], v[18:19]
	v_mov_b32_e32 v13, v18
	v_mov_b32_e32 v15, v16
	v_pk_add_f32 v[20:21], v[14:15], v[22:23] neg_lo:[0,1] neg_hi:[0,1]
	s_nop 0
	v_sub_f32_e32 v14, v14, v20
	v_pk_add_f32 v[12:13], v[12:13], v[20:21] neg_lo:[0,1] neg_hi:[0,1]
	v_sub_f32_e32 v14, v22, v14
	v_add_f32_e32 v12, v12, v14
	v_add_f32_e32 v12, v12, v13
	;; [unrolled: 1-line block ×3, first 2 shown]
	v_cndmask_b32_e32 v36, v12, v36, vcc
.LBB129_22:                             ;   in Loop: Header=BB129_12 Depth=1
	s_or_b64 exec, exec, s[8:9]
	v_mul_f32_e32 v14, s70, v6
	v_mul_f32_e32 v13, s70, v5
	;; [unrolled: 1-line block ×3, first 2 shown]
	s_lshl_b32 s56, s88, 8
	v_mul_f32_e32 v15, s70, v7
	s_and_b64 vcc, exec, s[54:55]
	s_waitcnt lgkmcnt(0)
	; wave barrier
	s_cbranch_vccz .LBB129_48
; %bb.23:                               ;   in Loop: Header=BB129_12 Depth=1
	v_and_b32_e32 v16, 15, v56
	v_cmp_eq_u32_e64 s[6:7], 0, v16
	v_cmp_lt_u32_e64 s[8:9], 1, v16
	v_cmp_lt_u32_e64 s[10:11], 3, v16
	;; [unrolled: 1-line block ×3, first 2 shown]
	v_and_b32_e32 v16, 16, v56
	s_sub_i32 s24, s30, s56
	v_cmp_ne_u32_e64 s[14:15], 0, v16
	v_add_u32_e32 v16, -1, v56
	v_and_b32_e32 v17, 64, v56
	s_cmp_lg_u32 s88, 0
	v_cmp_lt_i32_e32 vcc, v16, v17
	s_cselect_b64 s[58:59], -1, 0
	s_cmp_eq_u32 s88, s74
	v_cndmask_b32_e32 v16, v16, v56, vcc
	v_cmp_gt_u32_e32 vcc, s24, v52
	s_cselect_b64 s[60:61], -1, 0
	s_or_b64 s[18:19], s[50:51], vcc
	v_cmp_gt_u32_e32 vcc, s24, v32
	s_mov_b32 s34, 0
	v_cmp_gt_u32_e64 s[20:21], s24, v33
	s_or_b64 s[22:23], s[50:51], vcc
	v_cmp_gt_u32_e32 vcc, s24, v53
	v_mul_f32_e32 v35, v7, v36
	v_mul_f32_e32 v61, v6, v37
	;; [unrolled: 1-line block ×4, first 2 shown]
	v_lshl_add_u64 v[38:39], s[38:39], 0, v[24:25]
	v_lshl_add_u64 v[40:41], s[42:43], 0, v[24:25]
	v_cmp_lt_u32_e64 s[16:17], 31, v56
	v_lshlrev_b32_e32 v64, 2, v16
	s_or_b64 s[20:21], s[50:51], s[20:21]
	s_or_b64 s[24:25], s[50:51], vcc
	s_mov_b32 s62, s34
	s_mov_b32 s64, s34
	;; [unrolled: 1-line block ×5, first 2 shown]
	s_branch .LBB129_25
.LBB129_24:                             ;   in Loop: Header=BB129_25 Depth=2
	s_or_b64 exec, exec, s[26:27]
	v_mul_f32_e32 v23, v47, v23
	v_fma_f32 v42, v47, v46, v44
	v_cndmask_b32_e64 v44, v42, v44, s[4:5]
	v_cndmask_b32_e64 v23, v23, v47, s[4:5]
	s_waitcnt lgkmcnt(0)
	v_fmac_f32_e32 v44, v50, v23
	v_fmac_f32_e32 v45, v44, v21
	;; [unrolled: 1-line block ×4, first 2 shown]
	v_mov_b32_e32 v21, v22
	s_add_i32 s89, s89, 8
	s_add_i32 s57, s57, -1
	s_add_i32 s66, s66, s71
	s_add_i32 s64, s64, s44
	;; [unrolled: 1-line block ×4, first 2 shown]
	v_pk_fma_f32 v[12:13], v[16:17], v[44:45], v[12:13]
	s_cmp_eq_u32 s57, 0
	v_pk_fma_f32 v[14:15], v[18:19], v[20:21], v[14:15]
	s_cbranch_scc1 .LBB129_48
.LBB129_25:                             ;   Parent Loop BB129_12 Depth=1
                                        ; =>  This Inner Loop Header: Depth=2
	s_lshl_b64 s[26:27], s[34:35], 2
	s_mov_b32 s63, s35
	s_add_u32 s26, s36, s26
	v_lshl_add_u64 v[16:17], s[62:63], 2, v[38:39]
	s_mov_b32 s65, s35
	s_addc_u32 s27, s72, s27
	global_load_dwordx4 v[20:23], v[16:17], off
	v_lshl_add_u64 v[16:17], s[64:65], 2, v[40:41]
	global_load_dword v44, v25, s[26:27]
	s_andn2_b64 vcc, exec, s[58:59]
	global_load_dwordx4 v[16:19], v[16:17], off
	s_cbranch_vccnz .LBB129_27
; %bb.26:                               ;   in Loop: Header=BB129_25 Depth=2
	v_mov_b32_e32 v42, s89
	ds_read_b64 v[42:43], v42
	s_cbranch_execz .LBB129_28
	s_branch .LBB129_31
.LBB129_27:                             ;   in Loop: Header=BB129_25 Depth=2
                                        ; implicit-def: $vgpr43
.LBB129_28:                             ;   in Loop: Header=BB129_25 Depth=2
	s_andn2_b64 vcc, exec, s[28:29]
	s_waitcnt lgkmcnt(0)
	v_mov_b32_e32 v43, 0
	s_cbranch_vccnz .LBB129_30
; %bb.29:                               ;   in Loop: Header=BB129_25 Depth=2
	s_mov_b32 s67, s35
	s_lshl_b64 s[26:27], s[66:67], 2
	s_add_u32 s26, s41, s26
	s_addc_u32 s27, s45, s27
	global_load_dword v43, v25, s[26:27]
.LBB129_30:                             ;   in Loop: Header=BB129_25 Depth=2
	v_mov_b32_e32 v42, 1.0
.LBB129_31:                             ;   in Loop: Header=BB129_25 Depth=2
	s_waitcnt vmcnt(1)
	v_mul_f32_e32 v46, 0x3fb8aa3b, v44
	v_mul_f32_e32 v44, v46, v59
	v_cmp_gt_f32_e32 vcc, s84, v44
	v_mul_f32_e32 v20, v20, v63
	v_mul_f32_e32 v21, v21, v62
	v_cndmask_b32_e32 v44, 0, v57, vcc
	v_fmac_f32_e32 v44, v46, v59
	v_exp_f32_e32 v44, v44
	v_cndmask_b32_e32 v45, 1.0, v58, vcc
	v_mul_f32_e32 v22, v22, v61
	v_mul_f32_e32 v45, v44, v45
	;; [unrolled: 1-line block ×3, first 2 shown]
	v_cmp_gt_f32_e32 vcc, s84, v44
	v_cndmask_b32_e64 v47, 1.0, v45, s[18:19]
	v_cndmask_b32_e64 v45, 0, v21, s[20:21]
	v_cndmask_b32_e32 v44, 0, v57, vcc
	v_fmac_f32_e32 v44, v46, v60
	v_exp_f32_e32 v48, v44
	v_cndmask_b32_e64 v44, 0, v20, s[18:19]
	v_cndmask_b32_e32 v20, 1.0, v58, vcc
	v_mul_f32_e32 v20, v48, v20
	v_pk_mul_f32 v[48:49], v[46:47], v[36:37] op_sel_hi:[0,1]
	v_cmp_gt_f32_e32 vcc, s84, v48
	v_cndmask_b32_e64 v21, 1.0, v20, s[20:21]
	v_cndmask_b32_e64 v20, 0, v22, s[22:23]
	v_cndmask_b32_e32 v22, 0, v57, vcc
	v_cmp_gt_f32_e64 s[26:27], s84, v49
	v_add_f32_e32 v22, v48, v22
	v_exp_f32_e32 v22, v22
	v_cndmask_b32_e64 v46, 0, v57, s[26:27]
	v_add_f32_e32 v46, v49, v46
	v_exp_f32_e32 v46, v46
	v_cndmask_b32_e32 v48, 1.0, v58, vcc
	v_mul_f32_e32 v48, v22, v48
	v_cndmask_b32_e64 v22, 1.0, v58, s[26:27]
	v_mul_f32_e32 v46, v46, v22
	v_mul_f32_e32 v22, v23, v35
	v_cndmask_b32_e64 v49, 1.0, v46, s[22:23]
	v_fma_f32 v23, v21, v44, v45
	v_mul_f32_e32 v46, v23, v49
	v_pk_add_f32 v[50:51], v[46:47], v[20:21]
	v_pk_mul_f32 v[66:67], v[46:47], v[20:21]
	v_cndmask_b32_e64 v48, 1.0, v48, s[24:25]
	v_mov_b32_e32 v51, v67
	v_cndmask_b32_e64 v22, 0, v22, s[24:25]
	v_pk_mul_f32 v[66:67], v[50:51], v[48:49]
	v_mov_b32_e32 v23, v48
	v_pk_fma_f32 v[68:69], v[50:51], v[48:49], v[22:23]
	v_pk_mul_f32 v[66:67], v[66:67], v[22:23]
	s_nop 0
	v_mov_b32_dpp v46, v68 row_shr:1 row_mask:0xf bank_mask:0xf
	v_mov_b32_dpp v23, v67 row_shr:1 row_mask:0xf bank_mask:0xf
	v_mul_f32_e32 v65, v67, v23
	v_fma_f32 v23, v67, v46, v68
	v_cndmask_b32_e64 v51, v23, v68, s[6:7]
	v_cndmask_b32_e64 v23, v23, v68, s[6:7]
	;; [unrolled: 1-line block ×4, first 2 shown]
	v_mov_b32_dpp v66, v23 row_shr:2 row_mask:0xf bank_mask:0xf
	v_mov_b32_dpp v65, v46 row_shr:2 row_mask:0xf bank_mask:0xf
	s_and_saveexec_b64 s[26:27], s[8:9]
; %bb.32:                               ;   in Loop: Header=BB129_25 Depth=2
	v_fmac_f32_e32 v23, v46, v66
	v_mul_f32_e32 v46, v46, v65
	v_mov_b32_e32 v50, v46
	v_mov_b32_e32 v51, v23
; %bb.33:                               ;   in Loop: Header=BB129_25 Depth=2
	s_or_b64 exec, exec, s[26:27]
	v_mov_b32_dpp v65, v46 row_shr:4 row_mask:0xf bank_mask:0xf
	v_mov_b32_dpp v66, v23 row_shr:4 row_mask:0xf bank_mask:0xf
	s_and_saveexec_b64 s[26:27], s[10:11]
; %bb.34:                               ;   in Loop: Header=BB129_25 Depth=2
	v_fmac_f32_e32 v23, v46, v66
	v_mul_f32_e32 v46, v46, v65
	v_mov_b32_e32 v50, v46
	v_mov_b32_e32 v51, v23
; %bb.35:                               ;   in Loop: Header=BB129_25 Depth=2
	s_or_b64 exec, exec, s[26:27]
	;; [unrolled: 10-line block ×3, first 2 shown]
	v_mov_b32_dpp v65, v46 row_bcast:15 row_mask:0xf bank_mask:0xf
	v_mov_b32_dpp v66, v23 row_bcast:15 row_mask:0xf bank_mask:0xf
	s_and_saveexec_b64 s[26:27], s[14:15]
; %bb.38:                               ;   in Loop: Header=BB129_25 Depth=2
	v_fmac_f32_e32 v23, v46, v66
	v_mul_f32_e32 v46, v46, v65
	v_mov_b32_e32 v50, v46
	v_mov_b32_e32 v51, v23
; %bb.39:                               ;   in Loop: Header=BB129_25 Depth=2
	s_or_b64 exec, exec, s[26:27]
	v_mov_b32_dpp v65, v46 row_bcast:31 row_mask:0xf bank_mask:0xf
	v_mov_b32_dpp v66, v23 row_bcast:31 row_mask:0xf bank_mask:0xf
	v_mul_f32_e32 v65, v46, v65
	v_fmac_f32_e32 v23, v46, v66
	v_cndmask_b32_e64 v50, v50, v65, s[16:17]
	v_cndmask_b32_e64 v51, v51, v23, s[16:17]
	s_and_saveexec_b64 s[26:27], s[2:3]
	s_cbranch_execz .LBB129_41
; %bb.40:                               ;   in Loop: Header=BB129_25 Depth=2
	ds_write_b64 v25, v[50:51] offset:2112
.LBB129_41:                             ;   in Loop: Header=BB129_25 Depth=2
	s_or_b64 exec, exec, s[26:27]
	ds_bpermute_b32 v23, v64, v50
	ds_bpermute_b32 v46, v64, v51
	s_waitcnt vmcnt(0) lgkmcnt(2)
	v_mov_b32_e32 v51, v43
	s_waitcnt lgkmcnt(0)
	; wave barrier
	s_waitcnt lgkmcnt(0)
	s_and_saveexec_b64 s[26:27], s[0:1]
	s_cbranch_execz .LBB129_45
; %bb.42:                               ;   in Loop: Header=BB129_25 Depth=2
	ds_read_b64 v[50:51], v25 offset:2112
	s_and_saveexec_b64 s[68:69], s[4:5]
	s_cbranch_execz .LBB129_44
; %bb.43:                               ;   in Loop: Header=BB129_25 Depth=2
	ds_write_b64 v25, v[42:43] offset:2112
.LBB129_44:                             ;   in Loop: Header=BB129_25 Depth=2
	s_or_b64 exec, exec, s[68:69]
	s_waitcnt lgkmcnt(0)
	v_fmac_f32_e32 v51, v43, v50
	v_mul_f32_e32 v42, v42, v50
	v_mov_b32_e32 v43, v51
.LBB129_45:                             ;   in Loop: Header=BB129_25 Depth=2
	s_or_b64 exec, exec, s[26:27]
	s_waitcnt lgkmcnt(0)
	; wave barrier
	ds_read_b32 v50, v25 offset:2116
	s_and_saveexec_b64 s[26:27], s[4:5]
	s_cbranch_execz .LBB129_24
; %bb.46:                               ;   in Loop: Header=BB129_25 Depth=2
	v_mov_b32_e32 v65, s89
	s_andn2_b64 vcc, exec, s[60:61]
	ds_write_b64 v65, v[42:43]
	s_cbranch_vccnz .LBB129_24
; %bb.47:                               ;   in Loop: Header=BB129_25 Depth=2
	s_mov_b32 s67, s35
	s_lshl_b64 s[68:69], s[66:67], 2
	s_add_u32 s68, s41, s68
	s_addc_u32 s69, s45, s69
	global_store_dword v25, v51, s[68:69]
	s_branch .LBB129_24
.LBB129_48:                             ;   in Loop: Header=BB129_12 Depth=1
	s_mov_b32 s57, s35
	v_lshl_add_u64 v[16:17], s[56:57], 2, v[26:27]
	s_waitcnt lgkmcnt(0)
	; wave barrier
	global_store_dwordx4 v[16:17], v[12:15], off
	s_waitcnt lgkmcnt(0)
	; wave barrier
	s_and_saveexec_b64 s[6:7], s[0:1]
	s_cbranch_execz .LBB129_11
; %bb.49:                               ;   in Loop: Header=BB129_12 Depth=1
	v_lshl_add_u64 v[0:1], s[56:57], 2, v[28:29]
	global_load_dwordx4 v[0:3], v[0:1], off
	s_branch .LBB129_11
.LBB129_50:
	s_endpgm
	.section	.rodata,"a",@progbits
	.p2align	6, 0x0
	.amdhsa_kernel _Z25selective_scan_fwd_kernelI32Selective_Scan_fwd_kernel_traitsILi64ELi4ELi1ELb1ELb1ELb1ELb1ELb0EfffEEv13SSMParamsBase
		.amdhsa_group_segment_fixed_size 0
		.amdhsa_private_segment_fixed_size 0
		.amdhsa_kernarg_size 248
		.amdhsa_user_sgpr_count 2
		.amdhsa_user_sgpr_dispatch_ptr 0
		.amdhsa_user_sgpr_queue_ptr 0
		.amdhsa_user_sgpr_kernarg_segment_ptr 1
		.amdhsa_user_sgpr_dispatch_id 0
		.amdhsa_user_sgpr_kernarg_preload_length 0
		.amdhsa_user_sgpr_kernarg_preload_offset 0
		.amdhsa_user_sgpr_private_segment_size 0
		.amdhsa_uses_dynamic_stack 0
		.amdhsa_enable_private_segment 0
		.amdhsa_system_sgpr_workgroup_id_x 1
		.amdhsa_system_sgpr_workgroup_id_y 1
		.amdhsa_system_sgpr_workgroup_id_z 0
		.amdhsa_system_sgpr_workgroup_info 0
		.amdhsa_system_vgpr_workitem_id 0
		.amdhsa_next_free_vgpr 70
		.amdhsa_next_free_sgpr 90
		.amdhsa_accum_offset 72
		.amdhsa_reserve_vcc 1
		.amdhsa_float_round_mode_32 0
		.amdhsa_float_round_mode_16_64 0
		.amdhsa_float_denorm_mode_32 3
		.amdhsa_float_denorm_mode_16_64 3
		.amdhsa_dx10_clamp 1
		.amdhsa_ieee_mode 1
		.amdhsa_fp16_overflow 0
		.amdhsa_tg_split 0
		.amdhsa_exception_fp_ieee_invalid_op 0
		.amdhsa_exception_fp_denorm_src 0
		.amdhsa_exception_fp_ieee_div_zero 0
		.amdhsa_exception_fp_ieee_overflow 0
		.amdhsa_exception_fp_ieee_underflow 0
		.amdhsa_exception_fp_ieee_inexact 0
		.amdhsa_exception_int_div_zero 0
	.end_amdhsa_kernel
	.section	.text._Z25selective_scan_fwd_kernelI32Selective_Scan_fwd_kernel_traitsILi64ELi4ELi1ELb1ELb1ELb1ELb1ELb0EfffEEv13SSMParamsBase,"axG",@progbits,_Z25selective_scan_fwd_kernelI32Selective_Scan_fwd_kernel_traitsILi64ELi4ELi1ELb1ELb1ELb1ELb1ELb0EfffEEv13SSMParamsBase,comdat
.Lfunc_end129:
	.size	_Z25selective_scan_fwd_kernelI32Selective_Scan_fwd_kernel_traitsILi64ELi4ELi1ELb1ELb1ELb1ELb1ELb0EfffEEv13SSMParamsBase, .Lfunc_end129-_Z25selective_scan_fwd_kernelI32Selective_Scan_fwd_kernel_traitsILi64ELi4ELi1ELb1ELb1ELb1ELb1ELb0EfffEEv13SSMParamsBase
                                        ; -- End function
	.section	.AMDGPU.csdata,"",@progbits
; Kernel info:
; codeLenInByte = 5832
; NumSgprs: 96
; NumVgprs: 70
; NumAgprs: 0
; TotalNumVgprs: 70
; ScratchSize: 0
; MemoryBound: 1
; FloatMode: 240
; IeeeMode: 1
; LDSByteSize: 0 bytes/workgroup (compile time only)
; SGPRBlocks: 11
; VGPRBlocks: 8
; NumSGPRsForWavesPerEU: 96
; NumVGPRsForWavesPerEU: 70
; AccumOffset: 72
; Occupancy: 7
; WaveLimiterHint : 0
; COMPUTE_PGM_RSRC2:SCRATCH_EN: 0
; COMPUTE_PGM_RSRC2:USER_SGPR: 2
; COMPUTE_PGM_RSRC2:TRAP_HANDLER: 0
; COMPUTE_PGM_RSRC2:TGID_X_EN: 1
; COMPUTE_PGM_RSRC2:TGID_Y_EN: 1
; COMPUTE_PGM_RSRC2:TGID_Z_EN: 0
; COMPUTE_PGM_RSRC2:TIDIG_COMP_CNT: 0
; COMPUTE_PGM_RSRC3_GFX90A:ACCUM_OFFSET: 17
; COMPUTE_PGM_RSRC3_GFX90A:TG_SPLIT: 0
	.section	.text._Z25selective_scan_fwd_kernelI32Selective_Scan_fwd_kernel_traitsILi64ELi4ELi1ELb1ELb1ELb1ELb0ELb1EfffEEv13SSMParamsBase,"axG",@progbits,_Z25selective_scan_fwd_kernelI32Selective_Scan_fwd_kernel_traitsILi64ELi4ELi1ELb1ELb1ELb1ELb0ELb1EfffEEv13SSMParamsBase,comdat
	.protected	_Z25selective_scan_fwd_kernelI32Selective_Scan_fwd_kernel_traitsILi64ELi4ELi1ELb1ELb1ELb1ELb0ELb1EfffEEv13SSMParamsBase ; -- Begin function _Z25selective_scan_fwd_kernelI32Selective_Scan_fwd_kernel_traitsILi64ELi4ELi1ELb1ELb1ELb1ELb0ELb1EfffEEv13SSMParamsBase
	.globl	_Z25selective_scan_fwd_kernelI32Selective_Scan_fwd_kernel_traitsILi64ELi4ELi1ELb1ELb1ELb1ELb0ELb1EfffEEv13SSMParamsBase
	.p2align	8
	.type	_Z25selective_scan_fwd_kernelI32Selective_Scan_fwd_kernel_traitsILi64ELi4ELi1ELb1ELb1ELb1ELb0ELb1EfffEEv13SSMParamsBase,@function
_Z25selective_scan_fwd_kernelI32Selective_Scan_fwd_kernel_traitsILi64ELi4ELi1ELb1ELb1ELb1ELb0ELb1EfffEEv13SSMParamsBase: ; @_Z25selective_scan_fwd_kernelI32Selective_Scan_fwd_kernel_traitsILi64ELi4ELi1ELb1ELb1ELb1ELb0ELb1EfffEEv13SSMParamsBase
; %bb.0:
	s_load_dword s27, s[0:1], 0x18
	s_load_dwordx4 s[4:7], s[0:1], 0xe0
	s_load_dwordx2 s[10:11], s[0:1], 0xf0
	s_mov_b32 s20, s3
	s_ashr_i32 s3, s2, 31
	s_waitcnt lgkmcnt(0)
	s_abs_i32 s26, s27
	v_cvt_f32_u32_e32 v1, s26
	s_lshl_b64 s[8:9], s[2:3], 2
	s_add_u32 s24, s4, s8
	s_addc_u32 s25, s5, s9
	v_rcp_iflag_f32_e32 v1, v1
	s_cmp_eq_u64 s[10:11], 0
	v_mul_f32_e32 v1, 0x4f7ffffe, v1
	v_cvt_u32_f32_e32 v1, v1
	s_nop 0
	v_readfirstlane_b32 s28, v1
	s_cbranch_scc1 .LBB130_86
; %bb.1:
	s_add_u32 s4, s10, s2
	s_addc_u32 s5, s11, s3
	v_mov_b32_e32 v1, 0
	global_load_ubyte v1, v1, s[4:5]
	s_waitcnt vmcnt(0)
	v_and_b32_e32 v1, 1, v1
	v_cmp_eq_u32_e64 s[56:57], 1, v1
	s_load_dwordx2 s[4:5], s[0:1], 0x20
	s_cmp_eq_u64 s[6:7], 0
	s_cbranch_scc1 .LBB130_3
.LBB130_2:
	s_add_u32 s2, s6, s8
	s_addc_u32 s3, s7, s9
	s_load_dword s2, s[2:3], 0x0
	s_waitcnt lgkmcnt(0)
	s_ashr_i32 s3, s2, 31
.LBB130_3:
	s_waitcnt lgkmcnt(0)
	s_cmp_eq_u64 s[4:5], s[2:3]
	s_cbranch_scc1 .LBB130_85
; %bb.4:
	s_load_dwordx16 s[4:19], s[0:1], 0x88
	s_load_dwordx2 s[22:23], s[24:25], 0x0
	s_mov_b32 s33, 0
	s_mov_b32 s80, 0
	s_waitcnt lgkmcnt(0)
	s_cmp_eq_u64 s[10:11], 0
	s_cbranch_scc1 .LBB130_6
; %bb.5:
	s_ashr_i32 s21, s20, 31
	s_lshl_b64 s[24:25], s[20:21], 2
	s_add_u32 s10, s10, s24
	s_addc_u32 s11, s11, s25
	s_load_dword s80, s[10:11], 0x0
.LBB130_6:
	s_cmp_eq_u64 s[16:17], 0
	s_cbranch_scc1 .LBB130_8
; %bb.7:
	s_ashr_i32 s21, s20, 31
	s_lshl_b64 s[10:11], s[20:21], 2
	s_add_u32 s10, s16, s10
	s_addc_u32 s11, s17, s11
	s_load_dword s33, s[10:11], 0x0
.LBB130_8:
	s_sub_i32 s81, s23, s22
	s_cmp_lt_i32 s81, 1
	s_cbranch_scc1 .LBB130_85
; %bb.9:
	s_sub_i32 s3, 0, s26
	s_mul_i32 s3, s3, s28
	s_mul_hi_u32 s3, s28, s3
	s_abs_i32 s21, s20
	s_add_i32 s28, s28, s3
	s_load_dwordx8 s[40:47], s[0:1], 0x2c
	s_load_dwordx2 s[16:17], s[0:1], 0x5c
	s_load_dwordx4 s[48:51], s[0:1], 0x4c
	s_load_dwordx4 s[36:39], s[0:1], 0x7c
	s_load_dwordx2 s[10:11], s[0:1], 0x6c
	s_load_dwordx2 s[24:25], s[0:1], 0xc8
	s_mul_hi_u32 s3, s21, s28
	s_load_dword s28, s[0:1], 0xc
	s_load_dword s23, s[0:1], 0x28
	s_ashr_i32 s0, s20, 31
	s_ashr_i32 s1, s27, 31
	s_xor_b32 s0, s0, s1
	s_mul_i32 s1, s3, s26
	s_sub_i32 s1, s21, s1
	s_add_i32 s21, s3, 1
	s_sub_i32 s27, s1, s26
	s_cmp_ge_u32 s1, s26
	s_cselect_b32 s3, s21, s3
	s_cselect_b32 s1, s27, s1
	s_add_i32 s21, s3, 1
	s_cmp_ge_u32 s1, s26
	s_cselect_b32 s1, s21, s3
	s_xor_b32 s1, s1, s0
	s_waitcnt lgkmcnt(0)
	s_mul_i32 s58, s22, s50
	s_mov_b32 s59, 0
	s_sub_i32 s3, s1, s0
	s_lshl_b64 s[0:1], s[58:59], 2
	s_add_u32 s12, s12, s0
	s_mul_i32 s58, s51, s20
	s_addc_u32 s13, s13, s1
	s_lshl_b64 s[0:1], s[58:59], 2
	s_add_u32 s50, s12, s0
	s_mul_i32 s58, s22, s16
	s_addc_u32 s51, s13, s1
	;; [unrolled: 4-line block ×10, first 2 shown]
	s_lshl_b64 s[0:1], s[58:59], 2
	v_mbcnt_lo_u32_b32 v1, -1, 0
	s_add_u32 s45, s2, s0
	v_mbcnt_hi_u32_b32 v8, -1, v1
	s_addc_u32 s49, s3, s1
	s_add_i32 s0, s81, 0x7ff
	v_or_b32_e32 v39, 0x80, v8
	s_lshr_b32 s83, s0, 11
	v_add_u32_e32 v40, 0xc0, v8
	v_lshrrev_b32_e32 v1, 5, v8
	v_lshrrev_b32_e32 v2, 5, v39
	v_add_u32_e32 v38, 64, v8
	v_add_u32_e32 v1, v1, v8
	v_add_lshl_u32 v4, v2, v8, 2
	v_lshrrev_b32_e32 v2, 5, v40
	s_bitcmp1_b32 s23, 0
	v_lshl_add_u32 v41, v1, 2, 0
	v_lshrrev_b32_e32 v1, 5, v38
	v_add_lshl_u32 v5, v2, v8, 2
	v_bfe_u32 v6, v8, 3, 27
	v_lshlrev_b32_e32 v2, 2, v8
	s_cselect_b64 s[62:63], -1, 0
	s_cmp_gt_i32 s28, 0
	v_add_lshl_u32 v1, v1, v8, 2
	v_add_lshl_u32 v6, v6, v2, 2
	s_cselect_b64 s[64:65], -1, 0
	s_add_i32 s0, 0, 0x420
	s_mul_i32 s58, s22, s10
	v_add_u32_e32 v46, s0, v1
	v_add_u32_e32 v47, s0, v4
	;; [unrolled: 1-line block ×4, first 2 shown]
	s_and_b32 s2, s81, 0xff
	s_add_i32 s84, s83, -1
	s_lshl_b64 s[0:1], s[58:59], 2
	s_add_u32 s3, s18, s0
	s_mul_i32 s58, s11, s20
	s_addc_u32 s4, s19, s1
	s_lshl_b64 s[0:1], s[58:59], 2
	s_add_u32 s18, s3, s0
	v_add_u32_e32 v42, 0, v1
	s_addc_u32 s19, s4, s1
	v_and_b32_e32 v1, 15, v8
	s_cmp_eq_u32 s2, 0
	v_cmp_eq_u32_e64 s[0:1], 0, v1
	v_cmp_lt_u32_e64 s[2:3], 1, v1
	v_cmp_lt_u32_e64 s[4:5], 3, v1
	;; [unrolled: 1-line block ×3, first 2 shown]
	v_and_b32_e32 v1, 16, v8
	v_add_u32_e32 v43, 0, v4
	v_cmp_ne_u32_e64 s[8:9], 0, v1
	v_add_u32_e32 v1, -1, v8
	v_and_b32_e32 v4, 64, v8
	v_cmp_lt_i32_e32 vcc, v1, v4
	v_mov_b32_e32 v3, 0
	v_lshlrev_b32_e32 v11, 2, v0
	v_cndmask_b32_e32 v1, v1, v8, vcc
	v_add_u32_e32 v44, 0, v5
	v_add_u32_e32 v45, 0, v6
                                        ; implicit-def: $vgpr66 : SGPR spill to VGPR lane
	s_cselect_b64 s[66:67], -1, 0
	v_cmp_lt_u32_e64 s[10:11], 31, v8
	v_cmp_eq_u32_e64 s[12:13], 63, v0
	v_lshlrev_b32_e32 v50, 2, v1
	v_cmp_gt_u32_e64 s[14:15], 64, v0
	v_cmp_eq_u32_e64 s[16:17], 0, v0
	v_lshl_add_u64 v[0:1], s[18:19], 0, v[2:3]
	v_or_b32_e32 v9, 1, v11
	v_or_b32_e32 v10, 2, v11
	;; [unrolled: 1-line block ×3, first 2 shown]
	v_lshlrev_b32_e32 v2, 2, v8
	s_mov_b32 s85, 0x41a00000
	s_mov_b32 s86, 0x3fb8aa3b
	s_mov_b32 s87, 0xc2ce8ed0
	s_mov_b32 s97, 0x42b17218
	s_mov_b32 s98, 0x7f800000
	s_mov_b32 s99, 0x3f2aaaab
	v_mov_b32_e32 v52, 0x3ecc95a3
	s_mov_b32 s39, 0x3f317218
	s_mov_b32 s92, 0x33800000
	s_add_i32 s93, 0, 0x848
	s_mov_b32 s94, 0xc2fc0000
	v_mov_b32_e32 v53, 0x7f800000
	v_mov_b32_e32 v12, 0x3f317218
	;; [unrolled: 1-line block ×4, first 2 shown]
	s_mov_b32 s95, 0
	s_mov_b32 s52, 0
	v_writelane_b32 v66, s28, 0
                                        ; implicit-def: $vgpr4
	s_branch .LBB130_11
.LBB130_10:                             ;   in Loop: Header=BB130_11 Depth=1
	s_or_b64 exec, exec, s[18:19]
	s_add_u32 s60, s60, 0x400
	s_addc_u32 s61, s61, 0
	s_add_u32 s50, s50, 0x400
	s_addc_u32 s51, s51, 0
	s_add_u32 s42, s42, 0x400
	s_addc_u32 s43, s43, 0
	s_add_u32 s46, s46, 0x400
	s_addc_u32 s47, s47, 0
	s_add_i32 s95, s95, 1
	s_cmp_eq_u32 s95, s83
	s_cbranch_scc1 .LBB130_85
.LBB130_11:                             ; =>This Loop Header: Depth=1
                                        ;     Child Loop BB130_36 Depth 2
	s_lshl_b32 s68, s95, 8
	s_sub_i32 s34, s81, s68
	v_lshl_add_u64 v[4:5], s[50:51], 0, v[2:3]
	v_cmp_gt_u32_e64 s[18:19], s34, v8
	s_waitcnt lgkmcnt(0)
	v_mov_b32_e32 v6, v3
	s_waitcnt lgkmcnt(0)
	; wave barrier
	s_and_saveexec_b64 s[20:21], s[18:19]
	s_cbranch_execz .LBB130_13
; %bb.12:                               ;   in Loop: Header=BB130_11 Depth=1
	global_load_dword v6, v[4:5], off
.LBB130_13:                             ;   in Loop: Header=BB130_11 Depth=1
	s_or_b64 exec, exec, s[20:21]
	v_cmp_gt_u32_e64 s[20:21], s34, v38
	v_mov_b32_e32 v7, 0
	v_mov_b32_e32 v14, 0
	s_and_saveexec_b64 s[22:23], s[20:21]
	s_cbranch_execz .LBB130_15
; %bb.14:                               ;   in Loop: Header=BB130_11 Depth=1
	global_load_dword v14, v[4:5], off offset:256
.LBB130_15:                             ;   in Loop: Header=BB130_11 Depth=1
	s_or_b64 exec, exec, s[22:23]
	v_cmp_gt_u32_e64 s[22:23], s34, v39
	s_and_saveexec_b64 s[24:25], s[22:23]
	s_cbranch_execz .LBB130_17
; %bb.16:                               ;   in Loop: Header=BB130_11 Depth=1
	global_load_dword v7, v[4:5], off offset:512
.LBB130_17:                             ;   in Loop: Header=BB130_11 Depth=1
	s_or_b64 exec, exec, s[24:25]
	v_cmp_gt_u32_e64 s[24:25], s34, v40
	v_mov_b32_e32 v13, 0
	v_mov_b32_e32 v15, 0
	s_and_saveexec_b64 s[26:27], s[24:25]
	s_cbranch_execz .LBB130_19
; %bb.18:                               ;   in Loop: Header=BB130_11 Depth=1
	global_load_dword v15, v[4:5], off offset:768
.LBB130_19:                             ;   in Loop: Header=BB130_11 Depth=1
	s_or_b64 exec, exec, s[26:27]
	s_waitcnt vmcnt(0)
	ds_write_b32 v41, v6
	ds_write_b32 v42, v14 offset:256
	ds_write_b32 v43, v7 offset:512
	;; [unrolled: 1-line block ×3, first 2 shown]
	; wave barrier
	ds_read2_b32 v[4:5], v45 offset1:1
	ds_read2_b32 v[6:7], v45 offset0:2 offset1:3
	v_lshl_add_u64 v[14:15], s[60:61], 0, v[2:3]
	s_waitcnt lgkmcnt(0)
	; wave barrier
	s_waitcnt lgkmcnt(0)
	s_and_saveexec_b64 s[26:27], s[18:19]
	s_cbranch_execz .LBB130_21
; %bb.20:                               ;   in Loop: Header=BB130_11 Depth=1
	global_load_dword v13, v[14:15], off
.LBB130_21:                             ;   in Loop: Header=BB130_11 Depth=1
	s_or_b64 exec, exec, s[26:27]
	v_mov_b32_e32 v16, 0
	v_mov_b32_e32 v17, 0
	s_and_saveexec_b64 s[26:27], s[20:21]
	s_cbranch_execnz .LBB130_79
; %bb.22:                               ;   in Loop: Header=BB130_11 Depth=1
	s_or_b64 exec, exec, s[26:27]
	s_and_saveexec_b64 s[26:27], s[22:23]
	s_cbranch_execnz .LBB130_80
.LBB130_23:                             ;   in Loop: Header=BB130_11 Depth=1
	s_or_b64 exec, exec, s[26:27]
	v_mov_b32_e32 v18, 0
	s_and_saveexec_b64 s[26:27], s[24:25]
	s_cbranch_execz .LBB130_25
.LBB130_24:                             ;   in Loop: Header=BB130_11 Depth=1
	global_load_dword v18, v[14:15], off offset:768
.LBB130_25:                             ;   in Loop: Header=BB130_11 Depth=1
	s_or_b64 exec, exec, s[26:27]
	s_waitcnt vmcnt(0)
	ds_write_b32 v41, v13
	ds_write_b32 v42, v17 offset:256
	ds_write_b32 v43, v16 offset:512
	;; [unrolled: 1-line block ×3, first 2 shown]
	; wave barrier
	ds_read2_b32 v[14:15], v45 offset1:1
	ds_read2_b32 v[16:17], v45 offset0:2 offset1:3
	s_waitcnt lgkmcnt(1)
	v_add_f32_e32 v56, s33, v14
	v_cmp_ge_f32_e32 vcc, s85, v56
	s_and_b64 s[26:27], s[62:63], vcc
	s_and_saveexec_b64 s[28:29], s[26:27]
	s_cbranch_execz .LBB130_27
; %bb.26:                               ;   in Loop: Header=BB130_11 Depth=1
	v_mul_f32_e32 v13, 0x3fb8aa3b, v56
	v_rndne_f32_e32 v14, v13
	v_sub_f32_e32 v18, v13, v14
	v_fma_f32 v13, v56, s86, -v13
	v_fmac_f32_e32 v13, 0x32a5705f, v56
	v_add_f32_e32 v13, v18, v13
	v_cvt_i32_f32_e32 v14, v14
	v_exp_f32_e32 v13, v13
	v_cmp_ngt_f32_e32 vcc, s87, v56
	v_ldexp_f32 v13, v13, v14
	s_nop 0
	v_cndmask_b32_e32 v13, 0, v13, vcc
	v_cmp_nlt_f32_e32 vcc, s97, v56
	s_nop 1
	v_cndmask_b32_e32 v32, v53, v13, vcc
	v_add_f32_e32 v13, 1.0, v32
	v_add_f32_e32 v14, -1.0, v13
	v_sub_f32_e32 v18, v14, v13
	v_add_f32_e32 v18, 1.0, v18
	v_sub_f32_e32 v14, v32, v14
	v_add_f32_e32 v14, v14, v18
	v_frexp_mant_f32_e32 v20, v13
	v_cvt_f64_f32_e32 v[18:19], v13
	v_frexp_exp_i32_f64_e32 v18, v[18:19]
	v_cmp_gt_f32_e32 vcc, s99, v20
	v_cmp_gt_f32_e64 s[26:27], s92, v32
	s_nop 0
	v_subbrev_co_u32_e32 v26, vcc, 0, v18, vcc
	v_sub_u32_e32 v18, 0, v26
	v_ldexp_f32 v13, v13, v18
	v_ldexp_f32 v14, v14, v18
	v_add_f32_e32 v18, -1.0, v13
	v_add_f32_e32 v19, 1.0, v18
	v_sub_f32_e32 v19, v13, v19
	v_add_f32_e32 v20, v14, v19
	v_add_f32_e32 v19, 1.0, v13
	v_add_f32_e32 v21, -1.0, v19
	v_sub_f32_e32 v13, v13, v21
	v_add_f32_e32 v13, v14, v13
	v_add_f32_e32 v14, v19, v13
	v_rcp_f32_e32 v27, v14
	v_sub_f32_e32 v19, v19, v14
	v_add_f32_e32 v13, v13, v19
	v_add_f32_e32 v19, v18, v20
	v_sub_f32_e32 v18, v18, v19
	v_mul_f32_e32 v29, v19, v27
	v_add_f32_e32 v28, v20, v18
	v_mul_f32_e32 v20, v14, v29
	v_fma_f32 v22, v29, v14, -v20
	v_fmac_f32_e32 v22, v29, v13
	v_add_f32_e32 v18, v20, v22
	v_sub_f32_e32 v21, v19, v18
	v_pk_add_f32 v[24:25], v[18:19], v[20:21] neg_lo:[0,1] neg_hi:[0,1]
	v_mov_b32_e32 v23, v18
	v_pk_add_f32 v[18:19], v[24:25], v[22:23] neg_lo:[0,1] neg_hi:[0,1]
	v_cmp_eq_f32_e32 vcc, s98, v32
	v_add_f32_e32 v19, v28, v19
	v_add_f32_e32 v18, v18, v19
	;; [unrolled: 1-line block ×3, first 2 shown]
	v_mul_f32_e32 v28, v27, v19
	v_mul_f32_e32 v20, v14, v28
	v_fma_f32 v22, v28, v14, -v20
	v_fmac_f32_e32 v22, v28, v13
	v_sub_f32_e32 v13, v21, v19
	v_add_f32_e32 v13, v18, v13
	v_add_f32_e32 v18, v20, v22
	v_sub_f32_e32 v21, v19, v18
	v_pk_add_f32 v[24:25], v[18:19], v[20:21] neg_lo:[0,1] neg_hi:[0,1]
	v_mov_b32_e32 v23, v18
	v_pk_add_f32 v[18:19], v[24:25], v[22:23] neg_lo:[0,1] neg_hi:[0,1]
	v_add_f32_e32 v14, v29, v28
	v_add_f32_e32 v13, v13, v19
	;; [unrolled: 1-line block ×4, first 2 shown]
	v_sub_f32_e32 v18, v14, v29
	v_mul_f32_e32 v13, v27, v13
	v_sub_f32_e32 v18, v28, v18
	v_add_f32_e32 v19, v18, v13
	v_add_f32_e32 v20, v14, v19
	v_cvt_f32_i32_e32 v18, v26
	v_mul_f32_e32 v22, v20, v20
	v_fmamk_f32 v13, v22, 0x3e9b6dac, v52
	v_sub_f32_e32 v14, v20, v14
	v_fmaak_f32 v13, v22, v13, 0x3f2aaada
	v_sub_f32_e32 v14, v19, v14
	v_mul_f32_e32 v19, v20, v22
	v_pk_mul_f32 v[22:23], v[18:19], v[12:13]
	v_ldexp_f32 v21, v20, 1
	v_fma_f32 v20, v18, s39, -v22
	v_fmac_f32_e32 v20, 0xb102e308, v18
	v_pk_add_f32 v[18:19], v[22:23], v[20:21]
	v_ldexp_f32 v14, v14, 1
	v_sub_f32_e32 v13, v19, v21
	v_sub_f32_e32 v13, v23, v13
	v_add_f32_e32 v25, v14, v13
	v_mov_b32_e32 v24, v22
	v_pk_add_f32 v[22:23], v[18:19], v[22:23] neg_lo:[0,1] neg_hi:[0,1]
	v_pk_add_f32 v[26:27], v[18:19], v[24:25]
	v_mov_b32_e32 v21, v18
	v_mov_b32_e32 v23, v27
	v_pk_add_f32 v[28:29], v[20:21], v[22:23] neg_lo:[0,1] neg_hi:[0,1]
	v_pk_add_f32 v[20:21], v[20:21], v[22:23]
	s_or_b64 vcc, s[26:27], vcc
	v_mov_b32_e32 v14, v21
	v_pk_add_f32 v[22:23], v[14:15], v[18:19] neg_lo:[0,1] neg_hi:[0,1]
	v_mov_b32_e32 v20, v27
	v_mov_b32_e32 v13, v22
	v_pk_add_f32 v[30:31], v[26:27], v[12:13] neg_lo:[0,1] neg_hi:[0,1]
	v_mov_b32_e32 v26, v19
	v_mov_b32_e32 v27, v22
	;; [unrolled: 1-line block ×3, first 2 shown]
	v_pk_add_f32 v[20:21], v[20:21], v[26:27] neg_lo:[0,1] neg_hi:[0,1]
	v_mov_b32_e32 v22, v25
	v_mov_b32_e32 v23, v18
	v_pk_add_f32 v[18:19], v[22:23], v[20:21] neg_lo:[0,1] neg_hi:[0,1]
	v_mov_b32_e32 v30, v28
	v_pk_add_f32 v[20:21], v[30:31], v[18:19]
	s_nop 0
	v_mov_b32_e32 v22, v21
	v_pk_add_f32 v[22:23], v[20:21], v[22:23]
	s_nop 0
	v_pk_add_f32 v[24:25], v[14:15], v[22:23]
	v_mov_b32_e32 v19, v22
	v_mov_b32_e32 v21, v24
	v_pk_add_f32 v[26:27], v[20:21], v[28:29] neg_lo:[0,1] neg_hi:[0,1]
	s_nop 0
	v_sub_f32_e32 v13, v20, v26
	v_pk_add_f32 v[18:19], v[18:19], v[26:27] neg_lo:[0,1] neg_hi:[0,1]
	v_sub_f32_e32 v13, v28, v13
	v_add_f32_e32 v13, v18, v13
	v_add_f32_e32 v13, v13, v19
	v_add_f32_e32 v13, v24, v13
	v_cndmask_b32_e32 v56, v13, v32, vcc
.LBB130_27:                             ;   in Loop: Header=BB130_11 Depth=1
	s_or_b64 exec, exec, s[28:29]
	v_add_f32_e32 v57, s33, v15
	v_cmp_ge_f32_e32 vcc, s85, v57
	s_and_b64 s[26:27], s[62:63], vcc
	s_and_saveexec_b64 s[28:29], s[26:27]
	s_cbranch_execz .LBB130_29
; %bb.28:                               ;   in Loop: Header=BB130_11 Depth=1
	v_mul_f32_e32 v13, 0x3fb8aa3b, v57
	v_rndne_f32_e32 v14, v13
	v_sub_f32_e32 v15, v13, v14
	v_fma_f32 v13, v57, s86, -v13
	v_fmac_f32_e32 v13, 0x32a5705f, v57
	v_add_f32_e32 v13, v15, v13
	v_cvt_i32_f32_e32 v14, v14
	v_exp_f32_e32 v13, v13
	v_cmp_ngt_f32_e32 vcc, s87, v57
	v_ldexp_f32 v13, v13, v14
	s_nop 0
	v_cndmask_b32_e32 v13, 0, v13, vcc
	v_cmp_nlt_f32_e32 vcc, s97, v57
	s_nop 1
	v_cndmask_b32_e32 v32, v53, v13, vcc
	v_add_f32_e32 v13, 1.0, v32
	v_add_f32_e32 v14, -1.0, v13
	v_sub_f32_e32 v15, v14, v13
	v_add_f32_e32 v15, 1.0, v15
	v_sub_f32_e32 v14, v32, v14
	v_add_f32_e32 v18, v14, v15
	v_frexp_mant_f32_e32 v19, v13
	v_cvt_f64_f32_e32 v[14:15], v13
	v_frexp_exp_i32_f64_e32 v14, v[14:15]
	v_cmp_gt_f32_e32 vcc, s99, v19
	v_cmp_gt_f32_e64 s[26:27], s92, v32
	s_nop 0
	v_subbrev_co_u32_e32 v24, vcc, 0, v14, vcc
	v_sub_u32_e32 v14, 0, v24
	v_ldexp_f32 v13, v13, v14
	v_ldexp_f32 v14, v18, v14
	v_add_f32_e32 v18, -1.0, v13
	v_add_f32_e32 v15, 1.0, v18
	v_sub_f32_e32 v15, v13, v15
	v_add_f32_e32 v19, v14, v15
	v_add_f32_e32 v15, 1.0, v13
	v_add_f32_e32 v20, -1.0, v15
	v_sub_f32_e32 v13, v13, v20
	v_add_f32_e32 v13, v14, v13
	v_add_f32_e32 v25, v15, v13
	v_rcp_f32_e32 v26, v25
	v_sub_f32_e32 v14, v15, v25
	v_add_f32_e32 v15, v18, v19
	v_add_f32_e32 v13, v13, v14
	v_mul_f32_e32 v28, v15, v26
	v_sub_f32_e32 v14, v18, v15
	v_mul_f32_e32 v18, v25, v28
	v_fma_f32 v20, v28, v25, -v18
	v_fmac_f32_e32 v20, v28, v13
	v_add_f32_e32 v27, v19, v14
	v_add_f32_e32 v14, v18, v20
	v_sub_f32_e32 v19, v15, v14
	v_pk_add_f32 v[22:23], v[14:15], v[18:19] neg_lo:[0,1] neg_hi:[0,1]
	v_mov_b32_e32 v21, v14
	v_pk_add_f32 v[14:15], v[22:23], v[20:21] neg_lo:[0,1] neg_hi:[0,1]
	v_cmp_eq_f32_e32 vcc, s98, v32
	v_add_f32_e32 v15, v27, v15
	v_add_f32_e32 v14, v14, v15
	;; [unrolled: 1-line block ×3, first 2 shown]
	v_mul_f32_e32 v27, v26, v15
	v_mul_f32_e32 v18, v25, v27
	v_fma_f32 v20, v27, v25, -v18
	v_fmac_f32_e32 v20, v27, v13
	v_sub_f32_e32 v13, v19, v15
	v_add_f32_e32 v13, v14, v13
	v_add_f32_e32 v14, v18, v20
	v_sub_f32_e32 v19, v15, v14
	v_pk_add_f32 v[22:23], v[14:15], v[18:19] neg_lo:[0,1] neg_hi:[0,1]
	v_mov_b32_e32 v21, v14
	v_pk_add_f32 v[14:15], v[22:23], v[20:21] neg_lo:[0,1] neg_hi:[0,1]
	s_or_b64 vcc, s[26:27], vcc
	v_add_f32_e32 v13, v13, v15
	v_add_f32_e32 v13, v14, v13
	;; [unrolled: 1-line block ×4, first 2 shown]
	v_sub_f32_e32 v14, v15, v28
	v_mul_f32_e32 v13, v26, v13
	v_sub_f32_e32 v14, v27, v14
	v_add_f32_e32 v18, v14, v13
	v_add_f32_e32 v20, v15, v18
	v_cvt_f32_i32_e32 v14, v24
	v_mul_f32_e32 v21, v20, v20
	v_sub_f32_e32 v15, v20, v15
	v_fmamk_f32 v13, v21, 0x3e9b6dac, v52
	v_sub_f32_e32 v15, v18, v15
	v_fmaak_f32 v13, v21, v13, 0x3f2aaada
	v_ldexp_f32 v22, v15, 1
	v_mul_f32_e32 v15, v20, v21
	v_ldexp_f32 v19, v20, 1
	v_pk_mul_f32 v[20:21], v[14:15], v[12:13]
	s_nop 0
	v_fma_f32 v18, v14, s39, -v20
	v_fmac_f32_e32 v18, 0xb102e308, v14
	v_pk_add_f32 v[14:15], v[20:21], v[18:19]
	s_nop 0
	v_sub_f32_e32 v13, v15, v19
	v_sub_f32_e32 v13, v21, v13
	v_add_f32_e32 v23, v22, v13
	v_mov_b32_e32 v22, v20
	v_pk_add_f32 v[20:21], v[14:15], v[20:21] neg_lo:[0,1] neg_hi:[0,1]
	v_pk_add_f32 v[24:25], v[14:15], v[22:23]
	v_mov_b32_e32 v19, v14
	v_mov_b32_e32 v21, v25
	v_pk_add_f32 v[26:27], v[18:19], v[20:21] neg_lo:[0,1] neg_hi:[0,1]
	v_pk_add_f32 v[18:19], v[18:19], v[20:21]
	v_mov_b32_e32 v22, v23
	v_mov_b32_e32 v20, v19
	v_pk_add_f32 v[28:29], v[20:21], v[14:15] neg_lo:[0,1] neg_hi:[0,1]
	v_mov_b32_e32 v18, v25
	v_mov_b32_e32 v13, v28
	v_pk_add_f32 v[30:31], v[24:25], v[12:13] neg_lo:[0,1] neg_hi:[0,1]
	v_mov_b32_e32 v24, v15
	v_mov_b32_e32 v25, v28
	;; [unrolled: 1-line block ×3, first 2 shown]
	v_pk_add_f32 v[18:19], v[18:19], v[24:25] neg_lo:[0,1] neg_hi:[0,1]
	v_mov_b32_e32 v23, v14
	v_pk_add_f32 v[14:15], v[22:23], v[18:19] neg_lo:[0,1] neg_hi:[0,1]
	v_mov_b32_e32 v30, v26
	v_pk_add_f32 v[18:19], v[30:31], v[14:15]
	s_nop 0
	v_mov_b32_e32 v22, v19
	v_pk_add_f32 v[22:23], v[18:19], v[22:23]
	s_nop 0
	v_pk_add_f32 v[20:21], v[20:21], v[22:23]
	v_mov_b32_e32 v15, v22
	v_mov_b32_e32 v19, v20
	v_pk_add_f32 v[24:25], v[18:19], v[26:27] neg_lo:[0,1] neg_hi:[0,1]
	s_nop 0
	v_sub_f32_e32 v13, v18, v24
	v_pk_add_f32 v[14:15], v[14:15], v[24:25] neg_lo:[0,1] neg_hi:[0,1]
	v_sub_f32_e32 v13, v26, v13
	v_add_f32_e32 v13, v14, v13
	v_add_f32_e32 v13, v13, v15
	;; [unrolled: 1-line block ×3, first 2 shown]
	v_cndmask_b32_e32 v57, v13, v32, vcc
.LBB130_29:                             ;   in Loop: Header=BB130_11 Depth=1
	s_or_b64 exec, exec, s[28:29]
	s_waitcnt lgkmcnt(0)
	v_add_f32_e32 v15, s33, v16
	v_cmp_ge_f32_e32 vcc, s85, v15
	s_and_b64 s[26:27], s[62:63], vcc
	s_and_saveexec_b64 s[28:29], s[26:27]
	s_cbranch_execz .LBB130_31
; %bb.30:                               ;   in Loop: Header=BB130_11 Depth=1
	v_mul_f32_e32 v13, 0x3fb8aa3b, v15
	v_rndne_f32_e32 v14, v13
	v_sub_f32_e32 v16, v13, v14
	v_fma_f32 v13, v15, s86, -v13
	v_fmac_f32_e32 v13, 0x32a5705f, v15
	v_add_f32_e32 v13, v16, v13
	v_cvt_i32_f32_e32 v14, v14
	v_exp_f32_e32 v13, v13
	v_cmp_ngt_f32_e32 vcc, s87, v15
	v_ldexp_f32 v13, v13, v14
	s_nop 0
	v_cndmask_b32_e32 v13, 0, v13, vcc
	v_cmp_nlt_f32_e32 vcc, s97, v15
	s_nop 1
	v_cndmask_b32_e32 v30, v53, v13, vcc
	v_add_f32_e32 v13, 1.0, v30
	v_add_f32_e32 v14, -1.0, v13
	v_sub_f32_e32 v15, v14, v13
	v_add_f32_e32 v15, 1.0, v15
	v_sub_f32_e32 v14, v30, v14
	v_add_f32_e32 v16, v14, v15
	v_frexp_mant_f32_e32 v18, v13
	v_cvt_f64_f32_e32 v[14:15], v13
	v_frexp_exp_i32_f64_e32 v14, v[14:15]
	v_cmp_gt_f32_e32 vcc, s99, v18
	v_cmp_gt_f32_e64 s[26:27], s92, v30
	s_nop 0
	v_subbrev_co_u32_e32 v24, vcc, 0, v14, vcc
	v_sub_u32_e32 v14, 0, v24
	v_ldexp_f32 v13, v13, v14
	v_ldexp_f32 v14, v16, v14
	v_add_f32_e32 v16, -1.0, v13
	v_add_f32_e32 v15, 1.0, v16
	v_sub_f32_e32 v15, v13, v15
	v_add_f32_e32 v18, v14, v15
	v_add_f32_e32 v15, 1.0, v13
	v_add_f32_e32 v19, -1.0, v15
	v_sub_f32_e32 v13, v13, v19
	v_add_f32_e32 v13, v14, v13
	v_add_f32_e32 v25, v15, v13
	v_rcp_f32_e32 v26, v25
	v_sub_f32_e32 v14, v15, v25
	v_add_f32_e32 v15, v16, v18
	v_add_f32_e32 v13, v13, v14
	v_sub_f32_e32 v14, v16, v15
	v_mul_f32_e32 v27, v15, v26
	v_add_f32_e32 v16, v18, v14
	v_mul_f32_e32 v18, v25, v27
	v_fma_f32 v20, v27, v25, -v18
	v_fmac_f32_e32 v20, v27, v13
	v_add_f32_e32 v14, v18, v20
	v_sub_f32_e32 v19, v15, v14
	v_pk_add_f32 v[22:23], v[14:15], v[18:19] neg_lo:[0,1] neg_hi:[0,1]
	v_mov_b32_e32 v21, v14
	v_pk_add_f32 v[14:15], v[22:23], v[20:21] neg_lo:[0,1] neg_hi:[0,1]
	v_cmp_eq_f32_e32 vcc, s98, v30
	v_add_f32_e32 v15, v16, v15
	v_add_f32_e32 v14, v14, v15
	v_add_f32_e32 v15, v19, v14
	v_mul_f32_e32 v16, v26, v15
	v_mul_f32_e32 v18, v25, v16
	v_fma_f32 v20, v16, v25, -v18
	v_fmac_f32_e32 v20, v16, v13
	v_sub_f32_e32 v13, v19, v15
	v_add_f32_e32 v13, v14, v13
	v_add_f32_e32 v14, v18, v20
	v_sub_f32_e32 v19, v15, v14
	v_pk_add_f32 v[22:23], v[14:15], v[18:19] neg_lo:[0,1] neg_hi:[0,1]
	v_mov_b32_e32 v21, v14
	v_pk_add_f32 v[14:15], v[22:23], v[20:21] neg_lo:[0,1] neg_hi:[0,1]
	s_or_b64 vcc, s[26:27], vcc
	v_add_f32_e32 v13, v13, v15
	v_add_f32_e32 v13, v14, v13
	;; [unrolled: 1-line block ×4, first 2 shown]
	v_sub_f32_e32 v14, v15, v27
	v_mul_f32_e32 v13, v26, v13
	v_sub_f32_e32 v14, v16, v14
	v_add_f32_e32 v16, v14, v13
	v_add_f32_e32 v18, v15, v16
	v_cvt_f32_i32_e32 v14, v24
	v_mul_f32_e32 v20, v18, v18
	v_sub_f32_e32 v15, v18, v15
	v_fmamk_f32 v13, v20, 0x3e9b6dac, v52
	v_sub_f32_e32 v15, v16, v15
	v_fmaak_f32 v13, v20, v13, 0x3f2aaada
	v_ldexp_f32 v16, v15, 1
	v_mul_f32_e32 v15, v18, v20
	v_pk_mul_f32 v[20:21], v[14:15], v[12:13]
	v_ldexp_f32 v19, v18, 1
	v_fma_f32 v18, v14, s39, -v20
	v_fmac_f32_e32 v18, 0xb102e308, v14
	v_pk_add_f32 v[14:15], v[20:21], v[18:19]
	v_mov_b32_e32 v22, v20
	v_sub_f32_e32 v13, v15, v19
	v_sub_f32_e32 v13, v21, v13
	v_add_f32_e32 v23, v16, v13
	v_pk_add_f32 v[20:21], v[14:15], v[20:21] neg_lo:[0,1] neg_hi:[0,1]
	v_pk_add_f32 v[24:25], v[14:15], v[22:23]
	v_mov_b32_e32 v19, v14
	v_mov_b32_e32 v21, v25
	v_pk_add_f32 v[26:27], v[18:19], v[20:21] neg_lo:[0,1] neg_hi:[0,1]
	v_pk_add_f32 v[18:19], v[18:19], v[20:21]
	s_nop 0
	v_mov_b32_e32 v16, v19
	v_pk_add_f32 v[20:21], v[16:17], v[14:15] neg_lo:[0,1] neg_hi:[0,1]
	v_mov_b32_e32 v18, v25
	v_mov_b32_e32 v13, v20
	v_pk_add_f32 v[28:29], v[24:25], v[12:13] neg_lo:[0,1] neg_hi:[0,1]
	v_mov_b32_e32 v24, v15
	v_mov_b32_e32 v25, v20
	;; [unrolled: 1-line block ×3, first 2 shown]
	v_pk_add_f32 v[18:19], v[18:19], v[24:25] neg_lo:[0,1] neg_hi:[0,1]
	v_mov_b32_e32 v20, v23
	v_mov_b32_e32 v21, v14
	v_pk_add_f32 v[14:15], v[20:21], v[18:19] neg_lo:[0,1] neg_hi:[0,1]
	v_mov_b32_e32 v28, v26
	v_pk_add_f32 v[18:19], v[28:29], v[14:15]
	s_nop 0
	v_mov_b32_e32 v20, v19
	v_pk_add_f32 v[20:21], v[18:19], v[20:21]
	s_nop 0
	v_pk_add_f32 v[22:23], v[16:17], v[20:21]
	v_mov_b32_e32 v15, v20
	v_mov_b32_e32 v19, v22
	v_pk_add_f32 v[24:25], v[18:19], v[26:27] neg_lo:[0,1] neg_hi:[0,1]
	s_nop 0
	v_sub_f32_e32 v13, v18, v24
	v_pk_add_f32 v[14:15], v[14:15], v[24:25] neg_lo:[0,1] neg_hi:[0,1]
	v_sub_f32_e32 v13, v26, v13
	v_add_f32_e32 v13, v14, v13
	v_add_f32_e32 v13, v13, v15
	;; [unrolled: 1-line block ×3, first 2 shown]
	v_cndmask_b32_e32 v15, v13, v30, vcc
.LBB130_31:                             ;   in Loop: Header=BB130_11 Depth=1
	s_or_b64 exec, exec, s[28:29]
	v_add_f32_e32 v14, s33, v17
	v_cmp_ge_f32_e32 vcc, s85, v14
	s_and_b64 s[26:27], s[62:63], vcc
	s_and_saveexec_b64 s[28:29], s[26:27]
	s_cbranch_execz .LBB130_33
; %bb.32:                               ;   in Loop: Header=BB130_11 Depth=1
	v_mul_f32_e32 v13, 0x3fb8aa3b, v14
	v_rndne_f32_e32 v16, v13
	v_sub_f32_e32 v17, v13, v16
	v_fma_f32 v13, v14, s86, -v13
	v_fmac_f32_e32 v13, 0x32a5705f, v14
	v_add_f32_e32 v13, v17, v13
	v_cvt_i32_f32_e32 v16, v16
	v_exp_f32_e32 v13, v13
	v_cmp_ngt_f32_e32 vcc, s87, v14
	v_ldexp_f32 v13, v13, v16
	s_nop 0
	v_cndmask_b32_e32 v13, 0, v13, vcc
	v_cmp_nlt_f32_e32 vcc, s97, v14
	s_nop 1
	v_cndmask_b32_e32 v30, v53, v13, vcc
	v_add_f32_e32 v13, 1.0, v30
	v_add_f32_e32 v14, -1.0, v13
	v_sub_f32_e32 v16, v14, v13
	v_add_f32_e32 v16, 1.0, v16
	v_sub_f32_e32 v14, v30, v14
	v_add_f32_e32 v14, v14, v16
	v_frexp_mant_f32_e32 v18, v13
	v_cvt_f64_f32_e32 v[16:17], v13
	v_frexp_exp_i32_f64_e32 v16, v[16:17]
	v_cmp_gt_f32_e32 vcc, s99, v18
	v_cmp_gt_f32_e64 s[26:27], s92, v30
	s_nop 0
	v_subbrev_co_u32_e32 v24, vcc, 0, v16, vcc
	v_sub_u32_e32 v16, 0, v24
	v_ldexp_f32 v13, v13, v16
	v_ldexp_f32 v14, v14, v16
	v_add_f32_e32 v16, -1.0, v13
	v_add_f32_e32 v17, 1.0, v16
	v_sub_f32_e32 v17, v13, v17
	v_add_f32_e32 v18, v14, v17
	v_add_f32_e32 v17, 1.0, v13
	v_add_f32_e32 v19, -1.0, v17
	v_sub_f32_e32 v13, v13, v19
	v_add_f32_e32 v13, v14, v13
	v_add_f32_e32 v14, v17, v13
	v_rcp_f32_e32 v25, v14
	v_sub_f32_e32 v17, v17, v14
	v_add_f32_e32 v13, v13, v17
	v_add_f32_e32 v17, v16, v18
	v_sub_f32_e32 v16, v16, v17
	v_mul_f32_e32 v27, v17, v25
	v_add_f32_e32 v26, v18, v16
	v_mul_f32_e32 v18, v14, v27
	v_fma_f32 v20, v27, v14, -v18
	v_fmac_f32_e32 v20, v27, v13
	v_add_f32_e32 v16, v18, v20
	v_sub_f32_e32 v19, v17, v16
	v_pk_add_f32 v[22:23], v[16:17], v[18:19] neg_lo:[0,1] neg_hi:[0,1]
	v_mov_b32_e32 v21, v16
	v_pk_add_f32 v[16:17], v[22:23], v[20:21] neg_lo:[0,1] neg_hi:[0,1]
	v_cmp_eq_f32_e32 vcc, s98, v30
	v_add_f32_e32 v17, v26, v17
	v_add_f32_e32 v16, v16, v17
	;; [unrolled: 1-line block ×3, first 2 shown]
	v_mul_f32_e32 v26, v25, v17
	v_mul_f32_e32 v18, v14, v26
	v_fma_f32 v20, v26, v14, -v18
	v_fmac_f32_e32 v20, v26, v13
	v_sub_f32_e32 v13, v19, v17
	v_add_f32_e32 v13, v16, v13
	v_add_f32_e32 v16, v18, v20
	v_sub_f32_e32 v19, v17, v16
	v_pk_add_f32 v[22:23], v[16:17], v[18:19] neg_lo:[0,1] neg_hi:[0,1]
	v_mov_b32_e32 v21, v16
	v_pk_add_f32 v[16:17], v[22:23], v[20:21] neg_lo:[0,1] neg_hi:[0,1]
	v_add_f32_e32 v14, v27, v26
	v_add_f32_e32 v13, v13, v17
	;; [unrolled: 1-line block ×4, first 2 shown]
	v_sub_f32_e32 v16, v14, v27
	v_mul_f32_e32 v13, v25, v13
	v_sub_f32_e32 v16, v26, v16
	v_add_f32_e32 v17, v16, v13
	v_add_f32_e32 v18, v14, v17
	v_cvt_f32_i32_e32 v16, v24
	v_mul_f32_e32 v20, v18, v18
	v_fmamk_f32 v13, v20, 0x3e9b6dac, v52
	v_sub_f32_e32 v14, v18, v14
	v_fmaak_f32 v13, v20, v13, 0x3f2aaada
	v_sub_f32_e32 v14, v17, v14
	v_mul_f32_e32 v17, v18, v20
	v_pk_mul_f32 v[20:21], v[16:17], v[12:13]
	v_ldexp_f32 v19, v18, 1
	v_fma_f32 v18, v16, s39, -v20
	v_fmac_f32_e32 v18, 0xb102e308, v16
	v_pk_add_f32 v[16:17], v[20:21], v[18:19]
	v_ldexp_f32 v14, v14, 1
	v_sub_f32_e32 v13, v17, v19
	v_sub_f32_e32 v13, v21, v13
	v_add_f32_e32 v23, v14, v13
	v_mov_b32_e32 v22, v20
	v_pk_add_f32 v[20:21], v[16:17], v[20:21] neg_lo:[0,1] neg_hi:[0,1]
	v_pk_add_f32 v[24:25], v[16:17], v[22:23]
	v_mov_b32_e32 v19, v16
	v_mov_b32_e32 v21, v25
	v_pk_add_f32 v[26:27], v[18:19], v[20:21] neg_lo:[0,1] neg_hi:[0,1]
	v_pk_add_f32 v[18:19], v[18:19], v[20:21]
	s_or_b64 vcc, s[26:27], vcc
	v_mov_b32_e32 v14, v19
	v_pk_add_f32 v[20:21], v[14:15], v[16:17] neg_lo:[0,1] neg_hi:[0,1]
	v_mov_b32_e32 v18, v25
	v_mov_b32_e32 v13, v20
	v_pk_add_f32 v[28:29], v[24:25], v[12:13] neg_lo:[0,1] neg_hi:[0,1]
	v_mov_b32_e32 v24, v17
	v_mov_b32_e32 v25, v20
	;; [unrolled: 1-line block ×3, first 2 shown]
	v_pk_add_f32 v[18:19], v[18:19], v[24:25] neg_lo:[0,1] neg_hi:[0,1]
	v_mov_b32_e32 v20, v23
	v_mov_b32_e32 v21, v16
	v_pk_add_f32 v[16:17], v[20:21], v[18:19] neg_lo:[0,1] neg_hi:[0,1]
	v_mov_b32_e32 v28, v26
	v_pk_add_f32 v[18:19], v[28:29], v[16:17]
	s_nop 0
	v_mov_b32_e32 v20, v19
	v_pk_add_f32 v[20:21], v[18:19], v[20:21]
	s_nop 0
	v_pk_add_f32 v[22:23], v[14:15], v[20:21]
	v_mov_b32_e32 v17, v20
	v_mov_b32_e32 v19, v22
	v_pk_add_f32 v[24:25], v[18:19], v[26:27] neg_lo:[0,1] neg_hi:[0,1]
	s_nop 0
	v_sub_f32_e32 v13, v18, v24
	v_pk_add_f32 v[16:17], v[16:17], v[24:25] neg_lo:[0,1] neg_hi:[0,1]
	v_sub_f32_e32 v13, v26, v13
	v_add_f32_e32 v13, v16, v13
	v_add_f32_e32 v13, v13, v17
	;; [unrolled: 1-line block ×3, first 2 shown]
	v_cndmask_b32_e32 v14, v13, v30, vcc
.LBB130_33:                             ;   in Loop: Header=BB130_11 Depth=1
	s_or_b64 exec, exec, s[28:29]
	v_mul_f32_e32 v16, s80, v6
	v_mul_f32_e32 v19, s80, v5
	;; [unrolled: 1-line block ×4, first 2 shown]
	s_and_b64 vcc, exec, s[64:65]
	s_waitcnt lgkmcnt(0)
	; wave barrier
	s_cbranch_vccz .LBB130_75
; %bb.34:                               ;   in Loop: Header=BB130_11 Depth=1
	s_cmp_lg_u32 s95, 0
	s_cselect_b64 s[70:71], -1, 0
	s_cmp_eq_u32 s95, s84
	v_cmp_gt_u32_e32 vcc, s34, v11
	s_cselect_b64 s[72:73], -1, 0
	s_or_b64 s[26:27], s[66:67], vcc
	v_cmp_gt_u32_e32 vcc, s34, v10
	v_cmp_gt_u32_e64 s[28:29], s34, v9
	s_or_b64 s[30:31], s[66:67], vcc
	v_cmp_gt_u32_e32 vcc, s34, v51
	v_mul_f32_e32 v13, v7, v14
	v_lshl_add_u64 v[20:21], s[42:43], 0, v[2:3]
	v_lshl_add_u64 v[22:23], s[46:47], 0, v[2:3]
	v_mul_f32_e32 v58, v6, v15
	v_mul_f32_e32 v59, v5, v57
	;; [unrolled: 1-line block ×3, first 2 shown]
	s_or_b64 s[28:29], s[66:67], s[28:29]
	s_or_b64 s[34:35], s[66:67], vcc
	s_mov_b32 s58, s52
	s_mov_b32 s74, 0
	;; [unrolled: 1-line block ×4, first 2 shown]
	v_readlane_b32 s69, v66, 0
	s_mov_b32 s96, s93
	s_branch .LBB130_36
.LBB130_35:                             ;   in Loop: Header=BB130_36 Depth=2
	s_or_b64 exec, exec, s[36:37]
	v_mul_f32_e32 v24, v31, v30
	v_fma_f32 v25, v31, v33, v28
	v_cndmask_b32_e64 v28, v25, v28, s[16:17]
	v_cndmask_b32_e64 v24, v24, v31, s[16:17]
	s_waitcnt lgkmcnt(0)
	v_fmac_f32_e32 v28, v36, v24
	v_fmac_f32_e32 v29, v28, v27
	;; [unrolled: 1-line block ×4, first 2 shown]
	v_mov_b32_e32 v27, v32
	s_add_i32 s96, s96, 8
	s_add_i32 s69, s69, -1
	s_add_i32 s78, s78, s38
	s_add_i32 s76, s76, s48
	;; [unrolled: 1-line block ×4, first 2 shown]
	v_pk_fma_f32 v[18:19], v[6:7], v[28:29], v[18:19]
	s_cmp_eq_u32 s69, 0
	v_pk_fma_f32 v[16:17], v[4:5], v[26:27], v[16:17]
	s_cbranch_scc1 .LBB130_75
.LBB130_36:                             ;   Parent Loop BB130_11 Depth=1
                                        ; =>  This Inner Loop Header: Depth=2
	s_lshl_b64 s[36:37], s[58:59], 2
	s_add_u32 s36, s40, s36
	s_addc_u32 s37, s82, s37
	global_load_dword v28, v3, s[36:37]
	s_mov_b32 s53, s52
	s_mov_b32 s75, s59
	s_mov_b32 s54, s52
	s_mov_b32 s55, s52
	v_mov_b64_e32 v[4:5], s[52:53]
	v_lshl_add_u64 v[24:25], s[74:75], 2, v[20:21]
	v_mov_b64_e32 v[6:7], s[54:55]
	v_mov_b32_e32 v26, 0
	s_and_saveexec_b64 s[36:37], s[18:19]
	s_cbranch_execnz .LBB130_48
; %bb.37:                               ;   in Loop: Header=BB130_36 Depth=2
	s_or_b64 exec, exec, s[36:37]
	s_and_saveexec_b64 s[36:37], s[20:21]
	s_cbranch_execnz .LBB130_49
.LBB130_38:                             ;   in Loop: Header=BB130_36 Depth=2
	s_or_b64 exec, exec, s[36:37]
	s_and_saveexec_b64 s[36:37], s[22:23]
	s_cbranch_execnz .LBB130_50
.LBB130_39:                             ;   in Loop: Header=BB130_36 Depth=2
	s_or_b64 exec, exec, s[36:37]
	s_and_saveexec_b64 s[36:37], s[24:25]
	s_cbranch_execz .LBB130_41
.LBB130_40:                             ;   in Loop: Header=BB130_36 Depth=2
	global_load_dword v7, v[24:25], off offset:768
.LBB130_41:                             ;   in Loop: Header=BB130_36 Depth=2
	s_or_b64 exec, exec, s[36:37]
	s_waitcnt vmcnt(0)
	ds_write_b32 v41, v26
	ds_write_b32 v42, v5 offset:256
	ds_write_b32 v43, v6 offset:512
	;; [unrolled: 1-line block ×3, first 2 shown]
	; wave barrier
	ds_read2_b32 v[26:27], v45 offset1:1
	ds_read2_b32 v[32:33], v45 offset0:2 offset1:3
	s_mov_b32 s88, s59
	s_mov_b32 s89, s59
	;; [unrolled: 1-line block ×5, first 2 shown]
	v_mov_b64_e32 v[4:5], s[88:89]
	v_lshl_add_u64 v[24:25], s[76:77], 2, v[22:23]
	v_mov_b64_e32 v[6:7], s[90:91]
	v_mov_b32_e32 v29, 0
	s_and_saveexec_b64 s[36:37], s[18:19]
	s_cbranch_execnz .LBB130_51
; %bb.42:                               ;   in Loop: Header=BB130_36 Depth=2
	s_or_b64 exec, exec, s[36:37]
	s_and_saveexec_b64 s[36:37], s[20:21]
	s_cbranch_execnz .LBB130_52
.LBB130_43:                             ;   in Loop: Header=BB130_36 Depth=2
	s_or_b64 exec, exec, s[36:37]
	s_and_saveexec_b64 s[36:37], s[22:23]
	s_cbranch_execnz .LBB130_53
.LBB130_44:                             ;   in Loop: Header=BB130_36 Depth=2
	s_or_b64 exec, exec, s[36:37]
	s_and_saveexec_b64 s[36:37], s[24:25]
	s_cbranch_execz .LBB130_46
.LBB130_45:                             ;   in Loop: Header=BB130_36 Depth=2
	global_load_dword v7, v[24:25], off offset:768
.LBB130_46:                             ;   in Loop: Header=BB130_36 Depth=2
	s_or_b64 exec, exec, s[36:37]
	v_add_u32_e32 v4, 0x420, v45
	s_waitcnt vmcnt(0)
	ds_write_b32 v41, v29 offset:1056
	ds_write_b32 v46, v5 offset:256
	;; [unrolled: 1-line block ×4, first 2 shown]
	; wave barrier
	ds_read2_b32 v[6:7], v4 offset1:1
	ds_read2_b32 v[4:5], v49 offset0:2 offset1:3
	s_andn2_b64 vcc, exec, s[70:71]
	s_cbranch_vccnz .LBB130_54
; %bb.47:                               ;   in Loop: Header=BB130_36 Depth=2
	v_mov_b32_e32 v24, s96
	ds_read_b64 v[24:25], v24
	s_cbranch_execz .LBB130_55
	s_branch .LBB130_58
.LBB130_48:                             ;   in Loop: Header=BB130_36 Depth=2
	global_load_dword v26, v[24:25], off
	v_mov_b32_e32 v4, v3
	v_mov_b32_e32 v5, v3
	v_mov_b64_e32 v[6:7], v[4:5]
	v_mov_b64_e32 v[4:5], v[2:3]
	s_or_b64 exec, exec, s[36:37]
	s_and_saveexec_b64 s[36:37], s[20:21]
	s_cbranch_execz .LBB130_38
.LBB130_49:                             ;   in Loop: Header=BB130_36 Depth=2
	global_load_dword v5, v[24:25], off offset:256
	s_or_b64 exec, exec, s[36:37]
	s_and_saveexec_b64 s[36:37], s[22:23]
	s_cbranch_execz .LBB130_39
.LBB130_50:                             ;   in Loop: Header=BB130_36 Depth=2
	global_load_dword v6, v[24:25], off offset:512
	s_or_b64 exec, exec, s[36:37]
	s_and_saveexec_b64 s[36:37], s[24:25]
	s_cbranch_execnz .LBB130_40
	s_branch .LBB130_41
.LBB130_51:                             ;   in Loop: Header=BB130_36 Depth=2
	global_load_dword v29, v[24:25], off
	v_mov_b32_e32 v4, v3
	v_mov_b32_e32 v5, v3
	v_mov_b64_e32 v[6:7], v[4:5]
	v_mov_b64_e32 v[4:5], v[2:3]
	s_or_b64 exec, exec, s[36:37]
	s_and_saveexec_b64 s[36:37], s[20:21]
	s_cbranch_execz .LBB130_43
.LBB130_52:                             ;   in Loop: Header=BB130_36 Depth=2
	global_load_dword v5, v[24:25], off offset:256
	s_or_b64 exec, exec, s[36:37]
	s_and_saveexec_b64 s[36:37], s[22:23]
	s_cbranch_execz .LBB130_44
.LBB130_53:                             ;   in Loop: Header=BB130_36 Depth=2
	global_load_dword v6, v[24:25], off offset:512
	s_or_b64 exec, exec, s[36:37]
	s_and_saveexec_b64 s[36:37], s[24:25]
	s_cbranch_execnz .LBB130_45
	s_branch .LBB130_46
.LBB130_54:                             ;   in Loop: Header=BB130_36 Depth=2
                                        ; implicit-def: $vgpr25
.LBB130_55:                             ;   in Loop: Header=BB130_36 Depth=2
	s_andn2_b64 vcc, exec, s[56:57]
	s_waitcnt lgkmcnt(0)
	v_mov_b32_e32 v25, 0
	s_cbranch_vccnz .LBB130_57
; %bb.56:                               ;   in Loop: Header=BB130_36 Depth=2
	s_mov_b32 s79, s59
	s_lshl_b64 s[36:37], s[78:79], 2
	s_add_u32 s36, s45, s36
	s_addc_u32 s37, s49, s37
	global_load_dword v25, v3, s[36:37]
.LBB130_57:                             ;   in Loop: Header=BB130_36 Depth=2
	v_mov_b32_e32 v24, 1.0
.LBB130_58:                             ;   in Loop: Header=BB130_36 Depth=2
	v_mul_f32_e32 v30, 0x3fb8aa3b, v28
	v_mul_f32_e32 v28, v30, v56
	v_cmp_gt_f32_e32 vcc, s94, v28
	s_waitcnt lgkmcnt(7)
	v_mul_f32_e32 v26, v26, v60
	v_mul_f32_e32 v27, v27, v59
	v_cndmask_b32_e32 v28, 0, v54, vcc
	v_fmac_f32_e32 v28, v30, v56
	v_exp_f32_e32 v28, v28
	v_cndmask_b32_e32 v29, 1.0, v55, vcc
	v_mul_f32_e32 v29, v28, v29
	v_mul_f32_e32 v28, v30, v57
	v_cmp_gt_f32_e32 vcc, s94, v28
	v_cndmask_b32_e64 v31, 1.0, v29, s[26:27]
	v_cndmask_b32_e64 v29, 0, v27, s[28:29]
	v_cndmask_b32_e32 v28, 0, v54, vcc
	v_fmac_f32_e32 v28, v30, v57
	v_exp_f32_e32 v34, v28
	v_cndmask_b32_e64 v28, 0, v26, s[26:27]
	v_cndmask_b32_e32 v26, 1.0, v55, vcc
	v_mul_f32_e32 v26, v34, v26
	v_pk_mul_f32 v[34:35], v[30:31], v[14:15] op_sel_hi:[0,1]
	s_waitcnt lgkmcnt(6)
	v_mul_f32_e32 v30, v32, v58
	v_cmp_gt_f32_e32 vcc, s94, v34
	v_cndmask_b32_e64 v27, 1.0, v26, s[28:29]
	v_cndmask_b32_e64 v26, 0, v30, s[30:31]
	v_cndmask_b32_e32 v30, 0, v54, vcc
	v_cmp_gt_f32_e64 s[36:37], s94, v35
	v_add_f32_e32 v30, v34, v30
	v_exp_f32_e32 v30, v30
	v_cndmask_b32_e64 v32, 0, v54, s[36:37]
	v_add_f32_e32 v32, v35, v32
	v_exp_f32_e32 v32, v32
	v_cndmask_b32_e32 v34, 1.0, v55, vcc
	v_mul_f32_e32 v30, v30, v34
	v_cndmask_b32_e64 v34, 1.0, v55, s[36:37]
	v_mul_f32_e32 v34, v32, v34
	v_cndmask_b32_e64 v35, 1.0, v34, s[30:31]
	v_cndmask_b32_e64 v34, 1.0, v30, s[34:35]
	v_fma_f32 v30, v27, v28, v29
	v_mul_f32_e32 v30, v30, v35
	v_pk_add_f32 v[36:37], v[30:31], v[26:27]
	v_pk_mul_f32 v[62:63], v[30:31], v[26:27]
	v_mul_f32_e32 v32, v33, v13
	v_mov_b32_e32 v37, v63
	v_cndmask_b32_e64 v32, 0, v32, s[34:35]
	v_pk_mul_f32 v[62:63], v[36:37], v[34:35]
	v_mov_b32_e32 v33, v34
	v_pk_fma_f32 v[64:65], v[36:37], v[34:35], v[32:33]
	v_pk_mul_f32 v[62:63], v[62:63], v[32:33]
	s_nop 0
	v_mov_b32_dpp v33, v64 row_shr:1 row_mask:0xf bank_mask:0xf
	v_mov_b32_dpp v30, v63 row_shr:1 row_mask:0xf bank_mask:0xf
	v_mul_f32_e32 v61, v63, v30
	v_fma_f32 v30, v63, v33, v64
	v_cndmask_b32_e64 v37, v30, v64, s[0:1]
	v_cndmask_b32_e64 v30, v30, v64, s[0:1]
	;; [unrolled: 1-line block ×4, first 2 shown]
	v_mov_b32_dpp v62, v30 row_shr:2 row_mask:0xf bank_mask:0xf
	v_mov_b32_dpp v61, v33 row_shr:2 row_mask:0xf bank_mask:0xf
	s_and_saveexec_b64 s[36:37], s[2:3]
; %bb.59:                               ;   in Loop: Header=BB130_36 Depth=2
	v_fmac_f32_e32 v30, v33, v62
	v_mul_f32_e32 v33, v33, v61
	v_mov_b32_e32 v36, v33
	v_mov_b32_e32 v37, v30
; %bb.60:                               ;   in Loop: Header=BB130_36 Depth=2
	s_or_b64 exec, exec, s[36:37]
	v_mov_b32_dpp v61, v33 row_shr:4 row_mask:0xf bank_mask:0xf
	v_mov_b32_dpp v62, v30 row_shr:4 row_mask:0xf bank_mask:0xf
	s_and_saveexec_b64 s[36:37], s[4:5]
; %bb.61:                               ;   in Loop: Header=BB130_36 Depth=2
	v_fmac_f32_e32 v30, v33, v62
	v_mul_f32_e32 v33, v33, v61
	v_mov_b32_e32 v36, v33
	v_mov_b32_e32 v37, v30
; %bb.62:                               ;   in Loop: Header=BB130_36 Depth=2
	s_or_b64 exec, exec, s[36:37]
	;; [unrolled: 10-line block ×3, first 2 shown]
	v_mov_b32_dpp v61, v33 row_bcast:15 row_mask:0xf bank_mask:0xf
	v_mov_b32_dpp v62, v30 row_bcast:15 row_mask:0xf bank_mask:0xf
	s_and_saveexec_b64 s[36:37], s[8:9]
; %bb.65:                               ;   in Loop: Header=BB130_36 Depth=2
	v_fmac_f32_e32 v30, v33, v62
	v_mul_f32_e32 v33, v33, v61
	v_mov_b32_e32 v36, v33
	v_mov_b32_e32 v37, v30
; %bb.66:                               ;   in Loop: Header=BB130_36 Depth=2
	s_or_b64 exec, exec, s[36:37]
	v_mov_b32_dpp v61, v33 row_bcast:31 row_mask:0xf bank_mask:0xf
	v_mov_b32_dpp v62, v30 row_bcast:31 row_mask:0xf bank_mask:0xf
	v_mul_f32_e32 v61, v33, v61
	v_fmac_f32_e32 v30, v33, v62
	v_cndmask_b32_e64 v36, v36, v61, s[10:11]
	v_cndmask_b32_e64 v37, v37, v30, s[10:11]
	s_and_saveexec_b64 s[36:37], s[12:13]
	s_cbranch_execz .LBB130_68
; %bb.67:                               ;   in Loop: Header=BB130_36 Depth=2
	ds_write_b64 v3, v[36:37] offset:2112
.LBB130_68:                             ;   in Loop: Header=BB130_36 Depth=2
	s_or_b64 exec, exec, s[36:37]
	ds_bpermute_b32 v30, v50, v36
	ds_bpermute_b32 v33, v50, v37
	s_waitcnt vmcnt(0) lgkmcnt(2)
	v_mov_b32_e32 v37, v25
	s_waitcnt lgkmcnt(0)
	; wave barrier
	s_waitcnt lgkmcnt(0)
	s_and_saveexec_b64 s[36:37], s[14:15]
	s_cbranch_execz .LBB130_72
; %bb.69:                               ;   in Loop: Header=BB130_36 Depth=2
	ds_read_b64 v[36:37], v3 offset:2112
	s_and_saveexec_b64 s[54:55], s[16:17]
	s_cbranch_execz .LBB130_71
; %bb.70:                               ;   in Loop: Header=BB130_36 Depth=2
	ds_write_b64 v3, v[24:25] offset:2112
.LBB130_71:                             ;   in Loop: Header=BB130_36 Depth=2
	s_or_b64 exec, exec, s[54:55]
	s_waitcnt lgkmcnt(0)
	v_fmac_f32_e32 v37, v25, v36
	v_mul_f32_e32 v24, v24, v36
	v_mov_b32_e32 v25, v37
.LBB130_72:                             ;   in Loop: Header=BB130_36 Depth=2
	s_or_b64 exec, exec, s[36:37]
	s_waitcnt lgkmcnt(0)
	; wave barrier
	ds_read_b32 v36, v3 offset:2116
	s_and_saveexec_b64 s[36:37], s[16:17]
	s_cbranch_execz .LBB130_35
; %bb.73:                               ;   in Loop: Header=BB130_36 Depth=2
	v_mov_b32_e32 v61, s96
	s_andn2_b64 vcc, exec, s[72:73]
	ds_write_b64 v61, v[24:25]
	s_cbranch_vccnz .LBB130_35
; %bb.74:                               ;   in Loop: Header=BB130_36 Depth=2
	s_mov_b32 s79, s59
	s_lshl_b64 s[54:55], s[78:79], 2
	s_add_u32 s54, s45, s54
	s_addc_u32 s55, s49, s55
	global_store_dword v3, v37, s[54:55]
	s_branch .LBB130_35
.LBB130_75:                             ;   in Loop: Header=BB130_11 Depth=1
	s_waitcnt lgkmcnt(0)
	; wave barrier
	ds_write2_b32 v45, v18, v19 offset1:1
	ds_write2_b32 v45, v16, v17 offset0:2 offset1:3
	; wave barrier
	ds_read_b32 v13, v42 offset:256
	ds_read_b32 v7, v43 offset:512
	ds_read_b32 v6, v44 offset:768
	s_mov_b32 s69, s59
	v_lshl_add_u64 v[4:5], s[68:69], 2, v[0:1]
	s_and_saveexec_b64 s[26:27], s[18:19]
	s_cbranch_execnz .LBB130_81
; %bb.76:                               ;   in Loop: Header=BB130_11 Depth=1
	s_or_b64 exec, exec, s[26:27]
	s_and_saveexec_b64 s[18:19], s[20:21]
	s_cbranch_execnz .LBB130_82
.LBB130_77:                             ;   in Loop: Header=BB130_11 Depth=1
	s_or_b64 exec, exec, s[18:19]
	s_and_saveexec_b64 s[18:19], s[22:23]
	s_cbranch_execnz .LBB130_83
.LBB130_78:                             ;   in Loop: Header=BB130_11 Depth=1
	s_or_b64 exec, exec, s[18:19]
	s_and_saveexec_b64 s[18:19], s[24:25]
	s_cbranch_execz .LBB130_10
	s_branch .LBB130_84
.LBB130_79:                             ;   in Loop: Header=BB130_11 Depth=1
	global_load_dword v17, v[14:15], off offset:256
	s_or_b64 exec, exec, s[26:27]
	s_and_saveexec_b64 s[26:27], s[22:23]
	s_cbranch_execz .LBB130_23
.LBB130_80:                             ;   in Loop: Header=BB130_11 Depth=1
	global_load_dword v16, v[14:15], off offset:512
	s_or_b64 exec, exec, s[26:27]
	v_mov_b32_e32 v18, 0
	s_and_saveexec_b64 s[26:27], s[24:25]
	s_cbranch_execnz .LBB130_24
	s_branch .LBB130_25
.LBB130_81:                             ;   in Loop: Header=BB130_11 Depth=1
	ds_read_b32 v14, v41
	s_waitcnt lgkmcnt(0)
	global_store_dword v[4:5], v14, off
	s_or_b64 exec, exec, s[26:27]
	s_and_saveexec_b64 s[18:19], s[20:21]
	s_cbranch_execz .LBB130_77
.LBB130_82:                             ;   in Loop: Header=BB130_11 Depth=1
	s_waitcnt lgkmcnt(2)
	global_store_dword v[4:5], v13, off offset:256
	s_or_b64 exec, exec, s[18:19]
	s_and_saveexec_b64 s[18:19], s[22:23]
	s_cbranch_execz .LBB130_78
.LBB130_83:                             ;   in Loop: Header=BB130_11 Depth=1
	s_waitcnt lgkmcnt(1)
	global_store_dword v[4:5], v7, off offset:512
	s_or_b64 exec, exec, s[18:19]
	s_and_saveexec_b64 s[18:19], s[24:25]
	s_cbranch_execz .LBB130_10
.LBB130_84:                             ;   in Loop: Header=BB130_11 Depth=1
	s_waitcnt lgkmcnt(0)
	global_store_dword v[4:5], v6, off offset:768
	s_branch .LBB130_10
.LBB130_85:
	s_endpgm
.LBB130_86:
	s_mov_b64 s[56:57], 0
	s_load_dwordx2 s[4:5], s[0:1], 0x20
	s_cmp_eq_u64 s[6:7], 0
	s_cbranch_scc0 .LBB130_2
	s_branch .LBB130_3
	.section	.rodata,"a",@progbits
	.p2align	6, 0x0
	.amdhsa_kernel _Z25selective_scan_fwd_kernelI32Selective_Scan_fwd_kernel_traitsILi64ELi4ELi1ELb1ELb1ELb1ELb0ELb1EfffEEv13SSMParamsBase
		.amdhsa_group_segment_fixed_size 0
		.amdhsa_private_segment_fixed_size 0
		.amdhsa_kernarg_size 248
		.amdhsa_user_sgpr_count 2
		.amdhsa_user_sgpr_dispatch_ptr 0
		.amdhsa_user_sgpr_queue_ptr 0
		.amdhsa_user_sgpr_kernarg_segment_ptr 1
		.amdhsa_user_sgpr_dispatch_id 0
		.amdhsa_user_sgpr_kernarg_preload_length 0
		.amdhsa_user_sgpr_kernarg_preload_offset 0
		.amdhsa_user_sgpr_private_segment_size 0
		.amdhsa_uses_dynamic_stack 0
		.amdhsa_enable_private_segment 0
		.amdhsa_system_sgpr_workgroup_id_x 1
		.amdhsa_system_sgpr_workgroup_id_y 1
		.amdhsa_system_sgpr_workgroup_id_z 0
		.amdhsa_system_sgpr_workgroup_info 0
		.amdhsa_system_vgpr_workitem_id 0
		.amdhsa_next_free_vgpr 67
		.amdhsa_next_free_sgpr 100
		.amdhsa_accum_offset 68
		.amdhsa_reserve_vcc 1
		.amdhsa_float_round_mode_32 0
		.amdhsa_float_round_mode_16_64 0
		.amdhsa_float_denorm_mode_32 3
		.amdhsa_float_denorm_mode_16_64 3
		.amdhsa_dx10_clamp 1
		.amdhsa_ieee_mode 1
		.amdhsa_fp16_overflow 0
		.amdhsa_tg_split 0
		.amdhsa_exception_fp_ieee_invalid_op 0
		.amdhsa_exception_fp_denorm_src 0
		.amdhsa_exception_fp_ieee_div_zero 0
		.amdhsa_exception_fp_ieee_overflow 0
		.amdhsa_exception_fp_ieee_underflow 0
		.amdhsa_exception_fp_ieee_inexact 0
		.amdhsa_exception_int_div_zero 0
	.end_amdhsa_kernel
	.section	.text._Z25selective_scan_fwd_kernelI32Selective_Scan_fwd_kernel_traitsILi64ELi4ELi1ELb1ELb1ELb1ELb0ELb1EfffEEv13SSMParamsBase,"axG",@progbits,_Z25selective_scan_fwd_kernelI32Selective_Scan_fwd_kernel_traitsILi64ELi4ELi1ELb1ELb1ELb1ELb0ELb1EfffEEv13SSMParamsBase,comdat
.Lfunc_end130:
	.size	_Z25selective_scan_fwd_kernelI32Selective_Scan_fwd_kernel_traitsILi64ELi4ELi1ELb1ELb1ELb1ELb0ELb1EfffEEv13SSMParamsBase, .Lfunc_end130-_Z25selective_scan_fwd_kernelI32Selective_Scan_fwd_kernel_traitsILi64ELi4ELi1ELb1ELb1ELb1ELb0ELb1EfffEEv13SSMParamsBase
                                        ; -- End function
	.section	.AMDGPU.csdata,"",@progbits
; Kernel info:
; codeLenInByte = 6112
; NumSgprs: 106
; NumVgprs: 67
; NumAgprs: 0
; TotalNumVgprs: 67
; ScratchSize: 0
; MemoryBound: 0
; FloatMode: 240
; IeeeMode: 1
; LDSByteSize: 0 bytes/workgroup (compile time only)
; SGPRBlocks: 13
; VGPRBlocks: 8
; NumSGPRsForWavesPerEU: 106
; NumVGPRsForWavesPerEU: 67
; AccumOffset: 68
; Occupancy: 7
; WaveLimiterHint : 1
; COMPUTE_PGM_RSRC2:SCRATCH_EN: 0
; COMPUTE_PGM_RSRC2:USER_SGPR: 2
; COMPUTE_PGM_RSRC2:TRAP_HANDLER: 0
; COMPUTE_PGM_RSRC2:TGID_X_EN: 1
; COMPUTE_PGM_RSRC2:TGID_Y_EN: 1
; COMPUTE_PGM_RSRC2:TGID_Z_EN: 0
; COMPUTE_PGM_RSRC2:TIDIG_COMP_CNT: 0
; COMPUTE_PGM_RSRC3_GFX90A:ACCUM_OFFSET: 16
; COMPUTE_PGM_RSRC3_GFX90A:TG_SPLIT: 0
	.section	.text._Z25selective_scan_fwd_kernelI32Selective_Scan_fwd_kernel_traitsILi64ELi4ELi1ELb1ELb1ELb1ELb0ELb0EfffEEv13SSMParamsBase,"axG",@progbits,_Z25selective_scan_fwd_kernelI32Selective_Scan_fwd_kernel_traitsILi64ELi4ELi1ELb1ELb1ELb1ELb0ELb0EfffEEv13SSMParamsBase,comdat
	.protected	_Z25selective_scan_fwd_kernelI32Selective_Scan_fwd_kernel_traitsILi64ELi4ELi1ELb1ELb1ELb1ELb0ELb0EfffEEv13SSMParamsBase ; -- Begin function _Z25selective_scan_fwd_kernelI32Selective_Scan_fwd_kernel_traitsILi64ELi4ELi1ELb1ELb1ELb1ELb0ELb0EfffEEv13SSMParamsBase
	.globl	_Z25selective_scan_fwd_kernelI32Selective_Scan_fwd_kernel_traitsILi64ELi4ELi1ELb1ELb1ELb1ELb0ELb0EfffEEv13SSMParamsBase
	.p2align	8
	.type	_Z25selective_scan_fwd_kernelI32Selective_Scan_fwd_kernel_traitsILi64ELi4ELi1ELb1ELb1ELb1ELb0ELb0EfffEEv13SSMParamsBase,@function
_Z25selective_scan_fwd_kernelI32Selective_Scan_fwd_kernel_traitsILi64ELi4ELi1ELb1ELb1ELb1ELb0ELb0EfffEEv13SSMParamsBase: ; @_Z25selective_scan_fwd_kernelI32Selective_Scan_fwd_kernel_traitsILi64ELi4ELi1ELb1ELb1ELb1ELb0ELb0EfffEEv13SSMParamsBase
; %bb.0:
	s_load_dword s25, s[0:1], 0x18
	s_load_dwordx4 s[4:7], s[0:1], 0xe8
	s_mov_b32 s20, s3
	s_waitcnt lgkmcnt(0)
	s_abs_i32 s24, s25
	v_cvt_f32_u32_e32 v1, s24
	s_cmp_eq_u64 s[6:7], 0
	v_rcp_iflag_f32_e32 v1, v1
	s_nop 0
	v_mul_f32_e32 v1, 0x4f7ffffe, v1
	v_cvt_u32_f32_e32 v1, v1
	s_nop 0
	v_readfirstlane_b32 s26, v1
	s_cbranch_scc1 .LBB131_3
; %bb.1:
	s_ashr_i32 s3, s2, 31
	s_add_u32 s6, s6, s2
	s_addc_u32 s7, s7, s3
	v_mov_b32_e32 v1, 0
	global_load_ubyte v1, v1, s[6:7]
	s_waitcnt vmcnt(0)
	v_and_b32_e32 v1, 1, v1
	v_cmp_eq_u32_e64 s[34:35], 1, v1
	s_load_dwordx2 s[6:7], s[0:1], 0x20
	s_cmp_eq_u64 s[4:5], 0
	s_cbranch_scc1 .LBB131_4
.LBB131_2:
	s_ashr_i32 s3, s2, 31
	s_lshl_b64 s[8:9], s[2:3], 2
	s_add_u32 s4, s4, s8
	s_addc_u32 s5, s5, s9
	s_load_dword s22, s[4:5], 0x0
	s_waitcnt lgkmcnt(0)
	s_ashr_i32 s23, s22, 31
	s_cmp_eq_u64 s[6:7], s[22:23]
	s_cbranch_scc0 .LBB131_5
	s_branch .LBB131_48
.LBB131_3:
	s_mov_b64 s[34:35], 0
	s_load_dwordx2 s[6:7], s[0:1], 0x20
	s_cmp_eq_u64 s[4:5], 0
	s_cbranch_scc0 .LBB131_2
.LBB131_4:
	s_mov_b32 s22, s2
	s_ashr_i32 s23, s22, 31
	s_waitcnt lgkmcnt(0)
	s_cmp_eq_u64 s[6:7], s[22:23]
	s_cbranch_scc1 .LBB131_48
.LBB131_5:
	s_load_dwordx16 s[4:19], s[0:1], 0x88
	s_load_dwordx2 s[48:49], s[0:1], 0x8
	s_mov_b32 s33, 0
	s_mov_b32 s72, 0
	s_waitcnt lgkmcnt(0)
	s_cmp_eq_u64 s[10:11], 0
	s_cbranch_scc1 .LBB131_7
; %bb.6:
	s_ashr_i32 s21, s20, 31
	s_lshl_b64 s[28:29], s[20:21], 2
	s_add_u32 s10, s10, s28
	s_addc_u32 s11, s11, s29
	s_load_dword s72, s[10:11], 0x0
.LBB131_7:
	s_cmp_eq_u64 s[16:17], 0
	s_cbranch_scc1 .LBB131_9
; %bb.8:
	s_ashr_i32 s21, s20, 31
	s_lshl_b64 s[10:11], s[20:21], 2
	s_add_u32 s10, s16, s10
	s_addc_u32 s11, s17, s11
	s_load_dword s33, s[10:11], 0x0
.LBB131_9:
	s_cmp_lt_i32 s48, 1
	s_cbranch_scc1 .LBB131_48
; %bb.10:
	s_sub_i32 s3, 0, s24
	s_mul_i32 s3, s3, s26
	s_mul_hi_u32 s3, s26, s3
	s_abs_i32 s21, s20
	s_add_i32 s3, s26, s3
	s_load_dwordx8 s[36:43], s[0:1], 0x2c
	s_load_dwordx2 s[16:17], s[0:1], 0x5c
	s_load_dwordx4 s[28:31], s[0:1], 0x4c
	s_load_dwordx4 s[44:47], s[0:1], 0x7c
	s_load_dwordx2 s[10:11], s[0:1], 0x6c
	s_load_dwordx2 s[26:27], s[0:1], 0xc8
	s_mul_hi_u32 s3, s21, s3
	s_load_dword s23, s[0:1], 0x28
	s_ashr_i32 s0, s20, 31
	s_ashr_i32 s1, s25, 31
	s_xor_b32 s0, s0, s1
	s_mul_i32 s1, s3, s24
	s_sub_i32 s1, s21, s1
	s_add_i32 s21, s3, 1
	s_sub_i32 s25, s1, s24
	s_cmp_ge_u32 s1, s24
	s_cselect_b32 s3, s21, s3
	s_cselect_b32 s1, s25, s1
	s_add_i32 s21, s3, 1
	s_cmp_ge_u32 s1, s24
	s_cselect_b32 s1, s21, s3
	s_xor_b32 s1, s1, s0
	s_waitcnt lgkmcnt(0)
	s_mul_i32 s50, s30, s2
	s_mov_b32 s51, 0
	s_sub_i32 s3, s1, s0
	s_lshl_b64 s[0:1], s[50:51], 2
	s_add_u32 s12, s12, s0
	s_mul_i32 s50, s31, s20
	s_addc_u32 s13, s13, s1
	s_lshl_b64 s[0:1], s[50:51], 2
	s_add_u32 s30, s12, s0
	s_mul_i32 s50, s16, s2
	s_addc_u32 s31, s13, s1
	s_lshl_b64 s[0:1], s[50:51], 2
	s_add_u32 s12, s14, s0
	s_mul_i32 s50, s17, s20
	s_addc_u32 s13, s15, s1
	s_lshl_b64 s[0:1], s[50:51], 2
	s_add_u32 s52, s12, s0
	s_mul_i32 s50, s36, s20
	s_addc_u32 s53, s13, s1
	s_lshl_b64 s[0:1], s[50:51], 2
	s_add_u32 s36, s4, s0
	s_mul_i32 s50, s38, s2
	s_addc_u32 s47, s5, s1
	s_lshl_b64 s[0:1], s[50:51], 2
	s_add_u32 s4, s6, s0
	s_mul_i32 s50, s3, s41
	s_addc_u32 s5, s7, s1
	s_lshl_b64 s[0:1], s[50:51], 2
	s_add_u32 s38, s4, s0
	s_mul_i32 s50, s42, s2
	s_addc_u32 s39, s5, s1
	s_lshl_b64 s[0:1], s[50:51], 2
	s_add_u32 s4, s8, s0
	s_mul_i32 s50, s3, s29
	s_addc_u32 s5, s9, s1
	s_lshl_b64 s[0:1], s[50:51], 2
	s_add_u32 s42, s4, s0
	s_mul_i32 s50, s22, s44
	s_addc_u32 s43, s5, s1
	s_lshl_b64 s[0:1], s[50:51], 2
	s_add_u32 s3, s26, s0
	s_mul_i32 s50, s45, s20
	s_addc_u32 s4, s27, s1
	s_lshl_b64 s[0:1], s[50:51], 2
	s_add_u32 s29, s3, s0
	s_addc_u32 s41, s4, s1
	s_add_i32 s0, s48, 0x7ff
	s_lshr_b32 s73, s0, 11
	s_bitcmp1_b32 s23, 0
	s_cselect_b64 s[44:45], -1, 0
	s_cmp_gt_i32 s49, 0
	s_mul_i32 s50, s10, s2
	s_cselect_b64 s[54:55], -1, 0
	s_and_b32 s4, s48, 0xff
	s_add_i32 s74, s73, -1
	s_lshl_b64 s[2:3], s[50:51], 2
	s_add_u32 s5, s18, s2
	s_mul_i32 s50, s11, s20
	s_addc_u32 s7, s19, s3
	s_lshl_b64 s[2:3], s[50:51], 2
	s_add_u32 s6, s5, s2
	v_mov_b32_e32 v21, 0
	s_addc_u32 s7, s7, s3
	v_lshlrev_b32_e32 v20, 4, v0
	v_cmp_gt_u32_e64 s[0:1], 64, v0
	s_cmp_eq_u32 s4, 0
	v_lshlrev_b32_e32 v44, 2, v0
	v_cmp_eq_u32_e64 s[2:3], 63, v0
	v_cmp_eq_u32_e64 s[4:5], 0, v0
	v_lshl_add_u64 v[22:23], s[6:7], 0, v[20:21]
	v_lshlrev_b32_e32 v20, 4, v0
	v_mbcnt_lo_u32_b32 v0, -1, 0
	s_cselect_b64 s[56:57], -1, 0
	v_or_b32_e32 v25, 1, v44
	v_or_b32_e32 v24, 2, v44
	;; [unrolled: 1-line block ×3, first 2 shown]
	s_mov_b32 s75, 0x41a00000
	s_mov_b32 s76, 0x3fb8aa3b
	;; [unrolled: 1-line block ×6, first 2 shown]
	v_mov_b32_e32 v46, 0x3ecc95a3
                                        ; implicit-def: $vgpr1
	s_mov_b32 s81, 0x3f317218
	s_mov_b32 s82, 0x33800000
	s_add_i32 s83, 0, 0x848
	s_mov_b32 s84, 0xc2fc0000
	v_mov_b32_e32 v47, 0x7f800000
	v_mov_b32_e32 v26, 0x3f317218
	v_mbcnt_hi_u32_b32 v48, -1, v0
	v_mov_b32_e32 v49, 0x42800000
	v_mov_b32_e32 v50, 0x1f800000
	s_mov_b32 s85, 0
                                        ; implicit-def: $vgpr6_vgpr7
                                        ; implicit-def: $vgpr0_vgpr1
	s_branch .LBB131_12
.LBB131_11:                             ;   in Loop: Header=BB131_12 Depth=1
	s_add_u32 s52, s52, 0x400
	s_addc_u32 s53, s53, 0
	s_add_u32 s30, s30, 0x400
	s_addc_u32 s31, s31, 0
	;; [unrolled: 2-line block ×3, first 2 shown]
	s_add_u32 s42, s42, 0x400
	s_mov_b32 s59, s51
	s_addc_u32 s43, s43, 0
	s_add_i32 s85, s85, 1
	v_lshl_add_u64 v[12:13], s[58:59], 2, v[22:23]
	s_cmp_eq_u32 s85, s73
	s_waitcnt lgkmcnt(0)
	; wave barrier
	global_store_dwordx4 v[12:13], v[8:11], off
	s_cbranch_scc1 .LBB131_48
.LBB131_12:                             ; =>This Loop Header: Depth=1
                                        ;     Child Loop BB131_25 Depth 2
	s_waitcnt lgkmcnt(0)
	; wave barrier
	s_and_saveexec_b64 s[6:7], s[0:1]
	s_cbranch_execz .LBB131_14
; %bb.13:                               ;   in Loop: Header=BB131_12 Depth=1
	global_load_dwordx4 v[0:3], v20, s[30:31]
	global_load_dwordx4 v[4:7], v20, s[52:53]
.LBB131_14:                             ;   in Loop: Header=BB131_12 Depth=1
	s_or_b64 exec, exec, s[6:7]
	s_waitcnt vmcnt(0)
	v_add_f32_e32 v51, s33, v4
	v_cmp_ge_f32_e32 vcc, s75, v51
	s_and_b64 s[6:7], s[44:45], vcc
	s_and_saveexec_b64 s[8:9], s[6:7]
	s_cbranch_execz .LBB131_16
; %bb.15:                               ;   in Loop: Header=BB131_12 Depth=1
	v_mul_f32_e32 v8, 0x3fb8aa3b, v51
	v_rndne_f32_e32 v9, v8
	v_sub_f32_e32 v10, v8, v9
	v_fma_f32 v8, v51, s76, -v8
	v_fmac_f32_e32 v8, 0x32a5705f, v51
	v_add_f32_e32 v8, v10, v8
	v_cvt_i32_f32_e32 v9, v9
	v_exp_f32_e32 v8, v8
	v_cmp_ngt_f32_e32 vcc, s77, v51
	v_ldexp_f32 v8, v8, v9
	s_nop 0
	v_cndmask_b32_e32 v8, 0, v8, vcc
	v_cmp_nlt_f32_e32 vcc, s78, v51
	s_nop 1
	v_cndmask_b32_e32 v32, v47, v8, vcc
	v_add_f32_e32 v10, 1.0, v32
	v_add_f32_e32 v8, -1.0, v10
	v_sub_f32_e32 v9, v8, v10
	v_add_f32_e32 v9, 1.0, v9
	v_sub_f32_e32 v8, v32, v8
	v_add_f32_e32 v11, v8, v9
	v_frexp_mant_f32_e32 v12, v10
	v_cvt_f64_f32_e32 v[8:9], v10
	v_frexp_exp_i32_f64_e32 v8, v[8:9]
	v_cmp_gt_f32_e32 vcc, s80, v12
	v_cmp_gt_f32_e64 s[6:7], s82, v32
	s_nop 0
	v_subbrev_co_u32_e32 v16, vcc, 0, v8, vcc
	v_sub_u32_e32 v8, 0, v16
	v_ldexp_f32 v9, v10, v8
	v_add_f32_e32 v10, -1.0, v9
	v_add_f32_e32 v12, 1.0, v9
	v_ldexp_f32 v8, v11, v8
	v_add_f32_e32 v11, 1.0, v10
	v_add_f32_e32 v13, -1.0, v12
	v_sub_f32_e32 v11, v9, v11
	v_sub_f32_e32 v9, v9, v13
	v_add_f32_e32 v11, v8, v11
	v_add_f32_e32 v8, v8, v9
	;; [unrolled: 1-line block ×3, first 2 shown]
	v_rcp_f32_e32 v19, v17
	v_sub_f32_e32 v9, v12, v17
	v_add_f32_e32 v18, v8, v9
	v_add_f32_e32 v9, v10, v11
	v_mul_f32_e32 v28, v9, v19
	v_sub_f32_e32 v8, v10, v9
	v_mul_f32_e32 v10, v17, v28
	v_fma_f32 v12, v28, v17, -v10
	v_fmac_f32_e32 v12, v28, v18
	v_add_f32_e32 v27, v11, v8
	v_add_f32_e32 v8, v10, v12
	v_sub_f32_e32 v11, v9, v8
	v_pk_add_f32 v[14:15], v[8:9], v[10:11] neg_lo:[0,1] neg_hi:[0,1]
	v_mov_b32_e32 v13, v8
	v_pk_add_f32 v[8:9], v[14:15], v[12:13] neg_lo:[0,1] neg_hi:[0,1]
	v_cmp_eq_f32_e32 vcc, s79, v32
	v_add_f32_e32 v9, v27, v9
	v_add_f32_e32 v8, v8, v9
	;; [unrolled: 1-line block ×3, first 2 shown]
	v_mul_f32_e32 v27, v19, v9
	v_mul_f32_e32 v10, v17, v27
	v_fma_f32 v12, v27, v17, -v10
	v_fmac_f32_e32 v12, v27, v18
	v_sub_f32_e32 v11, v11, v9
	v_add_f32_e32 v17, v8, v11
	v_add_f32_e32 v8, v10, v12
	v_sub_f32_e32 v11, v9, v8
	v_pk_add_f32 v[14:15], v[8:9], v[10:11] neg_lo:[0,1] neg_hi:[0,1]
	v_mov_b32_e32 v13, v8
	v_pk_add_f32 v[8:9], v[14:15], v[12:13] neg_lo:[0,1] neg_hi:[0,1]
	s_or_b64 vcc, s[6:7], vcc
	v_add_f32_e32 v9, v17, v9
	v_add_f32_e32 v8, v8, v9
	;; [unrolled: 1-line block ×4, first 2 shown]
	v_sub_f32_e32 v10, v9, v28
	v_mul_f32_e32 v8, v19, v8
	v_sub_f32_e32 v10, v27, v10
	v_add_f32_e32 v10, v10, v8
	v_add_f32_e32 v12, v9, v10
	v_mul_f32_e32 v13, v12, v12
	v_fmamk_f32 v8, v13, 0x3e9b6dac, v46
	v_fmaak_f32 v27, v13, v8, 0x3f2aaada
	v_cvt_f32_i32_e32 v8, v16
	v_sub_f32_e32 v9, v12, v9
	v_sub_f32_e32 v9, v10, v9
	v_ldexp_f32 v14, v9, 1
	v_mul_f32_e32 v9, v12, v13
	v_ldexp_f32 v11, v12, 1
	v_pk_mul_f32 v[12:13], v[8:9], v[26:27]
	s_nop 0
	v_fma_f32 v10, v8, s81, -v12
	v_fmac_f32_e32 v10, 0xb102e308, v8
	v_pk_add_f32 v[8:9], v[12:13], v[10:11]
	s_nop 0
	v_sub_f32_e32 v11, v9, v11
	v_sub_f32_e32 v11, v13, v11
	v_add_f32_e32 v15, v14, v11
	v_mov_b32_e32 v14, v12
	v_pk_add_f32 v[12:13], v[8:9], v[12:13] neg_lo:[0,1] neg_hi:[0,1]
	v_pk_add_f32 v[16:17], v[8:9], v[14:15]
	v_mov_b32_e32 v11, v8
	v_mov_b32_e32 v13, v17
	v_pk_add_f32 v[18:19], v[10:11], v[12:13] neg_lo:[0,1] neg_hi:[0,1]
	v_pk_add_f32 v[10:11], v[10:11], v[12:13]
	v_mov_b32_e32 v14, v15
	v_mov_b32_e32 v12, v11
	v_pk_add_f32 v[28:29], v[12:13], v[8:9] neg_lo:[0,1] neg_hi:[0,1]
	v_mov_b32_e32 v10, v17
	v_mov_b32_e32 v13, v28
	v_pk_add_f32 v[30:31], v[16:17], v[12:13] neg_lo:[0,1] neg_hi:[0,1]
	v_mov_b32_e32 v16, v9
	v_mov_b32_e32 v17, v28
	;; [unrolled: 1-line block ×3, first 2 shown]
	v_pk_add_f32 v[10:11], v[10:11], v[16:17] neg_lo:[0,1] neg_hi:[0,1]
	v_mov_b32_e32 v15, v8
	v_pk_add_f32 v[8:9], v[14:15], v[10:11] neg_lo:[0,1] neg_hi:[0,1]
	v_mov_b32_e32 v30, v18
	v_pk_add_f32 v[10:11], v[30:31], v[8:9]
	s_nop 0
	v_mov_b32_e32 v14, v11
	v_pk_add_f32 v[14:15], v[10:11], v[14:15]
	s_nop 0
	v_pk_add_f32 v[12:13], v[12:13], v[14:15]
	v_mov_b32_e32 v9, v14
	v_mov_b32_e32 v11, v12
	v_pk_add_f32 v[16:17], v[10:11], v[18:19] neg_lo:[0,1] neg_hi:[0,1]
	s_nop 0
	v_sub_f32_e32 v10, v10, v16
	v_pk_add_f32 v[8:9], v[8:9], v[16:17] neg_lo:[0,1] neg_hi:[0,1]
	v_sub_f32_e32 v10, v18, v10
	v_add_f32_e32 v8, v8, v10
	v_add_f32_e32 v8, v8, v9
	;; [unrolled: 1-line block ×3, first 2 shown]
	v_cndmask_b32_e32 v51, v8, v32, vcc
.LBB131_16:                             ;   in Loop: Header=BB131_12 Depth=1
	s_or_b64 exec, exec, s[8:9]
	v_add_f32_e32 v52, s33, v5
	v_cmp_ge_f32_e32 vcc, s75, v52
	s_and_b64 s[6:7], s[44:45], vcc
	s_and_saveexec_b64 s[8:9], s[6:7]
	s_cbranch_execz .LBB131_18
; %bb.17:                               ;   in Loop: Header=BB131_12 Depth=1
	v_mul_f32_e32 v8, 0x3fb8aa3b, v52
	v_rndne_f32_e32 v9, v8
	v_sub_f32_e32 v10, v8, v9
	v_fma_f32 v8, v52, s76, -v8
	v_fmac_f32_e32 v8, 0x32a5705f, v52
	v_add_f32_e32 v8, v10, v8
	v_cvt_i32_f32_e32 v9, v9
	v_exp_f32_e32 v8, v8
	v_cmp_ngt_f32_e32 vcc, s77, v52
	v_ldexp_f32 v8, v8, v9
	s_nop 0
	v_cndmask_b32_e32 v8, 0, v8, vcc
	v_cmp_nlt_f32_e32 vcc, s78, v52
	s_nop 1
	v_cndmask_b32_e32 v32, v47, v8, vcc
	v_add_f32_e32 v10, 1.0, v32
	v_add_f32_e32 v8, -1.0, v10
	v_sub_f32_e32 v9, v8, v10
	v_add_f32_e32 v9, 1.0, v9
	v_sub_f32_e32 v8, v32, v8
	v_add_f32_e32 v11, v8, v9
	v_frexp_mant_f32_e32 v12, v10
	v_cvt_f64_f32_e32 v[8:9], v10
	v_frexp_exp_i32_f64_e32 v8, v[8:9]
	v_cmp_gt_f32_e32 vcc, s80, v12
	v_cmp_gt_f32_e64 s[6:7], s82, v32
	s_nop 0
	v_subbrev_co_u32_e32 v16, vcc, 0, v8, vcc
	v_sub_u32_e32 v8, 0, v16
	v_ldexp_f32 v9, v10, v8
	v_add_f32_e32 v10, -1.0, v9
	v_add_f32_e32 v12, 1.0, v9
	v_ldexp_f32 v8, v11, v8
	v_add_f32_e32 v11, 1.0, v10
	v_add_f32_e32 v13, -1.0, v12
	v_sub_f32_e32 v11, v9, v11
	v_sub_f32_e32 v9, v9, v13
	v_add_f32_e32 v11, v8, v11
	v_add_f32_e32 v8, v8, v9
	;; [unrolled: 1-line block ×3, first 2 shown]
	v_rcp_f32_e32 v19, v17
	v_sub_f32_e32 v9, v12, v17
	v_add_f32_e32 v18, v8, v9
	v_add_f32_e32 v9, v10, v11
	v_mul_f32_e32 v28, v9, v19
	v_sub_f32_e32 v8, v10, v9
	v_mul_f32_e32 v10, v17, v28
	v_fma_f32 v12, v28, v17, -v10
	v_fmac_f32_e32 v12, v28, v18
	v_add_f32_e32 v27, v11, v8
	v_add_f32_e32 v8, v10, v12
	v_sub_f32_e32 v11, v9, v8
	v_pk_add_f32 v[14:15], v[8:9], v[10:11] neg_lo:[0,1] neg_hi:[0,1]
	v_mov_b32_e32 v13, v8
	v_pk_add_f32 v[8:9], v[14:15], v[12:13] neg_lo:[0,1] neg_hi:[0,1]
	v_cmp_eq_f32_e32 vcc, s79, v32
	v_add_f32_e32 v9, v27, v9
	v_add_f32_e32 v8, v8, v9
	;; [unrolled: 1-line block ×3, first 2 shown]
	v_mul_f32_e32 v27, v19, v9
	v_mul_f32_e32 v10, v17, v27
	v_fma_f32 v12, v27, v17, -v10
	v_fmac_f32_e32 v12, v27, v18
	v_sub_f32_e32 v11, v11, v9
	v_add_f32_e32 v17, v8, v11
	v_add_f32_e32 v8, v10, v12
	v_sub_f32_e32 v11, v9, v8
	v_pk_add_f32 v[14:15], v[8:9], v[10:11] neg_lo:[0,1] neg_hi:[0,1]
	v_mov_b32_e32 v13, v8
	v_pk_add_f32 v[8:9], v[14:15], v[12:13] neg_lo:[0,1] neg_hi:[0,1]
	s_or_b64 vcc, s[6:7], vcc
	v_add_f32_e32 v9, v17, v9
	v_add_f32_e32 v8, v8, v9
	v_add_f32_e32 v9, v28, v27
	v_add_f32_e32 v8, v11, v8
	v_sub_f32_e32 v10, v9, v28
	v_mul_f32_e32 v8, v19, v8
	v_sub_f32_e32 v10, v27, v10
	v_add_f32_e32 v10, v10, v8
	v_add_f32_e32 v12, v9, v10
	v_mul_f32_e32 v13, v12, v12
	v_fmamk_f32 v8, v13, 0x3e9b6dac, v46
	v_fmaak_f32 v27, v13, v8, 0x3f2aaada
	v_cvt_f32_i32_e32 v8, v16
	v_sub_f32_e32 v9, v12, v9
	v_sub_f32_e32 v9, v10, v9
	v_ldexp_f32 v14, v9, 1
	v_mul_f32_e32 v9, v12, v13
	v_ldexp_f32 v11, v12, 1
	v_pk_mul_f32 v[12:13], v[8:9], v[26:27]
	s_nop 0
	v_fma_f32 v10, v8, s81, -v12
	v_fmac_f32_e32 v10, 0xb102e308, v8
	v_pk_add_f32 v[8:9], v[12:13], v[10:11]
	s_nop 0
	v_sub_f32_e32 v11, v9, v11
	v_sub_f32_e32 v11, v13, v11
	v_add_f32_e32 v15, v14, v11
	v_mov_b32_e32 v14, v12
	v_pk_add_f32 v[12:13], v[8:9], v[12:13] neg_lo:[0,1] neg_hi:[0,1]
	v_pk_add_f32 v[16:17], v[8:9], v[14:15]
	v_mov_b32_e32 v11, v8
	v_mov_b32_e32 v13, v17
	v_pk_add_f32 v[18:19], v[10:11], v[12:13] neg_lo:[0,1] neg_hi:[0,1]
	v_pk_add_f32 v[10:11], v[10:11], v[12:13]
	v_mov_b32_e32 v14, v15
	v_mov_b32_e32 v12, v11
	v_pk_add_f32 v[28:29], v[12:13], v[8:9] neg_lo:[0,1] neg_hi:[0,1]
	v_mov_b32_e32 v10, v17
	v_mov_b32_e32 v13, v28
	v_pk_add_f32 v[30:31], v[16:17], v[12:13] neg_lo:[0,1] neg_hi:[0,1]
	v_mov_b32_e32 v16, v9
	v_mov_b32_e32 v17, v28
	;; [unrolled: 1-line block ×3, first 2 shown]
	v_pk_add_f32 v[10:11], v[10:11], v[16:17] neg_lo:[0,1] neg_hi:[0,1]
	v_mov_b32_e32 v15, v8
	v_pk_add_f32 v[8:9], v[14:15], v[10:11] neg_lo:[0,1] neg_hi:[0,1]
	v_mov_b32_e32 v30, v18
	v_pk_add_f32 v[10:11], v[30:31], v[8:9]
	s_nop 0
	v_mov_b32_e32 v14, v11
	v_pk_add_f32 v[14:15], v[10:11], v[14:15]
	s_nop 0
	v_pk_add_f32 v[12:13], v[12:13], v[14:15]
	v_mov_b32_e32 v9, v14
	v_mov_b32_e32 v11, v12
	v_pk_add_f32 v[16:17], v[10:11], v[18:19] neg_lo:[0,1] neg_hi:[0,1]
	s_nop 0
	v_sub_f32_e32 v10, v10, v16
	v_pk_add_f32 v[8:9], v[8:9], v[16:17] neg_lo:[0,1] neg_hi:[0,1]
	v_sub_f32_e32 v10, v18, v10
	v_add_f32_e32 v8, v8, v10
	v_add_f32_e32 v8, v8, v9
	;; [unrolled: 1-line block ×3, first 2 shown]
	v_cndmask_b32_e32 v52, v8, v32, vcc
.LBB131_18:                             ;   in Loop: Header=BB131_12 Depth=1
	s_or_b64 exec, exec, s[8:9]
	v_add_f32_e32 v29, s33, v6
	v_cmp_ge_f32_e32 vcc, s75, v29
	s_and_b64 s[6:7], s[44:45], vcc
	s_and_saveexec_b64 s[8:9], s[6:7]
	s_cbranch_execz .LBB131_20
; %bb.19:                               ;   in Loop: Header=BB131_12 Depth=1
	v_mul_f32_e32 v8, 0x3fb8aa3b, v29
	v_rndne_f32_e32 v9, v8
	v_sub_f32_e32 v10, v8, v9
	v_fma_f32 v8, v29, s76, -v8
	v_fmac_f32_e32 v8, 0x32a5705f, v29
	v_add_f32_e32 v8, v10, v8
	v_cvt_i32_f32_e32 v9, v9
	v_exp_f32_e32 v8, v8
	v_cmp_ngt_f32_e32 vcc, s77, v29
	v_ldexp_f32 v8, v8, v9
	s_nop 0
	v_cndmask_b32_e32 v8, 0, v8, vcc
	v_cmp_nlt_f32_e32 vcc, s78, v29
	s_nop 1
	v_cndmask_b32_e32 v32, v47, v8, vcc
	v_add_f32_e32 v10, 1.0, v32
	v_add_f32_e32 v8, -1.0, v10
	v_sub_f32_e32 v9, v8, v10
	v_add_f32_e32 v9, 1.0, v9
	v_sub_f32_e32 v8, v32, v8
	v_add_f32_e32 v11, v8, v9
	v_frexp_mant_f32_e32 v12, v10
	v_cvt_f64_f32_e32 v[8:9], v10
	v_frexp_exp_i32_f64_e32 v8, v[8:9]
	v_cmp_gt_f32_e32 vcc, s80, v12
	v_cmp_gt_f32_e64 s[6:7], s82, v32
	s_nop 0
	v_subbrev_co_u32_e32 v16, vcc, 0, v8, vcc
	v_sub_u32_e32 v8, 0, v16
	v_ldexp_f32 v9, v10, v8
	v_add_f32_e32 v10, -1.0, v9
	v_add_f32_e32 v12, 1.0, v9
	v_ldexp_f32 v8, v11, v8
	v_add_f32_e32 v11, 1.0, v10
	v_add_f32_e32 v13, -1.0, v12
	v_sub_f32_e32 v11, v9, v11
	v_sub_f32_e32 v9, v9, v13
	v_add_f32_e32 v11, v8, v11
	v_add_f32_e32 v8, v8, v9
	v_add_f32_e32 v17, v12, v8
	v_rcp_f32_e32 v19, v17
	v_sub_f32_e32 v9, v12, v17
	v_add_f32_e32 v18, v8, v9
	v_add_f32_e32 v9, v10, v11
	v_mul_f32_e32 v28, v9, v19
	v_sub_f32_e32 v8, v10, v9
	v_mul_f32_e32 v10, v17, v28
	v_fma_f32 v12, v28, v17, -v10
	v_fmac_f32_e32 v12, v28, v18
	v_add_f32_e32 v27, v11, v8
	v_add_f32_e32 v8, v10, v12
	v_sub_f32_e32 v11, v9, v8
	v_pk_add_f32 v[14:15], v[8:9], v[10:11] neg_lo:[0,1] neg_hi:[0,1]
	v_mov_b32_e32 v13, v8
	v_pk_add_f32 v[8:9], v[14:15], v[12:13] neg_lo:[0,1] neg_hi:[0,1]
	v_cmp_eq_f32_e32 vcc, s79, v32
	v_add_f32_e32 v9, v27, v9
	v_add_f32_e32 v8, v8, v9
	;; [unrolled: 1-line block ×3, first 2 shown]
	v_mul_f32_e32 v27, v19, v9
	v_mul_f32_e32 v10, v17, v27
	v_fma_f32 v12, v27, v17, -v10
	v_fmac_f32_e32 v12, v27, v18
	v_sub_f32_e32 v11, v11, v9
	v_add_f32_e32 v17, v8, v11
	v_add_f32_e32 v8, v10, v12
	v_sub_f32_e32 v11, v9, v8
	v_pk_add_f32 v[14:15], v[8:9], v[10:11] neg_lo:[0,1] neg_hi:[0,1]
	v_mov_b32_e32 v13, v8
	v_pk_add_f32 v[8:9], v[14:15], v[12:13] neg_lo:[0,1] neg_hi:[0,1]
	s_or_b64 vcc, s[6:7], vcc
	v_add_f32_e32 v9, v17, v9
	v_add_f32_e32 v8, v8, v9
	;; [unrolled: 1-line block ×4, first 2 shown]
	v_sub_f32_e32 v10, v9, v28
	v_mul_f32_e32 v8, v19, v8
	v_sub_f32_e32 v10, v27, v10
	v_add_f32_e32 v10, v10, v8
	v_add_f32_e32 v12, v9, v10
	v_mul_f32_e32 v13, v12, v12
	v_fmamk_f32 v8, v13, 0x3e9b6dac, v46
	v_fmaak_f32 v27, v13, v8, 0x3f2aaada
	v_cvt_f32_i32_e32 v8, v16
	v_sub_f32_e32 v9, v12, v9
	v_sub_f32_e32 v9, v10, v9
	v_ldexp_f32 v14, v9, 1
	v_mul_f32_e32 v9, v12, v13
	v_ldexp_f32 v11, v12, 1
	v_pk_mul_f32 v[12:13], v[8:9], v[26:27]
	s_nop 0
	v_fma_f32 v10, v8, s81, -v12
	v_fmac_f32_e32 v10, 0xb102e308, v8
	v_pk_add_f32 v[8:9], v[12:13], v[10:11]
	s_nop 0
	v_sub_f32_e32 v11, v9, v11
	v_sub_f32_e32 v11, v13, v11
	v_add_f32_e32 v15, v14, v11
	v_mov_b32_e32 v14, v12
	v_pk_add_f32 v[12:13], v[8:9], v[12:13] neg_lo:[0,1] neg_hi:[0,1]
	v_pk_add_f32 v[16:17], v[8:9], v[14:15]
	v_mov_b32_e32 v11, v8
	v_mov_b32_e32 v13, v17
	v_pk_add_f32 v[18:19], v[10:11], v[12:13] neg_lo:[0,1] neg_hi:[0,1]
	v_pk_add_f32 v[10:11], v[10:11], v[12:13]
	v_mov_b32_e32 v14, v15
	v_mov_b32_e32 v12, v11
	v_pk_add_f32 v[28:29], v[12:13], v[8:9] neg_lo:[0,1] neg_hi:[0,1]
	v_mov_b32_e32 v10, v17
	v_mov_b32_e32 v13, v28
	v_pk_add_f32 v[30:31], v[16:17], v[12:13] neg_lo:[0,1] neg_hi:[0,1]
	v_mov_b32_e32 v16, v9
	v_mov_b32_e32 v17, v28
	;; [unrolled: 1-line block ×3, first 2 shown]
	v_pk_add_f32 v[10:11], v[10:11], v[16:17] neg_lo:[0,1] neg_hi:[0,1]
	v_mov_b32_e32 v15, v8
	v_pk_add_f32 v[8:9], v[14:15], v[10:11] neg_lo:[0,1] neg_hi:[0,1]
	v_mov_b32_e32 v30, v18
	v_pk_add_f32 v[10:11], v[30:31], v[8:9]
	s_nop 0
	v_mov_b32_e32 v14, v11
	v_pk_add_f32 v[14:15], v[10:11], v[14:15]
	s_nop 0
	v_pk_add_f32 v[12:13], v[12:13], v[14:15]
	v_mov_b32_e32 v9, v14
	v_mov_b32_e32 v11, v12
	v_pk_add_f32 v[16:17], v[10:11], v[18:19] neg_lo:[0,1] neg_hi:[0,1]
	s_nop 0
	v_sub_f32_e32 v10, v10, v16
	v_pk_add_f32 v[8:9], v[8:9], v[16:17] neg_lo:[0,1] neg_hi:[0,1]
	v_sub_f32_e32 v10, v18, v10
	v_add_f32_e32 v8, v8, v10
	v_add_f32_e32 v8, v8, v9
	;; [unrolled: 1-line block ×3, first 2 shown]
	v_cndmask_b32_e32 v29, v8, v32, vcc
.LBB131_20:                             ;   in Loop: Header=BB131_12 Depth=1
	s_or_b64 exec, exec, s[8:9]
	v_add_f32_e32 v28, s33, v7
	v_cmp_ge_f32_e32 vcc, s75, v28
	s_and_b64 s[6:7], s[44:45], vcc
	s_and_saveexec_b64 s[8:9], s[6:7]
	s_cbranch_execz .LBB131_22
; %bb.21:                               ;   in Loop: Header=BB131_12 Depth=1
	v_mul_f32_e32 v8, 0x3fb8aa3b, v28
	v_rndne_f32_e32 v9, v8
	v_sub_f32_e32 v10, v8, v9
	v_fma_f32 v8, v28, s76, -v8
	v_fmac_f32_e32 v8, 0x32a5705f, v28
	v_add_f32_e32 v8, v10, v8
	v_cvt_i32_f32_e32 v9, v9
	v_exp_f32_e32 v8, v8
	v_cmp_ngt_f32_e32 vcc, s77, v28
	v_ldexp_f32 v8, v8, v9
	s_nop 0
	v_cndmask_b32_e32 v8, 0, v8, vcc
	v_cmp_nlt_f32_e32 vcc, s78, v28
	s_nop 1
	v_cndmask_b32_e32 v28, v47, v8, vcc
	v_add_f32_e32 v10, 1.0, v28
	v_add_f32_e32 v8, -1.0, v10
	v_sub_f32_e32 v9, v8, v10
	v_add_f32_e32 v9, 1.0, v9
	v_sub_f32_e32 v8, v28, v8
	v_add_f32_e32 v11, v8, v9
	v_frexp_mant_f32_e32 v12, v10
	v_cvt_f64_f32_e32 v[8:9], v10
	v_frexp_exp_i32_f64_e32 v8, v[8:9]
	v_cmp_gt_f32_e32 vcc, s80, v12
	v_cmp_gt_f32_e64 s[6:7], s82, v28
	s_nop 0
	v_subbrev_co_u32_e32 v16, vcc, 0, v8, vcc
	v_sub_u32_e32 v8, 0, v16
	v_ldexp_f32 v9, v10, v8
	v_add_f32_e32 v10, -1.0, v9
	v_add_f32_e32 v12, 1.0, v9
	v_ldexp_f32 v8, v11, v8
	v_add_f32_e32 v11, 1.0, v10
	v_add_f32_e32 v13, -1.0, v12
	v_sub_f32_e32 v11, v9, v11
	v_sub_f32_e32 v9, v9, v13
	v_add_f32_e32 v11, v8, v11
	v_add_f32_e32 v8, v8, v9
	;; [unrolled: 1-line block ×3, first 2 shown]
	v_rcp_f32_e32 v19, v17
	v_sub_f32_e32 v9, v12, v17
	v_add_f32_e32 v18, v8, v9
	v_add_f32_e32 v9, v10, v11
	v_mul_f32_e32 v30, v9, v19
	v_sub_f32_e32 v8, v10, v9
	v_mul_f32_e32 v10, v17, v30
	v_fma_f32 v12, v30, v17, -v10
	v_fmac_f32_e32 v12, v30, v18
	v_add_f32_e32 v27, v11, v8
	v_add_f32_e32 v8, v10, v12
	v_sub_f32_e32 v11, v9, v8
	v_pk_add_f32 v[14:15], v[8:9], v[10:11] neg_lo:[0,1] neg_hi:[0,1]
	v_mov_b32_e32 v13, v8
	v_pk_add_f32 v[8:9], v[14:15], v[12:13] neg_lo:[0,1] neg_hi:[0,1]
	v_cmp_eq_f32_e32 vcc, s79, v28
	v_add_f32_e32 v9, v27, v9
	v_add_f32_e32 v8, v8, v9
	;; [unrolled: 1-line block ×3, first 2 shown]
	v_mul_f32_e32 v27, v19, v9
	v_mul_f32_e32 v10, v17, v27
	v_fma_f32 v12, v27, v17, -v10
	v_fmac_f32_e32 v12, v27, v18
	v_sub_f32_e32 v11, v11, v9
	v_add_f32_e32 v17, v8, v11
	v_add_f32_e32 v8, v10, v12
	v_sub_f32_e32 v11, v9, v8
	v_pk_add_f32 v[14:15], v[8:9], v[10:11] neg_lo:[0,1] neg_hi:[0,1]
	v_mov_b32_e32 v13, v8
	v_pk_add_f32 v[8:9], v[14:15], v[12:13] neg_lo:[0,1] neg_hi:[0,1]
	s_or_b64 vcc, s[6:7], vcc
	v_add_f32_e32 v9, v17, v9
	v_add_f32_e32 v8, v8, v9
	;; [unrolled: 1-line block ×4, first 2 shown]
	v_sub_f32_e32 v10, v9, v30
	v_mul_f32_e32 v8, v19, v8
	v_sub_f32_e32 v10, v27, v10
	v_add_f32_e32 v10, v10, v8
	v_add_f32_e32 v12, v9, v10
	v_mul_f32_e32 v13, v12, v12
	v_fmamk_f32 v8, v13, 0x3e9b6dac, v46
	v_fmaak_f32 v27, v13, v8, 0x3f2aaada
	v_cvt_f32_i32_e32 v8, v16
	v_sub_f32_e32 v9, v12, v9
	v_sub_f32_e32 v9, v10, v9
	v_ldexp_f32 v14, v9, 1
	v_mul_f32_e32 v9, v12, v13
	v_ldexp_f32 v11, v12, 1
	v_pk_mul_f32 v[12:13], v[8:9], v[26:27]
	s_nop 0
	v_fma_f32 v10, v8, s81, -v12
	v_fmac_f32_e32 v10, 0xb102e308, v8
	v_pk_add_f32 v[8:9], v[12:13], v[10:11]
	s_nop 0
	v_sub_f32_e32 v11, v9, v11
	v_sub_f32_e32 v11, v13, v11
	v_add_f32_e32 v15, v14, v11
	v_mov_b32_e32 v14, v12
	v_pk_add_f32 v[12:13], v[8:9], v[12:13] neg_lo:[0,1] neg_hi:[0,1]
	v_pk_add_f32 v[16:17], v[8:9], v[14:15]
	v_mov_b32_e32 v11, v8
	v_mov_b32_e32 v13, v17
	v_pk_add_f32 v[18:19], v[10:11], v[12:13] neg_lo:[0,1] neg_hi:[0,1]
	v_pk_add_f32 v[10:11], v[10:11], v[12:13]
	v_mov_b32_e32 v14, v15
	v_mov_b32_e32 v12, v11
	v_pk_add_f32 v[30:31], v[12:13], v[8:9] neg_lo:[0,1] neg_hi:[0,1]
	v_mov_b32_e32 v10, v17
	v_mov_b32_e32 v13, v30
	v_pk_add_f32 v[32:33], v[16:17], v[12:13] neg_lo:[0,1] neg_hi:[0,1]
	v_mov_b32_e32 v16, v9
	v_mov_b32_e32 v17, v30
	;; [unrolled: 1-line block ×3, first 2 shown]
	v_pk_add_f32 v[10:11], v[10:11], v[16:17] neg_lo:[0,1] neg_hi:[0,1]
	v_mov_b32_e32 v15, v8
	v_pk_add_f32 v[8:9], v[14:15], v[10:11] neg_lo:[0,1] neg_hi:[0,1]
	v_mov_b32_e32 v32, v18
	v_pk_add_f32 v[10:11], v[32:33], v[8:9]
	s_nop 0
	v_mov_b32_e32 v14, v11
	v_pk_add_f32 v[14:15], v[10:11], v[14:15]
	s_nop 0
	v_pk_add_f32 v[12:13], v[12:13], v[14:15]
	v_mov_b32_e32 v9, v14
	v_mov_b32_e32 v11, v12
	v_pk_add_f32 v[16:17], v[10:11], v[18:19] neg_lo:[0,1] neg_hi:[0,1]
	s_nop 0
	v_sub_f32_e32 v10, v10, v16
	v_pk_add_f32 v[8:9], v[8:9], v[16:17] neg_lo:[0,1] neg_hi:[0,1]
	v_sub_f32_e32 v10, v18, v10
	v_add_f32_e32 v8, v8, v10
	v_add_f32_e32 v8, v8, v9
	;; [unrolled: 1-line block ×3, first 2 shown]
	v_cndmask_b32_e32 v28, v8, v28, vcc
.LBB131_22:                             ;   in Loop: Header=BB131_12 Depth=1
	s_or_b64 exec, exec, s[8:9]
	v_mul_f32_e32 v10, s72, v2
	v_mul_f32_e32 v9, s72, v1
	v_mul_f32_e32 v8, s72, v0
	s_lshl_b32 s58, s85, 8
	v_mul_f32_e32 v11, s72, v3
	s_and_b64 vcc, exec, s[54:55]
	s_waitcnt lgkmcnt(0)
	; wave barrier
	s_cbranch_vccz .LBB131_11
; %bb.23:                               ;   in Loop: Header=BB131_12 Depth=1
	v_and_b32_e32 v12, 15, v48
	v_cmp_eq_u32_e64 s[6:7], 0, v12
	v_cmp_lt_u32_e64 s[8:9], 1, v12
	v_cmp_lt_u32_e64 s[10:11], 3, v12
	;; [unrolled: 1-line block ×3, first 2 shown]
	v_and_b32_e32 v12, 16, v48
	s_sub_i32 s24, s48, s58
	v_cmp_ne_u32_e64 s[14:15], 0, v12
	v_add_u32_e32 v12, -1, v48
	v_and_b32_e32 v13, 64, v48
	s_cmp_lg_u32 s85, 0
	v_cmp_lt_i32_e32 vcc, v12, v13
	s_cselect_b64 s[60:61], -1, 0
	s_cmp_eq_u32 s85, s74
	v_cndmask_b32_e32 v12, v12, v48, vcc
	v_cmp_gt_u32_e32 vcc, s24, v44
	s_cselect_b64 s[62:63], -1, 0
	s_or_b64 s[18:19], s[56:57], vcc
	v_cmp_gt_u32_e32 vcc, s24, v24
	s_mov_b32 s50, 0
	v_cmp_gt_u32_e64 s[20:21], s24, v25
	s_or_b64 s[22:23], s[56:57], vcc
	v_cmp_gt_u32_e32 vcc, s24, v45
	v_mul_f32_e32 v27, v3, v28
	v_mul_f32_e32 v53, v2, v29
	;; [unrolled: 1-line block ×4, first 2 shown]
	v_lshl_add_u64 v[30:31], s[38:39], 0, v[20:21]
	v_lshl_add_u64 v[32:33], s[42:43], 0, v[20:21]
	v_cmp_lt_u32_e64 s[16:17], 31, v48
	v_lshlrev_b32_e32 v56, 2, v12
	s_or_b64 s[20:21], s[56:57], s[20:21]
	s_or_b64 s[24:25], s[56:57], vcc
	s_mov_b32 s64, s50
	s_mov_b32 s66, s50
	;; [unrolled: 1-line block ×5, first 2 shown]
	s_branch .LBB131_25
.LBB131_24:                             ;   in Loop: Header=BB131_25 Depth=2
	s_or_b64 exec, exec, s[26:27]
	v_mul_f32_e32 v19, v39, v19
	v_fma_f32 v34, v39, v38, v36
	v_cndmask_b32_e64 v36, v34, v36, s[4:5]
	v_cndmask_b32_e64 v19, v19, v39, s[4:5]
	s_waitcnt lgkmcnt(0)
	v_fmac_f32_e32 v36, v42, v19
	v_fmac_f32_e32 v37, v36, v17
	;; [unrolled: 1-line block ×4, first 2 shown]
	v_mov_b32_e32 v17, v18
	s_add_i32 s86, s86, 8
	s_add_i32 s59, s59, -1
	s_add_i32 s68, s68, s46
	s_add_i32 s66, s66, s28
	;; [unrolled: 1-line block ×4, first 2 shown]
	v_pk_fma_f32 v[8:9], v[12:13], v[36:37], v[8:9]
	s_cmp_eq_u32 s59, 0
	v_pk_fma_f32 v[10:11], v[14:15], v[16:17], v[10:11]
	s_cbranch_scc1 .LBB131_11
.LBB131_25:                             ;   Parent Loop BB131_12 Depth=1
                                        ; =>  This Inner Loop Header: Depth=2
	s_lshl_b64 s[26:27], s[50:51], 2
	s_mov_b32 s65, s51
	s_add_u32 s26, s36, s26
	v_lshl_add_u64 v[12:13], s[64:65], 2, v[30:31]
	s_mov_b32 s67, s51
	s_addc_u32 s27, s47, s27
	global_load_dwordx4 v[16:19], v[12:13], off
	v_lshl_add_u64 v[12:13], s[66:67], 2, v[32:33]
	global_load_dword v36, v21, s[26:27]
	s_andn2_b64 vcc, exec, s[60:61]
	global_load_dwordx4 v[12:15], v[12:13], off
	s_cbranch_vccnz .LBB131_27
; %bb.26:                               ;   in Loop: Header=BB131_25 Depth=2
	v_mov_b32_e32 v34, s86
	ds_read_b64 v[34:35], v34
	s_cbranch_execz .LBB131_28
	s_branch .LBB131_31
.LBB131_27:                             ;   in Loop: Header=BB131_25 Depth=2
                                        ; implicit-def: $vgpr35
.LBB131_28:                             ;   in Loop: Header=BB131_25 Depth=2
	s_andn2_b64 vcc, exec, s[34:35]
	s_waitcnt lgkmcnt(0)
	v_mov_b32_e32 v35, 0
	s_cbranch_vccnz .LBB131_30
; %bb.29:                               ;   in Loop: Header=BB131_25 Depth=2
	s_mov_b32 s69, s51
	s_lshl_b64 s[26:27], s[68:69], 2
	s_add_u32 s26, s29, s26
	s_addc_u32 s27, s41, s27
	global_load_dword v35, v21, s[26:27]
.LBB131_30:                             ;   in Loop: Header=BB131_25 Depth=2
	v_mov_b32_e32 v34, 1.0
.LBB131_31:                             ;   in Loop: Header=BB131_25 Depth=2
	s_waitcnt vmcnt(1)
	v_mul_f32_e32 v38, 0x3fb8aa3b, v36
	v_mul_f32_e32 v36, v38, v51
	v_cmp_gt_f32_e32 vcc, s84, v36
	v_mul_f32_e32 v16, v16, v55
	v_mul_f32_e32 v17, v17, v54
	v_cndmask_b32_e32 v36, 0, v49, vcc
	v_fmac_f32_e32 v36, v38, v51
	v_exp_f32_e32 v36, v36
	v_cndmask_b32_e32 v37, 1.0, v50, vcc
	v_mul_f32_e32 v18, v18, v53
	v_mul_f32_e32 v37, v36, v37
	;; [unrolled: 1-line block ×3, first 2 shown]
	v_cmp_gt_f32_e32 vcc, s84, v36
	v_cndmask_b32_e64 v39, 1.0, v37, s[18:19]
	v_cndmask_b32_e64 v37, 0, v17, s[20:21]
	v_cndmask_b32_e32 v36, 0, v49, vcc
	v_fmac_f32_e32 v36, v38, v52
	v_exp_f32_e32 v40, v36
	v_cndmask_b32_e64 v36, 0, v16, s[18:19]
	v_cndmask_b32_e32 v16, 1.0, v50, vcc
	v_mul_f32_e32 v16, v40, v16
	v_pk_mul_f32 v[40:41], v[38:39], v[28:29] op_sel_hi:[0,1]
	v_cmp_gt_f32_e32 vcc, s84, v40
	v_cndmask_b32_e64 v17, 1.0, v16, s[20:21]
	v_cndmask_b32_e64 v16, 0, v18, s[22:23]
	v_cndmask_b32_e32 v18, 0, v49, vcc
	v_cmp_gt_f32_e64 s[26:27], s84, v41
	v_add_f32_e32 v18, v40, v18
	v_exp_f32_e32 v18, v18
	v_cndmask_b32_e64 v38, 0, v49, s[26:27]
	v_add_f32_e32 v38, v41, v38
	v_exp_f32_e32 v38, v38
	v_cndmask_b32_e32 v40, 1.0, v50, vcc
	v_mul_f32_e32 v40, v18, v40
	v_cndmask_b32_e64 v18, 1.0, v50, s[26:27]
	v_mul_f32_e32 v38, v38, v18
	v_mul_f32_e32 v18, v19, v27
	v_cndmask_b32_e64 v41, 1.0, v38, s[22:23]
	v_fma_f32 v19, v17, v36, v37
	v_mul_f32_e32 v38, v19, v41
	v_pk_add_f32 v[42:43], v[38:39], v[16:17]
	v_pk_mul_f32 v[58:59], v[38:39], v[16:17]
	v_cndmask_b32_e64 v40, 1.0, v40, s[24:25]
	v_mov_b32_e32 v43, v59
	v_cndmask_b32_e64 v18, 0, v18, s[24:25]
	v_pk_mul_f32 v[58:59], v[42:43], v[40:41]
	v_mov_b32_e32 v19, v40
	v_pk_fma_f32 v[60:61], v[42:43], v[40:41], v[18:19]
	v_pk_mul_f32 v[58:59], v[58:59], v[18:19]
	s_nop 0
	v_mov_b32_dpp v38, v60 row_shr:1 row_mask:0xf bank_mask:0xf
	v_mov_b32_dpp v19, v59 row_shr:1 row_mask:0xf bank_mask:0xf
	v_mul_f32_e32 v57, v59, v19
	v_fma_f32 v19, v59, v38, v60
	v_cndmask_b32_e64 v43, v19, v60, s[6:7]
	v_cndmask_b32_e64 v19, v19, v60, s[6:7]
	;; [unrolled: 1-line block ×4, first 2 shown]
	v_mov_b32_dpp v58, v19 row_shr:2 row_mask:0xf bank_mask:0xf
	v_mov_b32_dpp v57, v38 row_shr:2 row_mask:0xf bank_mask:0xf
	s_and_saveexec_b64 s[26:27], s[8:9]
; %bb.32:                               ;   in Loop: Header=BB131_25 Depth=2
	v_fmac_f32_e32 v19, v38, v58
	v_mul_f32_e32 v38, v38, v57
	v_mov_b32_e32 v42, v38
	v_mov_b32_e32 v43, v19
; %bb.33:                               ;   in Loop: Header=BB131_25 Depth=2
	s_or_b64 exec, exec, s[26:27]
	v_mov_b32_dpp v57, v38 row_shr:4 row_mask:0xf bank_mask:0xf
	v_mov_b32_dpp v58, v19 row_shr:4 row_mask:0xf bank_mask:0xf
	s_and_saveexec_b64 s[26:27], s[10:11]
; %bb.34:                               ;   in Loop: Header=BB131_25 Depth=2
	v_fmac_f32_e32 v19, v38, v58
	v_mul_f32_e32 v38, v38, v57
	v_mov_b32_e32 v42, v38
	v_mov_b32_e32 v43, v19
; %bb.35:                               ;   in Loop: Header=BB131_25 Depth=2
	s_or_b64 exec, exec, s[26:27]
	;; [unrolled: 10-line block ×3, first 2 shown]
	v_mov_b32_dpp v57, v38 row_bcast:15 row_mask:0xf bank_mask:0xf
	v_mov_b32_dpp v58, v19 row_bcast:15 row_mask:0xf bank_mask:0xf
	s_and_saveexec_b64 s[26:27], s[14:15]
; %bb.38:                               ;   in Loop: Header=BB131_25 Depth=2
	v_fmac_f32_e32 v19, v38, v58
	v_mul_f32_e32 v38, v38, v57
	v_mov_b32_e32 v42, v38
	v_mov_b32_e32 v43, v19
; %bb.39:                               ;   in Loop: Header=BB131_25 Depth=2
	s_or_b64 exec, exec, s[26:27]
	v_mov_b32_dpp v57, v38 row_bcast:31 row_mask:0xf bank_mask:0xf
	v_mov_b32_dpp v58, v19 row_bcast:31 row_mask:0xf bank_mask:0xf
	v_mul_f32_e32 v57, v38, v57
	v_fmac_f32_e32 v19, v38, v58
	v_cndmask_b32_e64 v42, v42, v57, s[16:17]
	v_cndmask_b32_e64 v43, v43, v19, s[16:17]
	s_and_saveexec_b64 s[26:27], s[2:3]
	s_cbranch_execz .LBB131_41
; %bb.40:                               ;   in Loop: Header=BB131_25 Depth=2
	ds_write_b64 v21, v[42:43] offset:2112
.LBB131_41:                             ;   in Loop: Header=BB131_25 Depth=2
	s_or_b64 exec, exec, s[26:27]
	ds_bpermute_b32 v19, v56, v42
	ds_bpermute_b32 v38, v56, v43
	s_waitcnt vmcnt(0) lgkmcnt(2)
	v_mov_b32_e32 v43, v35
	s_waitcnt lgkmcnt(0)
	; wave barrier
	s_waitcnt lgkmcnt(0)
	s_and_saveexec_b64 s[26:27], s[0:1]
	s_cbranch_execz .LBB131_45
; %bb.42:                               ;   in Loop: Header=BB131_25 Depth=2
	ds_read_b64 v[42:43], v21 offset:2112
	s_and_saveexec_b64 s[70:71], s[4:5]
	s_cbranch_execz .LBB131_44
; %bb.43:                               ;   in Loop: Header=BB131_25 Depth=2
	ds_write_b64 v21, v[34:35] offset:2112
.LBB131_44:                             ;   in Loop: Header=BB131_25 Depth=2
	s_or_b64 exec, exec, s[70:71]
	s_waitcnt lgkmcnt(0)
	v_fmac_f32_e32 v43, v35, v42
	v_mul_f32_e32 v34, v34, v42
	v_mov_b32_e32 v35, v43
.LBB131_45:                             ;   in Loop: Header=BB131_25 Depth=2
	s_or_b64 exec, exec, s[26:27]
	s_waitcnt lgkmcnt(0)
	; wave barrier
	ds_read_b32 v42, v21 offset:2116
	s_and_saveexec_b64 s[26:27], s[4:5]
	s_cbranch_execz .LBB131_24
; %bb.46:                               ;   in Loop: Header=BB131_25 Depth=2
	v_mov_b32_e32 v57, s86
	s_andn2_b64 vcc, exec, s[62:63]
	ds_write_b64 v57, v[34:35]
	s_cbranch_vccnz .LBB131_24
; %bb.47:                               ;   in Loop: Header=BB131_25 Depth=2
	s_mov_b32 s69, s51
	s_lshl_b64 s[70:71], s[68:69], 2
	s_add_u32 s70, s29, s70
	s_addc_u32 s71, s41, s71
	global_store_dword v21, v43, s[70:71]
	s_branch .LBB131_24
.LBB131_48:
	s_endpgm
	.section	.rodata,"a",@progbits
	.p2align	6, 0x0
	.amdhsa_kernel _Z25selective_scan_fwd_kernelI32Selective_Scan_fwd_kernel_traitsILi64ELi4ELi1ELb1ELb1ELb1ELb0ELb0EfffEEv13SSMParamsBase
		.amdhsa_group_segment_fixed_size 0
		.amdhsa_private_segment_fixed_size 0
		.amdhsa_kernarg_size 248
		.amdhsa_user_sgpr_count 2
		.amdhsa_user_sgpr_dispatch_ptr 0
		.amdhsa_user_sgpr_queue_ptr 0
		.amdhsa_user_sgpr_kernarg_segment_ptr 1
		.amdhsa_user_sgpr_dispatch_id 0
		.amdhsa_user_sgpr_kernarg_preload_length 0
		.amdhsa_user_sgpr_kernarg_preload_offset 0
		.amdhsa_user_sgpr_private_segment_size 0
		.amdhsa_uses_dynamic_stack 0
		.amdhsa_enable_private_segment 0
		.amdhsa_system_sgpr_workgroup_id_x 1
		.amdhsa_system_sgpr_workgroup_id_y 1
		.amdhsa_system_sgpr_workgroup_id_z 0
		.amdhsa_system_sgpr_workgroup_info 0
		.amdhsa_system_vgpr_workitem_id 0
		.amdhsa_next_free_vgpr 62
		.amdhsa_next_free_sgpr 87
		.amdhsa_accum_offset 64
		.amdhsa_reserve_vcc 1
		.amdhsa_float_round_mode_32 0
		.amdhsa_float_round_mode_16_64 0
		.amdhsa_float_denorm_mode_32 3
		.amdhsa_float_denorm_mode_16_64 3
		.amdhsa_dx10_clamp 1
		.amdhsa_ieee_mode 1
		.amdhsa_fp16_overflow 0
		.amdhsa_tg_split 0
		.amdhsa_exception_fp_ieee_invalid_op 0
		.amdhsa_exception_fp_denorm_src 0
		.amdhsa_exception_fp_ieee_div_zero 0
		.amdhsa_exception_fp_ieee_overflow 0
		.amdhsa_exception_fp_ieee_underflow 0
		.amdhsa_exception_fp_ieee_inexact 0
		.amdhsa_exception_int_div_zero 0
	.end_amdhsa_kernel
	.section	.text._Z25selective_scan_fwd_kernelI32Selective_Scan_fwd_kernel_traitsILi64ELi4ELi1ELb1ELb1ELb1ELb0ELb0EfffEEv13SSMParamsBase,"axG",@progbits,_Z25selective_scan_fwd_kernelI32Selective_Scan_fwd_kernel_traitsILi64ELi4ELi1ELb1ELb1ELb1ELb0ELb0EfffEEv13SSMParamsBase,comdat
.Lfunc_end131:
	.size	_Z25selective_scan_fwd_kernelI32Selective_Scan_fwd_kernel_traitsILi64ELi4ELi1ELb1ELb1ELb1ELb0ELb0EfffEEv13SSMParamsBase, .Lfunc_end131-_Z25selective_scan_fwd_kernelI32Selective_Scan_fwd_kernel_traitsILi64ELi4ELi1ELb1ELb1ELb1ELb0ELb0EfffEEv13SSMParamsBase
                                        ; -- End function
	.section	.AMDGPU.csdata,"",@progbits
; Kernel info:
; codeLenInByte = 5016
; NumSgprs: 93
; NumVgprs: 62
; NumAgprs: 0
; TotalNumVgprs: 62
; ScratchSize: 0
; MemoryBound: 1
; FloatMode: 240
; IeeeMode: 1
; LDSByteSize: 0 bytes/workgroup (compile time only)
; SGPRBlocks: 11
; VGPRBlocks: 7
; NumSGPRsForWavesPerEU: 93
; NumVGPRsForWavesPerEU: 62
; AccumOffset: 64
; Occupancy: 8
; WaveLimiterHint : 0
; COMPUTE_PGM_RSRC2:SCRATCH_EN: 0
; COMPUTE_PGM_RSRC2:USER_SGPR: 2
; COMPUTE_PGM_RSRC2:TRAP_HANDLER: 0
; COMPUTE_PGM_RSRC2:TGID_X_EN: 1
; COMPUTE_PGM_RSRC2:TGID_Y_EN: 1
; COMPUTE_PGM_RSRC2:TGID_Z_EN: 0
; COMPUTE_PGM_RSRC2:TIDIG_COMP_CNT: 0
; COMPUTE_PGM_RSRC3_GFX90A:ACCUM_OFFSET: 15
; COMPUTE_PGM_RSRC3_GFX90A:TG_SPLIT: 0
	.section	.text._Z25selective_scan_fwd_kernelI32Selective_Scan_fwd_kernel_traitsILi64ELi4ELi1ELb0ELb1ELb1ELb1ELb1EfffEEv13SSMParamsBase,"axG",@progbits,_Z25selective_scan_fwd_kernelI32Selective_Scan_fwd_kernel_traitsILi64ELi4ELi1ELb0ELb1ELb1ELb1ELb1EfffEEv13SSMParamsBase,comdat
	.protected	_Z25selective_scan_fwd_kernelI32Selective_Scan_fwd_kernel_traitsILi64ELi4ELi1ELb0ELb1ELb1ELb1ELb1EfffEEv13SSMParamsBase ; -- Begin function _Z25selective_scan_fwd_kernelI32Selective_Scan_fwd_kernel_traitsILi64ELi4ELi1ELb0ELb1ELb1ELb1ELb1EfffEEv13SSMParamsBase
	.globl	_Z25selective_scan_fwd_kernelI32Selective_Scan_fwd_kernel_traitsILi64ELi4ELi1ELb0ELb1ELb1ELb1ELb1EfffEEv13SSMParamsBase
	.p2align	8
	.type	_Z25selective_scan_fwd_kernelI32Selective_Scan_fwd_kernel_traitsILi64ELi4ELi1ELb0ELb1ELb1ELb1ELb1EfffEEv13SSMParamsBase,@function
_Z25selective_scan_fwd_kernelI32Selective_Scan_fwd_kernel_traitsILi64ELi4ELi1ELb0ELb1ELb1ELb1ELb1EfffEEv13SSMParamsBase: ; @_Z25selective_scan_fwd_kernelI32Selective_Scan_fwd_kernel_traitsILi64ELi4ELi1ELb0ELb1ELb1ELb1ELb1EfffEEv13SSMParamsBase
; %bb.0:
	s_load_dword s37, s[0:1], 0x18
	s_load_dwordx4 s[4:7], s[0:1], 0xe8
	s_load_dwordx8 s[20:27], s[0:1], 0xc8
	s_mov_b32 s34, s3
	s_ashr_i32 s3, s2, 31
	s_lshl_b64 s[8:9], s[2:3], 2
	s_waitcnt lgkmcnt(0)
	s_abs_i32 s36, s37
	v_cvt_f32_u32_e32 v1, s36
	s_add_u32 s28, s26, s8
	s_addc_u32 s29, s27, s9
	s_cmp_eq_u64 s[6:7], 0
	v_rcp_iflag_f32_e32 v1, v1
	s_nop 0
	v_mul_f32_e32 v1, 0x4f7ffffe, v1
	v_cvt_u32_f32_e32 v1, v1
	s_nop 0
	v_readfirstlane_b32 s56, v1
	s_cbranch_scc1 .LBB132_102
; %bb.1:
	s_add_u32 s6, s6, s2
	s_addc_u32 s7, s7, s3
	v_mov_b32_e32 v1, 0
	global_load_ubyte v1, v1, s[6:7]
	s_waitcnt vmcnt(0)
	v_and_b32_e32 v1, 1, v1
	v_cmp_eq_u32_e64 s[38:39], 1, v1
	s_load_dwordx2 s[6:7], s[0:1], 0x20
	s_cmp_eq_u64 s[4:5], 0
	s_cbranch_scc1 .LBB132_3
.LBB132_2:
	s_add_u32 s2, s4, s8
	s_addc_u32 s3, s5, s9
	s_load_dword s2, s[2:3], 0x0
	s_waitcnt lgkmcnt(0)
	s_ashr_i32 s3, s2, 31
.LBB132_3:
	s_waitcnt lgkmcnt(0)
	s_cmp_eq_u64 s[6:7], s[2:3]
	s_cbranch_scc1 .LBB132_101
; %bb.4:
	s_load_dwordx16 s[4:19], s[0:1], 0x88
	s_load_dwordx2 s[26:27], s[28:29], 0x0
	s_mov_b32 s33, 0
	s_mov_b32 s78, 0
	s_waitcnt lgkmcnt(0)
	s_cmp_eq_u64 s[10:11], 0
	s_cbranch_scc1 .LBB132_6
; %bb.5:
	s_ashr_i32 s35, s34, 31
	s_lshl_b64 s[28:29], s[34:35], 2
	s_add_u32 s10, s10, s28
	s_addc_u32 s11, s11, s29
	s_load_dword s78, s[10:11], 0x0
.LBB132_6:
	s_cmp_eq_u64 s[16:17], 0
	s_cbranch_scc1 .LBB132_8
; %bb.7:
	s_ashr_i32 s35, s34, 31
	s_lshl_b64 s[10:11], s[34:35], 2
	s_add_u32 s10, s16, s10
	s_addc_u32 s11, s17, s11
	s_load_dword s33, s[10:11], 0x0
.LBB132_8:
	s_sub_i32 s79, s27, s26
	s_cmp_lt_i32 s79, 1
	s_cbranch_scc1 .LBB132_101
; %bb.9:
	s_sub_i32 s3, 0, s36
	s_mul_i32 s3, s3, s56
	s_mul_hi_u32 s3, s56, s3
	s_abs_i32 s16, s34
	s_add_i32 s56, s56, s3
	s_mul_hi_u32 s3, s16, s56
	s_ashr_i32 s17, s34, 31
	s_ashr_i32 s35, s37, 31
	s_xor_b32 s17, s17, s35
	s_mul_i32 s35, s3, s36
	s_sub_i32 s16, s16, s35
	s_add_i32 s35, s3, 1
	s_sub_i32 s37, s16, s36
	s_load_dwordx8 s[40:47], s[0:1], 0x2c
	s_load_dwordx2 s[10:11], s[0:1], 0x7c
	s_load_dwordx4 s[28:31], s[0:1], 0x6c
	s_load_dwordx8 s[48:55], s[0:1], 0x4c
	s_cmp_ge_u32 s16, s36
	s_cselect_b32 s3, s35, s3
	s_cselect_b32 s16, s37, s16
	s_add_i32 s35, s3, 1
	s_cmp_ge_u32 s16, s36
	s_cselect_b32 s3, s35, s3
	s_xor_b32 s3, s3, s17
	s_waitcnt lgkmcnt(0)
	s_mul_i32 s88, s26, s50
	s_mov_b32 s89, 0
	s_sub_i32 s3, s3, s17
	s_lshl_b64 s[16:17], s[88:89], 2
	s_add_u32 s16, s12, s16
	s_mul_i32 s88, s51, s34
	s_addc_u32 s17, s13, s17
	s_lshl_b64 s[12:13], s[88:89], 2
	s_add_u32 s50, s16, s12
	s_mul_i32 s88, s26, s52
	s_addc_u32 s51, s17, s13
	;; [unrolled: 4-line block ×9, first 2 shown]
	s_lshl_b64 s[2:3], s[88:89], 2
	s_load_dword s65, s[0:1], 0xc
	s_load_dword s27, s[0:1], 0x28
	s_add_u32 s4, s20, s2
	s_mul_i32 s88, s11, s34
	s_addc_u32 s5, s21, s3
	s_lshl_b64 s[2:3], s[88:89], 2
	s_add_u32 s45, s4, s2
	s_addc_u32 s49, s5, s3
	s_add_i32 s2, s79, 0x7ff
	s_lshr_b32 s82, s2, 11
	s_waitcnt lgkmcnt(0)
	s_bitcmp1_b32 s27, 0
	s_cselect_b64 s[62:63], -1, 0
	s_cmp_gt_i32 s65, 0
	s_cselect_b64 s[2:3], -1, 0
                                        ; implicit-def: $vgpr70 : SGPR spill to VGPR lane
	s_mul_i32 s88, s26, s28
	v_writelane_b32 v70, s2, 0
	s_add_i32 s4, 0, 0x420
	s_and_b32 s5, s79, 0xff
	v_writelane_b32 v70, s3, 1
	s_add_i32 s2, s82, -1
	v_writelane_b32 v70, s2, 2
	s_lshl_b64 s[2:3], s[88:89], 2
	s_add_u32 s2, s18, s2
	s_mul_i32 s88, s29, s34
	s_addc_u32 s3, s19, s3
	s_load_dword s84, s[0:1], 0x84
	s_lshl_b64 s[0:1], s[88:89], 2
	s_add_u32 s18, s2, s0
	s_mul_i32 s88, s26, s54
	s_addc_u32 s19, s3, s1
	s_lshl_b64 s[0:1], s[88:89], 2
	s_add_u32 s2, s22, s0
	s_mul_i32 s88, s55, s34
	v_mbcnt_lo_u32_b32 v1, -1, 0
	s_addc_u32 s3, s23, s1
	s_lshl_b64 s[0:1], s[88:89], 2
	v_mbcnt_hi_u32_b32 v8, -1, v1
	s_add_u32 s20, s2, s0
	s_mul_i32 s88, s26, s30
	v_or_b32_e32 v43, 0x80, v8
	v_lshrrev_b32_e32 v1, 5, v8
	s_addc_u32 s21, s3, s1
	s_lshl_b64 s[0:1], s[88:89], 2
	v_add_u32_e32 v42, 64, v8
	v_add_u32_e32 v44, 0xc0, v8
	;; [unrolled: 1-line block ×3, first 2 shown]
	v_lshrrev_b32_e32 v2, 5, v43
	s_add_u32 s2, s24, s0
	s_mul_i32 s88, s31, s34
	v_lshl_add_u32 v45, v1, 2, 0
	v_lshrrev_b32_e32 v1, 5, v42
	v_add_lshl_u32 v4, v2, v8, 2
	v_lshrrev_b32_e32 v2, 5, v44
	s_addc_u32 s3, s25, s1
	s_lshl_b64 s[0:1], s[88:89], 2
	v_add_lshl_u32 v1, v1, v8, 2
	v_add_lshl_u32 v5, v2, v8, 2
	v_bfe_u32 v6, v8, 3, 27
	v_lshlrev_b32_e32 v2, 2, v8
	s_add_u32 s22, s2, s0
	v_add_u32_e32 v46, 0, v1
	v_add_lshl_u32 v6, v6, v2, 2
	v_add_u32_e32 v50, s4, v1
	s_addc_u32 s23, s3, s1
	v_and_b32_e32 v1, 15, v8
	v_add_u32_e32 v51, s4, v4
	v_add_u32_e32 v52, s4, v5
	;; [unrolled: 1-line block ×3, first 2 shown]
	s_cmp_eq_u32 s5, 0
	v_cmp_eq_u32_e64 s[0:1], 0, v1
	v_cmp_lt_u32_e64 s[2:3], 1, v1
	v_cmp_lt_u32_e64 s[4:5], 3, v1
	;; [unrolled: 1-line block ×3, first 2 shown]
	v_and_b32_e32 v1, 16, v8
	v_add_u32_e32 v47, 0, v4
	v_cmp_ne_u32_e64 s[8:9], 0, v1
	v_add_u32_e32 v1, -1, v8
	v_and_b32_e32 v4, 64, v8
	v_cmp_lt_i32_e32 vcc, v1, v4
	v_mov_b32_e32 v3, 0
	v_lshlrev_b32_e32 v15, 2, v0
	v_cndmask_b32_e32 v1, v1, v8, vcc
	v_add_u32_e32 v48, 0, v5
	v_add_u32_e32 v49, 0, v6
	s_cselect_b64 s[66:67], -1, 0
	v_cmp_lt_u32_e64 s[10:11], 31, v8
	v_cmp_eq_u32_e64 s[12:13], 63, v0
	v_lshlrev_b32_e32 v54, 2, v1
	v_cmp_gt_u32_e64 s[14:15], 64, v0
	v_cmp_eq_u32_e64 s[16:17], 0, v0
	v_lshl_add_u64 v[0:1], s[18:19], 0, v[2:3]
	v_lshl_add_u64 v[10:11], s[20:21], 0, v[2:3]
	;; [unrolled: 1-line block ×3, first 2 shown]
	v_or_b32_e32 v9, 1, v15
	v_or_b32_e32 v14, 2, v15
	;; [unrolled: 1-line block ×3, first 2 shown]
	v_lshlrev_b32_e32 v2, 2, v8
	s_mov_b32 s85, 0x41a00000
	s_mov_b32 s86, 0x3fb8aa3b
	;; [unrolled: 1-line block ×6, first 2 shown]
	v_mov_b32_e32 v56, 0x3ecc95a3
	s_mov_b32 s64, 0x3f317218
	s_mov_b32 s92, 0x33800000
	s_add_i32 s18, 0, 0x848
	s_mov_b32 s94, 0xc2fc0000
	s_mov_b32 s95, 0xbfb8aa3b
	;; [unrolled: 1-line block ×4, first 2 shown]
	v_mov_b32_e32 v57, 0x7f800000
	v_mov_b32_e32 v16, 0x3f317218
	;; [unrolled: 1-line block ×4, first 2 shown]
	s_mov_b32 s98, 0
                                        ; implicit-def: $vgpr4
	v_writelane_b32 v70, s18, 3
	s_branch .LBB132_11
.LBB132_10:                             ;   in Loop: Header=BB132_11 Depth=1
	s_or_b64 exec, exec, s[18:19]
	s_add_u32 s60, s60, 0x400
	s_addc_u32 s61, s61, 0
	s_add_u32 s50, s50, 0x400
	s_addc_u32 s51, s51, 0
	;; [unrolled: 2-line block ×4, first 2 shown]
	s_add_i32 s98, s98, 1
	s_cmp_lg_u32 s98, s82
	s_cbranch_scc0 .LBB132_101
.LBB132_11:                             ; =>This Loop Header: Depth=1
                                        ;     Child Loop BB132_36 Depth 2
	s_lshl_b32 s68, s98, 8
	s_sub_i32 s34, s79, s68
	v_lshl_add_u64 v[4:5], s[50:51], 0, v[2:3]
	v_cmp_gt_u32_e64 s[18:19], s34, v8
	s_waitcnt lgkmcnt(0)
	v_mov_b32_e32 v6, v3
	s_waitcnt lgkmcnt(0)
	; wave barrier
	s_waitcnt lgkmcnt(0)
	s_and_saveexec_b64 s[20:21], s[18:19]
	s_cbranch_execz .LBB132_13
; %bb.12:                               ;   in Loop: Header=BB132_11 Depth=1
	global_load_dword v6, v[4:5], off
.LBB132_13:                             ;   in Loop: Header=BB132_11 Depth=1
	s_or_b64 exec, exec, s[20:21]
	v_cmp_gt_u32_e64 s[20:21], s34, v42
	v_mov_b32_e32 v7, 0
	v_mov_b32_e32 v18, 0
	s_and_saveexec_b64 s[22:23], s[20:21]
	s_cbranch_execz .LBB132_15
; %bb.14:                               ;   in Loop: Header=BB132_11 Depth=1
	global_load_dword v18, v[4:5], off offset:256
.LBB132_15:                             ;   in Loop: Header=BB132_11 Depth=1
	s_or_b64 exec, exec, s[22:23]
	v_cmp_gt_u32_e64 s[22:23], s34, v43
	s_and_saveexec_b64 s[24:25], s[22:23]
	s_cbranch_execz .LBB132_17
; %bb.16:                               ;   in Loop: Header=BB132_11 Depth=1
	global_load_dword v7, v[4:5], off offset:512
.LBB132_17:                             ;   in Loop: Header=BB132_11 Depth=1
	s_or_b64 exec, exec, s[24:25]
	v_cmp_gt_u32_e64 s[24:25], s34, v44
	v_mov_b32_e32 v17, 0
	v_mov_b32_e32 v19, 0
	s_and_saveexec_b64 s[26:27], s[24:25]
	s_cbranch_execz .LBB132_19
; %bb.18:                               ;   in Loop: Header=BB132_11 Depth=1
	global_load_dword v19, v[4:5], off offset:768
.LBB132_19:                             ;   in Loop: Header=BB132_11 Depth=1
	s_or_b64 exec, exec, s[26:27]
	s_waitcnt vmcnt(0)
	ds_write_b32 v45, v6
	ds_write_b32 v46, v18 offset:256
	ds_write_b32 v47, v7 offset:512
	;; [unrolled: 1-line block ×3, first 2 shown]
	; wave barrier
	ds_read2_b32 v[4:5], v49 offset1:1
	ds_read2_b32 v[6:7], v49 offset0:2 offset1:3
	v_lshl_add_u64 v[18:19], s[60:61], 0, v[2:3]
	s_waitcnt lgkmcnt(0)
	; wave barrier
	s_waitcnt lgkmcnt(0)
	s_and_saveexec_b64 s[26:27], s[18:19]
	s_cbranch_execz .LBB132_21
; %bb.20:                               ;   in Loop: Header=BB132_11 Depth=1
	global_load_dword v17, v[18:19], off
.LBB132_21:                             ;   in Loop: Header=BB132_11 Depth=1
	s_or_b64 exec, exec, s[26:27]
	v_mov_b32_e32 v20, 0
	v_mov_b32_e32 v21, 0
	s_and_saveexec_b64 s[26:27], s[20:21]
	s_cbranch_execnz .LBB132_89
; %bb.22:                               ;   in Loop: Header=BB132_11 Depth=1
	s_or_b64 exec, exec, s[26:27]
	s_and_saveexec_b64 s[26:27], s[22:23]
	s_cbranch_execnz .LBB132_90
.LBB132_23:                             ;   in Loop: Header=BB132_11 Depth=1
	s_or_b64 exec, exec, s[26:27]
	v_mov_b32_e32 v22, 0
	s_and_saveexec_b64 s[26:27], s[24:25]
	s_cbranch_execz .LBB132_25
.LBB132_24:                             ;   in Loop: Header=BB132_11 Depth=1
	global_load_dword v22, v[18:19], off offset:768
.LBB132_25:                             ;   in Loop: Header=BB132_11 Depth=1
	s_or_b64 exec, exec, s[26:27]
	s_waitcnt vmcnt(0)
	ds_write_b32 v45, v17
	ds_write_b32 v46, v21 offset:256
	ds_write_b32 v47, v20 offset:512
	;; [unrolled: 1-line block ×3, first 2 shown]
	; wave barrier
	ds_read2_b32 v[20:21], v49 offset1:1
	ds_read2_b32 v[18:19], v49 offset0:2 offset1:3
	s_waitcnt lgkmcnt(1)
	v_add_f32_e32 v60, s33, v20
	v_cmp_ge_f32_e32 vcc, s85, v60
	s_and_b64 s[26:27], s[62:63], vcc
	s_and_saveexec_b64 s[28:29], s[26:27]
	s_cbranch_execz .LBB132_27
; %bb.26:                               ;   in Loop: Header=BB132_11 Depth=1
	v_mul_f32_e32 v17, 0x3fb8aa3b, v60
	v_rndne_f32_e32 v20, v17
	v_sub_f32_e32 v22, v17, v20
	v_fma_f32 v17, v60, s86, -v17
	v_fmac_f32_e32 v17, 0x32a5705f, v60
	v_add_f32_e32 v17, v22, v17
	v_cvt_i32_f32_e32 v20, v20
	v_exp_f32_e32 v17, v17
	v_cmp_ngt_f32_e32 vcc, s87, v60
	v_ldexp_f32 v17, v17, v20
	s_nop 0
	v_cndmask_b32_e32 v17, 0, v17, vcc
	v_cmp_nlt_f32_e32 vcc, s80, v60
	s_nop 1
	v_cndmask_b32_e32 v36, v57, v17, vcc
	v_add_f32_e32 v17, 1.0, v36
	v_add_f32_e32 v20, -1.0, v17
	v_sub_f32_e32 v22, v20, v17
	v_add_f32_e32 v22, 1.0, v22
	v_sub_f32_e32 v20, v36, v20
	v_add_f32_e32 v20, v20, v22
	v_frexp_mant_f32_e32 v24, v17
	v_cvt_f64_f32_e32 v[22:23], v17
	v_frexp_exp_i32_f64_e32 v22, v[22:23]
	v_cmp_gt_f32_e32 vcc, s93, v24
	v_cmp_gt_f32_e64 s[26:27], s92, v36
	s_nop 0
	v_subbrev_co_u32_e32 v30, vcc, 0, v22, vcc
	v_sub_u32_e32 v22, 0, v30
	v_ldexp_f32 v17, v17, v22
	v_ldexp_f32 v20, v20, v22
	v_add_f32_e32 v22, -1.0, v17
	v_add_f32_e32 v23, 1.0, v22
	v_sub_f32_e32 v23, v17, v23
	v_add_f32_e32 v24, v20, v23
	v_add_f32_e32 v23, 1.0, v17
	v_add_f32_e32 v25, -1.0, v23
	v_sub_f32_e32 v17, v17, v25
	v_add_f32_e32 v17, v20, v17
	v_add_f32_e32 v20, v23, v17
	v_rcp_f32_e32 v31, v20
	v_sub_f32_e32 v23, v23, v20
	v_add_f32_e32 v17, v17, v23
	v_add_f32_e32 v23, v22, v24
	v_sub_f32_e32 v22, v22, v23
	v_mul_f32_e32 v33, v23, v31
	v_add_f32_e32 v32, v24, v22
	v_mul_f32_e32 v24, v20, v33
	v_fma_f32 v26, v33, v20, -v24
	v_fmac_f32_e32 v26, v33, v17
	v_add_f32_e32 v22, v24, v26
	v_sub_f32_e32 v25, v23, v22
	v_pk_add_f32 v[28:29], v[22:23], v[24:25] neg_lo:[0,1] neg_hi:[0,1]
	v_mov_b32_e32 v27, v22
	v_pk_add_f32 v[22:23], v[28:29], v[26:27] neg_lo:[0,1] neg_hi:[0,1]
	v_cmp_eq_f32_e32 vcc, s83, v36
	v_add_f32_e32 v23, v32, v23
	v_add_f32_e32 v22, v22, v23
	;; [unrolled: 1-line block ×3, first 2 shown]
	v_mul_f32_e32 v32, v31, v23
	v_mul_f32_e32 v24, v20, v32
	v_fma_f32 v26, v32, v20, -v24
	v_fmac_f32_e32 v26, v32, v17
	v_sub_f32_e32 v17, v25, v23
	v_add_f32_e32 v17, v22, v17
	v_add_f32_e32 v22, v24, v26
	v_sub_f32_e32 v25, v23, v22
	v_pk_add_f32 v[28:29], v[22:23], v[24:25] neg_lo:[0,1] neg_hi:[0,1]
	v_mov_b32_e32 v27, v22
	v_pk_add_f32 v[22:23], v[28:29], v[26:27] neg_lo:[0,1] neg_hi:[0,1]
	v_add_f32_e32 v20, v33, v32
	v_add_f32_e32 v17, v17, v23
	;; [unrolled: 1-line block ×4, first 2 shown]
	v_sub_f32_e32 v22, v20, v33
	v_mul_f32_e32 v17, v31, v17
	v_sub_f32_e32 v22, v32, v22
	v_add_f32_e32 v23, v22, v17
	v_add_f32_e32 v24, v20, v23
	v_cvt_f32_i32_e32 v22, v30
	v_mul_f32_e32 v26, v24, v24
	v_fmamk_f32 v17, v26, 0x3e9b6dac, v56
	v_sub_f32_e32 v20, v24, v20
	v_fmaak_f32 v17, v26, v17, 0x3f2aaada
	v_sub_f32_e32 v20, v23, v20
	v_mul_f32_e32 v23, v24, v26
	v_pk_mul_f32 v[26:27], v[22:23], v[16:17]
	v_ldexp_f32 v25, v24, 1
	v_fma_f32 v24, v22, s64, -v26
	v_fmac_f32_e32 v24, 0xb102e308, v22
	v_pk_add_f32 v[22:23], v[26:27], v[24:25]
	v_ldexp_f32 v20, v20, 1
	v_sub_f32_e32 v17, v23, v25
	v_sub_f32_e32 v17, v27, v17
	v_add_f32_e32 v29, v20, v17
	v_mov_b32_e32 v28, v26
	v_pk_add_f32 v[26:27], v[22:23], v[26:27] neg_lo:[0,1] neg_hi:[0,1]
	v_pk_add_f32 v[30:31], v[22:23], v[28:29]
	v_mov_b32_e32 v25, v22
	v_mov_b32_e32 v27, v31
	v_pk_add_f32 v[32:33], v[24:25], v[26:27] neg_lo:[0,1] neg_hi:[0,1]
	v_pk_add_f32 v[24:25], v[24:25], v[26:27]
	s_or_b64 vcc, s[26:27], vcc
	v_mov_b32_e32 v20, v25
	v_pk_add_f32 v[26:27], v[20:21], v[22:23] neg_lo:[0,1] neg_hi:[0,1]
	v_mov_b32_e32 v24, v31
	v_mov_b32_e32 v17, v26
	v_pk_add_f32 v[34:35], v[30:31], v[16:17] neg_lo:[0,1] neg_hi:[0,1]
	v_mov_b32_e32 v30, v23
	v_mov_b32_e32 v31, v26
	;; [unrolled: 1-line block ×3, first 2 shown]
	v_pk_add_f32 v[24:25], v[24:25], v[30:31] neg_lo:[0,1] neg_hi:[0,1]
	v_mov_b32_e32 v26, v29
	v_mov_b32_e32 v27, v22
	v_pk_add_f32 v[22:23], v[26:27], v[24:25] neg_lo:[0,1] neg_hi:[0,1]
	v_mov_b32_e32 v34, v32
	v_pk_add_f32 v[24:25], v[34:35], v[22:23]
	s_nop 0
	v_mov_b32_e32 v26, v25
	v_pk_add_f32 v[26:27], v[24:25], v[26:27]
	s_nop 0
	v_pk_add_f32 v[28:29], v[20:21], v[26:27]
	v_mov_b32_e32 v23, v26
	v_mov_b32_e32 v25, v28
	v_pk_add_f32 v[30:31], v[24:25], v[32:33] neg_lo:[0,1] neg_hi:[0,1]
	s_nop 0
	v_sub_f32_e32 v17, v24, v30
	v_pk_add_f32 v[22:23], v[22:23], v[30:31] neg_lo:[0,1] neg_hi:[0,1]
	v_sub_f32_e32 v17, v32, v17
	v_add_f32_e32 v17, v22, v17
	v_add_f32_e32 v17, v17, v23
	;; [unrolled: 1-line block ×3, first 2 shown]
	v_cndmask_b32_e32 v60, v17, v36, vcc
.LBB132_27:                             ;   in Loop: Header=BB132_11 Depth=1
	s_or_b64 exec, exec, s[28:29]
	v_add_f32_e32 v61, s33, v21
	v_cmp_ge_f32_e32 vcc, s85, v61
	s_and_b64 s[26:27], s[62:63], vcc
	s_and_saveexec_b64 s[28:29], s[26:27]
	s_cbranch_execz .LBB132_29
; %bb.28:                               ;   in Loop: Header=BB132_11 Depth=1
	v_mul_f32_e32 v17, 0x3fb8aa3b, v61
	v_rndne_f32_e32 v20, v17
	v_sub_f32_e32 v21, v17, v20
	v_fma_f32 v17, v61, s86, -v17
	v_fmac_f32_e32 v17, 0x32a5705f, v61
	v_add_f32_e32 v17, v21, v17
	v_cvt_i32_f32_e32 v20, v20
	v_exp_f32_e32 v17, v17
	v_cmp_ngt_f32_e32 vcc, s87, v61
	v_ldexp_f32 v17, v17, v20
	s_nop 0
	v_cndmask_b32_e32 v17, 0, v17, vcc
	v_cmp_nlt_f32_e32 vcc, s80, v61
	s_nop 1
	v_cndmask_b32_e32 v36, v57, v17, vcc
	v_add_f32_e32 v17, 1.0, v36
	v_add_f32_e32 v20, -1.0, v17
	v_sub_f32_e32 v21, v20, v17
	v_add_f32_e32 v21, 1.0, v21
	v_sub_f32_e32 v20, v36, v20
	v_add_f32_e32 v22, v20, v21
	v_frexp_mant_f32_e32 v23, v17
	v_cvt_f64_f32_e32 v[20:21], v17
	v_frexp_exp_i32_f64_e32 v20, v[20:21]
	v_cmp_gt_f32_e32 vcc, s93, v23
	v_cmp_gt_f32_e64 s[26:27], s92, v36
	s_nop 0
	v_subbrev_co_u32_e32 v28, vcc, 0, v20, vcc
	v_sub_u32_e32 v20, 0, v28
	v_ldexp_f32 v17, v17, v20
	v_ldexp_f32 v20, v22, v20
	v_add_f32_e32 v22, -1.0, v17
	v_add_f32_e32 v21, 1.0, v22
	v_sub_f32_e32 v21, v17, v21
	v_add_f32_e32 v23, v20, v21
	v_add_f32_e32 v21, 1.0, v17
	v_add_f32_e32 v24, -1.0, v21
	v_sub_f32_e32 v17, v17, v24
	v_add_f32_e32 v17, v20, v17
	v_add_f32_e32 v29, v21, v17
	v_rcp_f32_e32 v30, v29
	v_sub_f32_e32 v20, v21, v29
	v_add_f32_e32 v21, v22, v23
	v_add_f32_e32 v17, v17, v20
	v_mul_f32_e32 v32, v21, v30
	v_sub_f32_e32 v20, v22, v21
	v_mul_f32_e32 v22, v29, v32
	v_fma_f32 v24, v32, v29, -v22
	v_fmac_f32_e32 v24, v32, v17
	v_add_f32_e32 v31, v23, v20
	v_add_f32_e32 v20, v22, v24
	v_sub_f32_e32 v23, v21, v20
	v_pk_add_f32 v[26:27], v[20:21], v[22:23] neg_lo:[0,1] neg_hi:[0,1]
	v_mov_b32_e32 v25, v20
	v_pk_add_f32 v[20:21], v[26:27], v[24:25] neg_lo:[0,1] neg_hi:[0,1]
	v_cmp_eq_f32_e32 vcc, s83, v36
	v_add_f32_e32 v21, v31, v21
	v_add_f32_e32 v20, v20, v21
	;; [unrolled: 1-line block ×3, first 2 shown]
	v_mul_f32_e32 v31, v30, v21
	v_mul_f32_e32 v22, v29, v31
	v_fma_f32 v24, v31, v29, -v22
	v_fmac_f32_e32 v24, v31, v17
	v_sub_f32_e32 v17, v23, v21
	v_add_f32_e32 v17, v20, v17
	v_add_f32_e32 v20, v22, v24
	v_sub_f32_e32 v23, v21, v20
	v_pk_add_f32 v[26:27], v[20:21], v[22:23] neg_lo:[0,1] neg_hi:[0,1]
	v_mov_b32_e32 v25, v20
	v_pk_add_f32 v[20:21], v[26:27], v[24:25] neg_lo:[0,1] neg_hi:[0,1]
	s_or_b64 vcc, s[26:27], vcc
	v_add_f32_e32 v17, v17, v21
	v_add_f32_e32 v17, v20, v17
	;; [unrolled: 1-line block ×4, first 2 shown]
	v_sub_f32_e32 v20, v21, v32
	v_mul_f32_e32 v17, v30, v17
	v_sub_f32_e32 v20, v31, v20
	v_add_f32_e32 v22, v20, v17
	v_add_f32_e32 v24, v21, v22
	v_cvt_f32_i32_e32 v20, v28
	v_mul_f32_e32 v25, v24, v24
	v_sub_f32_e32 v21, v24, v21
	v_fmamk_f32 v17, v25, 0x3e9b6dac, v56
	v_sub_f32_e32 v21, v22, v21
	v_fmaak_f32 v17, v25, v17, 0x3f2aaada
	v_ldexp_f32 v26, v21, 1
	v_mul_f32_e32 v21, v24, v25
	v_ldexp_f32 v23, v24, 1
	v_pk_mul_f32 v[24:25], v[20:21], v[16:17]
	s_nop 0
	v_fma_f32 v22, v20, s64, -v24
	v_fmac_f32_e32 v22, 0xb102e308, v20
	v_pk_add_f32 v[20:21], v[24:25], v[22:23]
	s_nop 0
	v_sub_f32_e32 v17, v21, v23
	v_sub_f32_e32 v17, v25, v17
	v_add_f32_e32 v27, v26, v17
	v_mov_b32_e32 v26, v24
	v_pk_add_f32 v[24:25], v[20:21], v[24:25] neg_lo:[0,1] neg_hi:[0,1]
	v_pk_add_f32 v[28:29], v[20:21], v[26:27]
	v_mov_b32_e32 v23, v20
	v_mov_b32_e32 v25, v29
	v_pk_add_f32 v[30:31], v[22:23], v[24:25] neg_lo:[0,1] neg_hi:[0,1]
	v_pk_add_f32 v[22:23], v[22:23], v[24:25]
	v_mov_b32_e32 v26, v27
	v_mov_b32_e32 v24, v23
	v_pk_add_f32 v[32:33], v[24:25], v[20:21] neg_lo:[0,1] neg_hi:[0,1]
	v_mov_b32_e32 v22, v29
	v_mov_b32_e32 v17, v32
	v_pk_add_f32 v[34:35], v[28:29], v[16:17] neg_lo:[0,1] neg_hi:[0,1]
	v_mov_b32_e32 v28, v21
	v_mov_b32_e32 v29, v32
	;; [unrolled: 1-line block ×3, first 2 shown]
	v_pk_add_f32 v[22:23], v[22:23], v[28:29] neg_lo:[0,1] neg_hi:[0,1]
	v_mov_b32_e32 v27, v20
	v_pk_add_f32 v[20:21], v[26:27], v[22:23] neg_lo:[0,1] neg_hi:[0,1]
	v_mov_b32_e32 v34, v30
	v_pk_add_f32 v[22:23], v[34:35], v[20:21]
	s_nop 0
	v_mov_b32_e32 v26, v23
	v_pk_add_f32 v[26:27], v[22:23], v[26:27]
	s_nop 0
	v_pk_add_f32 v[24:25], v[24:25], v[26:27]
	v_mov_b32_e32 v21, v26
	v_mov_b32_e32 v23, v24
	v_pk_add_f32 v[28:29], v[22:23], v[30:31] neg_lo:[0,1] neg_hi:[0,1]
	s_nop 0
	v_sub_f32_e32 v17, v22, v28
	v_pk_add_f32 v[20:21], v[20:21], v[28:29] neg_lo:[0,1] neg_hi:[0,1]
	v_sub_f32_e32 v17, v30, v17
	v_add_f32_e32 v17, v20, v17
	v_add_f32_e32 v17, v17, v21
	;; [unrolled: 1-line block ×3, first 2 shown]
	v_cndmask_b32_e32 v61, v17, v36, vcc
.LBB132_29:                             ;   in Loop: Header=BB132_11 Depth=1
	s_or_b64 exec, exec, s[28:29]
	s_waitcnt lgkmcnt(0)
	v_add_f32_e32 v23, s33, v18
	v_cmp_ge_f32_e32 vcc, s85, v23
	s_and_b64 s[26:27], s[62:63], vcc
	s_and_saveexec_b64 s[28:29], s[26:27]
	s_cbranch_execz .LBB132_31
; %bb.30:                               ;   in Loop: Header=BB132_11 Depth=1
	v_mul_f32_e32 v17, 0x3fb8aa3b, v23
	v_rndne_f32_e32 v18, v17
	v_sub_f32_e32 v20, v17, v18
	v_fma_f32 v17, v23, s86, -v17
	v_fmac_f32_e32 v17, 0x32a5705f, v23
	v_add_f32_e32 v17, v20, v17
	v_cvt_i32_f32_e32 v18, v18
	v_exp_f32_e32 v17, v17
	v_cmp_ngt_f32_e32 vcc, s87, v23
	v_ldexp_f32 v17, v17, v18
	s_nop 0
	v_cndmask_b32_e32 v17, 0, v17, vcc
	v_cmp_nlt_f32_e32 vcc, s80, v23
	s_nop 1
	v_cndmask_b32_e32 v34, v57, v17, vcc
	v_add_f32_e32 v17, 1.0, v34
	v_add_f32_e32 v18, -1.0, v17
	v_sub_f32_e32 v20, v18, v17
	v_add_f32_e32 v20, 1.0, v20
	v_sub_f32_e32 v18, v34, v18
	v_add_f32_e32 v18, v18, v20
	v_frexp_mant_f32_e32 v22, v17
	v_cvt_f64_f32_e32 v[20:21], v17
	v_frexp_exp_i32_f64_e32 v20, v[20:21]
	v_cmp_gt_f32_e32 vcc, s93, v22
	v_cmp_gt_f32_e64 s[26:27], s92, v34
	s_nop 0
	v_subbrev_co_u32_e32 v28, vcc, 0, v20, vcc
	v_sub_u32_e32 v20, 0, v28
	v_ldexp_f32 v17, v17, v20
	v_ldexp_f32 v18, v18, v20
	v_add_f32_e32 v20, -1.0, v17
	v_add_f32_e32 v21, 1.0, v20
	v_sub_f32_e32 v21, v17, v21
	v_add_f32_e32 v22, v18, v21
	v_add_f32_e32 v21, 1.0, v17
	v_add_f32_e32 v23, -1.0, v21
	v_sub_f32_e32 v17, v17, v23
	v_add_f32_e32 v17, v18, v17
	v_add_f32_e32 v18, v21, v17
	v_rcp_f32_e32 v29, v18
	v_sub_f32_e32 v21, v21, v18
	v_add_f32_e32 v17, v17, v21
	v_add_f32_e32 v21, v20, v22
	v_sub_f32_e32 v20, v20, v21
	v_mul_f32_e32 v31, v21, v29
	v_add_f32_e32 v30, v22, v20
	v_mul_f32_e32 v22, v18, v31
	v_fma_f32 v24, v31, v18, -v22
	v_fmac_f32_e32 v24, v31, v17
	v_add_f32_e32 v20, v22, v24
	v_sub_f32_e32 v23, v21, v20
	v_pk_add_f32 v[26:27], v[20:21], v[22:23] neg_lo:[0,1] neg_hi:[0,1]
	v_mov_b32_e32 v25, v20
	v_pk_add_f32 v[20:21], v[26:27], v[24:25] neg_lo:[0,1] neg_hi:[0,1]
	v_cmp_eq_f32_e32 vcc, s83, v34
	v_add_f32_e32 v21, v30, v21
	v_add_f32_e32 v20, v20, v21
	;; [unrolled: 1-line block ×3, first 2 shown]
	v_mul_f32_e32 v30, v29, v21
	v_mul_f32_e32 v22, v18, v30
	v_fma_f32 v24, v30, v18, -v22
	v_fmac_f32_e32 v24, v30, v17
	v_sub_f32_e32 v17, v23, v21
	v_add_f32_e32 v17, v20, v17
	v_add_f32_e32 v20, v22, v24
	v_sub_f32_e32 v23, v21, v20
	v_pk_add_f32 v[26:27], v[20:21], v[22:23] neg_lo:[0,1] neg_hi:[0,1]
	v_mov_b32_e32 v25, v20
	v_pk_add_f32 v[20:21], v[26:27], v[24:25] neg_lo:[0,1] neg_hi:[0,1]
	v_add_f32_e32 v18, v31, v30
	v_add_f32_e32 v17, v17, v21
	;; [unrolled: 1-line block ×4, first 2 shown]
	v_sub_f32_e32 v20, v18, v31
	v_mul_f32_e32 v17, v29, v17
	v_sub_f32_e32 v20, v30, v20
	v_add_f32_e32 v21, v20, v17
	v_add_f32_e32 v22, v18, v21
	v_cvt_f32_i32_e32 v20, v28
	v_mul_f32_e32 v24, v22, v22
	v_fmamk_f32 v17, v24, 0x3e9b6dac, v56
	v_sub_f32_e32 v18, v22, v18
	v_fmaak_f32 v17, v24, v17, 0x3f2aaada
	v_sub_f32_e32 v18, v21, v18
	v_mul_f32_e32 v21, v22, v24
	v_pk_mul_f32 v[24:25], v[20:21], v[16:17]
	v_ldexp_f32 v23, v22, 1
	v_fma_f32 v22, v20, s64, -v24
	v_fmac_f32_e32 v22, 0xb102e308, v20
	v_pk_add_f32 v[20:21], v[24:25], v[22:23]
	v_ldexp_f32 v18, v18, 1
	v_sub_f32_e32 v17, v21, v23
	v_sub_f32_e32 v17, v25, v17
	v_add_f32_e32 v27, v18, v17
	v_mov_b32_e32 v26, v24
	v_pk_add_f32 v[24:25], v[20:21], v[24:25] neg_lo:[0,1] neg_hi:[0,1]
	v_pk_add_f32 v[28:29], v[20:21], v[26:27]
	v_mov_b32_e32 v23, v20
	v_mov_b32_e32 v25, v29
	v_pk_add_f32 v[30:31], v[22:23], v[24:25] neg_lo:[0,1] neg_hi:[0,1]
	v_pk_add_f32 v[22:23], v[22:23], v[24:25]
	s_or_b64 vcc, s[26:27], vcc
	v_mov_b32_e32 v18, v23
	v_pk_add_f32 v[24:25], v[18:19], v[20:21] neg_lo:[0,1] neg_hi:[0,1]
	v_mov_b32_e32 v22, v29
	v_mov_b32_e32 v17, v24
	v_pk_add_f32 v[32:33], v[28:29], v[16:17] neg_lo:[0,1] neg_hi:[0,1]
	v_mov_b32_e32 v28, v21
	v_mov_b32_e32 v29, v24
	;; [unrolled: 1-line block ×3, first 2 shown]
	v_pk_add_f32 v[22:23], v[22:23], v[28:29] neg_lo:[0,1] neg_hi:[0,1]
	v_mov_b32_e32 v24, v27
	v_mov_b32_e32 v25, v20
	v_pk_add_f32 v[20:21], v[24:25], v[22:23] neg_lo:[0,1] neg_hi:[0,1]
	v_mov_b32_e32 v32, v30
	v_pk_add_f32 v[22:23], v[32:33], v[20:21]
	s_nop 0
	v_mov_b32_e32 v24, v23
	v_pk_add_f32 v[24:25], v[22:23], v[24:25]
	s_nop 0
	v_pk_add_f32 v[26:27], v[18:19], v[24:25]
	v_mov_b32_e32 v21, v24
	v_mov_b32_e32 v23, v26
	v_pk_add_f32 v[28:29], v[22:23], v[30:31] neg_lo:[0,1] neg_hi:[0,1]
	s_nop 0
	v_sub_f32_e32 v17, v22, v28
	v_pk_add_f32 v[20:21], v[20:21], v[28:29] neg_lo:[0,1] neg_hi:[0,1]
	v_sub_f32_e32 v17, v30, v17
	v_add_f32_e32 v17, v20, v17
	v_add_f32_e32 v17, v17, v21
	;; [unrolled: 1-line block ×3, first 2 shown]
	v_cndmask_b32_e32 v23, v17, v34, vcc
.LBB132_31:                             ;   in Loop: Header=BB132_11 Depth=1
	s_or_b64 exec, exec, s[28:29]
	v_add_f32_e32 v22, s33, v19
	v_cmp_ge_f32_e32 vcc, s85, v22
	s_and_b64 s[26:27], s[62:63], vcc
	s_and_saveexec_b64 s[28:29], s[26:27]
	s_cbranch_execz .LBB132_33
; %bb.32:                               ;   in Loop: Header=BB132_11 Depth=1
	v_mul_f32_e32 v17, 0x3fb8aa3b, v22
	v_rndne_f32_e32 v18, v17
	v_sub_f32_e32 v19, v17, v18
	v_fma_f32 v17, v22, s86, -v17
	v_fmac_f32_e32 v17, 0x32a5705f, v22
	v_add_f32_e32 v17, v19, v17
	v_cvt_i32_f32_e32 v18, v18
	v_exp_f32_e32 v17, v17
	v_cmp_ngt_f32_e32 vcc, s87, v22
	v_ldexp_f32 v17, v17, v18
	s_nop 0
	v_cndmask_b32_e32 v17, 0, v17, vcc
	v_cmp_nlt_f32_e32 vcc, s80, v22
	s_nop 1
	v_cndmask_b32_e32 v34, v57, v17, vcc
	v_add_f32_e32 v17, 1.0, v34
	v_add_f32_e32 v18, -1.0, v17
	v_sub_f32_e32 v19, v18, v17
	v_add_f32_e32 v19, 1.0, v19
	v_sub_f32_e32 v18, v34, v18
	v_add_f32_e32 v20, v18, v19
	v_frexp_mant_f32_e32 v21, v17
	v_cvt_f64_f32_e32 v[18:19], v17
	v_frexp_exp_i32_f64_e32 v18, v[18:19]
	v_cmp_gt_f32_e32 vcc, s93, v21
	v_cmp_gt_f32_e64 s[26:27], s92, v34
	s_nop 0
	v_subbrev_co_u32_e32 v22, vcc, 0, v18, vcc
	v_sub_u32_e32 v18, 0, v22
	v_ldexp_f32 v17, v17, v18
	v_ldexp_f32 v18, v20, v18
	v_add_f32_e32 v20, -1.0, v17
	v_add_f32_e32 v19, 1.0, v20
	v_sub_f32_e32 v19, v17, v19
	v_add_f32_e32 v21, v18, v19
	v_add_f32_e32 v19, 1.0, v17
	v_add_f32_e32 v24, -1.0, v19
	v_sub_f32_e32 v17, v17, v24
	v_add_f32_e32 v17, v18, v17
	v_add_f32_e32 v28, v19, v17
	v_rcp_f32_e32 v29, v28
	v_sub_f32_e32 v18, v19, v28
	v_add_f32_e32 v19, v20, v21
	v_add_f32_e32 v17, v17, v18
	v_mul_f32_e32 v31, v19, v29
	v_sub_f32_e32 v18, v20, v19
	v_mul_f32_e32 v20, v28, v31
	v_fma_f32 v24, v31, v28, -v20
	v_fmac_f32_e32 v24, v31, v17
	v_add_f32_e32 v30, v21, v18
	v_add_f32_e32 v18, v20, v24
	v_sub_f32_e32 v21, v19, v18
	v_pk_add_f32 v[26:27], v[18:19], v[20:21] neg_lo:[0,1] neg_hi:[0,1]
	v_mov_b32_e32 v25, v18
	v_pk_add_f32 v[18:19], v[26:27], v[24:25] neg_lo:[0,1] neg_hi:[0,1]
	v_cmp_eq_f32_e32 vcc, s83, v34
	v_add_f32_e32 v19, v30, v19
	v_add_f32_e32 v18, v18, v19
	;; [unrolled: 1-line block ×3, first 2 shown]
	v_mul_f32_e32 v30, v29, v19
	v_mul_f32_e32 v20, v28, v30
	v_fma_f32 v24, v30, v28, -v20
	v_fmac_f32_e32 v24, v30, v17
	v_sub_f32_e32 v17, v21, v19
	v_add_f32_e32 v17, v18, v17
	v_add_f32_e32 v18, v20, v24
	v_sub_f32_e32 v21, v19, v18
	v_pk_add_f32 v[26:27], v[18:19], v[20:21] neg_lo:[0,1] neg_hi:[0,1]
	v_mov_b32_e32 v25, v18
	v_pk_add_f32 v[18:19], v[26:27], v[24:25] neg_lo:[0,1] neg_hi:[0,1]
	s_or_b64 vcc, s[26:27], vcc
	v_add_f32_e32 v17, v17, v19
	v_add_f32_e32 v17, v18, v17
	v_add_f32_e32 v19, v31, v30
	v_add_f32_e32 v17, v21, v17
	v_sub_f32_e32 v18, v19, v31
	v_mul_f32_e32 v17, v29, v17
	v_sub_f32_e32 v18, v30, v18
	v_add_f32_e32 v20, v18, v17
	v_add_f32_e32 v24, v19, v20
	v_cvt_f32_i32_e32 v18, v22
	v_mul_f32_e32 v25, v24, v24
	v_sub_f32_e32 v19, v24, v19
	v_fmamk_f32 v17, v25, 0x3e9b6dac, v56
	v_sub_f32_e32 v19, v20, v19
	v_fmaak_f32 v17, v25, v17, 0x3f2aaada
	v_ldexp_f32 v22, v19, 1
	v_mul_f32_e32 v19, v24, v25
	v_ldexp_f32 v21, v24, 1
	v_pk_mul_f32 v[24:25], v[18:19], v[16:17]
	s_nop 0
	v_fma_f32 v20, v18, s64, -v24
	v_fmac_f32_e32 v20, 0xb102e308, v18
	v_pk_add_f32 v[18:19], v[24:25], v[20:21]
	v_mov_b32_e32 v26, v24
	v_sub_f32_e32 v17, v19, v21
	v_sub_f32_e32 v17, v25, v17
	v_add_f32_e32 v27, v22, v17
	v_pk_add_f32 v[24:25], v[18:19], v[24:25] neg_lo:[0,1] neg_hi:[0,1]
	v_pk_add_f32 v[28:29], v[18:19], v[26:27]
	v_mov_b32_e32 v21, v18
	v_mov_b32_e32 v25, v29
	v_pk_add_f32 v[30:31], v[20:21], v[24:25] neg_lo:[0,1] neg_hi:[0,1]
	v_pk_add_f32 v[20:21], v[20:21], v[24:25]
	s_nop 0
	v_mov_b32_e32 v22, v21
	v_pk_add_f32 v[24:25], v[22:23], v[18:19] neg_lo:[0,1] neg_hi:[0,1]
	v_mov_b32_e32 v20, v29
	v_mov_b32_e32 v17, v24
	v_pk_add_f32 v[32:33], v[28:29], v[16:17] neg_lo:[0,1] neg_hi:[0,1]
	v_mov_b32_e32 v28, v19
	v_mov_b32_e32 v29, v24
	;; [unrolled: 1-line block ×3, first 2 shown]
	v_pk_add_f32 v[20:21], v[20:21], v[28:29] neg_lo:[0,1] neg_hi:[0,1]
	v_mov_b32_e32 v24, v27
	v_mov_b32_e32 v25, v18
	v_pk_add_f32 v[18:19], v[24:25], v[20:21] neg_lo:[0,1] neg_hi:[0,1]
	v_mov_b32_e32 v32, v30
	v_pk_add_f32 v[20:21], v[32:33], v[18:19]
	s_nop 0
	v_mov_b32_e32 v24, v21
	v_pk_add_f32 v[24:25], v[20:21], v[24:25]
	s_nop 0
	v_pk_add_f32 v[26:27], v[22:23], v[24:25]
	v_mov_b32_e32 v19, v24
	v_mov_b32_e32 v21, v26
	v_pk_add_f32 v[28:29], v[20:21], v[30:31] neg_lo:[0,1] neg_hi:[0,1]
	s_nop 0
	v_sub_f32_e32 v17, v20, v28
	v_pk_add_f32 v[18:19], v[18:19], v[28:29] neg_lo:[0,1] neg_hi:[0,1]
	v_sub_f32_e32 v17, v30, v17
	v_add_f32_e32 v17, v18, v17
	v_add_f32_e32 v17, v17, v19
	;; [unrolled: 1-line block ×3, first 2 shown]
	v_cndmask_b32_e32 v22, v17, v34, vcc
.LBB132_33:                             ;   in Loop: Header=BB132_11 Depth=1
	s_or_b64 exec, exec, s[28:29]
	v_readlane_b32 s26, v70, 0
	v_readlane_b32 s27, v70, 1
	v_mul_f32_e32 v18, s78, v6
	v_mul_f32_e32 v21, s78, v5
	;; [unrolled: 1-line block ×4, first 2 shown]
	s_and_b64 vcc, exec, s[26:27]
	s_waitcnt lgkmcnt(0)
	; wave barrier
	s_cbranch_vccz .LBB132_75
; %bb.34:                               ;   in Loop: Header=BB132_11 Depth=1
	s_cmp_lg_u32 s98, 0
	v_readlane_b32 s26, v70, 2
	s_cselect_b64 s[90:91], -1, 0
	s_cmp_eq_u32 s98, s26
	v_cmp_gt_u32_e32 vcc, s34, v15
	s_cselect_b64 s[70:71], -1, 0
	s_or_b64 s[26:27], s[66:67], vcc
	v_cmp_gt_u32_e32 vcc, s34, v14
	s_mov_b32 s52, 0
	v_cmp_gt_u32_e64 s[28:29], s34, v9
	s_or_b64 s[30:31], s[66:67], vcc
	v_cmp_gt_u32_e32 vcc, s34, v55
	v_mul_f32_e32 v17, v7, v22
	v_lshl_add_u64 v[24:25], s[42:43], 0, v[2:3]
	v_lshl_add_u64 v[26:27], s[46:47], 0, v[2:3]
	v_mul_f32_e32 v62, v6, v23
	v_mul_f32_e32 v63, v5, v61
	;; [unrolled: 1-line block ×3, first 2 shown]
	s_or_b64 s[28:29], s[66:67], s[28:29]
	s_or_b64 s[34:35], s[66:67], vcc
	s_mov_b32 s88, s52
	s_mov_b32 s72, 0
	;; [unrolled: 1-line block ×5, first 2 shown]
	v_readlane_b32 s99, v70, 3
	s_branch .LBB132_36
.LBB132_35:                             ;   in Loop: Header=BB132_36 Depth=2
	s_or_b64 exec, exec, s[36:37]
	v_mul_f32_e32 v28, v35, v34
	v_fma_f32 v29, v35, v37, v32
	v_cndmask_b32_e64 v32, v29, v32, s[16:17]
	v_cndmask_b32_e64 v28, v28, v35, s[16:17]
	s_waitcnt lgkmcnt(0)
	v_fmac_f32_e32 v32, v40, v28
	v_fmac_f32_e32 v33, v32, v31
	;; [unrolled: 1-line block ×4, first 2 shown]
	v_mov_b32_e32 v31, v36
	s_add_i32 s99, s99, 8
	s_add_i32 s69, s69, -1
	s_add_i32 s76, s76, s84
	s_add_i32 s74, s74, s48
	;; [unrolled: 1-line block ×4, first 2 shown]
	v_pk_fma_f32 v[20:21], v[6:7], v[32:33], v[20:21]
	s_cmp_eq_u32 s69, 0
	v_pk_fma_f32 v[18:19], v[4:5], v[30:31], v[18:19]
	s_cbranch_scc1 .LBB132_75
.LBB132_36:                             ;   Parent Loop BB132_11 Depth=1
                                        ; =>  This Inner Loop Header: Depth=2
	s_lshl_b64 s[36:37], s[88:89], 2
	s_add_u32 s36, s40, s36
	s_addc_u32 s37, s81, s37
	global_load_dword v32, v3, s[36:37]
	s_mov_b32 s53, s52
	s_mov_b32 s73, s89
	s_mov_b32 s54, s52
	s_mov_b32 s55, s52
	v_mov_b64_e32 v[4:5], s[52:53]
	v_lshl_add_u64 v[28:29], s[72:73], 2, v[24:25]
	v_mov_b64_e32 v[6:7], s[54:55]
	v_mov_b32_e32 v30, 0
	s_and_saveexec_b64 s[36:37], s[18:19]
	s_cbranch_execnz .LBB132_48
; %bb.37:                               ;   in Loop: Header=BB132_36 Depth=2
	s_or_b64 exec, exec, s[36:37]
	s_and_saveexec_b64 s[36:37], s[20:21]
	s_cbranch_execnz .LBB132_49
.LBB132_38:                             ;   in Loop: Header=BB132_36 Depth=2
	s_or_b64 exec, exec, s[36:37]
	s_and_saveexec_b64 s[36:37], s[22:23]
	s_cbranch_execnz .LBB132_50
.LBB132_39:                             ;   in Loop: Header=BB132_36 Depth=2
	s_or_b64 exec, exec, s[36:37]
	s_and_saveexec_b64 s[36:37], s[24:25]
	s_cbranch_execz .LBB132_41
.LBB132_40:                             ;   in Loop: Header=BB132_36 Depth=2
	global_load_dword v7, v[28:29], off offset:768
.LBB132_41:                             ;   in Loop: Header=BB132_36 Depth=2
	s_or_b64 exec, exec, s[36:37]
	s_waitcnt vmcnt(0)
	ds_write_b32 v45, v30
	ds_write_b32 v46, v5 offset:256
	ds_write_b32 v47, v6 offset:512
	ds_write_b32 v48, v7 offset:768
	; wave barrier
	ds_read2_b32 v[30:31], v49 offset1:1
	ds_read2_b32 v[36:37], v49 offset0:2 offset1:3
	s_mov_b32 s56, s89
	s_mov_b32 s57, s89
	;; [unrolled: 1-line block ×5, first 2 shown]
	v_mov_b64_e32 v[4:5], s[56:57]
	v_lshl_add_u64 v[28:29], s[74:75], 2, v[26:27]
	v_mov_b64_e32 v[6:7], s[58:59]
	v_mov_b32_e32 v33, 0
	s_and_saveexec_b64 s[36:37], s[18:19]
	s_cbranch_execnz .LBB132_51
; %bb.42:                               ;   in Loop: Header=BB132_36 Depth=2
	s_or_b64 exec, exec, s[36:37]
	s_and_saveexec_b64 s[36:37], s[20:21]
	s_cbranch_execnz .LBB132_52
.LBB132_43:                             ;   in Loop: Header=BB132_36 Depth=2
	s_or_b64 exec, exec, s[36:37]
	s_and_saveexec_b64 s[36:37], s[22:23]
	s_cbranch_execnz .LBB132_53
.LBB132_44:                             ;   in Loop: Header=BB132_36 Depth=2
	s_or_b64 exec, exec, s[36:37]
	s_and_saveexec_b64 s[36:37], s[24:25]
	s_cbranch_execz .LBB132_46
.LBB132_45:                             ;   in Loop: Header=BB132_36 Depth=2
	global_load_dword v7, v[28:29], off offset:768
.LBB132_46:                             ;   in Loop: Header=BB132_36 Depth=2
	s_or_b64 exec, exec, s[36:37]
	v_add_u32_e32 v4, 0x420, v49
	s_waitcnt vmcnt(0)
	ds_write_b32 v45, v33 offset:1056
	ds_write_b32 v50, v5 offset:256
	ds_write_b32 v51, v6 offset:512
	ds_write_b32 v52, v7 offset:768
	; wave barrier
	ds_read2_b32 v[6:7], v4 offset1:1
	ds_read2_b32 v[4:5], v53 offset0:2 offset1:3
	s_andn2_b64 vcc, exec, s[90:91]
	s_cbranch_vccnz .LBB132_54
; %bb.47:                               ;   in Loop: Header=BB132_36 Depth=2
	v_mov_b32_e32 v28, s99
	ds_read_b64 v[28:29], v28
	s_cbranch_execz .LBB132_55
	s_branch .LBB132_58
.LBB132_48:                             ;   in Loop: Header=BB132_36 Depth=2
	global_load_dword v30, v[28:29], off
	v_mov_b32_e32 v4, v3
	v_mov_b32_e32 v5, v3
	v_mov_b64_e32 v[6:7], v[4:5]
	v_mov_b64_e32 v[4:5], v[2:3]
	s_or_b64 exec, exec, s[36:37]
	s_and_saveexec_b64 s[36:37], s[20:21]
	s_cbranch_execz .LBB132_38
.LBB132_49:                             ;   in Loop: Header=BB132_36 Depth=2
	global_load_dword v5, v[28:29], off offset:256
	s_or_b64 exec, exec, s[36:37]
	s_and_saveexec_b64 s[36:37], s[22:23]
	s_cbranch_execz .LBB132_39
.LBB132_50:                             ;   in Loop: Header=BB132_36 Depth=2
	global_load_dword v6, v[28:29], off offset:512
	s_or_b64 exec, exec, s[36:37]
	s_and_saveexec_b64 s[36:37], s[24:25]
	s_cbranch_execnz .LBB132_40
	s_branch .LBB132_41
.LBB132_51:                             ;   in Loop: Header=BB132_36 Depth=2
	global_load_dword v33, v[28:29], off
	v_mov_b32_e32 v4, v3
	v_mov_b32_e32 v5, v3
	v_mov_b64_e32 v[6:7], v[4:5]
	v_mov_b64_e32 v[4:5], v[2:3]
	s_or_b64 exec, exec, s[36:37]
	s_and_saveexec_b64 s[36:37], s[20:21]
	s_cbranch_execz .LBB132_43
.LBB132_52:                             ;   in Loop: Header=BB132_36 Depth=2
	global_load_dword v5, v[28:29], off offset:256
	s_or_b64 exec, exec, s[36:37]
	s_and_saveexec_b64 s[36:37], s[22:23]
	s_cbranch_execz .LBB132_44
.LBB132_53:                             ;   in Loop: Header=BB132_36 Depth=2
	global_load_dword v6, v[28:29], off offset:512
	s_or_b64 exec, exec, s[36:37]
	s_and_saveexec_b64 s[36:37], s[24:25]
	s_cbranch_execnz .LBB132_45
	s_branch .LBB132_46
.LBB132_54:                             ;   in Loop: Header=BB132_36 Depth=2
                                        ; implicit-def: $vgpr29
.LBB132_55:                             ;   in Loop: Header=BB132_36 Depth=2
	s_andn2_b64 vcc, exec, s[38:39]
	s_waitcnt lgkmcnt(0)
	v_mov_b32_e32 v29, 0
	s_cbranch_vccnz .LBB132_57
; %bb.56:                               ;   in Loop: Header=BB132_36 Depth=2
	s_mov_b32 s77, s89
	s_lshl_b64 s[36:37], s[76:77], 2
	s_add_u32 s36, s45, s36
	s_addc_u32 s37, s49, s37
	global_load_dword v29, v3, s[36:37]
.LBB132_57:                             ;   in Loop: Header=BB132_36 Depth=2
	v_mov_b32_e32 v28, 1.0
.LBB132_58:                             ;   in Loop: Header=BB132_36 Depth=2
	v_mul_f32_e32 v34, 0x3fb8aa3b, v32
	v_mul_f32_e32 v32, v34, v60
	v_cmp_gt_f32_e32 vcc, s94, v32
	v_mul_f32_e32 v33, v34, v61
	s_waitcnt lgkmcnt(7)
	v_mul_f32_e32 v30, v30, v64
	v_cndmask_b32_e32 v32, 0, v58, vcc
	v_fmac_f32_e32 v32, v34, v60
	v_exp_f32_e32 v32, v32
	v_cndmask_b32_e32 v35, 1.0, v59, vcc
	v_cmp_gt_f32_e32 vcc, s94, v33
	v_mul_f32_e32 v31, v31, v63
	v_mul_f32_e32 v35, v32, v35
	v_cndmask_b32_e32 v32, 0, v58, vcc
	v_fmac_f32_e32 v32, v34, v61
	v_exp_f32_e32 v33, v32
	v_cndmask_b32_e64 v35, 1.0, v35, s[26:27]
	v_cndmask_b32_e64 v32, 0, v30, s[26:27]
	v_cndmask_b32_e32 v30, 1.0, v59, vcc
	v_pk_mul_f32 v[38:39], v[34:35], v[22:23] op_sel_hi:[0,1]
	v_mul_f32_e32 v30, v33, v30
	s_waitcnt lgkmcnt(6)
	v_mul_f32_e32 v34, v36, v62
	v_cmp_gt_f32_e32 vcc, s94, v38
	v_cndmask_b32_e64 v33, 0, v31, s[28:29]
	v_cndmask_b32_e64 v31, 1.0, v30, s[28:29]
	v_cndmask_b32_e64 v30, 0, v34, s[30:31]
	v_cndmask_b32_e32 v34, 0, v58, vcc
	v_cmp_gt_f32_e64 s[36:37], s94, v39
	v_add_f32_e32 v34, v38, v34
	v_exp_f32_e32 v34, v34
	v_cndmask_b32_e64 v36, 0, v58, s[36:37]
	v_add_f32_e32 v36, v39, v36
	v_exp_f32_e32 v36, v36
	v_cndmask_b32_e32 v38, 1.0, v59, vcc
	v_mul_f32_e32 v34, v34, v38
	v_cndmask_b32_e64 v38, 1.0, v59, s[36:37]
	v_mul_f32_e32 v38, v36, v38
	v_cndmask_b32_e64 v39, 1.0, v38, s[30:31]
	v_cndmask_b32_e64 v38, 1.0, v34, s[34:35]
	v_fma_f32 v34, v31, v32, v33
	v_mul_f32_e32 v34, v34, v39
	v_pk_add_f32 v[40:41], v[34:35], v[30:31]
	v_pk_mul_f32 v[66:67], v[34:35], v[30:31]
	v_mul_f32_e32 v36, v37, v17
	v_mov_b32_e32 v41, v67
	v_cndmask_b32_e64 v36, 0, v36, s[34:35]
	v_pk_mul_f32 v[66:67], v[40:41], v[38:39]
	v_mov_b32_e32 v37, v38
	v_pk_fma_f32 v[68:69], v[40:41], v[38:39], v[36:37]
	v_pk_mul_f32 v[66:67], v[66:67], v[36:37]
	s_nop 0
	v_mov_b32_dpp v37, v68 row_shr:1 row_mask:0xf bank_mask:0xf
	v_mov_b32_dpp v34, v67 row_shr:1 row_mask:0xf bank_mask:0xf
	v_mul_f32_e32 v65, v67, v34
	v_fma_f32 v34, v67, v37, v68
	v_cndmask_b32_e64 v41, v34, v68, s[0:1]
	v_cndmask_b32_e64 v34, v34, v68, s[0:1]
	;; [unrolled: 1-line block ×4, first 2 shown]
	v_mov_b32_dpp v66, v34 row_shr:2 row_mask:0xf bank_mask:0xf
	v_mov_b32_dpp v65, v37 row_shr:2 row_mask:0xf bank_mask:0xf
	s_and_saveexec_b64 s[36:37], s[2:3]
; %bb.59:                               ;   in Loop: Header=BB132_36 Depth=2
	v_fmac_f32_e32 v34, v37, v66
	v_mul_f32_e32 v37, v37, v65
	v_mov_b32_e32 v40, v37
	v_mov_b32_e32 v41, v34
; %bb.60:                               ;   in Loop: Header=BB132_36 Depth=2
	s_or_b64 exec, exec, s[36:37]
	v_mov_b32_dpp v65, v37 row_shr:4 row_mask:0xf bank_mask:0xf
	v_mov_b32_dpp v66, v34 row_shr:4 row_mask:0xf bank_mask:0xf
	s_and_saveexec_b64 s[36:37], s[4:5]
; %bb.61:                               ;   in Loop: Header=BB132_36 Depth=2
	v_fmac_f32_e32 v34, v37, v66
	v_mul_f32_e32 v37, v37, v65
	v_mov_b32_e32 v40, v37
	v_mov_b32_e32 v41, v34
; %bb.62:                               ;   in Loop: Header=BB132_36 Depth=2
	s_or_b64 exec, exec, s[36:37]
	;; [unrolled: 10-line block ×3, first 2 shown]
	v_mov_b32_dpp v65, v37 row_bcast:15 row_mask:0xf bank_mask:0xf
	v_mov_b32_dpp v66, v34 row_bcast:15 row_mask:0xf bank_mask:0xf
	s_and_saveexec_b64 s[36:37], s[8:9]
; %bb.65:                               ;   in Loop: Header=BB132_36 Depth=2
	v_fmac_f32_e32 v34, v37, v66
	v_mul_f32_e32 v37, v37, v65
	v_mov_b32_e32 v40, v37
	v_mov_b32_e32 v41, v34
; %bb.66:                               ;   in Loop: Header=BB132_36 Depth=2
	s_or_b64 exec, exec, s[36:37]
	v_mov_b32_dpp v65, v37 row_bcast:31 row_mask:0xf bank_mask:0xf
	v_mov_b32_dpp v66, v34 row_bcast:31 row_mask:0xf bank_mask:0xf
	v_mul_f32_e32 v65, v37, v65
	v_fmac_f32_e32 v34, v37, v66
	v_cndmask_b32_e64 v40, v40, v65, s[10:11]
	v_cndmask_b32_e64 v41, v41, v34, s[10:11]
	s_and_saveexec_b64 s[36:37], s[12:13]
	s_cbranch_execz .LBB132_68
; %bb.67:                               ;   in Loop: Header=BB132_36 Depth=2
	ds_write_b64 v3, v[40:41] offset:2112
.LBB132_68:                             ;   in Loop: Header=BB132_36 Depth=2
	s_or_b64 exec, exec, s[36:37]
	ds_bpermute_b32 v34, v54, v40
	ds_bpermute_b32 v37, v54, v41
	s_waitcnt vmcnt(0) lgkmcnt(2)
	v_mov_b32_e32 v41, v29
	s_waitcnt lgkmcnt(0)
	; wave barrier
	s_waitcnt lgkmcnt(0)
	s_and_saveexec_b64 s[36:37], s[14:15]
	s_cbranch_execz .LBB132_72
; %bb.69:                               ;   in Loop: Header=BB132_36 Depth=2
	ds_read_b64 v[40:41], v3 offset:2112
	s_and_saveexec_b64 s[54:55], s[16:17]
	s_cbranch_execz .LBB132_71
; %bb.70:                               ;   in Loop: Header=BB132_36 Depth=2
	ds_write_b64 v3, v[28:29] offset:2112
.LBB132_71:                             ;   in Loop: Header=BB132_36 Depth=2
	s_or_b64 exec, exec, s[54:55]
	s_waitcnt lgkmcnt(0)
	v_fmac_f32_e32 v41, v29, v40
	v_mul_f32_e32 v28, v28, v40
	v_mov_b32_e32 v29, v41
.LBB132_72:                             ;   in Loop: Header=BB132_36 Depth=2
	s_or_b64 exec, exec, s[36:37]
	s_waitcnt lgkmcnt(0)
	; wave barrier
	ds_read_b32 v40, v3 offset:2116
	s_and_saveexec_b64 s[36:37], s[16:17]
	s_cbranch_execz .LBB132_35
; %bb.73:                               ;   in Loop: Header=BB132_36 Depth=2
	v_mov_b32_e32 v65, s99
	s_andn2_b64 vcc, exec, s[70:71]
	ds_write_b64 v65, v[28:29]
	s_cbranch_vccnz .LBB132_35
; %bb.74:                               ;   in Loop: Header=BB132_36 Depth=2
	s_mov_b32 s77, s89
	s_lshl_b64 s[54:55], s[76:77], 2
	s_add_u32 s54, s45, s54
	s_addc_u32 s55, s49, s55
	global_store_dword v3, v41, s[54:55]
	s_branch .LBB132_35
.LBB132_75:                             ;   in Loop: Header=BB132_11 Depth=1
	s_waitcnt lgkmcnt(0)
	; wave barrier
	ds_write2_b32 v49, v20, v21 offset1:1
	ds_write2_b32 v49, v18, v19 offset0:2 offset1:3
	; wave barrier
	ds_read_b32 v17, v46 offset:256
	ds_read_b32 v7, v47 offset:512
	;; [unrolled: 1-line block ×3, first 2 shown]
	s_mov_b32 s69, s89
	v_lshl_add_u64 v[4:5], s[68:69], 2, v[0:1]
	s_and_saveexec_b64 s[26:27], s[18:19]
	s_cbranch_execnz .LBB132_91
; %bb.76:                               ;   in Loop: Header=BB132_11 Depth=1
	s_or_b64 exec, exec, s[26:27]
	s_and_saveexec_b64 s[26:27], s[20:21]
	s_cbranch_execnz .LBB132_92
.LBB132_77:                             ;   in Loop: Header=BB132_11 Depth=1
	s_or_b64 exec, exec, s[26:27]
	s_and_saveexec_b64 s[26:27], s[22:23]
	s_cbranch_execnz .LBB132_93
.LBB132_78:                             ;   in Loop: Header=BB132_11 Depth=1
	s_or_b64 exec, exec, s[26:27]
	s_and_saveexec_b64 s[26:27], s[24:25]
	s_cbranch_execz .LBB132_80
.LBB132_79:                             ;   in Loop: Header=BB132_11 Depth=1
	s_waitcnt lgkmcnt(0)
	global_store_dword v[4:5], v6, off offset:768
.LBB132_80:                             ;   in Loop: Header=BB132_11 Depth=1
	s_or_b64 exec, exec, s[26:27]
	s_mov_b32 s88, s89
	s_mov_b32 s90, s89
	;; [unrolled: 1-line block ×3, first 2 shown]
	s_waitcnt lgkmcnt(0)
	v_mov_b64_e32 v[4:5], s[88:89]
	v_lshl_add_u64 v[22:23], s[68:69], 2, v[10:11]
	v_mov_b64_e32 v[6:7], s[90:91]
	v_mov_b32_e32 v17, 0
	s_waitcnt lgkmcnt(0)
	; wave barrier
	s_and_saveexec_b64 s[26:27], s[18:19]
	s_cbranch_execnz .LBB132_94
; %bb.81:                               ;   in Loop: Header=BB132_11 Depth=1
	s_or_b64 exec, exec, s[26:27]
	s_and_saveexec_b64 s[26:27], s[20:21]
	s_cbranch_execnz .LBB132_95
.LBB132_82:                             ;   in Loop: Header=BB132_11 Depth=1
	s_or_b64 exec, exec, s[26:27]
	s_and_saveexec_b64 s[26:27], s[22:23]
	s_cbranch_execnz .LBB132_96
.LBB132_83:                             ;   in Loop: Header=BB132_11 Depth=1
	s_or_b64 exec, exec, s[26:27]
	s_and_saveexec_b64 s[26:27], s[24:25]
	s_cbranch_execz .LBB132_85
.LBB132_84:                             ;   in Loop: Header=BB132_11 Depth=1
	global_load_dword v7, v[22:23], off offset:768
.LBB132_85:                             ;   in Loop: Header=BB132_11 Depth=1
	s_or_b64 exec, exec, s[26:27]
	s_waitcnt vmcnt(0)
	ds_write_b32 v45, v17
	ds_write_b32 v46, v5 offset:256
	ds_write_b32 v47, v6 offset:512
	;; [unrolled: 1-line block ×3, first 2 shown]
	; wave barrier
	ds_read2_b32 v[4:5], v49 offset1:1
	ds_read2_b32 v[6:7], v49 offset0:2 offset1:3
	s_waitcnt lgkmcnt(0)
	; wave barrier
	s_waitcnt lgkmcnt(0)
	v_mul_f32_e32 v17, 0xbfb8aa3b, v5
	v_rndne_f32_e32 v22, v17
	v_sub_f32_e32 v23, v17, v22
	v_fma_f32 v17, v5, s95, -v17
	v_fmac_f32_e32 v17, 0xb2a5705f, v5
	v_add_f32_e32 v17, v23, v17
	v_exp_f32_e32 v17, v17
	v_cvt_i32_f32_e32 v22, v22
	v_cmp_nlt_f32_e32 vcc, s96, v5
	v_ldexp_f32 v17, v17, v22
	v_mul_f32_e32 v22, 0xbfb8aa3b, v4
	v_rndne_f32_e32 v23, v22
	v_sub_f32_e32 v24, v22, v23
	v_fma_f32 v22, v4, s95, -v22
	v_fmac_f32_e32 v22, 0xb2a5705f, v4
	v_add_f32_e32 v22, v24, v22
	v_exp_f32_e32 v22, v22
	v_cvt_i32_f32_e32 v24, v23
	v_cndmask_b32_e32 v17, 0, v17, vcc
	v_cmp_ngt_f32_e32 vcc, s97, v5
	s_nop 1
	v_cndmask_b32_e32 v23, v57, v17, vcc
	v_ldexp_f32 v17, v22, v24
	v_cmp_nlt_f32_e32 vcc, s96, v4
	s_nop 1
	v_cndmask_b32_e32 v17, 0, v17, vcc
	v_cmp_ngt_f32_e32 vcc, s97, v4
	s_nop 1
	v_cndmask_b32_e32 v22, v57, v17, vcc
	v_pk_add_f32 v[22:23], v[22:23], 1.0 op_sel_hi:[1,0]
	s_nop 0
	v_div_scale_f32 v17, s[26:27], v23, v23, v5
	v_rcp_f32_e32 v24, v17
	s_nop 0
	v_fma_f32 v25, -v17, v24, 1.0
	v_fmac_f32_e32 v24, v25, v24
	v_div_scale_f32 v25, vcc, v5, v23, v5
	v_mul_f32_e32 v26, v25, v24
	v_fma_f32 v27, -v17, v26, v25
	v_fmac_f32_e32 v26, v27, v24
	v_fma_f32 v17, -v17, v26, v25
	v_div_scale_f32 v25, s[26:27], v22, v22, v4
	v_rcp_f32_e32 v27, v25
	v_div_fmas_f32 v17, v17, v24, v26
	v_mul_f32_e32 v24, 0xbfb8aa3b, v7
	v_rndne_f32_e32 v26, v24
	v_sub_f32_e32 v28, v24, v26
	v_fma_f32 v24, v7, s95, -v24
	v_div_fixup_f32 v5, v17, v23, v5
	v_fma_f32 v17, -v25, v27, 1.0
	v_fmac_f32_e32 v24, 0xb2a5705f, v7
	v_fmac_f32_e32 v27, v17, v27
	v_div_scale_f32 v17, vcc, v4, v22, v4
	v_add_f32_e32 v24, v28, v24
	v_mul_f32_e32 v23, v17, v27
	v_exp_f32_e32 v24, v24
	v_cvt_i32_f32_e32 v26, v26
	v_fma_f32 v28, -v25, v23, v17
	v_fmac_f32_e32 v23, v28, v27
	v_fma_f32 v17, -v25, v23, v17
	v_mul_f32_e32 v25, 0xbfb8aa3b, v6
	v_ldexp_f32 v24, v24, v26
	v_rndne_f32_e32 v26, v25
	v_sub_f32_e32 v28, v25, v26
	v_fma_f32 v25, v6, s95, -v25
	v_fmac_f32_e32 v25, 0xb2a5705f, v6
	v_add_f32_e32 v25, v28, v25
	v_exp_f32_e32 v28, v25
	v_cvt_i32_f32_e32 v26, v26
	v_cmp_nlt_f32_e64 s[26:27], s96, v7
	v_div_fmas_f32 v17, v17, v27, v23
	v_div_fixup_f32 v4, v17, v22, v4
	v_cndmask_b32_e64 v24, 0, v24, s[26:27]
	v_cmp_ngt_f32_e64 s[26:27], s97, v7
	v_pk_mul_f32 v[4:5], v[4:5], v[20:21]
	s_nop 0
	v_cndmask_b32_e64 v25, v57, v24, s[26:27]
	v_ldexp_f32 v24, v28, v26
	v_cmp_nlt_f32_e64 s[26:27], s96, v6
	s_nop 1
	v_cndmask_b32_e64 v24, 0, v24, s[26:27]
	v_cmp_ngt_f32_e64 s[26:27], s97, v6
	s_nop 1
	v_cndmask_b32_e64 v24, v57, v24, s[26:27]
	v_pk_add_f32 v[24:25], v[24:25], 1.0 op_sel_hi:[1,0]
	s_nop 0
	v_div_scale_f32 v26, s[26:27], v25, v25, v7
	v_rcp_f32_e32 v28, v26
	s_nop 0
	v_fma_f32 v17, -v26, v28, 1.0
	v_fmac_f32_e32 v28, v17, v28
	v_div_scale_f32 v17, vcc, v7, v25, v7
	v_mul_f32_e32 v20, v17, v28
	v_fma_f32 v21, -v26, v20, v17
	v_fmac_f32_e32 v20, v21, v28
	v_div_scale_f32 v21, s[26:27], v24, v24, v6
	v_rcp_f32_e32 v22, v21
	v_fma_f32 v17, -v26, v20, v17
	v_div_fmas_f32 v17, v17, v28, v20
	v_div_fixup_f32 v7, v17, v25, v7
	v_fma_f32 v17, -v21, v22, 1.0
	v_fmac_f32_e32 v22, v17, v22
	v_div_scale_f32 v17, vcc, v6, v24, v6
	v_mul_f32_e32 v20, v17, v22
	v_fma_f32 v23, -v21, v20, v17
	v_fmac_f32_e32 v20, v23, v22
	v_fma_f32 v17, -v21, v20, v17
	v_div_fmas_f32 v17, v17, v22, v20
	v_div_fixup_f32 v6, v17, v24, v6
	v_pk_mul_f32 v[6:7], v[6:7], v[18:19]
	ds_write2_b32 v49, v4, v5 offset1:1
	ds_write2_b32 v49, v6, v7 offset0:2 offset1:3
	; wave barrier
	ds_read_b32 v17, v46 offset:256
	ds_read_b32 v7, v47 offset:512
	;; [unrolled: 1-line block ×3, first 2 shown]
	v_lshl_add_u64 v[4:5], s[68:69], 2, v[12:13]
	s_and_saveexec_b64 s[26:27], s[18:19]
	s_cbranch_execnz .LBB132_97
; %bb.86:                               ;   in Loop: Header=BB132_11 Depth=1
	s_or_b64 exec, exec, s[26:27]
	s_and_saveexec_b64 s[18:19], s[20:21]
	s_cbranch_execnz .LBB132_98
.LBB132_87:                             ;   in Loop: Header=BB132_11 Depth=1
	s_or_b64 exec, exec, s[18:19]
	s_and_saveexec_b64 s[18:19], s[22:23]
	s_cbranch_execnz .LBB132_99
.LBB132_88:                             ;   in Loop: Header=BB132_11 Depth=1
	s_or_b64 exec, exec, s[18:19]
	s_and_saveexec_b64 s[18:19], s[24:25]
	s_cbranch_execz .LBB132_10
	s_branch .LBB132_100
.LBB132_89:                             ;   in Loop: Header=BB132_11 Depth=1
	global_load_dword v21, v[18:19], off offset:256
	s_or_b64 exec, exec, s[26:27]
	s_and_saveexec_b64 s[26:27], s[22:23]
	s_cbranch_execz .LBB132_23
.LBB132_90:                             ;   in Loop: Header=BB132_11 Depth=1
	global_load_dword v20, v[18:19], off offset:512
	s_or_b64 exec, exec, s[26:27]
	v_mov_b32_e32 v22, 0
	s_and_saveexec_b64 s[26:27], s[24:25]
	s_cbranch_execnz .LBB132_24
	s_branch .LBB132_25
.LBB132_91:                             ;   in Loop: Header=BB132_11 Depth=1
	ds_read_b32 v22, v45
	s_waitcnt lgkmcnt(0)
	global_store_dword v[4:5], v22, off
	s_or_b64 exec, exec, s[26:27]
	s_and_saveexec_b64 s[26:27], s[20:21]
	s_cbranch_execz .LBB132_77
.LBB132_92:                             ;   in Loop: Header=BB132_11 Depth=1
	s_waitcnt lgkmcnt(2)
	global_store_dword v[4:5], v17, off offset:256
	s_or_b64 exec, exec, s[26:27]
	s_and_saveexec_b64 s[26:27], s[22:23]
	s_cbranch_execz .LBB132_78
.LBB132_93:                             ;   in Loop: Header=BB132_11 Depth=1
	s_waitcnt lgkmcnt(1)
	global_store_dword v[4:5], v7, off offset:512
	s_or_b64 exec, exec, s[26:27]
	s_and_saveexec_b64 s[26:27], s[24:25]
	s_cbranch_execnz .LBB132_79
	s_branch .LBB132_80
.LBB132_94:                             ;   in Loop: Header=BB132_11 Depth=1
	global_load_dword v17, v[22:23], off
	v_mov_b32_e32 v4, v3
	v_mov_b32_e32 v5, v3
	v_mov_b64_e32 v[6:7], v[4:5]
	v_mov_b64_e32 v[4:5], v[2:3]
	s_or_b64 exec, exec, s[26:27]
	s_and_saveexec_b64 s[26:27], s[20:21]
	s_cbranch_execz .LBB132_82
.LBB132_95:                             ;   in Loop: Header=BB132_11 Depth=1
	global_load_dword v5, v[22:23], off offset:256
	s_or_b64 exec, exec, s[26:27]
	s_and_saveexec_b64 s[26:27], s[22:23]
	s_cbranch_execz .LBB132_83
.LBB132_96:                             ;   in Loop: Header=BB132_11 Depth=1
	global_load_dword v6, v[22:23], off offset:512
	s_or_b64 exec, exec, s[26:27]
	s_and_saveexec_b64 s[26:27], s[24:25]
	s_cbranch_execnz .LBB132_84
	s_branch .LBB132_85
.LBB132_97:                             ;   in Loop: Header=BB132_11 Depth=1
	ds_read_b32 v18, v45
	s_waitcnt lgkmcnt(0)
	global_store_dword v[4:5], v18, off
	s_or_b64 exec, exec, s[26:27]
	s_and_saveexec_b64 s[18:19], s[20:21]
	s_cbranch_execz .LBB132_87
.LBB132_98:                             ;   in Loop: Header=BB132_11 Depth=1
	s_waitcnt lgkmcnt(2)
	global_store_dword v[4:5], v17, off offset:256
	s_or_b64 exec, exec, s[18:19]
	s_and_saveexec_b64 s[18:19], s[22:23]
	s_cbranch_execz .LBB132_88
.LBB132_99:                             ;   in Loop: Header=BB132_11 Depth=1
	s_waitcnt lgkmcnt(1)
	global_store_dword v[4:5], v7, off offset:512
	s_or_b64 exec, exec, s[18:19]
	s_and_saveexec_b64 s[18:19], s[24:25]
	s_cbranch_execz .LBB132_10
.LBB132_100:                            ;   in Loop: Header=BB132_11 Depth=1
	s_waitcnt lgkmcnt(0)
	global_store_dword v[4:5], v6, off offset:768
	s_branch .LBB132_10
.LBB132_101:
	s_endpgm
.LBB132_102:
	s_mov_b64 s[38:39], 0
	s_load_dwordx2 s[6:7], s[0:1], 0x20
	s_cmp_eq_u64 s[4:5], 0
	s_cbranch_scc0 .LBB132_2
	s_branch .LBB132_3
	.section	.rodata,"a",@progbits
	.p2align	6, 0x0
	.amdhsa_kernel _Z25selective_scan_fwd_kernelI32Selective_Scan_fwd_kernel_traitsILi64ELi4ELi1ELb0ELb1ELb1ELb1ELb1EfffEEv13SSMParamsBase
		.amdhsa_group_segment_fixed_size 0
		.amdhsa_private_segment_fixed_size 0
		.amdhsa_kernarg_size 248
		.amdhsa_user_sgpr_count 2
		.amdhsa_user_sgpr_dispatch_ptr 0
		.amdhsa_user_sgpr_queue_ptr 0
		.amdhsa_user_sgpr_kernarg_segment_ptr 1
		.amdhsa_user_sgpr_dispatch_id 0
		.amdhsa_user_sgpr_kernarg_preload_length 0
		.amdhsa_user_sgpr_kernarg_preload_offset 0
		.amdhsa_user_sgpr_private_segment_size 0
		.amdhsa_uses_dynamic_stack 0
		.amdhsa_enable_private_segment 0
		.amdhsa_system_sgpr_workgroup_id_x 1
		.amdhsa_system_sgpr_workgroup_id_y 1
		.amdhsa_system_sgpr_workgroup_id_z 0
		.amdhsa_system_sgpr_workgroup_info 0
		.amdhsa_system_vgpr_workitem_id 0
		.amdhsa_next_free_vgpr 71
		.amdhsa_next_free_sgpr 100
		.amdhsa_accum_offset 72
		.amdhsa_reserve_vcc 1
		.amdhsa_float_round_mode_32 0
		.amdhsa_float_round_mode_16_64 0
		.amdhsa_float_denorm_mode_32 3
		.amdhsa_float_denorm_mode_16_64 3
		.amdhsa_dx10_clamp 1
		.amdhsa_ieee_mode 1
		.amdhsa_fp16_overflow 0
		.amdhsa_tg_split 0
		.amdhsa_exception_fp_ieee_invalid_op 0
		.amdhsa_exception_fp_denorm_src 0
		.amdhsa_exception_fp_ieee_div_zero 0
		.amdhsa_exception_fp_ieee_overflow 0
		.amdhsa_exception_fp_ieee_underflow 0
		.amdhsa_exception_fp_ieee_inexact 0
		.amdhsa_exception_int_div_zero 0
	.end_amdhsa_kernel
	.section	.text._Z25selective_scan_fwd_kernelI32Selective_Scan_fwd_kernel_traitsILi64ELi4ELi1ELb0ELb1ELb1ELb1ELb1EfffEEv13SSMParamsBase,"axG",@progbits,_Z25selective_scan_fwd_kernelI32Selective_Scan_fwd_kernel_traitsILi64ELi4ELi1ELb0ELb1ELb1ELb1ELb1EfffEEv13SSMParamsBase,comdat
.Lfunc_end132:
	.size	_Z25selective_scan_fwd_kernelI32Selective_Scan_fwd_kernel_traitsILi64ELi4ELi1ELb0ELb1ELb1ELb1ELb1EfffEEv13SSMParamsBase, .Lfunc_end132-_Z25selective_scan_fwd_kernelI32Selective_Scan_fwd_kernel_traitsILi64ELi4ELi1ELb0ELb1ELb1ELb1ELb1EfffEEv13SSMParamsBase
                                        ; -- End function
	.section	.AMDGPU.csdata,"",@progbits
; Kernel info:
; codeLenInByte = 7364
; NumSgprs: 106
; NumVgprs: 71
; NumAgprs: 0
; TotalNumVgprs: 71
; ScratchSize: 0
; MemoryBound: 0
; FloatMode: 240
; IeeeMode: 1
; LDSByteSize: 0 bytes/workgroup (compile time only)
; SGPRBlocks: 13
; VGPRBlocks: 8
; NumSGPRsForWavesPerEU: 106
; NumVGPRsForWavesPerEU: 71
; AccumOffset: 72
; Occupancy: 7
; WaveLimiterHint : 1
; COMPUTE_PGM_RSRC2:SCRATCH_EN: 0
; COMPUTE_PGM_RSRC2:USER_SGPR: 2
; COMPUTE_PGM_RSRC2:TRAP_HANDLER: 0
; COMPUTE_PGM_RSRC2:TGID_X_EN: 1
; COMPUTE_PGM_RSRC2:TGID_Y_EN: 1
; COMPUTE_PGM_RSRC2:TGID_Z_EN: 0
; COMPUTE_PGM_RSRC2:TIDIG_COMP_CNT: 0
; COMPUTE_PGM_RSRC3_GFX90A:ACCUM_OFFSET: 17
; COMPUTE_PGM_RSRC3_GFX90A:TG_SPLIT: 0
	.section	.text._Z25selective_scan_fwd_kernelI32Selective_Scan_fwd_kernel_traitsILi64ELi4ELi1ELb0ELb1ELb1ELb1ELb0EfffEEv13SSMParamsBase,"axG",@progbits,_Z25selective_scan_fwd_kernelI32Selective_Scan_fwd_kernel_traitsILi64ELi4ELi1ELb0ELb1ELb1ELb1ELb0EfffEEv13SSMParamsBase,comdat
	.protected	_Z25selective_scan_fwd_kernelI32Selective_Scan_fwd_kernel_traitsILi64ELi4ELi1ELb0ELb1ELb1ELb1ELb0EfffEEv13SSMParamsBase ; -- Begin function _Z25selective_scan_fwd_kernelI32Selective_Scan_fwd_kernel_traitsILi64ELi4ELi1ELb0ELb1ELb1ELb1ELb0EfffEEv13SSMParamsBase
	.globl	_Z25selective_scan_fwd_kernelI32Selective_Scan_fwd_kernel_traitsILi64ELi4ELi1ELb0ELb1ELb1ELb1ELb0EfffEEv13SSMParamsBase
	.p2align	8
	.type	_Z25selective_scan_fwd_kernelI32Selective_Scan_fwd_kernel_traitsILi64ELi4ELi1ELb0ELb1ELb1ELb1ELb0EfffEEv13SSMParamsBase,@function
_Z25selective_scan_fwd_kernelI32Selective_Scan_fwd_kernel_traitsILi64ELi4ELi1ELb0ELb1ELb1ELb1ELb0EfffEEv13SSMParamsBase: ; @_Z25selective_scan_fwd_kernelI32Selective_Scan_fwd_kernel_traitsILi64ELi4ELi1ELb0ELb1ELb1ELb1ELb0EfffEEv13SSMParamsBase
; %bb.0:
	s_load_dword s35, s[0:1], 0x18
	s_load_dwordx4 s[4:7], s[0:1], 0xe8
	s_mov_b32 s28, s3
	s_waitcnt lgkmcnt(0)
	s_abs_i32 s34, s35
	v_cvt_f32_u32_e32 v1, s34
	s_cmp_eq_u64 s[6:7], 0
	v_rcp_iflag_f32_e32 v1, v1
	s_nop 0
	v_mul_f32_e32 v1, 0x4f7ffffe, v1
	v_cvt_u32_f32_e32 v1, v1
	s_nop 0
	v_readfirstlane_b32 s24, v1
	s_cbranch_scc1 .LBB133_3
; %bb.1:
	s_ashr_i32 s3, s2, 31
	s_add_u32 s6, s6, s2
	s_addc_u32 s7, s7, s3
	v_mov_b32_e32 v1, 0
	global_load_ubyte v1, v1, s[6:7]
	s_waitcnt vmcnt(0)
	v_and_b32_e32 v1, 1, v1
	v_cmp_eq_u32_e64 s[38:39], 1, v1
	s_load_dwordx2 s[6:7], s[0:1], 0x20
	s_cmp_eq_u64 s[4:5], 0
	s_cbranch_scc1 .LBB133_4
.LBB133_2:
	s_ashr_i32 s3, s2, 31
	s_lshl_b64 s[8:9], s[2:3], 2
	s_add_u32 s4, s4, s8
	s_addc_u32 s5, s5, s9
	s_load_dword s30, s[4:5], 0x0
	s_waitcnt lgkmcnt(0)
	s_ashr_i32 s31, s30, 31
	s_cmp_eq_u64 s[6:7], s[30:31]
	s_cbranch_scc0 .LBB133_5
	s_branch .LBB133_102
.LBB133_3:
	s_mov_b64 s[38:39], 0
	s_load_dwordx2 s[6:7], s[0:1], 0x20
	s_cmp_eq_u64 s[4:5], 0
	s_cbranch_scc0 .LBB133_2
.LBB133_4:
	s_mov_b32 s30, s2
	s_ashr_i32 s31, s30, 31
	s_waitcnt lgkmcnt(0)
	s_cmp_eq_u64 s[6:7], s[30:31]
	s_cbranch_scc1 .LBB133_102
.LBB133_5:
	s_load_dwordx16 s[4:19], s[0:1], 0x88
	s_load_dwordx2 s[66:67], s[0:1], 0x8
	s_mov_b32 s33, 0
	s_mov_b32 s80, 0
	s_waitcnt lgkmcnt(0)
	s_cmp_eq_u64 s[10:11], 0
	s_cbranch_scc1 .LBB133_7
; %bb.6:
	s_ashr_i32 s29, s28, 31
	s_lshl_b64 s[20:21], s[28:29], 2
	s_add_u32 s10, s10, s20
	s_addc_u32 s11, s11, s21
	s_load_dword s80, s[10:11], 0x0
.LBB133_7:
	s_cmp_eq_u64 s[16:17], 0
	s_cbranch_scc1 .LBB133_9
; %bb.8:
	s_ashr_i32 s29, s28, 31
	s_lshl_b64 s[10:11], s[28:29], 2
	s_add_u32 s10, s16, s10
	s_addc_u32 s11, s17, s11
	s_load_dword s33, s[10:11], 0x0
.LBB133_9:
	s_cmp_lt_i32 s66, 1
	s_cbranch_scc1 .LBB133_102
; %bb.10:
	s_sub_i32 s3, 0, s34
	s_mul_i32 s3, s3, s24
	s_mul_hi_u32 s3, s24, s3
	s_abs_i32 s29, s28
	s_add_i32 s3, s24, s3
	s_load_dwordx8 s[40:47], s[0:1], 0x2c
	s_load_dwordx2 s[16:17], s[0:1], 0x7c
	s_load_dwordx4 s[20:23], s[0:1], 0x6c
	s_load_dwordx8 s[48:55], s[0:1], 0x4c
	s_load_dwordx2 s[10:11], s[0:1], 0xd8
	s_load_dwordx4 s[24:27], s[0:1], 0xc8
	s_load_dword s81, s[0:1], 0x84
	s_mul_hi_u32 s3, s29, s3
	s_load_dword s31, s[0:1], 0x28
	s_ashr_i32 s0, s28, 31
	s_ashr_i32 s1, s35, 31
	s_xor_b32 s0, s0, s1
	s_mul_i32 s1, s3, s34
	s_sub_i32 s1, s29, s1
	s_add_i32 s29, s3, 1
	s_sub_i32 s35, s1, s34
	s_cmp_ge_u32 s1, s34
	s_cselect_b32 s3, s29, s3
	s_cselect_b32 s1, s35, s1
	s_add_i32 s29, s3, 1
	s_cmp_ge_u32 s1, s34
	s_cselect_b32 s1, s29, s3
	s_xor_b32 s1, s1, s0
	s_waitcnt lgkmcnt(0)
	s_mul_i32 s88, s50, s2
	s_mov_b32 s89, 0
	s_sub_i32 s3, s1, s0
	s_lshl_b64 s[0:1], s[88:89], 2
	s_add_u32 s12, s12, s0
	s_mul_i32 s88, s51, s28
	s_addc_u32 s13, s13, s1
	s_lshl_b64 s[0:1], s[88:89], 2
	s_add_u32 s50, s12, s0
	s_mul_i32 s88, s52, s2
	s_addc_u32 s51, s13, s1
	;; [unrolled: 4-line block ×10, first 2 shown]
	s_lshl_b64 s[0:1], s[88:89], 2
	s_add_u32 s45, s3, s0
	s_addc_u32 s49, s4, s1
	s_add_i32 s0, s66, 0x7ff
	v_mbcnt_lo_u32_b32 v1, -1, 0
	s_lshr_b32 s83, s0, 11
	v_mbcnt_hi_u32_b32 v8, -1, v1
	v_or_b32_e32 v43, 0x80, v8
	s_bitcmp1_b32 s31, 0
	v_add_u32_e32 v44, 0xc0, v8
	v_lshrrev_b32_e32 v1, 5, v8
	v_lshrrev_b32_e32 v2, 5, v43
	s_cselect_b64 s[64:65], -1, 0
	s_cmp_gt_i32 s67, 0
	v_add_u32_e32 v42, 64, v8
	v_add_u32_e32 v1, v1, v8
	v_add_lshl_u32 v4, v2, v8, 2
	v_lshrrev_b32_e32 v2, 5, v44
	s_cselect_b64 s[0:1], -1, 0
                                        ; implicit-def: $vgpr70 : SGPR spill to VGPR lane
	v_lshl_add_u32 v45, v1, 2, 0
	v_lshrrev_b32_e32 v1, 5, v42
	v_add_lshl_u32 v5, v2, v8, 2
	v_bfe_u32 v6, v8, 3, 27
	v_lshlrev_b32_e32 v2, 2, v8
	v_writelane_b32 v70, s0, 0
	v_add_lshl_u32 v1, v1, v8, 2
	v_add_lshl_u32 v6, v6, v2, 2
	v_writelane_b32 v70, s1, 1
	s_add_i32 s0, 0, 0x420
	v_add_u32_e32 v50, s0, v1
	v_add_u32_e32 v51, s0, v4
	;; [unrolled: 1-line block ×4, first 2 shown]
	s_add_i32 s0, s83, -1
	s_mul_i32 s88, s20, s2
	s_and_b32 s3, s66, 0xff
	v_writelane_b32 v70, s0, 2
	s_lshl_b64 s[0:1], s[88:89], 2
	s_add_u32 s4, s18, s0
	s_mul_i32 s88, s21, s28
	s_addc_u32 s5, s19, s1
	s_lshl_b64 s[0:1], s[88:89], 2
	s_add_u32 s18, s4, s0
	s_mul_i32 s88, s54, s2
	s_addc_u32 s19, s5, s1
	;; [unrolled: 4-line block ×5, first 2 shown]
	s_lshl_b64 s[0:1], s[88:89], 2
	s_add_u32 s22, s2, s0
	v_add_u32_e32 v46, 0, v1
	s_addc_u32 s23, s4, s1
	v_and_b32_e32 v1, 15, v8
	s_cmp_eq_u32 s3, 0
	v_cmp_eq_u32_e64 s[0:1], 0, v1
	v_cmp_lt_u32_e64 s[2:3], 1, v1
	v_cmp_lt_u32_e64 s[4:5], 3, v1
	;; [unrolled: 1-line block ×3, first 2 shown]
	v_and_b32_e32 v1, 16, v8
	v_add_u32_e32 v47, 0, v4
	v_cmp_ne_u32_e64 s[8:9], 0, v1
	v_add_u32_e32 v1, -1, v8
	v_and_b32_e32 v4, 64, v8
	v_cmp_lt_i32_e32 vcc, v1, v4
	v_mov_b32_e32 v3, 0
	v_lshlrev_b32_e32 v15, 2, v0
	v_cndmask_b32_e32 v1, v1, v8, vcc
	v_add_u32_e32 v48, 0, v5
	v_add_u32_e32 v49, 0, v6
	s_cselect_b64 s[68:69], -1, 0
	v_cmp_lt_u32_e64 s[10:11], 31, v8
	v_cmp_eq_u32_e64 s[12:13], 63, v0
	v_lshlrev_b32_e32 v54, 2, v1
	v_cmp_gt_u32_e64 s[14:15], 64, v0
	v_cmp_eq_u32_e64 s[16:17], 0, v0
	v_lshl_add_u64 v[0:1], s[18:19], 0, v[2:3]
	v_lshl_add_u64 v[10:11], s[20:21], 0, v[2:3]
	;; [unrolled: 1-line block ×3, first 2 shown]
	v_or_b32_e32 v9, 1, v15
	v_or_b32_e32 v14, 2, v15
	;; [unrolled: 1-line block ×3, first 2 shown]
	v_lshlrev_b32_e32 v2, 2, v8
	s_mov_b32 s85, 0x41a00000
	s_mov_b32 s86, 0x3fb8aa3b
	;; [unrolled: 1-line block ×6, first 2 shown]
	v_mov_b32_e32 v56, 0x3ecc95a3
	s_mov_b32 s61, 0x3f317218
	s_mov_b32 s92, 0x33800000
	s_add_i32 s18, 0, 0x848
	s_mov_b32 s94, 0xc2fc0000
	s_mov_b32 s95, 0xbfb8aa3b
	s_mov_b32 s96, 0x42ce8ed0
	s_mov_b32 s97, 0xc2b17218
	v_mov_b32_e32 v57, 0x7f800000
	v_mov_b32_e32 v16, 0x3f317218
	;; [unrolled: 1-line block ×4, first 2 shown]
	s_mov_b32 s98, 0
                                        ; implicit-def: $vgpr4
	v_writelane_b32 v70, s18, 3
	s_branch .LBB133_12
.LBB133_11:                             ;   in Loop: Header=BB133_12 Depth=1
	s_or_b64 exec, exec, s[18:19]
	s_add_u32 s62, s62, 0x400
	s_addc_u32 s63, s63, 0
	s_add_u32 s50, s50, 0x400
	s_addc_u32 s51, s51, 0
	;; [unrolled: 2-line block ×4, first 2 shown]
	s_add_i32 s98, s98, 1
	s_cmp_lg_u32 s98, s83
	s_cbranch_scc0 .LBB133_102
.LBB133_12:                             ; =>This Loop Header: Depth=1
                                        ;     Child Loop BB133_37 Depth 2
	s_lshl_b32 s70, s98, 8
	s_sub_i32 s34, s66, s70
	v_lshl_add_u64 v[4:5], s[50:51], 0, v[2:3]
	v_cmp_gt_u32_e64 s[18:19], s34, v8
	s_waitcnt lgkmcnt(0)
	v_mov_b32_e32 v6, v3
	s_waitcnt lgkmcnt(0)
	; wave barrier
	s_and_saveexec_b64 s[20:21], s[18:19]
	s_cbranch_execz .LBB133_14
; %bb.13:                               ;   in Loop: Header=BB133_12 Depth=1
	global_load_dword v6, v[4:5], off
.LBB133_14:                             ;   in Loop: Header=BB133_12 Depth=1
	s_or_b64 exec, exec, s[20:21]
	v_cmp_gt_u32_e64 s[20:21], s34, v42
	v_mov_b32_e32 v7, 0
	v_mov_b32_e32 v18, 0
	s_and_saveexec_b64 s[22:23], s[20:21]
	s_cbranch_execz .LBB133_16
; %bb.15:                               ;   in Loop: Header=BB133_12 Depth=1
	global_load_dword v18, v[4:5], off offset:256
.LBB133_16:                             ;   in Loop: Header=BB133_12 Depth=1
	s_or_b64 exec, exec, s[22:23]
	v_cmp_gt_u32_e64 s[22:23], s34, v43
	s_and_saveexec_b64 s[24:25], s[22:23]
	s_cbranch_execz .LBB133_18
; %bb.17:                               ;   in Loop: Header=BB133_12 Depth=1
	global_load_dword v7, v[4:5], off offset:512
.LBB133_18:                             ;   in Loop: Header=BB133_12 Depth=1
	s_or_b64 exec, exec, s[24:25]
	v_cmp_gt_u32_e64 s[24:25], s34, v44
	v_mov_b32_e32 v17, 0
	v_mov_b32_e32 v19, 0
	s_and_saveexec_b64 s[26:27], s[24:25]
	s_cbranch_execz .LBB133_20
; %bb.19:                               ;   in Loop: Header=BB133_12 Depth=1
	global_load_dword v19, v[4:5], off offset:768
.LBB133_20:                             ;   in Loop: Header=BB133_12 Depth=1
	s_or_b64 exec, exec, s[26:27]
	s_waitcnt vmcnt(0)
	ds_write_b32 v45, v6
	ds_write_b32 v46, v18 offset:256
	ds_write_b32 v47, v7 offset:512
	;; [unrolled: 1-line block ×3, first 2 shown]
	; wave barrier
	ds_read2_b32 v[4:5], v49 offset1:1
	ds_read2_b32 v[6:7], v49 offset0:2 offset1:3
	v_lshl_add_u64 v[18:19], s[62:63], 0, v[2:3]
	s_waitcnt lgkmcnt(0)
	; wave barrier
	s_waitcnt lgkmcnt(0)
	s_and_saveexec_b64 s[26:27], s[18:19]
	s_cbranch_execz .LBB133_22
; %bb.21:                               ;   in Loop: Header=BB133_12 Depth=1
	global_load_dword v17, v[18:19], off
.LBB133_22:                             ;   in Loop: Header=BB133_12 Depth=1
	s_or_b64 exec, exec, s[26:27]
	v_mov_b32_e32 v20, 0
	v_mov_b32_e32 v21, 0
	s_and_saveexec_b64 s[26:27], s[20:21]
	s_cbranch_execnz .LBB133_90
; %bb.23:                               ;   in Loop: Header=BB133_12 Depth=1
	s_or_b64 exec, exec, s[26:27]
	s_and_saveexec_b64 s[26:27], s[22:23]
	s_cbranch_execnz .LBB133_91
.LBB133_24:                             ;   in Loop: Header=BB133_12 Depth=1
	s_or_b64 exec, exec, s[26:27]
	v_mov_b32_e32 v22, 0
	s_and_saveexec_b64 s[26:27], s[24:25]
	s_cbranch_execz .LBB133_26
.LBB133_25:                             ;   in Loop: Header=BB133_12 Depth=1
	global_load_dword v22, v[18:19], off offset:768
.LBB133_26:                             ;   in Loop: Header=BB133_12 Depth=1
	s_or_b64 exec, exec, s[26:27]
	s_waitcnt vmcnt(0)
	ds_write_b32 v45, v17
	ds_write_b32 v46, v21 offset:256
	ds_write_b32 v47, v20 offset:512
	;; [unrolled: 1-line block ×3, first 2 shown]
	; wave barrier
	ds_read2_b32 v[20:21], v49 offset1:1
	ds_read2_b32 v[18:19], v49 offset0:2 offset1:3
	s_waitcnt lgkmcnt(1)
	v_add_f32_e32 v60, s33, v20
	v_cmp_ge_f32_e32 vcc, s85, v60
	s_and_b64 s[26:27], s[64:65], vcc
	s_and_saveexec_b64 s[28:29], s[26:27]
	s_cbranch_execz .LBB133_28
; %bb.27:                               ;   in Loop: Header=BB133_12 Depth=1
	v_mul_f32_e32 v17, 0x3fb8aa3b, v60
	v_rndne_f32_e32 v20, v17
	v_sub_f32_e32 v22, v17, v20
	v_fma_f32 v17, v60, s86, -v17
	v_fmac_f32_e32 v17, 0x32a5705f, v60
	v_add_f32_e32 v17, v22, v17
	v_cvt_i32_f32_e32 v20, v20
	v_exp_f32_e32 v17, v17
	v_cmp_ngt_f32_e32 vcc, s87, v60
	v_ldexp_f32 v17, v17, v20
	s_nop 0
	v_cndmask_b32_e32 v17, 0, v17, vcc
	v_cmp_nlt_f32_e32 vcc, s84, v60
	s_nop 1
	v_cndmask_b32_e32 v36, v57, v17, vcc
	v_add_f32_e32 v17, 1.0, v36
	v_add_f32_e32 v20, -1.0, v17
	v_sub_f32_e32 v22, v20, v17
	v_add_f32_e32 v22, 1.0, v22
	v_sub_f32_e32 v20, v36, v20
	v_add_f32_e32 v20, v20, v22
	v_frexp_mant_f32_e32 v24, v17
	v_cvt_f64_f32_e32 v[22:23], v17
	v_frexp_exp_i32_f64_e32 v22, v[22:23]
	v_cmp_gt_f32_e32 vcc, s60, v24
	v_cmp_gt_f32_e64 s[26:27], s92, v36
	s_nop 0
	v_subbrev_co_u32_e32 v30, vcc, 0, v22, vcc
	v_sub_u32_e32 v22, 0, v30
	v_ldexp_f32 v17, v17, v22
	v_ldexp_f32 v20, v20, v22
	v_add_f32_e32 v22, -1.0, v17
	v_add_f32_e32 v23, 1.0, v22
	v_sub_f32_e32 v23, v17, v23
	v_add_f32_e32 v24, v20, v23
	v_add_f32_e32 v23, 1.0, v17
	v_add_f32_e32 v25, -1.0, v23
	v_sub_f32_e32 v17, v17, v25
	v_add_f32_e32 v17, v20, v17
	v_add_f32_e32 v20, v23, v17
	v_rcp_f32_e32 v31, v20
	v_sub_f32_e32 v23, v23, v20
	v_add_f32_e32 v17, v17, v23
	v_add_f32_e32 v23, v22, v24
	v_sub_f32_e32 v22, v22, v23
	v_mul_f32_e32 v33, v23, v31
	v_add_f32_e32 v32, v24, v22
	v_mul_f32_e32 v24, v20, v33
	v_fma_f32 v26, v33, v20, -v24
	v_fmac_f32_e32 v26, v33, v17
	v_add_f32_e32 v22, v24, v26
	v_sub_f32_e32 v25, v23, v22
	v_pk_add_f32 v[28:29], v[22:23], v[24:25] neg_lo:[0,1] neg_hi:[0,1]
	v_mov_b32_e32 v27, v22
	v_pk_add_f32 v[22:23], v[28:29], v[26:27] neg_lo:[0,1] neg_hi:[0,1]
	v_cmp_eq_f32_e32 vcc, s93, v36
	v_add_f32_e32 v23, v32, v23
	v_add_f32_e32 v22, v22, v23
	;; [unrolled: 1-line block ×3, first 2 shown]
	v_mul_f32_e32 v32, v31, v23
	v_mul_f32_e32 v24, v20, v32
	v_fma_f32 v26, v32, v20, -v24
	v_fmac_f32_e32 v26, v32, v17
	v_sub_f32_e32 v17, v25, v23
	v_add_f32_e32 v17, v22, v17
	v_add_f32_e32 v22, v24, v26
	v_sub_f32_e32 v25, v23, v22
	v_pk_add_f32 v[28:29], v[22:23], v[24:25] neg_lo:[0,1] neg_hi:[0,1]
	v_mov_b32_e32 v27, v22
	v_pk_add_f32 v[22:23], v[28:29], v[26:27] neg_lo:[0,1] neg_hi:[0,1]
	v_add_f32_e32 v20, v33, v32
	v_add_f32_e32 v17, v17, v23
	;; [unrolled: 1-line block ×4, first 2 shown]
	v_sub_f32_e32 v22, v20, v33
	v_mul_f32_e32 v17, v31, v17
	v_sub_f32_e32 v22, v32, v22
	v_add_f32_e32 v23, v22, v17
	v_add_f32_e32 v24, v20, v23
	v_cvt_f32_i32_e32 v22, v30
	v_mul_f32_e32 v26, v24, v24
	v_fmamk_f32 v17, v26, 0x3e9b6dac, v56
	v_sub_f32_e32 v20, v24, v20
	v_fmaak_f32 v17, v26, v17, 0x3f2aaada
	v_sub_f32_e32 v20, v23, v20
	v_mul_f32_e32 v23, v24, v26
	v_pk_mul_f32 v[26:27], v[22:23], v[16:17]
	v_ldexp_f32 v25, v24, 1
	v_fma_f32 v24, v22, s61, -v26
	v_fmac_f32_e32 v24, 0xb102e308, v22
	v_pk_add_f32 v[22:23], v[26:27], v[24:25]
	v_ldexp_f32 v20, v20, 1
	v_sub_f32_e32 v17, v23, v25
	v_sub_f32_e32 v17, v27, v17
	v_add_f32_e32 v29, v20, v17
	v_mov_b32_e32 v28, v26
	v_pk_add_f32 v[26:27], v[22:23], v[26:27] neg_lo:[0,1] neg_hi:[0,1]
	v_pk_add_f32 v[30:31], v[22:23], v[28:29]
	v_mov_b32_e32 v25, v22
	v_mov_b32_e32 v27, v31
	v_pk_add_f32 v[32:33], v[24:25], v[26:27] neg_lo:[0,1] neg_hi:[0,1]
	v_pk_add_f32 v[24:25], v[24:25], v[26:27]
	s_or_b64 vcc, s[26:27], vcc
	v_mov_b32_e32 v20, v25
	v_pk_add_f32 v[26:27], v[20:21], v[22:23] neg_lo:[0,1] neg_hi:[0,1]
	v_mov_b32_e32 v24, v31
	v_mov_b32_e32 v17, v26
	v_pk_add_f32 v[34:35], v[30:31], v[16:17] neg_lo:[0,1] neg_hi:[0,1]
	v_mov_b32_e32 v30, v23
	v_mov_b32_e32 v31, v26
	;; [unrolled: 1-line block ×3, first 2 shown]
	v_pk_add_f32 v[24:25], v[24:25], v[30:31] neg_lo:[0,1] neg_hi:[0,1]
	v_mov_b32_e32 v26, v29
	v_mov_b32_e32 v27, v22
	v_pk_add_f32 v[22:23], v[26:27], v[24:25] neg_lo:[0,1] neg_hi:[0,1]
	v_mov_b32_e32 v34, v32
	v_pk_add_f32 v[24:25], v[34:35], v[22:23]
	s_nop 0
	v_mov_b32_e32 v26, v25
	v_pk_add_f32 v[26:27], v[24:25], v[26:27]
	s_nop 0
	v_pk_add_f32 v[28:29], v[20:21], v[26:27]
	v_mov_b32_e32 v23, v26
	v_mov_b32_e32 v25, v28
	v_pk_add_f32 v[30:31], v[24:25], v[32:33] neg_lo:[0,1] neg_hi:[0,1]
	s_nop 0
	v_sub_f32_e32 v17, v24, v30
	v_pk_add_f32 v[22:23], v[22:23], v[30:31] neg_lo:[0,1] neg_hi:[0,1]
	v_sub_f32_e32 v17, v32, v17
	v_add_f32_e32 v17, v22, v17
	v_add_f32_e32 v17, v17, v23
	;; [unrolled: 1-line block ×3, first 2 shown]
	v_cndmask_b32_e32 v60, v17, v36, vcc
.LBB133_28:                             ;   in Loop: Header=BB133_12 Depth=1
	s_or_b64 exec, exec, s[28:29]
	v_add_f32_e32 v61, s33, v21
	v_cmp_ge_f32_e32 vcc, s85, v61
	s_and_b64 s[26:27], s[64:65], vcc
	s_and_saveexec_b64 s[28:29], s[26:27]
	s_cbranch_execz .LBB133_30
; %bb.29:                               ;   in Loop: Header=BB133_12 Depth=1
	v_mul_f32_e32 v17, 0x3fb8aa3b, v61
	v_rndne_f32_e32 v20, v17
	v_sub_f32_e32 v21, v17, v20
	v_fma_f32 v17, v61, s86, -v17
	v_fmac_f32_e32 v17, 0x32a5705f, v61
	v_add_f32_e32 v17, v21, v17
	v_cvt_i32_f32_e32 v20, v20
	v_exp_f32_e32 v17, v17
	v_cmp_ngt_f32_e32 vcc, s87, v61
	v_ldexp_f32 v17, v17, v20
	s_nop 0
	v_cndmask_b32_e32 v17, 0, v17, vcc
	v_cmp_nlt_f32_e32 vcc, s84, v61
	s_nop 1
	v_cndmask_b32_e32 v36, v57, v17, vcc
	v_add_f32_e32 v17, 1.0, v36
	v_add_f32_e32 v20, -1.0, v17
	v_sub_f32_e32 v21, v20, v17
	v_add_f32_e32 v21, 1.0, v21
	v_sub_f32_e32 v20, v36, v20
	v_add_f32_e32 v22, v20, v21
	v_frexp_mant_f32_e32 v23, v17
	v_cvt_f64_f32_e32 v[20:21], v17
	v_frexp_exp_i32_f64_e32 v20, v[20:21]
	v_cmp_gt_f32_e32 vcc, s60, v23
	v_cmp_gt_f32_e64 s[26:27], s92, v36
	s_nop 0
	v_subbrev_co_u32_e32 v28, vcc, 0, v20, vcc
	v_sub_u32_e32 v20, 0, v28
	v_ldexp_f32 v17, v17, v20
	v_ldexp_f32 v20, v22, v20
	v_add_f32_e32 v22, -1.0, v17
	v_add_f32_e32 v21, 1.0, v22
	v_sub_f32_e32 v21, v17, v21
	v_add_f32_e32 v23, v20, v21
	v_add_f32_e32 v21, 1.0, v17
	v_add_f32_e32 v24, -1.0, v21
	v_sub_f32_e32 v17, v17, v24
	v_add_f32_e32 v17, v20, v17
	v_add_f32_e32 v29, v21, v17
	v_rcp_f32_e32 v30, v29
	v_sub_f32_e32 v20, v21, v29
	v_add_f32_e32 v21, v22, v23
	v_add_f32_e32 v17, v17, v20
	v_mul_f32_e32 v32, v21, v30
	v_sub_f32_e32 v20, v22, v21
	v_mul_f32_e32 v22, v29, v32
	v_fma_f32 v24, v32, v29, -v22
	v_fmac_f32_e32 v24, v32, v17
	v_add_f32_e32 v31, v23, v20
	v_add_f32_e32 v20, v22, v24
	v_sub_f32_e32 v23, v21, v20
	v_pk_add_f32 v[26:27], v[20:21], v[22:23] neg_lo:[0,1] neg_hi:[0,1]
	v_mov_b32_e32 v25, v20
	v_pk_add_f32 v[20:21], v[26:27], v[24:25] neg_lo:[0,1] neg_hi:[0,1]
	v_cmp_eq_f32_e32 vcc, s93, v36
	v_add_f32_e32 v21, v31, v21
	v_add_f32_e32 v20, v20, v21
	;; [unrolled: 1-line block ×3, first 2 shown]
	v_mul_f32_e32 v31, v30, v21
	v_mul_f32_e32 v22, v29, v31
	v_fma_f32 v24, v31, v29, -v22
	v_fmac_f32_e32 v24, v31, v17
	v_sub_f32_e32 v17, v23, v21
	v_add_f32_e32 v17, v20, v17
	v_add_f32_e32 v20, v22, v24
	v_sub_f32_e32 v23, v21, v20
	v_pk_add_f32 v[26:27], v[20:21], v[22:23] neg_lo:[0,1] neg_hi:[0,1]
	v_mov_b32_e32 v25, v20
	v_pk_add_f32 v[20:21], v[26:27], v[24:25] neg_lo:[0,1] neg_hi:[0,1]
	s_or_b64 vcc, s[26:27], vcc
	v_add_f32_e32 v17, v17, v21
	v_add_f32_e32 v17, v20, v17
	;; [unrolled: 1-line block ×4, first 2 shown]
	v_sub_f32_e32 v20, v21, v32
	v_mul_f32_e32 v17, v30, v17
	v_sub_f32_e32 v20, v31, v20
	v_add_f32_e32 v22, v20, v17
	v_add_f32_e32 v24, v21, v22
	v_cvt_f32_i32_e32 v20, v28
	v_mul_f32_e32 v25, v24, v24
	v_sub_f32_e32 v21, v24, v21
	v_fmamk_f32 v17, v25, 0x3e9b6dac, v56
	v_sub_f32_e32 v21, v22, v21
	v_fmaak_f32 v17, v25, v17, 0x3f2aaada
	v_ldexp_f32 v26, v21, 1
	v_mul_f32_e32 v21, v24, v25
	v_ldexp_f32 v23, v24, 1
	v_pk_mul_f32 v[24:25], v[20:21], v[16:17]
	s_nop 0
	v_fma_f32 v22, v20, s61, -v24
	v_fmac_f32_e32 v22, 0xb102e308, v20
	v_pk_add_f32 v[20:21], v[24:25], v[22:23]
	s_nop 0
	v_sub_f32_e32 v17, v21, v23
	v_sub_f32_e32 v17, v25, v17
	v_add_f32_e32 v27, v26, v17
	v_mov_b32_e32 v26, v24
	v_pk_add_f32 v[24:25], v[20:21], v[24:25] neg_lo:[0,1] neg_hi:[0,1]
	v_pk_add_f32 v[28:29], v[20:21], v[26:27]
	v_mov_b32_e32 v23, v20
	v_mov_b32_e32 v25, v29
	v_pk_add_f32 v[30:31], v[22:23], v[24:25] neg_lo:[0,1] neg_hi:[0,1]
	v_pk_add_f32 v[22:23], v[22:23], v[24:25]
	v_mov_b32_e32 v26, v27
	v_mov_b32_e32 v24, v23
	v_pk_add_f32 v[32:33], v[24:25], v[20:21] neg_lo:[0,1] neg_hi:[0,1]
	v_mov_b32_e32 v22, v29
	v_mov_b32_e32 v17, v32
	v_pk_add_f32 v[34:35], v[28:29], v[16:17] neg_lo:[0,1] neg_hi:[0,1]
	v_mov_b32_e32 v28, v21
	v_mov_b32_e32 v29, v32
	;; [unrolled: 1-line block ×3, first 2 shown]
	v_pk_add_f32 v[22:23], v[22:23], v[28:29] neg_lo:[0,1] neg_hi:[0,1]
	v_mov_b32_e32 v27, v20
	v_pk_add_f32 v[20:21], v[26:27], v[22:23] neg_lo:[0,1] neg_hi:[0,1]
	v_mov_b32_e32 v34, v30
	v_pk_add_f32 v[22:23], v[34:35], v[20:21]
	s_nop 0
	v_mov_b32_e32 v26, v23
	v_pk_add_f32 v[26:27], v[22:23], v[26:27]
	s_nop 0
	v_pk_add_f32 v[24:25], v[24:25], v[26:27]
	v_mov_b32_e32 v21, v26
	v_mov_b32_e32 v23, v24
	v_pk_add_f32 v[28:29], v[22:23], v[30:31] neg_lo:[0,1] neg_hi:[0,1]
	s_nop 0
	v_sub_f32_e32 v17, v22, v28
	v_pk_add_f32 v[20:21], v[20:21], v[28:29] neg_lo:[0,1] neg_hi:[0,1]
	v_sub_f32_e32 v17, v30, v17
	v_add_f32_e32 v17, v20, v17
	v_add_f32_e32 v17, v17, v21
	;; [unrolled: 1-line block ×3, first 2 shown]
	v_cndmask_b32_e32 v61, v17, v36, vcc
.LBB133_30:                             ;   in Loop: Header=BB133_12 Depth=1
	s_or_b64 exec, exec, s[28:29]
	s_waitcnt lgkmcnt(0)
	v_add_f32_e32 v23, s33, v18
	v_cmp_ge_f32_e32 vcc, s85, v23
	s_and_b64 s[26:27], s[64:65], vcc
	s_and_saveexec_b64 s[28:29], s[26:27]
	s_cbranch_execz .LBB133_32
; %bb.31:                               ;   in Loop: Header=BB133_12 Depth=1
	v_mul_f32_e32 v17, 0x3fb8aa3b, v23
	v_rndne_f32_e32 v18, v17
	v_sub_f32_e32 v20, v17, v18
	v_fma_f32 v17, v23, s86, -v17
	v_fmac_f32_e32 v17, 0x32a5705f, v23
	v_add_f32_e32 v17, v20, v17
	v_cvt_i32_f32_e32 v18, v18
	v_exp_f32_e32 v17, v17
	v_cmp_ngt_f32_e32 vcc, s87, v23
	v_ldexp_f32 v17, v17, v18
	s_nop 0
	v_cndmask_b32_e32 v17, 0, v17, vcc
	v_cmp_nlt_f32_e32 vcc, s84, v23
	s_nop 1
	v_cndmask_b32_e32 v34, v57, v17, vcc
	v_add_f32_e32 v17, 1.0, v34
	v_add_f32_e32 v18, -1.0, v17
	v_sub_f32_e32 v20, v18, v17
	v_add_f32_e32 v20, 1.0, v20
	v_sub_f32_e32 v18, v34, v18
	v_add_f32_e32 v18, v18, v20
	v_frexp_mant_f32_e32 v22, v17
	v_cvt_f64_f32_e32 v[20:21], v17
	v_frexp_exp_i32_f64_e32 v20, v[20:21]
	v_cmp_gt_f32_e32 vcc, s60, v22
	v_cmp_gt_f32_e64 s[26:27], s92, v34
	s_nop 0
	v_subbrev_co_u32_e32 v28, vcc, 0, v20, vcc
	v_sub_u32_e32 v20, 0, v28
	v_ldexp_f32 v17, v17, v20
	v_ldexp_f32 v18, v18, v20
	v_add_f32_e32 v20, -1.0, v17
	v_add_f32_e32 v21, 1.0, v20
	v_sub_f32_e32 v21, v17, v21
	v_add_f32_e32 v22, v18, v21
	v_add_f32_e32 v21, 1.0, v17
	v_add_f32_e32 v23, -1.0, v21
	v_sub_f32_e32 v17, v17, v23
	v_add_f32_e32 v17, v18, v17
	v_add_f32_e32 v18, v21, v17
	v_rcp_f32_e32 v29, v18
	v_sub_f32_e32 v21, v21, v18
	v_add_f32_e32 v17, v17, v21
	v_add_f32_e32 v21, v20, v22
	v_sub_f32_e32 v20, v20, v21
	v_mul_f32_e32 v31, v21, v29
	v_add_f32_e32 v30, v22, v20
	v_mul_f32_e32 v22, v18, v31
	v_fma_f32 v24, v31, v18, -v22
	v_fmac_f32_e32 v24, v31, v17
	v_add_f32_e32 v20, v22, v24
	v_sub_f32_e32 v23, v21, v20
	v_pk_add_f32 v[26:27], v[20:21], v[22:23] neg_lo:[0,1] neg_hi:[0,1]
	v_mov_b32_e32 v25, v20
	v_pk_add_f32 v[20:21], v[26:27], v[24:25] neg_lo:[0,1] neg_hi:[0,1]
	v_cmp_eq_f32_e32 vcc, s93, v34
	v_add_f32_e32 v21, v30, v21
	v_add_f32_e32 v20, v20, v21
	;; [unrolled: 1-line block ×3, first 2 shown]
	v_mul_f32_e32 v30, v29, v21
	v_mul_f32_e32 v22, v18, v30
	v_fma_f32 v24, v30, v18, -v22
	v_fmac_f32_e32 v24, v30, v17
	v_sub_f32_e32 v17, v23, v21
	v_add_f32_e32 v17, v20, v17
	v_add_f32_e32 v20, v22, v24
	v_sub_f32_e32 v23, v21, v20
	v_pk_add_f32 v[26:27], v[20:21], v[22:23] neg_lo:[0,1] neg_hi:[0,1]
	v_mov_b32_e32 v25, v20
	v_pk_add_f32 v[20:21], v[26:27], v[24:25] neg_lo:[0,1] neg_hi:[0,1]
	v_add_f32_e32 v18, v31, v30
	v_add_f32_e32 v17, v17, v21
	;; [unrolled: 1-line block ×4, first 2 shown]
	v_sub_f32_e32 v20, v18, v31
	v_mul_f32_e32 v17, v29, v17
	v_sub_f32_e32 v20, v30, v20
	v_add_f32_e32 v21, v20, v17
	v_add_f32_e32 v22, v18, v21
	v_cvt_f32_i32_e32 v20, v28
	v_mul_f32_e32 v24, v22, v22
	v_fmamk_f32 v17, v24, 0x3e9b6dac, v56
	v_sub_f32_e32 v18, v22, v18
	v_fmaak_f32 v17, v24, v17, 0x3f2aaada
	v_sub_f32_e32 v18, v21, v18
	v_mul_f32_e32 v21, v22, v24
	v_pk_mul_f32 v[24:25], v[20:21], v[16:17]
	v_ldexp_f32 v23, v22, 1
	v_fma_f32 v22, v20, s61, -v24
	v_fmac_f32_e32 v22, 0xb102e308, v20
	v_pk_add_f32 v[20:21], v[24:25], v[22:23]
	v_ldexp_f32 v18, v18, 1
	v_sub_f32_e32 v17, v21, v23
	v_sub_f32_e32 v17, v25, v17
	v_add_f32_e32 v27, v18, v17
	v_mov_b32_e32 v26, v24
	v_pk_add_f32 v[24:25], v[20:21], v[24:25] neg_lo:[0,1] neg_hi:[0,1]
	v_pk_add_f32 v[28:29], v[20:21], v[26:27]
	v_mov_b32_e32 v23, v20
	v_mov_b32_e32 v25, v29
	v_pk_add_f32 v[30:31], v[22:23], v[24:25] neg_lo:[0,1] neg_hi:[0,1]
	v_pk_add_f32 v[22:23], v[22:23], v[24:25]
	s_or_b64 vcc, s[26:27], vcc
	v_mov_b32_e32 v18, v23
	v_pk_add_f32 v[24:25], v[18:19], v[20:21] neg_lo:[0,1] neg_hi:[0,1]
	v_mov_b32_e32 v22, v29
	v_mov_b32_e32 v17, v24
	v_pk_add_f32 v[32:33], v[28:29], v[16:17] neg_lo:[0,1] neg_hi:[0,1]
	v_mov_b32_e32 v28, v21
	v_mov_b32_e32 v29, v24
	;; [unrolled: 1-line block ×3, first 2 shown]
	v_pk_add_f32 v[22:23], v[22:23], v[28:29] neg_lo:[0,1] neg_hi:[0,1]
	v_mov_b32_e32 v24, v27
	v_mov_b32_e32 v25, v20
	v_pk_add_f32 v[20:21], v[24:25], v[22:23] neg_lo:[0,1] neg_hi:[0,1]
	v_mov_b32_e32 v32, v30
	v_pk_add_f32 v[22:23], v[32:33], v[20:21]
	s_nop 0
	v_mov_b32_e32 v24, v23
	v_pk_add_f32 v[24:25], v[22:23], v[24:25]
	s_nop 0
	v_pk_add_f32 v[26:27], v[18:19], v[24:25]
	v_mov_b32_e32 v21, v24
	v_mov_b32_e32 v23, v26
	v_pk_add_f32 v[28:29], v[22:23], v[30:31] neg_lo:[0,1] neg_hi:[0,1]
	s_nop 0
	v_sub_f32_e32 v17, v22, v28
	v_pk_add_f32 v[20:21], v[20:21], v[28:29] neg_lo:[0,1] neg_hi:[0,1]
	v_sub_f32_e32 v17, v30, v17
	v_add_f32_e32 v17, v20, v17
	v_add_f32_e32 v17, v17, v21
	;; [unrolled: 1-line block ×3, first 2 shown]
	v_cndmask_b32_e32 v23, v17, v34, vcc
.LBB133_32:                             ;   in Loop: Header=BB133_12 Depth=1
	s_or_b64 exec, exec, s[28:29]
	v_add_f32_e32 v22, s33, v19
	v_cmp_ge_f32_e32 vcc, s85, v22
	s_and_b64 s[26:27], s[64:65], vcc
	s_and_saveexec_b64 s[28:29], s[26:27]
	s_cbranch_execz .LBB133_34
; %bb.33:                               ;   in Loop: Header=BB133_12 Depth=1
	v_mul_f32_e32 v17, 0x3fb8aa3b, v22
	v_rndne_f32_e32 v18, v17
	v_sub_f32_e32 v19, v17, v18
	v_fma_f32 v17, v22, s86, -v17
	v_fmac_f32_e32 v17, 0x32a5705f, v22
	v_add_f32_e32 v17, v19, v17
	v_cvt_i32_f32_e32 v18, v18
	v_exp_f32_e32 v17, v17
	v_cmp_ngt_f32_e32 vcc, s87, v22
	v_ldexp_f32 v17, v17, v18
	s_nop 0
	v_cndmask_b32_e32 v17, 0, v17, vcc
	v_cmp_nlt_f32_e32 vcc, s84, v22
	s_nop 1
	v_cndmask_b32_e32 v34, v57, v17, vcc
	v_add_f32_e32 v17, 1.0, v34
	v_add_f32_e32 v18, -1.0, v17
	v_sub_f32_e32 v19, v18, v17
	v_add_f32_e32 v19, 1.0, v19
	v_sub_f32_e32 v18, v34, v18
	v_add_f32_e32 v20, v18, v19
	v_frexp_mant_f32_e32 v21, v17
	v_cvt_f64_f32_e32 v[18:19], v17
	v_frexp_exp_i32_f64_e32 v18, v[18:19]
	v_cmp_gt_f32_e32 vcc, s60, v21
	v_cmp_gt_f32_e64 s[26:27], s92, v34
	s_nop 0
	v_subbrev_co_u32_e32 v22, vcc, 0, v18, vcc
	v_sub_u32_e32 v18, 0, v22
	v_ldexp_f32 v17, v17, v18
	v_ldexp_f32 v18, v20, v18
	v_add_f32_e32 v20, -1.0, v17
	v_add_f32_e32 v19, 1.0, v20
	v_sub_f32_e32 v19, v17, v19
	v_add_f32_e32 v21, v18, v19
	v_add_f32_e32 v19, 1.0, v17
	v_add_f32_e32 v24, -1.0, v19
	v_sub_f32_e32 v17, v17, v24
	v_add_f32_e32 v17, v18, v17
	v_add_f32_e32 v28, v19, v17
	v_rcp_f32_e32 v29, v28
	v_sub_f32_e32 v18, v19, v28
	v_add_f32_e32 v19, v20, v21
	v_add_f32_e32 v17, v17, v18
	v_mul_f32_e32 v31, v19, v29
	v_sub_f32_e32 v18, v20, v19
	v_mul_f32_e32 v20, v28, v31
	v_fma_f32 v24, v31, v28, -v20
	v_fmac_f32_e32 v24, v31, v17
	v_add_f32_e32 v30, v21, v18
	v_add_f32_e32 v18, v20, v24
	v_sub_f32_e32 v21, v19, v18
	v_pk_add_f32 v[26:27], v[18:19], v[20:21] neg_lo:[0,1] neg_hi:[0,1]
	v_mov_b32_e32 v25, v18
	v_pk_add_f32 v[18:19], v[26:27], v[24:25] neg_lo:[0,1] neg_hi:[0,1]
	v_cmp_eq_f32_e32 vcc, s93, v34
	v_add_f32_e32 v19, v30, v19
	v_add_f32_e32 v18, v18, v19
	;; [unrolled: 1-line block ×3, first 2 shown]
	v_mul_f32_e32 v30, v29, v19
	v_mul_f32_e32 v20, v28, v30
	v_fma_f32 v24, v30, v28, -v20
	v_fmac_f32_e32 v24, v30, v17
	v_sub_f32_e32 v17, v21, v19
	v_add_f32_e32 v17, v18, v17
	v_add_f32_e32 v18, v20, v24
	v_sub_f32_e32 v21, v19, v18
	v_pk_add_f32 v[26:27], v[18:19], v[20:21] neg_lo:[0,1] neg_hi:[0,1]
	v_mov_b32_e32 v25, v18
	v_pk_add_f32 v[18:19], v[26:27], v[24:25] neg_lo:[0,1] neg_hi:[0,1]
	s_or_b64 vcc, s[26:27], vcc
	v_add_f32_e32 v17, v17, v19
	v_add_f32_e32 v17, v18, v17
	;; [unrolled: 1-line block ×4, first 2 shown]
	v_sub_f32_e32 v18, v19, v31
	v_mul_f32_e32 v17, v29, v17
	v_sub_f32_e32 v18, v30, v18
	v_add_f32_e32 v20, v18, v17
	v_add_f32_e32 v24, v19, v20
	v_cvt_f32_i32_e32 v18, v22
	v_mul_f32_e32 v25, v24, v24
	v_sub_f32_e32 v19, v24, v19
	v_fmamk_f32 v17, v25, 0x3e9b6dac, v56
	v_sub_f32_e32 v19, v20, v19
	v_fmaak_f32 v17, v25, v17, 0x3f2aaada
	v_ldexp_f32 v22, v19, 1
	v_mul_f32_e32 v19, v24, v25
	v_ldexp_f32 v21, v24, 1
	v_pk_mul_f32 v[24:25], v[18:19], v[16:17]
	s_nop 0
	v_fma_f32 v20, v18, s61, -v24
	v_fmac_f32_e32 v20, 0xb102e308, v18
	v_pk_add_f32 v[18:19], v[24:25], v[20:21]
	v_mov_b32_e32 v26, v24
	v_sub_f32_e32 v17, v19, v21
	v_sub_f32_e32 v17, v25, v17
	v_add_f32_e32 v27, v22, v17
	v_pk_add_f32 v[24:25], v[18:19], v[24:25] neg_lo:[0,1] neg_hi:[0,1]
	v_pk_add_f32 v[28:29], v[18:19], v[26:27]
	v_mov_b32_e32 v21, v18
	v_mov_b32_e32 v25, v29
	v_pk_add_f32 v[30:31], v[20:21], v[24:25] neg_lo:[0,1] neg_hi:[0,1]
	v_pk_add_f32 v[20:21], v[20:21], v[24:25]
	s_nop 0
	v_mov_b32_e32 v22, v21
	v_pk_add_f32 v[24:25], v[22:23], v[18:19] neg_lo:[0,1] neg_hi:[0,1]
	v_mov_b32_e32 v20, v29
	v_mov_b32_e32 v17, v24
	v_pk_add_f32 v[32:33], v[28:29], v[16:17] neg_lo:[0,1] neg_hi:[0,1]
	v_mov_b32_e32 v28, v19
	v_mov_b32_e32 v29, v24
	;; [unrolled: 1-line block ×3, first 2 shown]
	v_pk_add_f32 v[20:21], v[20:21], v[28:29] neg_lo:[0,1] neg_hi:[0,1]
	v_mov_b32_e32 v24, v27
	v_mov_b32_e32 v25, v18
	v_pk_add_f32 v[18:19], v[24:25], v[20:21] neg_lo:[0,1] neg_hi:[0,1]
	v_mov_b32_e32 v32, v30
	v_pk_add_f32 v[20:21], v[32:33], v[18:19]
	s_nop 0
	v_mov_b32_e32 v24, v21
	v_pk_add_f32 v[24:25], v[20:21], v[24:25]
	s_nop 0
	v_pk_add_f32 v[26:27], v[22:23], v[24:25]
	v_mov_b32_e32 v19, v24
	v_mov_b32_e32 v21, v26
	v_pk_add_f32 v[28:29], v[20:21], v[30:31] neg_lo:[0,1] neg_hi:[0,1]
	s_nop 0
	v_sub_f32_e32 v17, v20, v28
	v_pk_add_f32 v[18:19], v[18:19], v[28:29] neg_lo:[0,1] neg_hi:[0,1]
	v_sub_f32_e32 v17, v30, v17
	v_add_f32_e32 v17, v18, v17
	v_add_f32_e32 v17, v17, v19
	;; [unrolled: 1-line block ×3, first 2 shown]
	v_cndmask_b32_e32 v22, v17, v34, vcc
.LBB133_34:                             ;   in Loop: Header=BB133_12 Depth=1
	s_or_b64 exec, exec, s[28:29]
	v_readlane_b32 s26, v70, 0
	v_readlane_b32 s27, v70, 1
	v_mul_f32_e32 v18, s80, v6
	v_mul_f32_e32 v21, s80, v5
	;; [unrolled: 1-line block ×4, first 2 shown]
	s_and_b64 vcc, exec, s[26:27]
	s_waitcnt lgkmcnt(0)
	; wave barrier
	s_cbranch_vccz .LBB133_76
; %bb.35:                               ;   in Loop: Header=BB133_12 Depth=1
	s_cmp_lg_u32 s98, 0
	v_readlane_b32 s26, v70, 2
	s_cselect_b64 s[90:91], -1, 0
	s_cmp_eq_u32 s98, s26
	v_cmp_gt_u32_e32 vcc, s34, v15
	s_cselect_b64 s[72:73], -1, 0
	s_or_b64 s[26:27], s[68:69], vcc
	v_cmp_gt_u32_e32 vcc, s34, v14
	s_mov_b32 s52, 0
	v_cmp_gt_u32_e64 s[28:29], s34, v9
	s_or_b64 s[30:31], s[68:69], vcc
	v_cmp_gt_u32_e32 vcc, s34, v55
	v_mul_f32_e32 v17, v7, v22
	v_lshl_add_u64 v[24:25], s[42:43], 0, v[2:3]
	v_lshl_add_u64 v[26:27], s[46:47], 0, v[2:3]
	v_mul_f32_e32 v62, v6, v23
	v_mul_f32_e32 v63, v5, v61
	v_mul_f32_e32 v64, v4, v60
	s_or_b64 s[28:29], s[68:69], s[28:29]
	s_or_b64 s[34:35], s[68:69], vcc
	s_mov_b32 s88, s52
	s_mov_b32 s74, 0
	;; [unrolled: 1-line block ×5, first 2 shown]
	v_readlane_b32 s99, v70, 3
	s_branch .LBB133_37
.LBB133_36:                             ;   in Loop: Header=BB133_37 Depth=2
	s_or_b64 exec, exec, s[36:37]
	v_mul_f32_e32 v28, v35, v34
	v_fma_f32 v29, v35, v37, v32
	v_cndmask_b32_e64 v32, v29, v32, s[16:17]
	v_cndmask_b32_e64 v28, v28, v35, s[16:17]
	s_waitcnt lgkmcnt(0)
	v_fmac_f32_e32 v32, v40, v28
	v_fmac_f32_e32 v33, v32, v31
	;; [unrolled: 1-line block ×4, first 2 shown]
	v_mov_b32_e32 v31, v36
	s_add_i32 s99, s99, 8
	s_add_i32 s71, s71, -1
	s_add_i32 s78, s78, s81
	s_add_i32 s76, s76, s48
	;; [unrolled: 1-line block ×4, first 2 shown]
	v_pk_fma_f32 v[20:21], v[6:7], v[32:33], v[20:21]
	s_cmp_eq_u32 s71, 0
	v_pk_fma_f32 v[18:19], v[4:5], v[30:31], v[18:19]
	s_cbranch_scc1 .LBB133_76
.LBB133_37:                             ;   Parent Loop BB133_12 Depth=1
                                        ; =>  This Inner Loop Header: Depth=2
	s_lshl_b64 s[36:37], s[88:89], 2
	s_add_u32 s36, s40, s36
	s_addc_u32 s37, s82, s37
	global_load_dword v32, v3, s[36:37]
	s_mov_b32 s53, s52
	s_mov_b32 s75, s89
	;; [unrolled: 1-line block ×4, first 2 shown]
	v_mov_b64_e32 v[4:5], s[52:53]
	v_lshl_add_u64 v[28:29], s[74:75], 2, v[24:25]
	v_mov_b64_e32 v[6:7], s[54:55]
	v_mov_b32_e32 v30, 0
	s_and_saveexec_b64 s[36:37], s[18:19]
	s_cbranch_execnz .LBB133_49
; %bb.38:                               ;   in Loop: Header=BB133_37 Depth=2
	s_or_b64 exec, exec, s[36:37]
	s_and_saveexec_b64 s[36:37], s[20:21]
	s_cbranch_execnz .LBB133_50
.LBB133_39:                             ;   in Loop: Header=BB133_37 Depth=2
	s_or_b64 exec, exec, s[36:37]
	s_and_saveexec_b64 s[36:37], s[22:23]
	s_cbranch_execnz .LBB133_51
.LBB133_40:                             ;   in Loop: Header=BB133_37 Depth=2
	s_or_b64 exec, exec, s[36:37]
	s_and_saveexec_b64 s[36:37], s[24:25]
	s_cbranch_execz .LBB133_42
.LBB133_41:                             ;   in Loop: Header=BB133_37 Depth=2
	global_load_dword v7, v[28:29], off offset:768
.LBB133_42:                             ;   in Loop: Header=BB133_37 Depth=2
	s_or_b64 exec, exec, s[36:37]
	s_waitcnt vmcnt(0)
	ds_write_b32 v45, v30
	ds_write_b32 v46, v5 offset:256
	ds_write_b32 v47, v6 offset:512
	;; [unrolled: 1-line block ×3, first 2 shown]
	; wave barrier
	ds_read2_b32 v[30:31], v49 offset1:1
	ds_read2_b32 v[36:37], v49 offset0:2 offset1:3
	s_mov_b32 s56, s89
	s_mov_b32 s57, s89
	;; [unrolled: 1-line block ×5, first 2 shown]
	v_mov_b64_e32 v[4:5], s[56:57]
	v_lshl_add_u64 v[28:29], s[76:77], 2, v[26:27]
	v_mov_b64_e32 v[6:7], s[58:59]
	v_mov_b32_e32 v33, 0
	s_and_saveexec_b64 s[36:37], s[18:19]
	s_cbranch_execnz .LBB133_52
; %bb.43:                               ;   in Loop: Header=BB133_37 Depth=2
	s_or_b64 exec, exec, s[36:37]
	s_and_saveexec_b64 s[36:37], s[20:21]
	s_cbranch_execnz .LBB133_53
.LBB133_44:                             ;   in Loop: Header=BB133_37 Depth=2
	s_or_b64 exec, exec, s[36:37]
	s_and_saveexec_b64 s[36:37], s[22:23]
	s_cbranch_execnz .LBB133_54
.LBB133_45:                             ;   in Loop: Header=BB133_37 Depth=2
	s_or_b64 exec, exec, s[36:37]
	s_and_saveexec_b64 s[36:37], s[24:25]
	s_cbranch_execz .LBB133_47
.LBB133_46:                             ;   in Loop: Header=BB133_37 Depth=2
	global_load_dword v7, v[28:29], off offset:768
.LBB133_47:                             ;   in Loop: Header=BB133_37 Depth=2
	s_or_b64 exec, exec, s[36:37]
	v_add_u32_e32 v4, 0x420, v49
	s_waitcnt vmcnt(0)
	ds_write_b32 v45, v33 offset:1056
	ds_write_b32 v50, v5 offset:256
	;; [unrolled: 1-line block ×4, first 2 shown]
	; wave barrier
	ds_read2_b32 v[6:7], v4 offset1:1
	ds_read2_b32 v[4:5], v53 offset0:2 offset1:3
	s_andn2_b64 vcc, exec, s[90:91]
	s_cbranch_vccnz .LBB133_55
; %bb.48:                               ;   in Loop: Header=BB133_37 Depth=2
	v_mov_b32_e32 v28, s99
	ds_read_b64 v[28:29], v28
	s_cbranch_execz .LBB133_56
	s_branch .LBB133_59
.LBB133_49:                             ;   in Loop: Header=BB133_37 Depth=2
	global_load_dword v30, v[28:29], off
	v_mov_b32_e32 v4, v3
	v_mov_b32_e32 v5, v3
	v_mov_b64_e32 v[6:7], v[4:5]
	v_mov_b64_e32 v[4:5], v[2:3]
	s_or_b64 exec, exec, s[36:37]
	s_and_saveexec_b64 s[36:37], s[20:21]
	s_cbranch_execz .LBB133_39
.LBB133_50:                             ;   in Loop: Header=BB133_37 Depth=2
	global_load_dword v5, v[28:29], off offset:256
	s_or_b64 exec, exec, s[36:37]
	s_and_saveexec_b64 s[36:37], s[22:23]
	s_cbranch_execz .LBB133_40
.LBB133_51:                             ;   in Loop: Header=BB133_37 Depth=2
	global_load_dword v6, v[28:29], off offset:512
	s_or_b64 exec, exec, s[36:37]
	s_and_saveexec_b64 s[36:37], s[24:25]
	s_cbranch_execnz .LBB133_41
	s_branch .LBB133_42
.LBB133_52:                             ;   in Loop: Header=BB133_37 Depth=2
	global_load_dword v33, v[28:29], off
	v_mov_b32_e32 v4, v3
	v_mov_b32_e32 v5, v3
	v_mov_b64_e32 v[6:7], v[4:5]
	v_mov_b64_e32 v[4:5], v[2:3]
	s_or_b64 exec, exec, s[36:37]
	s_and_saveexec_b64 s[36:37], s[20:21]
	s_cbranch_execz .LBB133_44
.LBB133_53:                             ;   in Loop: Header=BB133_37 Depth=2
	global_load_dword v5, v[28:29], off offset:256
	s_or_b64 exec, exec, s[36:37]
	s_and_saveexec_b64 s[36:37], s[22:23]
	s_cbranch_execz .LBB133_45
.LBB133_54:                             ;   in Loop: Header=BB133_37 Depth=2
	global_load_dword v6, v[28:29], off offset:512
	s_or_b64 exec, exec, s[36:37]
	s_and_saveexec_b64 s[36:37], s[24:25]
	s_cbranch_execnz .LBB133_46
	s_branch .LBB133_47
.LBB133_55:                             ;   in Loop: Header=BB133_37 Depth=2
                                        ; implicit-def: $vgpr29
.LBB133_56:                             ;   in Loop: Header=BB133_37 Depth=2
	s_andn2_b64 vcc, exec, s[38:39]
	s_waitcnt lgkmcnt(0)
	v_mov_b32_e32 v29, 0
	s_cbranch_vccnz .LBB133_58
; %bb.57:                               ;   in Loop: Header=BB133_37 Depth=2
	s_mov_b32 s79, s89
	s_lshl_b64 s[36:37], s[78:79], 2
	s_add_u32 s36, s45, s36
	s_addc_u32 s37, s49, s37
	global_load_dword v29, v3, s[36:37]
.LBB133_58:                             ;   in Loop: Header=BB133_37 Depth=2
	v_mov_b32_e32 v28, 1.0
.LBB133_59:                             ;   in Loop: Header=BB133_37 Depth=2
	v_mul_f32_e32 v34, 0x3fb8aa3b, v32
	v_mul_f32_e32 v32, v34, v60
	v_cmp_gt_f32_e32 vcc, s94, v32
	s_waitcnt lgkmcnt(7)
	v_mul_f32_e32 v30, v30, v64
	v_mul_f32_e32 v31, v31, v63
	v_cndmask_b32_e32 v32, 0, v58, vcc
	v_fmac_f32_e32 v32, v34, v60
	v_exp_f32_e32 v32, v32
	v_cndmask_b32_e32 v33, 1.0, v59, vcc
	v_mul_f32_e32 v33, v32, v33
	v_mul_f32_e32 v32, v34, v61
	v_cmp_gt_f32_e32 vcc, s94, v32
	v_cndmask_b32_e64 v35, 1.0, v33, s[26:27]
	v_cndmask_b32_e64 v33, 0, v31, s[28:29]
	v_cndmask_b32_e32 v32, 0, v58, vcc
	v_fmac_f32_e32 v32, v34, v61
	v_exp_f32_e32 v38, v32
	v_cndmask_b32_e64 v32, 0, v30, s[26:27]
	v_cndmask_b32_e32 v30, 1.0, v59, vcc
	v_mul_f32_e32 v30, v38, v30
	v_pk_mul_f32 v[38:39], v[34:35], v[22:23] op_sel_hi:[0,1]
	s_waitcnt lgkmcnt(6)
	v_mul_f32_e32 v34, v36, v62
	v_cmp_gt_f32_e32 vcc, s94, v38
	v_cndmask_b32_e64 v31, 1.0, v30, s[28:29]
	v_cndmask_b32_e64 v30, 0, v34, s[30:31]
	v_cndmask_b32_e32 v34, 0, v58, vcc
	v_cmp_gt_f32_e64 s[36:37], s94, v39
	v_add_f32_e32 v34, v38, v34
	v_exp_f32_e32 v34, v34
	v_cndmask_b32_e64 v36, 0, v58, s[36:37]
	v_add_f32_e32 v36, v39, v36
	v_exp_f32_e32 v36, v36
	v_cndmask_b32_e32 v38, 1.0, v59, vcc
	v_mul_f32_e32 v34, v34, v38
	v_cndmask_b32_e64 v38, 1.0, v59, s[36:37]
	v_mul_f32_e32 v38, v36, v38
	v_cndmask_b32_e64 v39, 1.0, v38, s[30:31]
	v_cndmask_b32_e64 v38, 1.0, v34, s[34:35]
	v_fma_f32 v34, v31, v32, v33
	v_mul_f32_e32 v34, v34, v39
	v_pk_add_f32 v[40:41], v[34:35], v[30:31]
	v_pk_mul_f32 v[66:67], v[34:35], v[30:31]
	v_mul_f32_e32 v36, v37, v17
	v_mov_b32_e32 v41, v67
	v_cndmask_b32_e64 v36, 0, v36, s[34:35]
	v_pk_mul_f32 v[66:67], v[40:41], v[38:39]
	v_mov_b32_e32 v37, v38
	v_pk_fma_f32 v[68:69], v[40:41], v[38:39], v[36:37]
	v_pk_mul_f32 v[66:67], v[66:67], v[36:37]
	s_nop 0
	v_mov_b32_dpp v37, v68 row_shr:1 row_mask:0xf bank_mask:0xf
	v_mov_b32_dpp v34, v67 row_shr:1 row_mask:0xf bank_mask:0xf
	v_mul_f32_e32 v65, v67, v34
	v_fma_f32 v34, v67, v37, v68
	v_cndmask_b32_e64 v41, v34, v68, s[0:1]
	v_cndmask_b32_e64 v34, v34, v68, s[0:1]
	;; [unrolled: 1-line block ×4, first 2 shown]
	v_mov_b32_dpp v66, v34 row_shr:2 row_mask:0xf bank_mask:0xf
	v_mov_b32_dpp v65, v37 row_shr:2 row_mask:0xf bank_mask:0xf
	s_and_saveexec_b64 s[36:37], s[2:3]
; %bb.60:                               ;   in Loop: Header=BB133_37 Depth=2
	v_fmac_f32_e32 v34, v37, v66
	v_mul_f32_e32 v37, v37, v65
	v_mov_b32_e32 v40, v37
	v_mov_b32_e32 v41, v34
; %bb.61:                               ;   in Loop: Header=BB133_37 Depth=2
	s_or_b64 exec, exec, s[36:37]
	v_mov_b32_dpp v65, v37 row_shr:4 row_mask:0xf bank_mask:0xf
	v_mov_b32_dpp v66, v34 row_shr:4 row_mask:0xf bank_mask:0xf
	s_and_saveexec_b64 s[36:37], s[4:5]
; %bb.62:                               ;   in Loop: Header=BB133_37 Depth=2
	v_fmac_f32_e32 v34, v37, v66
	v_mul_f32_e32 v37, v37, v65
	v_mov_b32_e32 v40, v37
	v_mov_b32_e32 v41, v34
; %bb.63:                               ;   in Loop: Header=BB133_37 Depth=2
	s_or_b64 exec, exec, s[36:37]
	;; [unrolled: 10-line block ×3, first 2 shown]
	v_mov_b32_dpp v65, v37 row_bcast:15 row_mask:0xf bank_mask:0xf
	v_mov_b32_dpp v66, v34 row_bcast:15 row_mask:0xf bank_mask:0xf
	s_and_saveexec_b64 s[36:37], s[8:9]
; %bb.66:                               ;   in Loop: Header=BB133_37 Depth=2
	v_fmac_f32_e32 v34, v37, v66
	v_mul_f32_e32 v37, v37, v65
	v_mov_b32_e32 v40, v37
	v_mov_b32_e32 v41, v34
; %bb.67:                               ;   in Loop: Header=BB133_37 Depth=2
	s_or_b64 exec, exec, s[36:37]
	v_mov_b32_dpp v65, v37 row_bcast:31 row_mask:0xf bank_mask:0xf
	v_mov_b32_dpp v66, v34 row_bcast:31 row_mask:0xf bank_mask:0xf
	v_mul_f32_e32 v65, v37, v65
	v_fmac_f32_e32 v34, v37, v66
	v_cndmask_b32_e64 v40, v40, v65, s[10:11]
	v_cndmask_b32_e64 v41, v41, v34, s[10:11]
	s_and_saveexec_b64 s[36:37], s[12:13]
	s_cbranch_execz .LBB133_69
; %bb.68:                               ;   in Loop: Header=BB133_37 Depth=2
	ds_write_b64 v3, v[40:41] offset:2112
.LBB133_69:                             ;   in Loop: Header=BB133_37 Depth=2
	s_or_b64 exec, exec, s[36:37]
	ds_bpermute_b32 v34, v54, v40
	ds_bpermute_b32 v37, v54, v41
	s_waitcnt vmcnt(0) lgkmcnt(2)
	v_mov_b32_e32 v41, v29
	s_waitcnt lgkmcnt(0)
	; wave barrier
	s_waitcnt lgkmcnt(0)
	s_and_saveexec_b64 s[36:37], s[14:15]
	s_cbranch_execz .LBB133_73
; %bb.70:                               ;   in Loop: Header=BB133_37 Depth=2
	ds_read_b64 v[40:41], v3 offset:2112
	s_and_saveexec_b64 s[54:55], s[16:17]
	s_cbranch_execz .LBB133_72
; %bb.71:                               ;   in Loop: Header=BB133_37 Depth=2
	ds_write_b64 v3, v[28:29] offset:2112
.LBB133_72:                             ;   in Loop: Header=BB133_37 Depth=2
	s_or_b64 exec, exec, s[54:55]
	s_waitcnt lgkmcnt(0)
	v_fmac_f32_e32 v41, v29, v40
	v_mul_f32_e32 v28, v28, v40
	v_mov_b32_e32 v29, v41
.LBB133_73:                             ;   in Loop: Header=BB133_37 Depth=2
	s_or_b64 exec, exec, s[36:37]
	s_waitcnt lgkmcnt(0)
	; wave barrier
	ds_read_b32 v40, v3 offset:2116
	s_and_saveexec_b64 s[36:37], s[16:17]
	s_cbranch_execz .LBB133_36
; %bb.74:                               ;   in Loop: Header=BB133_37 Depth=2
	v_mov_b32_e32 v65, s99
	s_andn2_b64 vcc, exec, s[72:73]
	ds_write_b64 v65, v[28:29]
	s_cbranch_vccnz .LBB133_36
; %bb.75:                               ;   in Loop: Header=BB133_37 Depth=2
	s_mov_b32 s79, s89
	s_lshl_b64 s[54:55], s[78:79], 2
	s_add_u32 s54, s45, s54
	s_addc_u32 s55, s49, s55
	global_store_dword v3, v41, s[54:55]
	s_branch .LBB133_36
.LBB133_76:                             ;   in Loop: Header=BB133_12 Depth=1
	s_waitcnt lgkmcnt(0)
	; wave barrier
	ds_write2_b32 v49, v20, v21 offset1:1
	ds_write2_b32 v49, v18, v19 offset0:2 offset1:3
	; wave barrier
	ds_read_b32 v17, v46 offset:256
	ds_read_b32 v7, v47 offset:512
	;; [unrolled: 1-line block ×3, first 2 shown]
	s_mov_b32 s71, s89
	v_lshl_add_u64 v[4:5], s[70:71], 2, v[0:1]
	s_and_saveexec_b64 s[26:27], s[18:19]
	s_cbranch_execnz .LBB133_92
; %bb.77:                               ;   in Loop: Header=BB133_12 Depth=1
	s_or_b64 exec, exec, s[26:27]
	s_and_saveexec_b64 s[26:27], s[20:21]
	s_cbranch_execnz .LBB133_93
.LBB133_78:                             ;   in Loop: Header=BB133_12 Depth=1
	s_or_b64 exec, exec, s[26:27]
	s_and_saveexec_b64 s[26:27], s[22:23]
	s_cbranch_execnz .LBB133_94
.LBB133_79:                             ;   in Loop: Header=BB133_12 Depth=1
	s_or_b64 exec, exec, s[26:27]
	s_and_saveexec_b64 s[26:27], s[24:25]
	s_cbranch_execz .LBB133_81
.LBB133_80:                             ;   in Loop: Header=BB133_12 Depth=1
	s_waitcnt lgkmcnt(0)
	global_store_dword v[4:5], v6, off offset:768
.LBB133_81:                             ;   in Loop: Header=BB133_12 Depth=1
	s_or_b64 exec, exec, s[26:27]
	s_mov_b32 s88, s89
	s_mov_b32 s90, s89
	;; [unrolled: 1-line block ×3, first 2 shown]
	s_waitcnt lgkmcnt(0)
	v_mov_b64_e32 v[4:5], s[88:89]
	v_lshl_add_u64 v[22:23], s[70:71], 2, v[10:11]
	v_mov_b64_e32 v[6:7], s[90:91]
	v_mov_b32_e32 v17, 0
	s_waitcnt lgkmcnt(0)
	; wave barrier
	s_and_saveexec_b64 s[26:27], s[18:19]
	s_cbranch_execnz .LBB133_95
; %bb.82:                               ;   in Loop: Header=BB133_12 Depth=1
	s_or_b64 exec, exec, s[26:27]
	s_and_saveexec_b64 s[26:27], s[20:21]
	s_cbranch_execnz .LBB133_96
.LBB133_83:                             ;   in Loop: Header=BB133_12 Depth=1
	s_or_b64 exec, exec, s[26:27]
	s_and_saveexec_b64 s[26:27], s[22:23]
	s_cbranch_execnz .LBB133_97
.LBB133_84:                             ;   in Loop: Header=BB133_12 Depth=1
	s_or_b64 exec, exec, s[26:27]
	s_and_saveexec_b64 s[26:27], s[24:25]
	s_cbranch_execz .LBB133_86
.LBB133_85:                             ;   in Loop: Header=BB133_12 Depth=1
	global_load_dword v7, v[22:23], off offset:768
.LBB133_86:                             ;   in Loop: Header=BB133_12 Depth=1
	s_or_b64 exec, exec, s[26:27]
	s_waitcnt vmcnt(0)
	ds_write_b32 v45, v17
	ds_write_b32 v46, v5 offset:256
	ds_write_b32 v47, v6 offset:512
	ds_write_b32 v48, v7 offset:768
	; wave barrier
	ds_read2_b32 v[4:5], v49 offset1:1
	ds_read2_b32 v[6:7], v49 offset0:2 offset1:3
	s_waitcnt lgkmcnt(0)
	; wave barrier
	s_waitcnt lgkmcnt(0)
	v_mul_f32_e32 v17, 0xbfb8aa3b, v5
	v_rndne_f32_e32 v22, v17
	v_sub_f32_e32 v23, v17, v22
	v_fma_f32 v17, v5, s95, -v17
	v_fmac_f32_e32 v17, 0xb2a5705f, v5
	v_add_f32_e32 v17, v23, v17
	v_exp_f32_e32 v17, v17
	v_cvt_i32_f32_e32 v22, v22
	v_cmp_nlt_f32_e32 vcc, s96, v5
	v_ldexp_f32 v17, v17, v22
	v_mul_f32_e32 v22, 0xbfb8aa3b, v4
	v_rndne_f32_e32 v23, v22
	v_sub_f32_e32 v24, v22, v23
	v_fma_f32 v22, v4, s95, -v22
	v_fmac_f32_e32 v22, 0xb2a5705f, v4
	v_add_f32_e32 v22, v24, v22
	v_exp_f32_e32 v22, v22
	v_cvt_i32_f32_e32 v24, v23
	v_cndmask_b32_e32 v17, 0, v17, vcc
	v_cmp_ngt_f32_e32 vcc, s97, v5
	s_nop 1
	v_cndmask_b32_e32 v23, v57, v17, vcc
	v_ldexp_f32 v17, v22, v24
	v_cmp_nlt_f32_e32 vcc, s96, v4
	s_nop 1
	v_cndmask_b32_e32 v17, 0, v17, vcc
	v_cmp_ngt_f32_e32 vcc, s97, v4
	s_nop 1
	v_cndmask_b32_e32 v22, v57, v17, vcc
	v_pk_add_f32 v[22:23], v[22:23], 1.0 op_sel_hi:[1,0]
	s_nop 0
	v_div_scale_f32 v17, s[26:27], v23, v23, v5
	v_rcp_f32_e32 v24, v17
	s_nop 0
	v_fma_f32 v25, -v17, v24, 1.0
	v_fmac_f32_e32 v24, v25, v24
	v_div_scale_f32 v25, vcc, v5, v23, v5
	v_mul_f32_e32 v26, v25, v24
	v_fma_f32 v27, -v17, v26, v25
	v_fmac_f32_e32 v26, v27, v24
	v_fma_f32 v17, -v17, v26, v25
	v_div_scale_f32 v25, s[26:27], v22, v22, v4
	v_rcp_f32_e32 v27, v25
	v_div_fmas_f32 v17, v17, v24, v26
	v_mul_f32_e32 v24, 0xbfb8aa3b, v7
	v_rndne_f32_e32 v26, v24
	v_sub_f32_e32 v28, v24, v26
	v_fma_f32 v24, v7, s95, -v24
	v_div_fixup_f32 v5, v17, v23, v5
	v_fma_f32 v17, -v25, v27, 1.0
	v_fmac_f32_e32 v24, 0xb2a5705f, v7
	v_fmac_f32_e32 v27, v17, v27
	v_div_scale_f32 v17, vcc, v4, v22, v4
	v_add_f32_e32 v24, v28, v24
	v_mul_f32_e32 v23, v17, v27
	v_exp_f32_e32 v24, v24
	v_cvt_i32_f32_e32 v26, v26
	v_fma_f32 v28, -v25, v23, v17
	v_fmac_f32_e32 v23, v28, v27
	v_fma_f32 v17, -v25, v23, v17
	v_mul_f32_e32 v25, 0xbfb8aa3b, v6
	v_ldexp_f32 v24, v24, v26
	v_rndne_f32_e32 v26, v25
	v_sub_f32_e32 v28, v25, v26
	v_fma_f32 v25, v6, s95, -v25
	v_fmac_f32_e32 v25, 0xb2a5705f, v6
	v_add_f32_e32 v25, v28, v25
	v_exp_f32_e32 v28, v25
	v_cvt_i32_f32_e32 v26, v26
	v_cmp_nlt_f32_e64 s[26:27], s96, v7
	v_div_fmas_f32 v17, v17, v27, v23
	v_div_fixup_f32 v4, v17, v22, v4
	v_cndmask_b32_e64 v24, 0, v24, s[26:27]
	v_cmp_ngt_f32_e64 s[26:27], s97, v7
	v_pk_mul_f32 v[4:5], v[4:5], v[20:21]
	s_nop 0
	v_cndmask_b32_e64 v25, v57, v24, s[26:27]
	v_ldexp_f32 v24, v28, v26
	v_cmp_nlt_f32_e64 s[26:27], s96, v6
	s_nop 1
	v_cndmask_b32_e64 v24, 0, v24, s[26:27]
	v_cmp_ngt_f32_e64 s[26:27], s97, v6
	s_nop 1
	v_cndmask_b32_e64 v24, v57, v24, s[26:27]
	v_pk_add_f32 v[24:25], v[24:25], 1.0 op_sel_hi:[1,0]
	s_nop 0
	v_div_scale_f32 v26, s[26:27], v25, v25, v7
	v_rcp_f32_e32 v28, v26
	s_nop 0
	v_fma_f32 v17, -v26, v28, 1.0
	v_fmac_f32_e32 v28, v17, v28
	v_div_scale_f32 v17, vcc, v7, v25, v7
	v_mul_f32_e32 v20, v17, v28
	v_fma_f32 v21, -v26, v20, v17
	v_fmac_f32_e32 v20, v21, v28
	v_div_scale_f32 v21, s[26:27], v24, v24, v6
	v_rcp_f32_e32 v22, v21
	v_fma_f32 v17, -v26, v20, v17
	v_div_fmas_f32 v17, v17, v28, v20
	v_div_fixup_f32 v7, v17, v25, v7
	v_fma_f32 v17, -v21, v22, 1.0
	v_fmac_f32_e32 v22, v17, v22
	v_div_scale_f32 v17, vcc, v6, v24, v6
	v_mul_f32_e32 v20, v17, v22
	v_fma_f32 v23, -v21, v20, v17
	v_fmac_f32_e32 v20, v23, v22
	v_fma_f32 v17, -v21, v20, v17
	v_div_fmas_f32 v17, v17, v22, v20
	v_div_fixup_f32 v6, v17, v24, v6
	v_pk_mul_f32 v[6:7], v[6:7], v[18:19]
	ds_write2_b32 v49, v4, v5 offset1:1
	ds_write2_b32 v49, v6, v7 offset0:2 offset1:3
	; wave barrier
	ds_read_b32 v17, v46 offset:256
	ds_read_b32 v7, v47 offset:512
	;; [unrolled: 1-line block ×3, first 2 shown]
	v_lshl_add_u64 v[4:5], s[70:71], 2, v[12:13]
	s_and_saveexec_b64 s[26:27], s[18:19]
	s_cbranch_execnz .LBB133_98
; %bb.87:                               ;   in Loop: Header=BB133_12 Depth=1
	s_or_b64 exec, exec, s[26:27]
	s_and_saveexec_b64 s[18:19], s[20:21]
	s_cbranch_execnz .LBB133_99
.LBB133_88:                             ;   in Loop: Header=BB133_12 Depth=1
	s_or_b64 exec, exec, s[18:19]
	s_and_saveexec_b64 s[18:19], s[22:23]
	s_cbranch_execnz .LBB133_100
.LBB133_89:                             ;   in Loop: Header=BB133_12 Depth=1
	s_or_b64 exec, exec, s[18:19]
	s_and_saveexec_b64 s[18:19], s[24:25]
	s_cbranch_execz .LBB133_11
	s_branch .LBB133_101
.LBB133_90:                             ;   in Loop: Header=BB133_12 Depth=1
	global_load_dword v21, v[18:19], off offset:256
	s_or_b64 exec, exec, s[26:27]
	s_and_saveexec_b64 s[26:27], s[22:23]
	s_cbranch_execz .LBB133_24
.LBB133_91:                             ;   in Loop: Header=BB133_12 Depth=1
	global_load_dword v20, v[18:19], off offset:512
	s_or_b64 exec, exec, s[26:27]
	v_mov_b32_e32 v22, 0
	s_and_saveexec_b64 s[26:27], s[24:25]
	s_cbranch_execnz .LBB133_25
	s_branch .LBB133_26
.LBB133_92:                             ;   in Loop: Header=BB133_12 Depth=1
	ds_read_b32 v22, v45
	s_waitcnt lgkmcnt(0)
	global_store_dword v[4:5], v22, off
	s_or_b64 exec, exec, s[26:27]
	s_and_saveexec_b64 s[26:27], s[20:21]
	s_cbranch_execz .LBB133_78
.LBB133_93:                             ;   in Loop: Header=BB133_12 Depth=1
	s_waitcnt lgkmcnt(2)
	global_store_dword v[4:5], v17, off offset:256
	s_or_b64 exec, exec, s[26:27]
	s_and_saveexec_b64 s[26:27], s[22:23]
	s_cbranch_execz .LBB133_79
.LBB133_94:                             ;   in Loop: Header=BB133_12 Depth=1
	s_waitcnt lgkmcnt(1)
	global_store_dword v[4:5], v7, off offset:512
	s_or_b64 exec, exec, s[26:27]
	s_and_saveexec_b64 s[26:27], s[24:25]
	s_cbranch_execnz .LBB133_80
	s_branch .LBB133_81
.LBB133_95:                             ;   in Loop: Header=BB133_12 Depth=1
	global_load_dword v17, v[22:23], off
	v_mov_b32_e32 v4, v3
	v_mov_b32_e32 v5, v3
	v_mov_b64_e32 v[6:7], v[4:5]
	v_mov_b64_e32 v[4:5], v[2:3]
	s_or_b64 exec, exec, s[26:27]
	s_and_saveexec_b64 s[26:27], s[20:21]
	s_cbranch_execz .LBB133_83
.LBB133_96:                             ;   in Loop: Header=BB133_12 Depth=1
	global_load_dword v5, v[22:23], off offset:256
	s_or_b64 exec, exec, s[26:27]
	s_and_saveexec_b64 s[26:27], s[22:23]
	s_cbranch_execz .LBB133_84
.LBB133_97:                             ;   in Loop: Header=BB133_12 Depth=1
	global_load_dword v6, v[22:23], off offset:512
	s_or_b64 exec, exec, s[26:27]
	s_and_saveexec_b64 s[26:27], s[24:25]
	s_cbranch_execnz .LBB133_85
	s_branch .LBB133_86
.LBB133_98:                             ;   in Loop: Header=BB133_12 Depth=1
	ds_read_b32 v18, v45
	s_waitcnt lgkmcnt(0)
	global_store_dword v[4:5], v18, off
	s_or_b64 exec, exec, s[26:27]
	s_and_saveexec_b64 s[18:19], s[20:21]
	s_cbranch_execz .LBB133_88
.LBB133_99:                             ;   in Loop: Header=BB133_12 Depth=1
	s_waitcnt lgkmcnt(2)
	global_store_dword v[4:5], v17, off offset:256
	s_or_b64 exec, exec, s[18:19]
	s_and_saveexec_b64 s[18:19], s[22:23]
	s_cbranch_execz .LBB133_89
.LBB133_100:                            ;   in Loop: Header=BB133_12 Depth=1
	s_waitcnt lgkmcnt(1)
	global_store_dword v[4:5], v7, off offset:512
	s_or_b64 exec, exec, s[18:19]
	s_and_saveexec_b64 s[18:19], s[24:25]
	s_cbranch_execz .LBB133_11
.LBB133_101:                            ;   in Loop: Header=BB133_12 Depth=1
	s_waitcnt lgkmcnt(0)
	global_store_dword v[4:5], v6, off offset:768
	s_branch .LBB133_11
.LBB133_102:
	s_endpgm
	.section	.rodata,"a",@progbits
	.p2align	6, 0x0
	.amdhsa_kernel _Z25selective_scan_fwd_kernelI32Selective_Scan_fwd_kernel_traitsILi64ELi4ELi1ELb0ELb1ELb1ELb1ELb0EfffEEv13SSMParamsBase
		.amdhsa_group_segment_fixed_size 0
		.amdhsa_private_segment_fixed_size 0
		.amdhsa_kernarg_size 248
		.amdhsa_user_sgpr_count 2
		.amdhsa_user_sgpr_dispatch_ptr 0
		.amdhsa_user_sgpr_queue_ptr 0
		.amdhsa_user_sgpr_kernarg_segment_ptr 1
		.amdhsa_user_sgpr_dispatch_id 0
		.amdhsa_user_sgpr_kernarg_preload_length 0
		.amdhsa_user_sgpr_kernarg_preload_offset 0
		.amdhsa_user_sgpr_private_segment_size 0
		.amdhsa_uses_dynamic_stack 0
		.amdhsa_enable_private_segment 0
		.amdhsa_system_sgpr_workgroup_id_x 1
		.amdhsa_system_sgpr_workgroup_id_y 1
		.amdhsa_system_sgpr_workgroup_id_z 0
		.amdhsa_system_sgpr_workgroup_info 0
		.amdhsa_system_vgpr_workitem_id 0
		.amdhsa_next_free_vgpr 71
		.amdhsa_next_free_sgpr 100
		.amdhsa_accum_offset 72
		.amdhsa_reserve_vcc 1
		.amdhsa_float_round_mode_32 0
		.amdhsa_float_round_mode_16_64 0
		.amdhsa_float_denorm_mode_32 3
		.amdhsa_float_denorm_mode_16_64 3
		.amdhsa_dx10_clamp 1
		.amdhsa_ieee_mode 1
		.amdhsa_fp16_overflow 0
		.amdhsa_tg_split 0
		.amdhsa_exception_fp_ieee_invalid_op 0
		.amdhsa_exception_fp_denorm_src 0
		.amdhsa_exception_fp_ieee_div_zero 0
		.amdhsa_exception_fp_ieee_overflow 0
		.amdhsa_exception_fp_ieee_underflow 0
		.amdhsa_exception_fp_ieee_inexact 0
		.amdhsa_exception_int_div_zero 0
	.end_amdhsa_kernel
	.section	.text._Z25selective_scan_fwd_kernelI32Selective_Scan_fwd_kernel_traitsILi64ELi4ELi1ELb0ELb1ELb1ELb1ELb0EfffEEv13SSMParamsBase,"axG",@progbits,_Z25selective_scan_fwd_kernelI32Selective_Scan_fwd_kernel_traitsILi64ELi4ELi1ELb0ELb1ELb1ELb1ELb0EfffEEv13SSMParamsBase,comdat
.Lfunc_end133:
	.size	_Z25selective_scan_fwd_kernelI32Selective_Scan_fwd_kernel_traitsILi64ELi4ELi1ELb0ELb1ELb1ELb1ELb0EfffEEv13SSMParamsBase, .Lfunc_end133-_Z25selective_scan_fwd_kernelI32Selective_Scan_fwd_kernel_traitsILi64ELi4ELi1ELb0ELb1ELb1ELb1ELb0EfffEEv13SSMParamsBase
                                        ; -- End function
	.section	.AMDGPU.csdata,"",@progbits
; Kernel info:
; codeLenInByte = 7364
; NumSgprs: 106
; NumVgprs: 71
; NumAgprs: 0
; TotalNumVgprs: 71
; ScratchSize: 0
; MemoryBound: 0
; FloatMode: 240
; IeeeMode: 1
; LDSByteSize: 0 bytes/workgroup (compile time only)
; SGPRBlocks: 13
; VGPRBlocks: 8
; NumSGPRsForWavesPerEU: 106
; NumVGPRsForWavesPerEU: 71
; AccumOffset: 72
; Occupancy: 7
; WaveLimiterHint : 0
; COMPUTE_PGM_RSRC2:SCRATCH_EN: 0
; COMPUTE_PGM_RSRC2:USER_SGPR: 2
; COMPUTE_PGM_RSRC2:TRAP_HANDLER: 0
; COMPUTE_PGM_RSRC2:TGID_X_EN: 1
; COMPUTE_PGM_RSRC2:TGID_Y_EN: 1
; COMPUTE_PGM_RSRC2:TGID_Z_EN: 0
; COMPUTE_PGM_RSRC2:TIDIG_COMP_CNT: 0
; COMPUTE_PGM_RSRC3_GFX90A:ACCUM_OFFSET: 17
; COMPUTE_PGM_RSRC3_GFX90A:TG_SPLIT: 0
	.section	.text._Z25selective_scan_fwd_kernelI32Selective_Scan_fwd_kernel_traitsILi64ELi4ELi1ELb0ELb1ELb1ELb0ELb1EfffEEv13SSMParamsBase,"axG",@progbits,_Z25selective_scan_fwd_kernelI32Selective_Scan_fwd_kernel_traitsILi64ELi4ELi1ELb0ELb1ELb1ELb0ELb1EfffEEv13SSMParamsBase,comdat
	.protected	_Z25selective_scan_fwd_kernelI32Selective_Scan_fwd_kernel_traitsILi64ELi4ELi1ELb0ELb1ELb1ELb0ELb1EfffEEv13SSMParamsBase ; -- Begin function _Z25selective_scan_fwd_kernelI32Selective_Scan_fwd_kernel_traitsILi64ELi4ELi1ELb0ELb1ELb1ELb0ELb1EfffEEv13SSMParamsBase
	.globl	_Z25selective_scan_fwd_kernelI32Selective_Scan_fwd_kernel_traitsILi64ELi4ELi1ELb0ELb1ELb1ELb0ELb1EfffEEv13SSMParamsBase
	.p2align	8
	.type	_Z25selective_scan_fwd_kernelI32Selective_Scan_fwd_kernel_traitsILi64ELi4ELi1ELb0ELb1ELb1ELb0ELb1EfffEEv13SSMParamsBase,@function
_Z25selective_scan_fwd_kernelI32Selective_Scan_fwd_kernel_traitsILi64ELi4ELi1ELb0ELb1ELb1ELb0ELb1EfffEEv13SSMParamsBase: ; @_Z25selective_scan_fwd_kernelI32Selective_Scan_fwd_kernel_traitsILi64ELi4ELi1ELb0ELb1ELb1ELb0ELb1EfffEEv13SSMParamsBase
; %bb.0:
	s_load_dword s27, s[0:1], 0x18
	s_load_dwordx4 s[4:7], s[0:1], 0xe0
	s_load_dwordx2 s[10:11], s[0:1], 0xf0
	s_mov_b32 s20, s3
	s_ashr_i32 s3, s2, 31
	s_waitcnt lgkmcnt(0)
	s_abs_i32 s26, s27
	v_cvt_f32_u32_e32 v1, s26
	s_lshl_b64 s[8:9], s[2:3], 2
	s_add_u32 s24, s4, s8
	s_addc_u32 s25, s5, s9
	v_rcp_iflag_f32_e32 v1, v1
	s_cmp_eq_u64 s[10:11], 0
	v_mul_f32_e32 v1, 0x4f7ffffe, v1
	v_cvt_u32_f32_e32 v1, v1
	s_nop 0
	v_readfirstlane_b32 s28, v1
	s_cbranch_scc1 .LBB134_86
; %bb.1:
	s_add_u32 s4, s10, s2
	s_addc_u32 s5, s11, s3
	v_mov_b32_e32 v1, 0
	global_load_ubyte v1, v1, s[4:5]
	s_waitcnt vmcnt(0)
	v_and_b32_e32 v1, 1, v1
	v_cmp_eq_u32_e64 s[56:57], 1, v1
	s_load_dwordx2 s[4:5], s[0:1], 0x20
	s_cmp_eq_u64 s[6:7], 0
	s_cbranch_scc1 .LBB134_3
.LBB134_2:
	s_add_u32 s2, s6, s8
	s_addc_u32 s3, s7, s9
	s_load_dword s2, s[2:3], 0x0
	s_waitcnt lgkmcnt(0)
	s_ashr_i32 s3, s2, 31
.LBB134_3:
	s_waitcnt lgkmcnt(0)
	s_cmp_eq_u64 s[4:5], s[2:3]
	s_cbranch_scc1 .LBB134_85
; %bb.4:
	s_load_dwordx16 s[4:19], s[0:1], 0x88
	s_load_dwordx2 s[22:23], s[24:25], 0x0
	s_mov_b32 s33, 0
	s_mov_b32 s80, 0
	s_waitcnt lgkmcnt(0)
	s_cmp_eq_u64 s[10:11], 0
	s_cbranch_scc1 .LBB134_6
; %bb.5:
	s_ashr_i32 s21, s20, 31
	s_lshl_b64 s[24:25], s[20:21], 2
	s_add_u32 s10, s10, s24
	s_addc_u32 s11, s11, s25
	s_load_dword s80, s[10:11], 0x0
.LBB134_6:
	s_cmp_eq_u64 s[16:17], 0
	s_cbranch_scc1 .LBB134_8
; %bb.7:
	s_ashr_i32 s21, s20, 31
	s_lshl_b64 s[10:11], s[20:21], 2
	s_add_u32 s10, s16, s10
	s_addc_u32 s11, s17, s11
	s_load_dword s33, s[10:11], 0x0
.LBB134_8:
	s_sub_i32 s81, s23, s22
	s_cmp_lt_i32 s81, 1
	s_cbranch_scc1 .LBB134_85
; %bb.9:
	s_sub_i32 s3, 0, s26
	s_mul_i32 s3, s3, s28
	s_mul_hi_u32 s3, s28, s3
	s_abs_i32 s21, s20
	s_add_i32 s28, s28, s3
	s_load_dwordx8 s[40:47], s[0:1], 0x2c
	s_load_dwordx2 s[16:17], s[0:1], 0x5c
	s_load_dwordx4 s[48:51], s[0:1], 0x4c
	s_load_dwordx4 s[36:39], s[0:1], 0x7c
	s_load_dwordx2 s[10:11], s[0:1], 0x6c
	s_load_dwordx2 s[24:25], s[0:1], 0xc8
	s_mul_hi_u32 s3, s21, s28
	s_load_dword s28, s[0:1], 0xc
	s_load_dword s23, s[0:1], 0x28
	s_ashr_i32 s0, s20, 31
	s_ashr_i32 s1, s27, 31
	s_xor_b32 s0, s0, s1
	s_mul_i32 s1, s3, s26
	s_sub_i32 s1, s21, s1
	s_add_i32 s21, s3, 1
	s_sub_i32 s27, s1, s26
	s_cmp_ge_u32 s1, s26
	s_cselect_b32 s3, s21, s3
	s_cselect_b32 s1, s27, s1
	s_add_i32 s21, s3, 1
	s_cmp_ge_u32 s1, s26
	s_cselect_b32 s1, s21, s3
	s_xor_b32 s1, s1, s0
	s_waitcnt lgkmcnt(0)
	s_mul_i32 s58, s22, s50
	s_mov_b32 s59, 0
	s_sub_i32 s3, s1, s0
	s_lshl_b64 s[0:1], s[58:59], 2
	s_add_u32 s12, s12, s0
	s_mul_i32 s58, s51, s20
	s_addc_u32 s13, s13, s1
	s_lshl_b64 s[0:1], s[58:59], 2
	s_add_u32 s50, s12, s0
	s_mul_i32 s58, s22, s16
	s_addc_u32 s51, s13, s1
	s_lshl_b64 s[0:1], s[58:59], 2
	s_add_u32 s12, s14, s0
	s_mul_i32 s58, s17, s20
	s_addc_u32 s13, s15, s1
	s_lshl_b64 s[0:1], s[58:59], 2
	s_add_u32 s60, s12, s0
	s_mul_i32 s58, s40, s20
	s_addc_u32 s61, s13, s1
	s_lshl_b64 s[0:1], s[58:59], 2
	s_add_u32 s40, s4, s0
	s_mul_i32 s58, s22, s42
	s_addc_u32 s82, s5, s1
	s_lshl_b64 s[0:1], s[58:59], 2
	s_add_u32 s4, s6, s0
	s_mul_i32 s58, s3, s45
	s_addc_u32 s5, s7, s1
	s_lshl_b64 s[0:1], s[58:59], 2
	s_add_u32 s42, s4, s0
	s_mul_i32 s58, s22, s46
	s_addc_u32 s43, s5, s1
	s_lshl_b64 s[0:1], s[58:59], 2
	s_add_u32 s4, s8, s0
	s_mul_i32 s58, s3, s49
	s_addc_u32 s5, s9, s1
	s_lshl_b64 s[0:1], s[58:59], 2
	s_add_u32 s46, s4, s0
	s_mul_i32 s58, s2, s36
	s_addc_u32 s47, s5, s1
	s_lshl_b64 s[0:1], s[58:59], 2
	s_add_u32 s2, s24, s0
	s_mul_i32 s58, s37, s20
	s_addc_u32 s3, s25, s1
	s_lshl_b64 s[0:1], s[58:59], 2
	v_mbcnt_lo_u32_b32 v1, -1, 0
	s_add_u32 s45, s2, s0
	v_mbcnt_hi_u32_b32 v8, -1, v1
	s_addc_u32 s49, s3, s1
	s_add_i32 s0, s81, 0x7ff
	v_or_b32_e32 v39, 0x80, v8
	s_lshr_b32 s83, s0, 11
	v_add_u32_e32 v40, 0xc0, v8
	v_lshrrev_b32_e32 v1, 5, v8
	v_lshrrev_b32_e32 v2, 5, v39
	v_add_u32_e32 v38, 64, v8
	v_add_u32_e32 v1, v1, v8
	v_add_lshl_u32 v4, v2, v8, 2
	v_lshrrev_b32_e32 v2, 5, v40
	s_bitcmp1_b32 s23, 0
	v_lshl_add_u32 v41, v1, 2, 0
	v_lshrrev_b32_e32 v1, 5, v38
	v_add_lshl_u32 v5, v2, v8, 2
	v_bfe_u32 v6, v8, 3, 27
	v_lshlrev_b32_e32 v2, 2, v8
	s_cselect_b64 s[62:63], -1, 0
	s_cmp_gt_i32 s28, 0
	v_add_lshl_u32 v1, v1, v8, 2
	v_add_lshl_u32 v6, v6, v2, 2
	s_cselect_b64 s[64:65], -1, 0
	s_add_i32 s0, 0, 0x420
	s_mul_i32 s58, s22, s10
	v_add_u32_e32 v46, s0, v1
	v_add_u32_e32 v47, s0, v4
	;; [unrolled: 1-line block ×4, first 2 shown]
	s_and_b32 s2, s81, 0xff
	s_add_i32 s84, s83, -1
	s_lshl_b64 s[0:1], s[58:59], 2
	s_add_u32 s3, s18, s0
	s_mul_i32 s58, s11, s20
	s_addc_u32 s4, s19, s1
	s_lshl_b64 s[0:1], s[58:59], 2
	s_add_u32 s18, s3, s0
	v_add_u32_e32 v42, 0, v1
	s_addc_u32 s19, s4, s1
	v_and_b32_e32 v1, 15, v8
	s_cmp_eq_u32 s2, 0
	v_cmp_eq_u32_e64 s[0:1], 0, v1
	v_cmp_lt_u32_e64 s[2:3], 1, v1
	v_cmp_lt_u32_e64 s[4:5], 3, v1
	;; [unrolled: 1-line block ×3, first 2 shown]
	v_and_b32_e32 v1, 16, v8
	v_add_u32_e32 v43, 0, v4
	v_cmp_ne_u32_e64 s[8:9], 0, v1
	v_add_u32_e32 v1, -1, v8
	v_and_b32_e32 v4, 64, v8
	v_cmp_lt_i32_e32 vcc, v1, v4
	v_mov_b32_e32 v3, 0
	v_lshlrev_b32_e32 v11, 2, v0
	v_cndmask_b32_e32 v1, v1, v8, vcc
	v_add_u32_e32 v44, 0, v5
	v_add_u32_e32 v45, 0, v6
                                        ; implicit-def: $vgpr66 : SGPR spill to VGPR lane
	s_cselect_b64 s[66:67], -1, 0
	v_cmp_lt_u32_e64 s[10:11], 31, v8
	v_cmp_eq_u32_e64 s[12:13], 63, v0
	v_lshlrev_b32_e32 v50, 2, v1
	v_cmp_gt_u32_e64 s[14:15], 64, v0
	v_cmp_eq_u32_e64 s[16:17], 0, v0
	v_lshl_add_u64 v[0:1], s[18:19], 0, v[2:3]
	v_or_b32_e32 v9, 1, v11
	v_or_b32_e32 v10, 2, v11
	;; [unrolled: 1-line block ×3, first 2 shown]
	v_lshlrev_b32_e32 v2, 2, v8
	s_mov_b32 s85, 0x41a00000
	s_mov_b32 s86, 0x3fb8aa3b
	s_mov_b32 s87, 0xc2ce8ed0
	s_mov_b32 s97, 0x42b17218
	s_mov_b32 s98, 0x7f800000
	s_mov_b32 s99, 0x3f2aaaab
	v_mov_b32_e32 v52, 0x3ecc95a3
	s_mov_b32 s39, 0x3f317218
	s_mov_b32 s92, 0x33800000
	s_add_i32 s93, 0, 0x848
	s_mov_b32 s94, 0xc2fc0000
	v_mov_b32_e32 v53, 0x7f800000
	v_mov_b32_e32 v12, 0x3f317218
	;; [unrolled: 1-line block ×4, first 2 shown]
	s_mov_b32 s95, 0
	s_mov_b32 s52, 0
	v_writelane_b32 v66, s28, 0
                                        ; implicit-def: $vgpr4
	s_branch .LBB134_11
.LBB134_10:                             ;   in Loop: Header=BB134_11 Depth=1
	s_or_b64 exec, exec, s[18:19]
	s_add_u32 s60, s60, 0x400
	s_addc_u32 s61, s61, 0
	s_add_u32 s50, s50, 0x400
	s_addc_u32 s51, s51, 0
	;; [unrolled: 2-line block ×4, first 2 shown]
	s_add_i32 s95, s95, 1
	s_cmp_eq_u32 s95, s83
	s_cbranch_scc1 .LBB134_85
.LBB134_11:                             ; =>This Loop Header: Depth=1
                                        ;     Child Loop BB134_36 Depth 2
	s_lshl_b32 s68, s95, 8
	s_sub_i32 s34, s81, s68
	v_lshl_add_u64 v[4:5], s[50:51], 0, v[2:3]
	v_cmp_gt_u32_e64 s[18:19], s34, v8
	s_waitcnt lgkmcnt(0)
	v_mov_b32_e32 v6, v3
	s_waitcnt lgkmcnt(0)
	; wave barrier
	s_and_saveexec_b64 s[20:21], s[18:19]
	s_cbranch_execz .LBB134_13
; %bb.12:                               ;   in Loop: Header=BB134_11 Depth=1
	global_load_dword v6, v[4:5], off
.LBB134_13:                             ;   in Loop: Header=BB134_11 Depth=1
	s_or_b64 exec, exec, s[20:21]
	v_cmp_gt_u32_e64 s[20:21], s34, v38
	v_mov_b32_e32 v7, 0
	v_mov_b32_e32 v14, 0
	s_and_saveexec_b64 s[22:23], s[20:21]
	s_cbranch_execz .LBB134_15
; %bb.14:                               ;   in Loop: Header=BB134_11 Depth=1
	global_load_dword v14, v[4:5], off offset:256
.LBB134_15:                             ;   in Loop: Header=BB134_11 Depth=1
	s_or_b64 exec, exec, s[22:23]
	v_cmp_gt_u32_e64 s[22:23], s34, v39
	s_and_saveexec_b64 s[24:25], s[22:23]
	s_cbranch_execz .LBB134_17
; %bb.16:                               ;   in Loop: Header=BB134_11 Depth=1
	global_load_dword v7, v[4:5], off offset:512
.LBB134_17:                             ;   in Loop: Header=BB134_11 Depth=1
	s_or_b64 exec, exec, s[24:25]
	v_cmp_gt_u32_e64 s[24:25], s34, v40
	v_mov_b32_e32 v13, 0
	v_mov_b32_e32 v15, 0
	s_and_saveexec_b64 s[26:27], s[24:25]
	s_cbranch_execz .LBB134_19
; %bb.18:                               ;   in Loop: Header=BB134_11 Depth=1
	global_load_dword v15, v[4:5], off offset:768
.LBB134_19:                             ;   in Loop: Header=BB134_11 Depth=1
	s_or_b64 exec, exec, s[26:27]
	s_waitcnt vmcnt(0)
	ds_write_b32 v41, v6
	ds_write_b32 v42, v14 offset:256
	ds_write_b32 v43, v7 offset:512
	;; [unrolled: 1-line block ×3, first 2 shown]
	; wave barrier
	ds_read2_b32 v[4:5], v45 offset1:1
	ds_read2_b32 v[6:7], v45 offset0:2 offset1:3
	v_lshl_add_u64 v[14:15], s[60:61], 0, v[2:3]
	s_waitcnt lgkmcnt(0)
	; wave barrier
	s_waitcnt lgkmcnt(0)
	s_and_saveexec_b64 s[26:27], s[18:19]
	s_cbranch_execz .LBB134_21
; %bb.20:                               ;   in Loop: Header=BB134_11 Depth=1
	global_load_dword v13, v[14:15], off
.LBB134_21:                             ;   in Loop: Header=BB134_11 Depth=1
	s_or_b64 exec, exec, s[26:27]
	v_mov_b32_e32 v16, 0
	v_mov_b32_e32 v17, 0
	s_and_saveexec_b64 s[26:27], s[20:21]
	s_cbranch_execnz .LBB134_79
; %bb.22:                               ;   in Loop: Header=BB134_11 Depth=1
	s_or_b64 exec, exec, s[26:27]
	s_and_saveexec_b64 s[26:27], s[22:23]
	s_cbranch_execnz .LBB134_80
.LBB134_23:                             ;   in Loop: Header=BB134_11 Depth=1
	s_or_b64 exec, exec, s[26:27]
	v_mov_b32_e32 v18, 0
	s_and_saveexec_b64 s[26:27], s[24:25]
	s_cbranch_execz .LBB134_25
.LBB134_24:                             ;   in Loop: Header=BB134_11 Depth=1
	global_load_dword v18, v[14:15], off offset:768
.LBB134_25:                             ;   in Loop: Header=BB134_11 Depth=1
	s_or_b64 exec, exec, s[26:27]
	s_waitcnt vmcnt(0)
	ds_write_b32 v41, v13
	ds_write_b32 v42, v17 offset:256
	ds_write_b32 v43, v16 offset:512
	;; [unrolled: 1-line block ×3, first 2 shown]
	; wave barrier
	ds_read2_b32 v[14:15], v45 offset1:1
	ds_read2_b32 v[16:17], v45 offset0:2 offset1:3
	s_waitcnt lgkmcnt(1)
	v_add_f32_e32 v56, s33, v14
	v_cmp_ge_f32_e32 vcc, s85, v56
	s_and_b64 s[26:27], s[62:63], vcc
	s_and_saveexec_b64 s[28:29], s[26:27]
	s_cbranch_execz .LBB134_27
; %bb.26:                               ;   in Loop: Header=BB134_11 Depth=1
	v_mul_f32_e32 v13, 0x3fb8aa3b, v56
	v_rndne_f32_e32 v14, v13
	v_sub_f32_e32 v18, v13, v14
	v_fma_f32 v13, v56, s86, -v13
	v_fmac_f32_e32 v13, 0x32a5705f, v56
	v_add_f32_e32 v13, v18, v13
	v_cvt_i32_f32_e32 v14, v14
	v_exp_f32_e32 v13, v13
	v_cmp_ngt_f32_e32 vcc, s87, v56
	v_ldexp_f32 v13, v13, v14
	s_nop 0
	v_cndmask_b32_e32 v13, 0, v13, vcc
	v_cmp_nlt_f32_e32 vcc, s97, v56
	s_nop 1
	v_cndmask_b32_e32 v32, v53, v13, vcc
	v_add_f32_e32 v13, 1.0, v32
	v_add_f32_e32 v14, -1.0, v13
	v_sub_f32_e32 v18, v14, v13
	v_add_f32_e32 v18, 1.0, v18
	v_sub_f32_e32 v14, v32, v14
	v_add_f32_e32 v14, v14, v18
	v_frexp_mant_f32_e32 v20, v13
	v_cvt_f64_f32_e32 v[18:19], v13
	v_frexp_exp_i32_f64_e32 v18, v[18:19]
	v_cmp_gt_f32_e32 vcc, s99, v20
	v_cmp_gt_f32_e64 s[26:27], s92, v32
	s_nop 0
	v_subbrev_co_u32_e32 v26, vcc, 0, v18, vcc
	v_sub_u32_e32 v18, 0, v26
	v_ldexp_f32 v13, v13, v18
	v_ldexp_f32 v14, v14, v18
	v_add_f32_e32 v18, -1.0, v13
	v_add_f32_e32 v19, 1.0, v18
	v_sub_f32_e32 v19, v13, v19
	v_add_f32_e32 v20, v14, v19
	v_add_f32_e32 v19, 1.0, v13
	v_add_f32_e32 v21, -1.0, v19
	v_sub_f32_e32 v13, v13, v21
	v_add_f32_e32 v13, v14, v13
	v_add_f32_e32 v14, v19, v13
	v_rcp_f32_e32 v27, v14
	v_sub_f32_e32 v19, v19, v14
	v_add_f32_e32 v13, v13, v19
	v_add_f32_e32 v19, v18, v20
	v_sub_f32_e32 v18, v18, v19
	v_mul_f32_e32 v29, v19, v27
	v_add_f32_e32 v28, v20, v18
	v_mul_f32_e32 v20, v14, v29
	v_fma_f32 v22, v29, v14, -v20
	v_fmac_f32_e32 v22, v29, v13
	v_add_f32_e32 v18, v20, v22
	v_sub_f32_e32 v21, v19, v18
	v_pk_add_f32 v[24:25], v[18:19], v[20:21] neg_lo:[0,1] neg_hi:[0,1]
	v_mov_b32_e32 v23, v18
	v_pk_add_f32 v[18:19], v[24:25], v[22:23] neg_lo:[0,1] neg_hi:[0,1]
	v_cmp_eq_f32_e32 vcc, s98, v32
	v_add_f32_e32 v19, v28, v19
	v_add_f32_e32 v18, v18, v19
	;; [unrolled: 1-line block ×3, first 2 shown]
	v_mul_f32_e32 v28, v27, v19
	v_mul_f32_e32 v20, v14, v28
	v_fma_f32 v22, v28, v14, -v20
	v_fmac_f32_e32 v22, v28, v13
	v_sub_f32_e32 v13, v21, v19
	v_add_f32_e32 v13, v18, v13
	v_add_f32_e32 v18, v20, v22
	v_sub_f32_e32 v21, v19, v18
	v_pk_add_f32 v[24:25], v[18:19], v[20:21] neg_lo:[0,1] neg_hi:[0,1]
	v_mov_b32_e32 v23, v18
	v_pk_add_f32 v[18:19], v[24:25], v[22:23] neg_lo:[0,1] neg_hi:[0,1]
	v_add_f32_e32 v14, v29, v28
	v_add_f32_e32 v13, v13, v19
	;; [unrolled: 1-line block ×4, first 2 shown]
	v_sub_f32_e32 v18, v14, v29
	v_mul_f32_e32 v13, v27, v13
	v_sub_f32_e32 v18, v28, v18
	v_add_f32_e32 v19, v18, v13
	v_add_f32_e32 v20, v14, v19
	v_cvt_f32_i32_e32 v18, v26
	v_mul_f32_e32 v22, v20, v20
	v_fmamk_f32 v13, v22, 0x3e9b6dac, v52
	v_sub_f32_e32 v14, v20, v14
	v_fmaak_f32 v13, v22, v13, 0x3f2aaada
	v_sub_f32_e32 v14, v19, v14
	v_mul_f32_e32 v19, v20, v22
	v_pk_mul_f32 v[22:23], v[18:19], v[12:13]
	v_ldexp_f32 v21, v20, 1
	v_fma_f32 v20, v18, s39, -v22
	v_fmac_f32_e32 v20, 0xb102e308, v18
	v_pk_add_f32 v[18:19], v[22:23], v[20:21]
	v_ldexp_f32 v14, v14, 1
	v_sub_f32_e32 v13, v19, v21
	v_sub_f32_e32 v13, v23, v13
	v_add_f32_e32 v25, v14, v13
	v_mov_b32_e32 v24, v22
	v_pk_add_f32 v[22:23], v[18:19], v[22:23] neg_lo:[0,1] neg_hi:[0,1]
	v_pk_add_f32 v[26:27], v[18:19], v[24:25]
	v_mov_b32_e32 v21, v18
	v_mov_b32_e32 v23, v27
	v_pk_add_f32 v[28:29], v[20:21], v[22:23] neg_lo:[0,1] neg_hi:[0,1]
	v_pk_add_f32 v[20:21], v[20:21], v[22:23]
	s_or_b64 vcc, s[26:27], vcc
	v_mov_b32_e32 v14, v21
	v_pk_add_f32 v[22:23], v[14:15], v[18:19] neg_lo:[0,1] neg_hi:[0,1]
	v_mov_b32_e32 v20, v27
	v_mov_b32_e32 v13, v22
	v_pk_add_f32 v[30:31], v[26:27], v[12:13] neg_lo:[0,1] neg_hi:[0,1]
	v_mov_b32_e32 v26, v19
	v_mov_b32_e32 v27, v22
	;; [unrolled: 1-line block ×3, first 2 shown]
	v_pk_add_f32 v[20:21], v[20:21], v[26:27] neg_lo:[0,1] neg_hi:[0,1]
	v_mov_b32_e32 v22, v25
	v_mov_b32_e32 v23, v18
	v_pk_add_f32 v[18:19], v[22:23], v[20:21] neg_lo:[0,1] neg_hi:[0,1]
	v_mov_b32_e32 v30, v28
	v_pk_add_f32 v[20:21], v[30:31], v[18:19]
	s_nop 0
	v_mov_b32_e32 v22, v21
	v_pk_add_f32 v[22:23], v[20:21], v[22:23]
	s_nop 0
	v_pk_add_f32 v[24:25], v[14:15], v[22:23]
	v_mov_b32_e32 v19, v22
	v_mov_b32_e32 v21, v24
	v_pk_add_f32 v[26:27], v[20:21], v[28:29] neg_lo:[0,1] neg_hi:[0,1]
	s_nop 0
	v_sub_f32_e32 v13, v20, v26
	v_pk_add_f32 v[18:19], v[18:19], v[26:27] neg_lo:[0,1] neg_hi:[0,1]
	v_sub_f32_e32 v13, v28, v13
	v_add_f32_e32 v13, v18, v13
	v_add_f32_e32 v13, v13, v19
	;; [unrolled: 1-line block ×3, first 2 shown]
	v_cndmask_b32_e32 v56, v13, v32, vcc
.LBB134_27:                             ;   in Loop: Header=BB134_11 Depth=1
	s_or_b64 exec, exec, s[28:29]
	v_add_f32_e32 v57, s33, v15
	v_cmp_ge_f32_e32 vcc, s85, v57
	s_and_b64 s[26:27], s[62:63], vcc
	s_and_saveexec_b64 s[28:29], s[26:27]
	s_cbranch_execz .LBB134_29
; %bb.28:                               ;   in Loop: Header=BB134_11 Depth=1
	v_mul_f32_e32 v13, 0x3fb8aa3b, v57
	v_rndne_f32_e32 v14, v13
	v_sub_f32_e32 v15, v13, v14
	v_fma_f32 v13, v57, s86, -v13
	v_fmac_f32_e32 v13, 0x32a5705f, v57
	v_add_f32_e32 v13, v15, v13
	v_cvt_i32_f32_e32 v14, v14
	v_exp_f32_e32 v13, v13
	v_cmp_ngt_f32_e32 vcc, s87, v57
	v_ldexp_f32 v13, v13, v14
	s_nop 0
	v_cndmask_b32_e32 v13, 0, v13, vcc
	v_cmp_nlt_f32_e32 vcc, s97, v57
	s_nop 1
	v_cndmask_b32_e32 v32, v53, v13, vcc
	v_add_f32_e32 v13, 1.0, v32
	v_add_f32_e32 v14, -1.0, v13
	v_sub_f32_e32 v15, v14, v13
	v_add_f32_e32 v15, 1.0, v15
	v_sub_f32_e32 v14, v32, v14
	v_add_f32_e32 v18, v14, v15
	v_frexp_mant_f32_e32 v19, v13
	v_cvt_f64_f32_e32 v[14:15], v13
	v_frexp_exp_i32_f64_e32 v14, v[14:15]
	v_cmp_gt_f32_e32 vcc, s99, v19
	v_cmp_gt_f32_e64 s[26:27], s92, v32
	s_nop 0
	v_subbrev_co_u32_e32 v24, vcc, 0, v14, vcc
	v_sub_u32_e32 v14, 0, v24
	v_ldexp_f32 v13, v13, v14
	v_ldexp_f32 v14, v18, v14
	v_add_f32_e32 v18, -1.0, v13
	v_add_f32_e32 v15, 1.0, v18
	v_sub_f32_e32 v15, v13, v15
	v_add_f32_e32 v19, v14, v15
	v_add_f32_e32 v15, 1.0, v13
	v_add_f32_e32 v20, -1.0, v15
	v_sub_f32_e32 v13, v13, v20
	v_add_f32_e32 v13, v14, v13
	v_add_f32_e32 v25, v15, v13
	v_rcp_f32_e32 v26, v25
	v_sub_f32_e32 v14, v15, v25
	v_add_f32_e32 v15, v18, v19
	v_add_f32_e32 v13, v13, v14
	v_mul_f32_e32 v28, v15, v26
	v_sub_f32_e32 v14, v18, v15
	v_mul_f32_e32 v18, v25, v28
	v_fma_f32 v20, v28, v25, -v18
	v_fmac_f32_e32 v20, v28, v13
	v_add_f32_e32 v27, v19, v14
	v_add_f32_e32 v14, v18, v20
	v_sub_f32_e32 v19, v15, v14
	v_pk_add_f32 v[22:23], v[14:15], v[18:19] neg_lo:[0,1] neg_hi:[0,1]
	v_mov_b32_e32 v21, v14
	v_pk_add_f32 v[14:15], v[22:23], v[20:21] neg_lo:[0,1] neg_hi:[0,1]
	v_cmp_eq_f32_e32 vcc, s98, v32
	v_add_f32_e32 v15, v27, v15
	v_add_f32_e32 v14, v14, v15
	;; [unrolled: 1-line block ×3, first 2 shown]
	v_mul_f32_e32 v27, v26, v15
	v_mul_f32_e32 v18, v25, v27
	v_fma_f32 v20, v27, v25, -v18
	v_fmac_f32_e32 v20, v27, v13
	v_sub_f32_e32 v13, v19, v15
	v_add_f32_e32 v13, v14, v13
	v_add_f32_e32 v14, v18, v20
	v_sub_f32_e32 v19, v15, v14
	v_pk_add_f32 v[22:23], v[14:15], v[18:19] neg_lo:[0,1] neg_hi:[0,1]
	v_mov_b32_e32 v21, v14
	v_pk_add_f32 v[14:15], v[22:23], v[20:21] neg_lo:[0,1] neg_hi:[0,1]
	s_or_b64 vcc, s[26:27], vcc
	v_add_f32_e32 v13, v13, v15
	v_add_f32_e32 v13, v14, v13
	;; [unrolled: 1-line block ×4, first 2 shown]
	v_sub_f32_e32 v14, v15, v28
	v_mul_f32_e32 v13, v26, v13
	v_sub_f32_e32 v14, v27, v14
	v_add_f32_e32 v18, v14, v13
	v_add_f32_e32 v20, v15, v18
	v_cvt_f32_i32_e32 v14, v24
	v_mul_f32_e32 v21, v20, v20
	v_sub_f32_e32 v15, v20, v15
	v_fmamk_f32 v13, v21, 0x3e9b6dac, v52
	v_sub_f32_e32 v15, v18, v15
	v_fmaak_f32 v13, v21, v13, 0x3f2aaada
	v_ldexp_f32 v22, v15, 1
	v_mul_f32_e32 v15, v20, v21
	v_ldexp_f32 v19, v20, 1
	v_pk_mul_f32 v[20:21], v[14:15], v[12:13]
	s_nop 0
	v_fma_f32 v18, v14, s39, -v20
	v_fmac_f32_e32 v18, 0xb102e308, v14
	v_pk_add_f32 v[14:15], v[20:21], v[18:19]
	s_nop 0
	v_sub_f32_e32 v13, v15, v19
	v_sub_f32_e32 v13, v21, v13
	v_add_f32_e32 v23, v22, v13
	v_mov_b32_e32 v22, v20
	v_pk_add_f32 v[20:21], v[14:15], v[20:21] neg_lo:[0,1] neg_hi:[0,1]
	v_pk_add_f32 v[24:25], v[14:15], v[22:23]
	v_mov_b32_e32 v19, v14
	v_mov_b32_e32 v21, v25
	v_pk_add_f32 v[26:27], v[18:19], v[20:21] neg_lo:[0,1] neg_hi:[0,1]
	v_pk_add_f32 v[18:19], v[18:19], v[20:21]
	v_mov_b32_e32 v22, v23
	v_mov_b32_e32 v20, v19
	v_pk_add_f32 v[28:29], v[20:21], v[14:15] neg_lo:[0,1] neg_hi:[0,1]
	v_mov_b32_e32 v18, v25
	v_mov_b32_e32 v13, v28
	v_pk_add_f32 v[30:31], v[24:25], v[12:13] neg_lo:[0,1] neg_hi:[0,1]
	v_mov_b32_e32 v24, v15
	v_mov_b32_e32 v25, v28
	;; [unrolled: 1-line block ×3, first 2 shown]
	v_pk_add_f32 v[18:19], v[18:19], v[24:25] neg_lo:[0,1] neg_hi:[0,1]
	v_mov_b32_e32 v23, v14
	v_pk_add_f32 v[14:15], v[22:23], v[18:19] neg_lo:[0,1] neg_hi:[0,1]
	v_mov_b32_e32 v30, v26
	v_pk_add_f32 v[18:19], v[30:31], v[14:15]
	s_nop 0
	v_mov_b32_e32 v22, v19
	v_pk_add_f32 v[22:23], v[18:19], v[22:23]
	s_nop 0
	v_pk_add_f32 v[20:21], v[20:21], v[22:23]
	v_mov_b32_e32 v15, v22
	v_mov_b32_e32 v19, v20
	v_pk_add_f32 v[24:25], v[18:19], v[26:27] neg_lo:[0,1] neg_hi:[0,1]
	s_nop 0
	v_sub_f32_e32 v13, v18, v24
	v_pk_add_f32 v[14:15], v[14:15], v[24:25] neg_lo:[0,1] neg_hi:[0,1]
	v_sub_f32_e32 v13, v26, v13
	v_add_f32_e32 v13, v14, v13
	v_add_f32_e32 v13, v13, v15
	;; [unrolled: 1-line block ×3, first 2 shown]
	v_cndmask_b32_e32 v57, v13, v32, vcc
.LBB134_29:                             ;   in Loop: Header=BB134_11 Depth=1
	s_or_b64 exec, exec, s[28:29]
	s_waitcnt lgkmcnt(0)
	v_add_f32_e32 v15, s33, v16
	v_cmp_ge_f32_e32 vcc, s85, v15
	s_and_b64 s[26:27], s[62:63], vcc
	s_and_saveexec_b64 s[28:29], s[26:27]
	s_cbranch_execz .LBB134_31
; %bb.30:                               ;   in Loop: Header=BB134_11 Depth=1
	v_mul_f32_e32 v13, 0x3fb8aa3b, v15
	v_rndne_f32_e32 v14, v13
	v_sub_f32_e32 v16, v13, v14
	v_fma_f32 v13, v15, s86, -v13
	v_fmac_f32_e32 v13, 0x32a5705f, v15
	v_add_f32_e32 v13, v16, v13
	v_cvt_i32_f32_e32 v14, v14
	v_exp_f32_e32 v13, v13
	v_cmp_ngt_f32_e32 vcc, s87, v15
	v_ldexp_f32 v13, v13, v14
	s_nop 0
	v_cndmask_b32_e32 v13, 0, v13, vcc
	v_cmp_nlt_f32_e32 vcc, s97, v15
	s_nop 1
	v_cndmask_b32_e32 v30, v53, v13, vcc
	v_add_f32_e32 v13, 1.0, v30
	v_add_f32_e32 v14, -1.0, v13
	v_sub_f32_e32 v15, v14, v13
	v_add_f32_e32 v15, 1.0, v15
	v_sub_f32_e32 v14, v30, v14
	v_add_f32_e32 v16, v14, v15
	v_frexp_mant_f32_e32 v18, v13
	v_cvt_f64_f32_e32 v[14:15], v13
	v_frexp_exp_i32_f64_e32 v14, v[14:15]
	v_cmp_gt_f32_e32 vcc, s99, v18
	v_cmp_gt_f32_e64 s[26:27], s92, v30
	s_nop 0
	v_subbrev_co_u32_e32 v24, vcc, 0, v14, vcc
	v_sub_u32_e32 v14, 0, v24
	v_ldexp_f32 v13, v13, v14
	v_ldexp_f32 v14, v16, v14
	v_add_f32_e32 v16, -1.0, v13
	v_add_f32_e32 v15, 1.0, v16
	v_sub_f32_e32 v15, v13, v15
	v_add_f32_e32 v18, v14, v15
	v_add_f32_e32 v15, 1.0, v13
	v_add_f32_e32 v19, -1.0, v15
	v_sub_f32_e32 v13, v13, v19
	v_add_f32_e32 v13, v14, v13
	v_add_f32_e32 v25, v15, v13
	v_rcp_f32_e32 v26, v25
	v_sub_f32_e32 v14, v15, v25
	v_add_f32_e32 v15, v16, v18
	v_add_f32_e32 v13, v13, v14
	v_sub_f32_e32 v14, v16, v15
	v_mul_f32_e32 v27, v15, v26
	v_add_f32_e32 v16, v18, v14
	v_mul_f32_e32 v18, v25, v27
	v_fma_f32 v20, v27, v25, -v18
	v_fmac_f32_e32 v20, v27, v13
	v_add_f32_e32 v14, v18, v20
	v_sub_f32_e32 v19, v15, v14
	v_pk_add_f32 v[22:23], v[14:15], v[18:19] neg_lo:[0,1] neg_hi:[0,1]
	v_mov_b32_e32 v21, v14
	v_pk_add_f32 v[14:15], v[22:23], v[20:21] neg_lo:[0,1] neg_hi:[0,1]
	v_cmp_eq_f32_e32 vcc, s98, v30
	v_add_f32_e32 v15, v16, v15
	v_add_f32_e32 v14, v14, v15
	;; [unrolled: 1-line block ×3, first 2 shown]
	v_mul_f32_e32 v16, v26, v15
	v_mul_f32_e32 v18, v25, v16
	v_fma_f32 v20, v16, v25, -v18
	v_fmac_f32_e32 v20, v16, v13
	v_sub_f32_e32 v13, v19, v15
	v_add_f32_e32 v13, v14, v13
	v_add_f32_e32 v14, v18, v20
	v_sub_f32_e32 v19, v15, v14
	v_pk_add_f32 v[22:23], v[14:15], v[18:19] neg_lo:[0,1] neg_hi:[0,1]
	v_mov_b32_e32 v21, v14
	v_pk_add_f32 v[14:15], v[22:23], v[20:21] neg_lo:[0,1] neg_hi:[0,1]
	s_or_b64 vcc, s[26:27], vcc
	v_add_f32_e32 v13, v13, v15
	v_add_f32_e32 v13, v14, v13
	v_add_f32_e32 v15, v27, v16
	v_add_f32_e32 v13, v19, v13
	v_sub_f32_e32 v14, v15, v27
	v_mul_f32_e32 v13, v26, v13
	v_sub_f32_e32 v14, v16, v14
	v_add_f32_e32 v16, v14, v13
	v_add_f32_e32 v18, v15, v16
	v_cvt_f32_i32_e32 v14, v24
	v_mul_f32_e32 v20, v18, v18
	v_sub_f32_e32 v15, v18, v15
	v_fmamk_f32 v13, v20, 0x3e9b6dac, v52
	v_sub_f32_e32 v15, v16, v15
	v_fmaak_f32 v13, v20, v13, 0x3f2aaada
	v_ldexp_f32 v16, v15, 1
	v_mul_f32_e32 v15, v18, v20
	v_pk_mul_f32 v[20:21], v[14:15], v[12:13]
	v_ldexp_f32 v19, v18, 1
	v_fma_f32 v18, v14, s39, -v20
	v_fmac_f32_e32 v18, 0xb102e308, v14
	v_pk_add_f32 v[14:15], v[20:21], v[18:19]
	v_mov_b32_e32 v22, v20
	v_sub_f32_e32 v13, v15, v19
	v_sub_f32_e32 v13, v21, v13
	v_add_f32_e32 v23, v16, v13
	v_pk_add_f32 v[20:21], v[14:15], v[20:21] neg_lo:[0,1] neg_hi:[0,1]
	v_pk_add_f32 v[24:25], v[14:15], v[22:23]
	v_mov_b32_e32 v19, v14
	v_mov_b32_e32 v21, v25
	v_pk_add_f32 v[26:27], v[18:19], v[20:21] neg_lo:[0,1] neg_hi:[0,1]
	v_pk_add_f32 v[18:19], v[18:19], v[20:21]
	s_nop 0
	v_mov_b32_e32 v16, v19
	v_pk_add_f32 v[20:21], v[16:17], v[14:15] neg_lo:[0,1] neg_hi:[0,1]
	v_mov_b32_e32 v18, v25
	v_mov_b32_e32 v13, v20
	v_pk_add_f32 v[28:29], v[24:25], v[12:13] neg_lo:[0,1] neg_hi:[0,1]
	v_mov_b32_e32 v24, v15
	v_mov_b32_e32 v25, v20
	v_mov_b32_e32 v27, v19
	v_pk_add_f32 v[18:19], v[18:19], v[24:25] neg_lo:[0,1] neg_hi:[0,1]
	v_mov_b32_e32 v20, v23
	v_mov_b32_e32 v21, v14
	v_pk_add_f32 v[14:15], v[20:21], v[18:19] neg_lo:[0,1] neg_hi:[0,1]
	v_mov_b32_e32 v28, v26
	v_pk_add_f32 v[18:19], v[28:29], v[14:15]
	s_nop 0
	v_mov_b32_e32 v20, v19
	v_pk_add_f32 v[20:21], v[18:19], v[20:21]
	s_nop 0
	v_pk_add_f32 v[22:23], v[16:17], v[20:21]
	v_mov_b32_e32 v15, v20
	v_mov_b32_e32 v19, v22
	v_pk_add_f32 v[24:25], v[18:19], v[26:27] neg_lo:[0,1] neg_hi:[0,1]
	s_nop 0
	v_sub_f32_e32 v13, v18, v24
	v_pk_add_f32 v[14:15], v[14:15], v[24:25] neg_lo:[0,1] neg_hi:[0,1]
	v_sub_f32_e32 v13, v26, v13
	v_add_f32_e32 v13, v14, v13
	v_add_f32_e32 v13, v13, v15
	;; [unrolled: 1-line block ×3, first 2 shown]
	v_cndmask_b32_e32 v15, v13, v30, vcc
.LBB134_31:                             ;   in Loop: Header=BB134_11 Depth=1
	s_or_b64 exec, exec, s[28:29]
	v_add_f32_e32 v14, s33, v17
	v_cmp_ge_f32_e32 vcc, s85, v14
	s_and_b64 s[26:27], s[62:63], vcc
	s_and_saveexec_b64 s[28:29], s[26:27]
	s_cbranch_execz .LBB134_33
; %bb.32:                               ;   in Loop: Header=BB134_11 Depth=1
	v_mul_f32_e32 v13, 0x3fb8aa3b, v14
	v_rndne_f32_e32 v16, v13
	v_sub_f32_e32 v17, v13, v16
	v_fma_f32 v13, v14, s86, -v13
	v_fmac_f32_e32 v13, 0x32a5705f, v14
	v_add_f32_e32 v13, v17, v13
	v_cvt_i32_f32_e32 v16, v16
	v_exp_f32_e32 v13, v13
	v_cmp_ngt_f32_e32 vcc, s87, v14
	v_ldexp_f32 v13, v13, v16
	s_nop 0
	v_cndmask_b32_e32 v13, 0, v13, vcc
	v_cmp_nlt_f32_e32 vcc, s97, v14
	s_nop 1
	v_cndmask_b32_e32 v30, v53, v13, vcc
	v_add_f32_e32 v13, 1.0, v30
	v_add_f32_e32 v14, -1.0, v13
	v_sub_f32_e32 v16, v14, v13
	v_add_f32_e32 v16, 1.0, v16
	v_sub_f32_e32 v14, v30, v14
	v_add_f32_e32 v14, v14, v16
	v_frexp_mant_f32_e32 v18, v13
	v_cvt_f64_f32_e32 v[16:17], v13
	v_frexp_exp_i32_f64_e32 v16, v[16:17]
	v_cmp_gt_f32_e32 vcc, s99, v18
	v_cmp_gt_f32_e64 s[26:27], s92, v30
	s_nop 0
	v_subbrev_co_u32_e32 v24, vcc, 0, v16, vcc
	v_sub_u32_e32 v16, 0, v24
	v_ldexp_f32 v13, v13, v16
	v_ldexp_f32 v14, v14, v16
	v_add_f32_e32 v16, -1.0, v13
	v_add_f32_e32 v17, 1.0, v16
	v_sub_f32_e32 v17, v13, v17
	v_add_f32_e32 v18, v14, v17
	v_add_f32_e32 v17, 1.0, v13
	v_add_f32_e32 v19, -1.0, v17
	v_sub_f32_e32 v13, v13, v19
	v_add_f32_e32 v13, v14, v13
	v_add_f32_e32 v14, v17, v13
	v_rcp_f32_e32 v25, v14
	v_sub_f32_e32 v17, v17, v14
	v_add_f32_e32 v13, v13, v17
	v_add_f32_e32 v17, v16, v18
	v_sub_f32_e32 v16, v16, v17
	v_mul_f32_e32 v27, v17, v25
	v_add_f32_e32 v26, v18, v16
	v_mul_f32_e32 v18, v14, v27
	v_fma_f32 v20, v27, v14, -v18
	v_fmac_f32_e32 v20, v27, v13
	v_add_f32_e32 v16, v18, v20
	v_sub_f32_e32 v19, v17, v16
	v_pk_add_f32 v[22:23], v[16:17], v[18:19] neg_lo:[0,1] neg_hi:[0,1]
	v_mov_b32_e32 v21, v16
	v_pk_add_f32 v[16:17], v[22:23], v[20:21] neg_lo:[0,1] neg_hi:[0,1]
	v_cmp_eq_f32_e32 vcc, s98, v30
	v_add_f32_e32 v17, v26, v17
	v_add_f32_e32 v16, v16, v17
	;; [unrolled: 1-line block ×3, first 2 shown]
	v_mul_f32_e32 v26, v25, v17
	v_mul_f32_e32 v18, v14, v26
	v_fma_f32 v20, v26, v14, -v18
	v_fmac_f32_e32 v20, v26, v13
	v_sub_f32_e32 v13, v19, v17
	v_add_f32_e32 v13, v16, v13
	v_add_f32_e32 v16, v18, v20
	v_sub_f32_e32 v19, v17, v16
	v_pk_add_f32 v[22:23], v[16:17], v[18:19] neg_lo:[0,1] neg_hi:[0,1]
	v_mov_b32_e32 v21, v16
	v_pk_add_f32 v[16:17], v[22:23], v[20:21] neg_lo:[0,1] neg_hi:[0,1]
	v_add_f32_e32 v14, v27, v26
	v_add_f32_e32 v13, v13, v17
	;; [unrolled: 1-line block ×4, first 2 shown]
	v_sub_f32_e32 v16, v14, v27
	v_mul_f32_e32 v13, v25, v13
	v_sub_f32_e32 v16, v26, v16
	v_add_f32_e32 v17, v16, v13
	v_add_f32_e32 v18, v14, v17
	v_cvt_f32_i32_e32 v16, v24
	v_mul_f32_e32 v20, v18, v18
	v_fmamk_f32 v13, v20, 0x3e9b6dac, v52
	v_sub_f32_e32 v14, v18, v14
	v_fmaak_f32 v13, v20, v13, 0x3f2aaada
	v_sub_f32_e32 v14, v17, v14
	v_mul_f32_e32 v17, v18, v20
	v_pk_mul_f32 v[20:21], v[16:17], v[12:13]
	v_ldexp_f32 v19, v18, 1
	v_fma_f32 v18, v16, s39, -v20
	v_fmac_f32_e32 v18, 0xb102e308, v16
	v_pk_add_f32 v[16:17], v[20:21], v[18:19]
	v_ldexp_f32 v14, v14, 1
	v_sub_f32_e32 v13, v17, v19
	v_sub_f32_e32 v13, v21, v13
	v_add_f32_e32 v23, v14, v13
	v_mov_b32_e32 v22, v20
	v_pk_add_f32 v[20:21], v[16:17], v[20:21] neg_lo:[0,1] neg_hi:[0,1]
	v_pk_add_f32 v[24:25], v[16:17], v[22:23]
	v_mov_b32_e32 v19, v16
	v_mov_b32_e32 v21, v25
	v_pk_add_f32 v[26:27], v[18:19], v[20:21] neg_lo:[0,1] neg_hi:[0,1]
	v_pk_add_f32 v[18:19], v[18:19], v[20:21]
	s_or_b64 vcc, s[26:27], vcc
	v_mov_b32_e32 v14, v19
	v_pk_add_f32 v[20:21], v[14:15], v[16:17] neg_lo:[0,1] neg_hi:[0,1]
	v_mov_b32_e32 v18, v25
	v_mov_b32_e32 v13, v20
	v_pk_add_f32 v[28:29], v[24:25], v[12:13] neg_lo:[0,1] neg_hi:[0,1]
	v_mov_b32_e32 v24, v17
	v_mov_b32_e32 v25, v20
	v_mov_b32_e32 v27, v19
	v_pk_add_f32 v[18:19], v[18:19], v[24:25] neg_lo:[0,1] neg_hi:[0,1]
	v_mov_b32_e32 v20, v23
	v_mov_b32_e32 v21, v16
	v_pk_add_f32 v[16:17], v[20:21], v[18:19] neg_lo:[0,1] neg_hi:[0,1]
	v_mov_b32_e32 v28, v26
	v_pk_add_f32 v[18:19], v[28:29], v[16:17]
	s_nop 0
	v_mov_b32_e32 v20, v19
	v_pk_add_f32 v[20:21], v[18:19], v[20:21]
	s_nop 0
	v_pk_add_f32 v[22:23], v[14:15], v[20:21]
	v_mov_b32_e32 v17, v20
	v_mov_b32_e32 v19, v22
	v_pk_add_f32 v[24:25], v[18:19], v[26:27] neg_lo:[0,1] neg_hi:[0,1]
	s_nop 0
	v_sub_f32_e32 v13, v18, v24
	v_pk_add_f32 v[16:17], v[16:17], v[24:25] neg_lo:[0,1] neg_hi:[0,1]
	v_sub_f32_e32 v13, v26, v13
	v_add_f32_e32 v13, v16, v13
	v_add_f32_e32 v13, v13, v17
	;; [unrolled: 1-line block ×3, first 2 shown]
	v_cndmask_b32_e32 v14, v13, v30, vcc
.LBB134_33:                             ;   in Loop: Header=BB134_11 Depth=1
	s_or_b64 exec, exec, s[28:29]
	v_mul_f32_e32 v16, s80, v6
	v_mul_f32_e32 v19, s80, v5
	;; [unrolled: 1-line block ×4, first 2 shown]
	s_and_b64 vcc, exec, s[64:65]
	s_waitcnt lgkmcnt(0)
	; wave barrier
	s_cbranch_vccz .LBB134_75
; %bb.34:                               ;   in Loop: Header=BB134_11 Depth=1
	s_cmp_lg_u32 s95, 0
	s_cselect_b64 s[70:71], -1, 0
	s_cmp_eq_u32 s95, s84
	v_cmp_gt_u32_e32 vcc, s34, v11
	s_cselect_b64 s[72:73], -1, 0
	s_or_b64 s[26:27], s[66:67], vcc
	v_cmp_gt_u32_e32 vcc, s34, v10
	v_cmp_gt_u32_e64 s[28:29], s34, v9
	s_or_b64 s[30:31], s[66:67], vcc
	v_cmp_gt_u32_e32 vcc, s34, v51
	v_mul_f32_e32 v13, v7, v14
	v_lshl_add_u64 v[20:21], s[42:43], 0, v[2:3]
	v_lshl_add_u64 v[22:23], s[46:47], 0, v[2:3]
	v_mul_f32_e32 v58, v6, v15
	v_mul_f32_e32 v59, v5, v57
	;; [unrolled: 1-line block ×3, first 2 shown]
	s_or_b64 s[28:29], s[66:67], s[28:29]
	s_or_b64 s[34:35], s[66:67], vcc
	s_mov_b32 s58, s52
	s_mov_b32 s74, 0
	;; [unrolled: 1-line block ×4, first 2 shown]
	v_readlane_b32 s69, v66, 0
	s_mov_b32 s96, s93
	s_branch .LBB134_36
.LBB134_35:                             ;   in Loop: Header=BB134_36 Depth=2
	s_or_b64 exec, exec, s[36:37]
	v_mul_f32_e32 v24, v31, v30
	v_fma_f32 v25, v31, v33, v28
	v_cndmask_b32_e64 v28, v25, v28, s[16:17]
	v_cndmask_b32_e64 v24, v24, v31, s[16:17]
	s_waitcnt lgkmcnt(0)
	v_fmac_f32_e32 v28, v36, v24
	v_fmac_f32_e32 v29, v28, v27
	;; [unrolled: 1-line block ×4, first 2 shown]
	v_mov_b32_e32 v27, v32
	s_add_i32 s96, s96, 8
	s_add_i32 s69, s69, -1
	s_add_i32 s78, s78, s38
	s_add_i32 s76, s76, s48
	;; [unrolled: 1-line block ×4, first 2 shown]
	v_pk_fma_f32 v[18:19], v[6:7], v[28:29], v[18:19]
	s_cmp_eq_u32 s69, 0
	v_pk_fma_f32 v[16:17], v[4:5], v[26:27], v[16:17]
	s_cbranch_scc1 .LBB134_75
.LBB134_36:                             ;   Parent Loop BB134_11 Depth=1
                                        ; =>  This Inner Loop Header: Depth=2
	s_lshl_b64 s[36:37], s[58:59], 2
	s_add_u32 s36, s40, s36
	s_addc_u32 s37, s82, s37
	global_load_dword v28, v3, s[36:37]
	s_mov_b32 s53, s52
	s_mov_b32 s75, s59
	;; [unrolled: 1-line block ×4, first 2 shown]
	v_mov_b64_e32 v[4:5], s[52:53]
	v_lshl_add_u64 v[24:25], s[74:75], 2, v[20:21]
	v_mov_b64_e32 v[6:7], s[54:55]
	v_mov_b32_e32 v26, 0
	s_and_saveexec_b64 s[36:37], s[18:19]
	s_cbranch_execnz .LBB134_48
; %bb.37:                               ;   in Loop: Header=BB134_36 Depth=2
	s_or_b64 exec, exec, s[36:37]
	s_and_saveexec_b64 s[36:37], s[20:21]
	s_cbranch_execnz .LBB134_49
.LBB134_38:                             ;   in Loop: Header=BB134_36 Depth=2
	s_or_b64 exec, exec, s[36:37]
	s_and_saveexec_b64 s[36:37], s[22:23]
	s_cbranch_execnz .LBB134_50
.LBB134_39:                             ;   in Loop: Header=BB134_36 Depth=2
	s_or_b64 exec, exec, s[36:37]
	s_and_saveexec_b64 s[36:37], s[24:25]
	s_cbranch_execz .LBB134_41
.LBB134_40:                             ;   in Loop: Header=BB134_36 Depth=2
	global_load_dword v7, v[24:25], off offset:768
.LBB134_41:                             ;   in Loop: Header=BB134_36 Depth=2
	s_or_b64 exec, exec, s[36:37]
	s_waitcnt vmcnt(0)
	ds_write_b32 v41, v26
	ds_write_b32 v42, v5 offset:256
	ds_write_b32 v43, v6 offset:512
	;; [unrolled: 1-line block ×3, first 2 shown]
	; wave barrier
	ds_read2_b32 v[26:27], v45 offset1:1
	ds_read2_b32 v[32:33], v45 offset0:2 offset1:3
	s_mov_b32 s88, s59
	s_mov_b32 s89, s59
	s_mov_b32 s77, s59
	s_mov_b32 s90, s59
	s_mov_b32 s91, s59
	v_mov_b64_e32 v[4:5], s[88:89]
	v_lshl_add_u64 v[24:25], s[76:77], 2, v[22:23]
	v_mov_b64_e32 v[6:7], s[90:91]
	v_mov_b32_e32 v29, 0
	s_and_saveexec_b64 s[36:37], s[18:19]
	s_cbranch_execnz .LBB134_51
; %bb.42:                               ;   in Loop: Header=BB134_36 Depth=2
	s_or_b64 exec, exec, s[36:37]
	s_and_saveexec_b64 s[36:37], s[20:21]
	s_cbranch_execnz .LBB134_52
.LBB134_43:                             ;   in Loop: Header=BB134_36 Depth=2
	s_or_b64 exec, exec, s[36:37]
	s_and_saveexec_b64 s[36:37], s[22:23]
	s_cbranch_execnz .LBB134_53
.LBB134_44:                             ;   in Loop: Header=BB134_36 Depth=2
	s_or_b64 exec, exec, s[36:37]
	s_and_saveexec_b64 s[36:37], s[24:25]
	s_cbranch_execz .LBB134_46
.LBB134_45:                             ;   in Loop: Header=BB134_36 Depth=2
	global_load_dword v7, v[24:25], off offset:768
.LBB134_46:                             ;   in Loop: Header=BB134_36 Depth=2
	s_or_b64 exec, exec, s[36:37]
	v_add_u32_e32 v4, 0x420, v45
	s_waitcnt vmcnt(0)
	ds_write_b32 v41, v29 offset:1056
	ds_write_b32 v46, v5 offset:256
	;; [unrolled: 1-line block ×4, first 2 shown]
	; wave barrier
	ds_read2_b32 v[6:7], v4 offset1:1
	ds_read2_b32 v[4:5], v49 offset0:2 offset1:3
	s_andn2_b64 vcc, exec, s[70:71]
	s_cbranch_vccnz .LBB134_54
; %bb.47:                               ;   in Loop: Header=BB134_36 Depth=2
	v_mov_b32_e32 v24, s96
	ds_read_b64 v[24:25], v24
	s_cbranch_execz .LBB134_55
	s_branch .LBB134_58
.LBB134_48:                             ;   in Loop: Header=BB134_36 Depth=2
	global_load_dword v26, v[24:25], off
	v_mov_b32_e32 v4, v3
	v_mov_b32_e32 v5, v3
	v_mov_b64_e32 v[6:7], v[4:5]
	v_mov_b64_e32 v[4:5], v[2:3]
	s_or_b64 exec, exec, s[36:37]
	s_and_saveexec_b64 s[36:37], s[20:21]
	s_cbranch_execz .LBB134_38
.LBB134_49:                             ;   in Loop: Header=BB134_36 Depth=2
	global_load_dword v5, v[24:25], off offset:256
	s_or_b64 exec, exec, s[36:37]
	s_and_saveexec_b64 s[36:37], s[22:23]
	s_cbranch_execz .LBB134_39
.LBB134_50:                             ;   in Loop: Header=BB134_36 Depth=2
	global_load_dword v6, v[24:25], off offset:512
	s_or_b64 exec, exec, s[36:37]
	s_and_saveexec_b64 s[36:37], s[24:25]
	s_cbranch_execnz .LBB134_40
	s_branch .LBB134_41
.LBB134_51:                             ;   in Loop: Header=BB134_36 Depth=2
	global_load_dword v29, v[24:25], off
	v_mov_b32_e32 v4, v3
	v_mov_b32_e32 v5, v3
	v_mov_b64_e32 v[6:7], v[4:5]
	v_mov_b64_e32 v[4:5], v[2:3]
	s_or_b64 exec, exec, s[36:37]
	s_and_saveexec_b64 s[36:37], s[20:21]
	s_cbranch_execz .LBB134_43
.LBB134_52:                             ;   in Loop: Header=BB134_36 Depth=2
	global_load_dword v5, v[24:25], off offset:256
	s_or_b64 exec, exec, s[36:37]
	s_and_saveexec_b64 s[36:37], s[22:23]
	s_cbranch_execz .LBB134_44
.LBB134_53:                             ;   in Loop: Header=BB134_36 Depth=2
	global_load_dword v6, v[24:25], off offset:512
	s_or_b64 exec, exec, s[36:37]
	s_and_saveexec_b64 s[36:37], s[24:25]
	s_cbranch_execnz .LBB134_45
	s_branch .LBB134_46
.LBB134_54:                             ;   in Loop: Header=BB134_36 Depth=2
                                        ; implicit-def: $vgpr25
.LBB134_55:                             ;   in Loop: Header=BB134_36 Depth=2
	s_andn2_b64 vcc, exec, s[56:57]
	s_waitcnt lgkmcnt(0)
	v_mov_b32_e32 v25, 0
	s_cbranch_vccnz .LBB134_57
; %bb.56:                               ;   in Loop: Header=BB134_36 Depth=2
	s_mov_b32 s79, s59
	s_lshl_b64 s[36:37], s[78:79], 2
	s_add_u32 s36, s45, s36
	s_addc_u32 s37, s49, s37
	global_load_dword v25, v3, s[36:37]
.LBB134_57:                             ;   in Loop: Header=BB134_36 Depth=2
	v_mov_b32_e32 v24, 1.0
.LBB134_58:                             ;   in Loop: Header=BB134_36 Depth=2
	v_mul_f32_e32 v30, 0x3fb8aa3b, v28
	v_mul_f32_e32 v28, v30, v56
	v_cmp_gt_f32_e32 vcc, s94, v28
	s_waitcnt lgkmcnt(7)
	v_mul_f32_e32 v26, v26, v60
	v_mul_f32_e32 v27, v27, v59
	v_cndmask_b32_e32 v28, 0, v54, vcc
	v_fmac_f32_e32 v28, v30, v56
	v_exp_f32_e32 v28, v28
	v_cndmask_b32_e32 v29, 1.0, v55, vcc
	v_mul_f32_e32 v29, v28, v29
	v_mul_f32_e32 v28, v30, v57
	v_cmp_gt_f32_e32 vcc, s94, v28
	v_cndmask_b32_e64 v31, 1.0, v29, s[26:27]
	v_cndmask_b32_e64 v29, 0, v27, s[28:29]
	v_cndmask_b32_e32 v28, 0, v54, vcc
	v_fmac_f32_e32 v28, v30, v57
	v_exp_f32_e32 v34, v28
	v_cndmask_b32_e64 v28, 0, v26, s[26:27]
	v_cndmask_b32_e32 v26, 1.0, v55, vcc
	v_mul_f32_e32 v26, v34, v26
	v_pk_mul_f32 v[34:35], v[30:31], v[14:15] op_sel_hi:[0,1]
	s_waitcnt lgkmcnt(6)
	v_mul_f32_e32 v30, v32, v58
	v_cmp_gt_f32_e32 vcc, s94, v34
	v_cndmask_b32_e64 v27, 1.0, v26, s[28:29]
	v_cndmask_b32_e64 v26, 0, v30, s[30:31]
	v_cndmask_b32_e32 v30, 0, v54, vcc
	v_cmp_gt_f32_e64 s[36:37], s94, v35
	v_add_f32_e32 v30, v34, v30
	v_exp_f32_e32 v30, v30
	v_cndmask_b32_e64 v32, 0, v54, s[36:37]
	v_add_f32_e32 v32, v35, v32
	v_exp_f32_e32 v32, v32
	v_cndmask_b32_e32 v34, 1.0, v55, vcc
	v_mul_f32_e32 v30, v30, v34
	v_cndmask_b32_e64 v34, 1.0, v55, s[36:37]
	v_mul_f32_e32 v34, v32, v34
	v_cndmask_b32_e64 v35, 1.0, v34, s[30:31]
	v_cndmask_b32_e64 v34, 1.0, v30, s[34:35]
	v_fma_f32 v30, v27, v28, v29
	v_mul_f32_e32 v30, v30, v35
	v_pk_add_f32 v[36:37], v[30:31], v[26:27]
	v_pk_mul_f32 v[62:63], v[30:31], v[26:27]
	v_mul_f32_e32 v32, v33, v13
	v_mov_b32_e32 v37, v63
	v_cndmask_b32_e64 v32, 0, v32, s[34:35]
	v_pk_mul_f32 v[62:63], v[36:37], v[34:35]
	v_mov_b32_e32 v33, v34
	v_pk_fma_f32 v[64:65], v[36:37], v[34:35], v[32:33]
	v_pk_mul_f32 v[62:63], v[62:63], v[32:33]
	s_nop 0
	v_mov_b32_dpp v33, v64 row_shr:1 row_mask:0xf bank_mask:0xf
	v_mov_b32_dpp v30, v63 row_shr:1 row_mask:0xf bank_mask:0xf
	v_mul_f32_e32 v61, v63, v30
	v_fma_f32 v30, v63, v33, v64
	v_cndmask_b32_e64 v37, v30, v64, s[0:1]
	v_cndmask_b32_e64 v30, v30, v64, s[0:1]
	;; [unrolled: 1-line block ×4, first 2 shown]
	v_mov_b32_dpp v62, v30 row_shr:2 row_mask:0xf bank_mask:0xf
	v_mov_b32_dpp v61, v33 row_shr:2 row_mask:0xf bank_mask:0xf
	s_and_saveexec_b64 s[36:37], s[2:3]
; %bb.59:                               ;   in Loop: Header=BB134_36 Depth=2
	v_fmac_f32_e32 v30, v33, v62
	v_mul_f32_e32 v33, v33, v61
	v_mov_b32_e32 v36, v33
	v_mov_b32_e32 v37, v30
; %bb.60:                               ;   in Loop: Header=BB134_36 Depth=2
	s_or_b64 exec, exec, s[36:37]
	v_mov_b32_dpp v61, v33 row_shr:4 row_mask:0xf bank_mask:0xf
	v_mov_b32_dpp v62, v30 row_shr:4 row_mask:0xf bank_mask:0xf
	s_and_saveexec_b64 s[36:37], s[4:5]
; %bb.61:                               ;   in Loop: Header=BB134_36 Depth=2
	v_fmac_f32_e32 v30, v33, v62
	v_mul_f32_e32 v33, v33, v61
	v_mov_b32_e32 v36, v33
	v_mov_b32_e32 v37, v30
; %bb.62:                               ;   in Loop: Header=BB134_36 Depth=2
	s_or_b64 exec, exec, s[36:37]
	;; [unrolled: 10-line block ×3, first 2 shown]
	v_mov_b32_dpp v61, v33 row_bcast:15 row_mask:0xf bank_mask:0xf
	v_mov_b32_dpp v62, v30 row_bcast:15 row_mask:0xf bank_mask:0xf
	s_and_saveexec_b64 s[36:37], s[8:9]
; %bb.65:                               ;   in Loop: Header=BB134_36 Depth=2
	v_fmac_f32_e32 v30, v33, v62
	v_mul_f32_e32 v33, v33, v61
	v_mov_b32_e32 v36, v33
	v_mov_b32_e32 v37, v30
; %bb.66:                               ;   in Loop: Header=BB134_36 Depth=2
	s_or_b64 exec, exec, s[36:37]
	v_mov_b32_dpp v61, v33 row_bcast:31 row_mask:0xf bank_mask:0xf
	v_mov_b32_dpp v62, v30 row_bcast:31 row_mask:0xf bank_mask:0xf
	v_mul_f32_e32 v61, v33, v61
	v_fmac_f32_e32 v30, v33, v62
	v_cndmask_b32_e64 v36, v36, v61, s[10:11]
	v_cndmask_b32_e64 v37, v37, v30, s[10:11]
	s_and_saveexec_b64 s[36:37], s[12:13]
	s_cbranch_execz .LBB134_68
; %bb.67:                               ;   in Loop: Header=BB134_36 Depth=2
	ds_write_b64 v3, v[36:37] offset:2112
.LBB134_68:                             ;   in Loop: Header=BB134_36 Depth=2
	s_or_b64 exec, exec, s[36:37]
	ds_bpermute_b32 v30, v50, v36
	ds_bpermute_b32 v33, v50, v37
	s_waitcnt vmcnt(0) lgkmcnt(2)
	v_mov_b32_e32 v37, v25
	s_waitcnt lgkmcnt(0)
	; wave barrier
	s_waitcnt lgkmcnt(0)
	s_and_saveexec_b64 s[36:37], s[14:15]
	s_cbranch_execz .LBB134_72
; %bb.69:                               ;   in Loop: Header=BB134_36 Depth=2
	ds_read_b64 v[36:37], v3 offset:2112
	s_and_saveexec_b64 s[54:55], s[16:17]
	s_cbranch_execz .LBB134_71
; %bb.70:                               ;   in Loop: Header=BB134_36 Depth=2
	ds_write_b64 v3, v[24:25] offset:2112
.LBB134_71:                             ;   in Loop: Header=BB134_36 Depth=2
	s_or_b64 exec, exec, s[54:55]
	s_waitcnt lgkmcnt(0)
	v_fmac_f32_e32 v37, v25, v36
	v_mul_f32_e32 v24, v24, v36
	v_mov_b32_e32 v25, v37
.LBB134_72:                             ;   in Loop: Header=BB134_36 Depth=2
	s_or_b64 exec, exec, s[36:37]
	s_waitcnt lgkmcnt(0)
	; wave barrier
	ds_read_b32 v36, v3 offset:2116
	s_and_saveexec_b64 s[36:37], s[16:17]
	s_cbranch_execz .LBB134_35
; %bb.73:                               ;   in Loop: Header=BB134_36 Depth=2
	v_mov_b32_e32 v61, s96
	s_andn2_b64 vcc, exec, s[72:73]
	ds_write_b64 v61, v[24:25]
	s_cbranch_vccnz .LBB134_35
; %bb.74:                               ;   in Loop: Header=BB134_36 Depth=2
	s_mov_b32 s79, s59
	s_lshl_b64 s[54:55], s[78:79], 2
	s_add_u32 s54, s45, s54
	s_addc_u32 s55, s49, s55
	global_store_dword v3, v37, s[54:55]
	s_branch .LBB134_35
.LBB134_75:                             ;   in Loop: Header=BB134_11 Depth=1
	s_waitcnt lgkmcnt(0)
	; wave barrier
	ds_write2_b32 v45, v18, v19 offset1:1
	ds_write2_b32 v45, v16, v17 offset0:2 offset1:3
	; wave barrier
	ds_read_b32 v13, v42 offset:256
	ds_read_b32 v7, v43 offset:512
	;; [unrolled: 1-line block ×3, first 2 shown]
	s_mov_b32 s69, s59
	v_lshl_add_u64 v[4:5], s[68:69], 2, v[0:1]
	s_and_saveexec_b64 s[26:27], s[18:19]
	s_cbranch_execnz .LBB134_81
; %bb.76:                               ;   in Loop: Header=BB134_11 Depth=1
	s_or_b64 exec, exec, s[26:27]
	s_and_saveexec_b64 s[18:19], s[20:21]
	s_cbranch_execnz .LBB134_82
.LBB134_77:                             ;   in Loop: Header=BB134_11 Depth=1
	s_or_b64 exec, exec, s[18:19]
	s_and_saveexec_b64 s[18:19], s[22:23]
	s_cbranch_execnz .LBB134_83
.LBB134_78:                             ;   in Loop: Header=BB134_11 Depth=1
	s_or_b64 exec, exec, s[18:19]
	s_and_saveexec_b64 s[18:19], s[24:25]
	s_cbranch_execz .LBB134_10
	s_branch .LBB134_84
.LBB134_79:                             ;   in Loop: Header=BB134_11 Depth=1
	global_load_dword v17, v[14:15], off offset:256
	s_or_b64 exec, exec, s[26:27]
	s_and_saveexec_b64 s[26:27], s[22:23]
	s_cbranch_execz .LBB134_23
.LBB134_80:                             ;   in Loop: Header=BB134_11 Depth=1
	global_load_dword v16, v[14:15], off offset:512
	s_or_b64 exec, exec, s[26:27]
	v_mov_b32_e32 v18, 0
	s_and_saveexec_b64 s[26:27], s[24:25]
	s_cbranch_execnz .LBB134_24
	s_branch .LBB134_25
.LBB134_81:                             ;   in Loop: Header=BB134_11 Depth=1
	ds_read_b32 v14, v41
	s_waitcnt lgkmcnt(0)
	global_store_dword v[4:5], v14, off
	s_or_b64 exec, exec, s[26:27]
	s_and_saveexec_b64 s[18:19], s[20:21]
	s_cbranch_execz .LBB134_77
.LBB134_82:                             ;   in Loop: Header=BB134_11 Depth=1
	s_waitcnt lgkmcnt(2)
	global_store_dword v[4:5], v13, off offset:256
	s_or_b64 exec, exec, s[18:19]
	s_and_saveexec_b64 s[18:19], s[22:23]
	s_cbranch_execz .LBB134_78
.LBB134_83:                             ;   in Loop: Header=BB134_11 Depth=1
	s_waitcnt lgkmcnt(1)
	global_store_dword v[4:5], v7, off offset:512
	s_or_b64 exec, exec, s[18:19]
	s_and_saveexec_b64 s[18:19], s[24:25]
	s_cbranch_execz .LBB134_10
.LBB134_84:                             ;   in Loop: Header=BB134_11 Depth=1
	s_waitcnt lgkmcnt(0)
	global_store_dword v[4:5], v6, off offset:768
	s_branch .LBB134_10
.LBB134_85:
	s_endpgm
.LBB134_86:
	s_mov_b64 s[56:57], 0
	s_load_dwordx2 s[4:5], s[0:1], 0x20
	s_cmp_eq_u64 s[6:7], 0
	s_cbranch_scc0 .LBB134_2
	s_branch .LBB134_3
	.section	.rodata,"a",@progbits
	.p2align	6, 0x0
	.amdhsa_kernel _Z25selective_scan_fwd_kernelI32Selective_Scan_fwd_kernel_traitsILi64ELi4ELi1ELb0ELb1ELb1ELb0ELb1EfffEEv13SSMParamsBase
		.amdhsa_group_segment_fixed_size 0
		.amdhsa_private_segment_fixed_size 0
		.amdhsa_kernarg_size 248
		.amdhsa_user_sgpr_count 2
		.amdhsa_user_sgpr_dispatch_ptr 0
		.amdhsa_user_sgpr_queue_ptr 0
		.amdhsa_user_sgpr_kernarg_segment_ptr 1
		.amdhsa_user_sgpr_dispatch_id 0
		.amdhsa_user_sgpr_kernarg_preload_length 0
		.amdhsa_user_sgpr_kernarg_preload_offset 0
		.amdhsa_user_sgpr_private_segment_size 0
		.amdhsa_uses_dynamic_stack 0
		.amdhsa_enable_private_segment 0
		.amdhsa_system_sgpr_workgroup_id_x 1
		.amdhsa_system_sgpr_workgroup_id_y 1
		.amdhsa_system_sgpr_workgroup_id_z 0
		.amdhsa_system_sgpr_workgroup_info 0
		.amdhsa_system_vgpr_workitem_id 0
		.amdhsa_next_free_vgpr 67
		.amdhsa_next_free_sgpr 100
		.amdhsa_accum_offset 68
		.amdhsa_reserve_vcc 1
		.amdhsa_float_round_mode_32 0
		.amdhsa_float_round_mode_16_64 0
		.amdhsa_float_denorm_mode_32 3
		.amdhsa_float_denorm_mode_16_64 3
		.amdhsa_dx10_clamp 1
		.amdhsa_ieee_mode 1
		.amdhsa_fp16_overflow 0
		.amdhsa_tg_split 0
		.amdhsa_exception_fp_ieee_invalid_op 0
		.amdhsa_exception_fp_denorm_src 0
		.amdhsa_exception_fp_ieee_div_zero 0
		.amdhsa_exception_fp_ieee_overflow 0
		.amdhsa_exception_fp_ieee_underflow 0
		.amdhsa_exception_fp_ieee_inexact 0
		.amdhsa_exception_int_div_zero 0
	.end_amdhsa_kernel
	.section	.text._Z25selective_scan_fwd_kernelI32Selective_Scan_fwd_kernel_traitsILi64ELi4ELi1ELb0ELb1ELb1ELb0ELb1EfffEEv13SSMParamsBase,"axG",@progbits,_Z25selective_scan_fwd_kernelI32Selective_Scan_fwd_kernel_traitsILi64ELi4ELi1ELb0ELb1ELb1ELb0ELb1EfffEEv13SSMParamsBase,comdat
.Lfunc_end134:
	.size	_Z25selective_scan_fwd_kernelI32Selective_Scan_fwd_kernel_traitsILi64ELi4ELi1ELb0ELb1ELb1ELb0ELb1EfffEEv13SSMParamsBase, .Lfunc_end134-_Z25selective_scan_fwd_kernelI32Selective_Scan_fwd_kernel_traitsILi64ELi4ELi1ELb0ELb1ELb1ELb0ELb1EfffEEv13SSMParamsBase
                                        ; -- End function
	.section	.AMDGPU.csdata,"",@progbits
; Kernel info:
; codeLenInByte = 6112
; NumSgprs: 106
; NumVgprs: 67
; NumAgprs: 0
; TotalNumVgprs: 67
; ScratchSize: 0
; MemoryBound: 0
; FloatMode: 240
; IeeeMode: 1
; LDSByteSize: 0 bytes/workgroup (compile time only)
; SGPRBlocks: 13
; VGPRBlocks: 8
; NumSGPRsForWavesPerEU: 106
; NumVGPRsForWavesPerEU: 67
; AccumOffset: 68
; Occupancy: 7
; WaveLimiterHint : 1
; COMPUTE_PGM_RSRC2:SCRATCH_EN: 0
; COMPUTE_PGM_RSRC2:USER_SGPR: 2
; COMPUTE_PGM_RSRC2:TRAP_HANDLER: 0
; COMPUTE_PGM_RSRC2:TGID_X_EN: 1
; COMPUTE_PGM_RSRC2:TGID_Y_EN: 1
; COMPUTE_PGM_RSRC2:TGID_Z_EN: 0
; COMPUTE_PGM_RSRC2:TIDIG_COMP_CNT: 0
; COMPUTE_PGM_RSRC3_GFX90A:ACCUM_OFFSET: 16
; COMPUTE_PGM_RSRC3_GFX90A:TG_SPLIT: 0
	.section	.text._Z25selective_scan_fwd_kernelI32Selective_Scan_fwd_kernel_traitsILi64ELi4ELi1ELb0ELb1ELb1ELb0ELb0EfffEEv13SSMParamsBase,"axG",@progbits,_Z25selective_scan_fwd_kernelI32Selective_Scan_fwd_kernel_traitsILi64ELi4ELi1ELb0ELb1ELb1ELb0ELb0EfffEEv13SSMParamsBase,comdat
	.protected	_Z25selective_scan_fwd_kernelI32Selective_Scan_fwd_kernel_traitsILi64ELi4ELi1ELb0ELb1ELb1ELb0ELb0EfffEEv13SSMParamsBase ; -- Begin function _Z25selective_scan_fwd_kernelI32Selective_Scan_fwd_kernel_traitsILi64ELi4ELi1ELb0ELb1ELb1ELb0ELb0EfffEEv13SSMParamsBase
	.globl	_Z25selective_scan_fwd_kernelI32Selective_Scan_fwd_kernel_traitsILi64ELi4ELi1ELb0ELb1ELb1ELb0ELb0EfffEEv13SSMParamsBase
	.p2align	8
	.type	_Z25selective_scan_fwd_kernelI32Selective_Scan_fwd_kernel_traitsILi64ELi4ELi1ELb0ELb1ELb1ELb0ELb0EfffEEv13SSMParamsBase,@function
_Z25selective_scan_fwd_kernelI32Selective_Scan_fwd_kernel_traitsILi64ELi4ELi1ELb0ELb1ELb1ELb0ELb0EfffEEv13SSMParamsBase: ; @_Z25selective_scan_fwd_kernelI32Selective_Scan_fwd_kernel_traitsILi64ELi4ELi1ELb0ELb1ELb1ELb0ELb0EfffEEv13SSMParamsBase
; %bb.0:
	s_load_dword s25, s[0:1], 0x18
	s_load_dwordx4 s[4:7], s[0:1], 0xe8
	s_mov_b32 s20, s3
	s_waitcnt lgkmcnt(0)
	s_abs_i32 s24, s25
	v_cvt_f32_u32_e32 v1, s24
	s_cmp_eq_u64 s[6:7], 0
	v_rcp_iflag_f32_e32 v1, v1
	s_nop 0
	v_mul_f32_e32 v1, 0x4f7ffffe, v1
	v_cvt_u32_f32_e32 v1, v1
	s_nop 0
	v_readfirstlane_b32 s26, v1
	s_cbranch_scc1 .LBB135_3
; %bb.1:
	s_ashr_i32 s3, s2, 31
	s_add_u32 s6, s6, s2
	s_addc_u32 s7, s7, s3
	v_mov_b32_e32 v1, 0
	global_load_ubyte v1, v1, s[6:7]
	s_waitcnt vmcnt(0)
	v_and_b32_e32 v1, 1, v1
	v_cmp_eq_u32_e64 s[56:57], 1, v1
	s_load_dwordx2 s[6:7], s[0:1], 0x20
	s_cmp_eq_u64 s[4:5], 0
	s_cbranch_scc1 .LBB135_4
.LBB135_2:
	s_ashr_i32 s3, s2, 31
	s_lshl_b64 s[8:9], s[2:3], 2
	s_add_u32 s4, s4, s8
	s_addc_u32 s5, s5, s9
	s_load_dword s22, s[4:5], 0x0
	s_waitcnt lgkmcnt(0)
	s_ashr_i32 s23, s22, 31
	s_cmp_eq_u64 s[6:7], s[22:23]
	s_cbranch_scc0 .LBB135_5
	s_branch .LBB135_86
.LBB135_3:
	s_mov_b64 s[56:57], 0
	s_load_dwordx2 s[6:7], s[0:1], 0x20
	s_cmp_eq_u64 s[4:5], 0
	s_cbranch_scc0 .LBB135_2
.LBB135_4:
	s_mov_b32 s22, s2
	s_ashr_i32 s23, s22, 31
	s_waitcnt lgkmcnt(0)
	s_cmp_eq_u64 s[6:7], s[22:23]
	s_cbranch_scc1 .LBB135_86
.LBB135_5:
	s_load_dwordx16 s[4:19], s[0:1], 0x88
	s_load_dwordx2 s[58:59], s[0:1], 0x8
	s_mov_b32 s33, 0
	s_mov_b32 s82, 0
	s_waitcnt lgkmcnt(0)
	s_cmp_eq_u64 s[10:11], 0
	s_cbranch_scc1 .LBB135_7
; %bb.6:
	s_ashr_i32 s21, s20, 31
	s_lshl_b64 s[28:29], s[20:21], 2
	s_add_u32 s10, s10, s28
	s_addc_u32 s11, s11, s29
	s_load_dword s82, s[10:11], 0x0
.LBB135_7:
	s_cmp_eq_u64 s[16:17], 0
	s_cbranch_scc1 .LBB135_9
; %bb.8:
	s_ashr_i32 s21, s20, 31
	s_lshl_b64 s[10:11], s[20:21], 2
	s_add_u32 s10, s16, s10
	s_addc_u32 s11, s17, s11
	s_load_dword s33, s[10:11], 0x0
.LBB135_9:
	s_cmp_lt_i32 s58, 1
	s_cbranch_scc1 .LBB135_86
; %bb.10:
	s_sub_i32 s3, 0, s24
	s_mul_i32 s3, s3, s26
	s_mul_hi_u32 s3, s26, s3
	s_abs_i32 s21, s20
	s_add_i32 s3, s26, s3
	s_load_dwordx8 s[40:47], s[0:1], 0x2c
	s_load_dwordx2 s[16:17], s[0:1], 0x5c
	s_load_dwordx4 s[48:51], s[0:1], 0x4c
	s_load_dwordx4 s[36:39], s[0:1], 0x7c
	s_load_dwordx2 s[10:11], s[0:1], 0x6c
	s_load_dwordx2 s[26:27], s[0:1], 0xc8
	s_mul_hi_u32 s3, s21, s3
	s_load_dword s23, s[0:1], 0x28
	s_ashr_i32 s0, s20, 31
	s_ashr_i32 s1, s25, 31
	s_xor_b32 s0, s0, s1
	s_mul_i32 s1, s3, s24
	s_sub_i32 s1, s21, s1
	s_add_i32 s21, s3, 1
	s_sub_i32 s25, s1, s24
	s_cmp_ge_u32 s1, s24
	s_cselect_b32 s3, s21, s3
	s_cselect_b32 s1, s25, s1
	s_add_i32 s21, s3, 1
	s_cmp_ge_u32 s1, s24
	s_cselect_b32 s1, s21, s3
	s_xor_b32 s1, s1, s0
	s_waitcnt lgkmcnt(0)
	s_mul_i32 s60, s50, s2
	s_mov_b32 s61, 0
	s_sub_i32 s3, s1, s0
	s_lshl_b64 s[0:1], s[60:61], 2
	s_add_u32 s12, s12, s0
	s_mul_i32 s60, s51, s20
	s_addc_u32 s13, s13, s1
	s_lshl_b64 s[0:1], s[60:61], 2
	s_add_u32 s50, s12, s0
	s_mul_i32 s60, s16, s2
	s_addc_u32 s51, s13, s1
	;; [unrolled: 4-line block ×10, first 2 shown]
	s_lshl_b64 s[0:1], s[60:61], 2
	v_mbcnt_lo_u32_b32 v1, -1, 0
	s_add_u32 s45, s3, s0
	v_mbcnt_hi_u32_b32 v8, -1, v1
	s_addc_u32 s49, s4, s1
	s_add_i32 s0, s58, 0x7ff
	v_or_b32_e32 v39, 0x80, v8
	s_lshr_b32 s83, s0, 11
	v_add_u32_e32 v40, 0xc0, v8
	v_lshrrev_b32_e32 v1, 5, v8
	v_lshrrev_b32_e32 v2, 5, v39
	v_add_u32_e32 v38, 64, v8
	v_add_u32_e32 v1, v1, v8
	v_add_lshl_u32 v4, v2, v8, 2
	v_lshrrev_b32_e32 v2, 5, v40
	s_bitcmp1_b32 s23, 0
	v_lshl_add_u32 v41, v1, 2, 0
	v_lshrrev_b32_e32 v1, 5, v38
	v_add_lshl_u32 v5, v2, v8, 2
	v_bfe_u32 v6, v8, 3, 27
	v_lshlrev_b32_e32 v2, 2, v8
	s_cselect_b64 s[64:65], -1, 0
	s_cmp_gt_i32 s59, 0
	v_add_lshl_u32 v1, v1, v8, 2
	v_add_lshl_u32 v6, v6, v2, 2
	s_cselect_b64 s[66:67], -1, 0
	s_add_i32 s0, 0, 0x420
	v_add_u32_e32 v46, s0, v1
	v_add_u32_e32 v47, s0, v4
	;; [unrolled: 1-line block ×4, first 2 shown]
	s_add_i32 s0, s83, -1
                                        ; implicit-def: $vgpr66 : SGPR spill to VGPR lane
	s_mul_i32 s60, s10, s2
	s_and_b32 s3, s58, 0xff
	v_writelane_b32 v66, s0, 0
	s_lshl_b64 s[0:1], s[60:61], 2
	s_add_u32 s2, s18, s0
	s_mul_i32 s60, s11, s20
	s_addc_u32 s4, s19, s1
	s_lshl_b64 s[0:1], s[60:61], 2
	s_add_u32 s18, s2, s0
	v_add_u32_e32 v42, 0, v1
	s_addc_u32 s19, s4, s1
	v_and_b32_e32 v1, 15, v8
	s_cmp_eq_u32 s3, 0
	v_cmp_eq_u32_e64 s[0:1], 0, v1
	v_cmp_lt_u32_e64 s[2:3], 1, v1
	v_cmp_lt_u32_e64 s[4:5], 3, v1
	;; [unrolled: 1-line block ×3, first 2 shown]
	v_and_b32_e32 v1, 16, v8
	v_add_u32_e32 v43, 0, v4
	v_cmp_ne_u32_e64 s[8:9], 0, v1
	v_add_u32_e32 v1, -1, v8
	v_and_b32_e32 v4, 64, v8
	v_cmp_lt_i32_e32 vcc, v1, v4
	v_mov_b32_e32 v3, 0
	v_lshlrev_b32_e32 v11, 2, v0
	v_cndmask_b32_e32 v1, v1, v8, vcc
	v_add_u32_e32 v44, 0, v5
	v_add_u32_e32 v45, 0, v6
	s_cselect_b64 s[68:69], -1, 0
	v_cmp_lt_u32_e64 s[10:11], 31, v8
	v_cmp_eq_u32_e64 s[12:13], 63, v0
	v_lshlrev_b32_e32 v50, 2, v1
	v_cmp_gt_u32_e64 s[14:15], 64, v0
	v_cmp_eq_u32_e64 s[16:17], 0, v0
	v_lshl_add_u64 v[0:1], s[18:19], 0, v[2:3]
	v_or_b32_e32 v9, 1, v11
	v_or_b32_e32 v10, 2, v11
	;; [unrolled: 1-line block ×3, first 2 shown]
	v_lshlrev_b32_e32 v2, 2, v8
	s_mov_b32 s85, 0x41a00000
	s_mov_b32 s86, 0x3fb8aa3b
	;; [unrolled: 1-line block ×6, first 2 shown]
	v_mov_b32_e32 v52, 0x3ecc95a3
	s_mov_b32 s84, 0x3f317218
	s_mov_b32 s92, 0x33800000
	s_add_i32 s93, 0, 0x848
	s_mov_b32 s94, 0xc2fc0000
	v_mov_b32_e32 v53, 0x7f800000
	v_mov_b32_e32 v12, 0x3f317218
	;; [unrolled: 1-line block ×4, first 2 shown]
	s_mov_b32 s95, 0
	s_mov_b32 s52, 0
                                        ; implicit-def: $vgpr4
	s_branch .LBB135_12
.LBB135_11:                             ;   in Loop: Header=BB135_12 Depth=1
	s_or_b64 exec, exec, s[18:19]
	s_add_u32 s62, s62, 0x400
	s_addc_u32 s63, s63, 0
	s_add_u32 s50, s50, 0x400
	s_addc_u32 s51, s51, 0
	;; [unrolled: 2-line block ×4, first 2 shown]
	s_add_i32 s95, s95, 1
	s_cmp_eq_u32 s95, s83
	s_cbranch_scc1 .LBB135_86
.LBB135_12:                             ; =>This Loop Header: Depth=1
                                        ;     Child Loop BB135_37 Depth 2
	s_lshl_b32 s70, s95, 8
	s_sub_i32 s34, s58, s70
	v_lshl_add_u64 v[4:5], s[50:51], 0, v[2:3]
	v_cmp_gt_u32_e64 s[18:19], s34, v8
	s_waitcnt lgkmcnt(0)
	v_mov_b32_e32 v6, v3
	s_waitcnt lgkmcnt(0)
	; wave barrier
	s_and_saveexec_b64 s[20:21], s[18:19]
	s_cbranch_execz .LBB135_14
; %bb.13:                               ;   in Loop: Header=BB135_12 Depth=1
	global_load_dword v6, v[4:5], off
.LBB135_14:                             ;   in Loop: Header=BB135_12 Depth=1
	s_or_b64 exec, exec, s[20:21]
	v_cmp_gt_u32_e64 s[20:21], s34, v38
	v_mov_b32_e32 v7, 0
	v_mov_b32_e32 v14, 0
	s_and_saveexec_b64 s[22:23], s[20:21]
	s_cbranch_execz .LBB135_16
; %bb.15:                               ;   in Loop: Header=BB135_12 Depth=1
	global_load_dword v14, v[4:5], off offset:256
.LBB135_16:                             ;   in Loop: Header=BB135_12 Depth=1
	s_or_b64 exec, exec, s[22:23]
	v_cmp_gt_u32_e64 s[22:23], s34, v39
	s_and_saveexec_b64 s[24:25], s[22:23]
	s_cbranch_execz .LBB135_18
; %bb.17:                               ;   in Loop: Header=BB135_12 Depth=1
	global_load_dword v7, v[4:5], off offset:512
.LBB135_18:                             ;   in Loop: Header=BB135_12 Depth=1
	s_or_b64 exec, exec, s[24:25]
	v_cmp_gt_u32_e64 s[24:25], s34, v40
	v_mov_b32_e32 v13, 0
	v_mov_b32_e32 v15, 0
	s_and_saveexec_b64 s[26:27], s[24:25]
	s_cbranch_execz .LBB135_20
; %bb.19:                               ;   in Loop: Header=BB135_12 Depth=1
	global_load_dword v15, v[4:5], off offset:768
.LBB135_20:                             ;   in Loop: Header=BB135_12 Depth=1
	s_or_b64 exec, exec, s[26:27]
	s_waitcnt vmcnt(0)
	ds_write_b32 v41, v6
	ds_write_b32 v42, v14 offset:256
	ds_write_b32 v43, v7 offset:512
	ds_write_b32 v44, v15 offset:768
	; wave barrier
	ds_read2_b32 v[4:5], v45 offset1:1
	ds_read2_b32 v[6:7], v45 offset0:2 offset1:3
	v_lshl_add_u64 v[14:15], s[62:63], 0, v[2:3]
	s_waitcnt lgkmcnt(0)
	; wave barrier
	s_waitcnt lgkmcnt(0)
	s_and_saveexec_b64 s[26:27], s[18:19]
	s_cbranch_execz .LBB135_22
; %bb.21:                               ;   in Loop: Header=BB135_12 Depth=1
	global_load_dword v13, v[14:15], off
.LBB135_22:                             ;   in Loop: Header=BB135_12 Depth=1
	s_or_b64 exec, exec, s[26:27]
	v_mov_b32_e32 v16, 0
	v_mov_b32_e32 v17, 0
	s_and_saveexec_b64 s[26:27], s[20:21]
	s_cbranch_execnz .LBB135_80
; %bb.23:                               ;   in Loop: Header=BB135_12 Depth=1
	s_or_b64 exec, exec, s[26:27]
	s_and_saveexec_b64 s[26:27], s[22:23]
	s_cbranch_execnz .LBB135_81
.LBB135_24:                             ;   in Loop: Header=BB135_12 Depth=1
	s_or_b64 exec, exec, s[26:27]
	v_mov_b32_e32 v18, 0
	s_and_saveexec_b64 s[26:27], s[24:25]
	s_cbranch_execz .LBB135_26
.LBB135_25:                             ;   in Loop: Header=BB135_12 Depth=1
	global_load_dword v18, v[14:15], off offset:768
.LBB135_26:                             ;   in Loop: Header=BB135_12 Depth=1
	s_or_b64 exec, exec, s[26:27]
	s_waitcnt vmcnt(0)
	ds_write_b32 v41, v13
	ds_write_b32 v42, v17 offset:256
	ds_write_b32 v43, v16 offset:512
	;; [unrolled: 1-line block ×3, first 2 shown]
	; wave barrier
	ds_read2_b32 v[14:15], v45 offset1:1
	ds_read2_b32 v[16:17], v45 offset0:2 offset1:3
	s_waitcnt lgkmcnt(1)
	v_add_f32_e32 v56, s33, v14
	v_cmp_ge_f32_e32 vcc, s85, v56
	s_and_b64 s[26:27], s[64:65], vcc
	s_and_saveexec_b64 s[28:29], s[26:27]
	s_cbranch_execz .LBB135_28
; %bb.27:                               ;   in Loop: Header=BB135_12 Depth=1
	v_mul_f32_e32 v13, 0x3fb8aa3b, v56
	v_rndne_f32_e32 v14, v13
	v_sub_f32_e32 v18, v13, v14
	v_fma_f32 v13, v56, s86, -v13
	v_fmac_f32_e32 v13, 0x32a5705f, v56
	v_add_f32_e32 v13, v18, v13
	v_cvt_i32_f32_e32 v14, v14
	v_exp_f32_e32 v13, v13
	v_cmp_ngt_f32_e32 vcc, s87, v56
	v_ldexp_f32 v13, v13, v14
	s_nop 0
	v_cndmask_b32_e32 v13, 0, v13, vcc
	v_cmp_nlt_f32_e32 vcc, s97, v56
	s_nop 1
	v_cndmask_b32_e32 v32, v53, v13, vcc
	v_add_f32_e32 v13, 1.0, v32
	v_add_f32_e32 v14, -1.0, v13
	v_sub_f32_e32 v18, v14, v13
	v_add_f32_e32 v18, 1.0, v18
	v_sub_f32_e32 v14, v32, v14
	v_add_f32_e32 v14, v14, v18
	v_frexp_mant_f32_e32 v20, v13
	v_cvt_f64_f32_e32 v[18:19], v13
	v_frexp_exp_i32_f64_e32 v18, v[18:19]
	v_cmp_gt_f32_e32 vcc, s99, v20
	v_cmp_gt_f32_e64 s[26:27], s92, v32
	s_nop 0
	v_subbrev_co_u32_e32 v26, vcc, 0, v18, vcc
	v_sub_u32_e32 v18, 0, v26
	v_ldexp_f32 v13, v13, v18
	v_ldexp_f32 v14, v14, v18
	v_add_f32_e32 v18, -1.0, v13
	v_add_f32_e32 v19, 1.0, v18
	v_sub_f32_e32 v19, v13, v19
	v_add_f32_e32 v20, v14, v19
	v_add_f32_e32 v19, 1.0, v13
	v_add_f32_e32 v21, -1.0, v19
	v_sub_f32_e32 v13, v13, v21
	v_add_f32_e32 v13, v14, v13
	v_add_f32_e32 v14, v19, v13
	v_rcp_f32_e32 v27, v14
	v_sub_f32_e32 v19, v19, v14
	v_add_f32_e32 v13, v13, v19
	v_add_f32_e32 v19, v18, v20
	v_sub_f32_e32 v18, v18, v19
	v_mul_f32_e32 v29, v19, v27
	v_add_f32_e32 v28, v20, v18
	v_mul_f32_e32 v20, v14, v29
	v_fma_f32 v22, v29, v14, -v20
	v_fmac_f32_e32 v22, v29, v13
	v_add_f32_e32 v18, v20, v22
	v_sub_f32_e32 v21, v19, v18
	v_pk_add_f32 v[24:25], v[18:19], v[20:21] neg_lo:[0,1] neg_hi:[0,1]
	v_mov_b32_e32 v23, v18
	v_pk_add_f32 v[18:19], v[24:25], v[22:23] neg_lo:[0,1] neg_hi:[0,1]
	v_cmp_eq_f32_e32 vcc, s98, v32
	v_add_f32_e32 v19, v28, v19
	v_add_f32_e32 v18, v18, v19
	;; [unrolled: 1-line block ×3, first 2 shown]
	v_mul_f32_e32 v28, v27, v19
	v_mul_f32_e32 v20, v14, v28
	v_fma_f32 v22, v28, v14, -v20
	v_fmac_f32_e32 v22, v28, v13
	v_sub_f32_e32 v13, v21, v19
	v_add_f32_e32 v13, v18, v13
	v_add_f32_e32 v18, v20, v22
	v_sub_f32_e32 v21, v19, v18
	v_pk_add_f32 v[24:25], v[18:19], v[20:21] neg_lo:[0,1] neg_hi:[0,1]
	v_mov_b32_e32 v23, v18
	v_pk_add_f32 v[18:19], v[24:25], v[22:23] neg_lo:[0,1] neg_hi:[0,1]
	v_add_f32_e32 v14, v29, v28
	v_add_f32_e32 v13, v13, v19
	;; [unrolled: 1-line block ×4, first 2 shown]
	v_sub_f32_e32 v18, v14, v29
	v_mul_f32_e32 v13, v27, v13
	v_sub_f32_e32 v18, v28, v18
	v_add_f32_e32 v19, v18, v13
	v_add_f32_e32 v20, v14, v19
	v_cvt_f32_i32_e32 v18, v26
	v_mul_f32_e32 v22, v20, v20
	v_fmamk_f32 v13, v22, 0x3e9b6dac, v52
	v_sub_f32_e32 v14, v20, v14
	v_fmaak_f32 v13, v22, v13, 0x3f2aaada
	v_sub_f32_e32 v14, v19, v14
	v_mul_f32_e32 v19, v20, v22
	v_pk_mul_f32 v[22:23], v[18:19], v[12:13]
	v_ldexp_f32 v21, v20, 1
	v_fma_f32 v20, v18, s84, -v22
	v_fmac_f32_e32 v20, 0xb102e308, v18
	v_pk_add_f32 v[18:19], v[22:23], v[20:21]
	v_ldexp_f32 v14, v14, 1
	v_sub_f32_e32 v13, v19, v21
	v_sub_f32_e32 v13, v23, v13
	v_add_f32_e32 v25, v14, v13
	v_mov_b32_e32 v24, v22
	v_pk_add_f32 v[22:23], v[18:19], v[22:23] neg_lo:[0,1] neg_hi:[0,1]
	v_pk_add_f32 v[26:27], v[18:19], v[24:25]
	v_mov_b32_e32 v21, v18
	v_mov_b32_e32 v23, v27
	v_pk_add_f32 v[28:29], v[20:21], v[22:23] neg_lo:[0,1] neg_hi:[0,1]
	v_pk_add_f32 v[20:21], v[20:21], v[22:23]
	s_or_b64 vcc, s[26:27], vcc
	v_mov_b32_e32 v14, v21
	v_pk_add_f32 v[22:23], v[14:15], v[18:19] neg_lo:[0,1] neg_hi:[0,1]
	v_mov_b32_e32 v20, v27
	v_mov_b32_e32 v13, v22
	v_pk_add_f32 v[30:31], v[26:27], v[12:13] neg_lo:[0,1] neg_hi:[0,1]
	v_mov_b32_e32 v26, v19
	v_mov_b32_e32 v27, v22
	;; [unrolled: 1-line block ×3, first 2 shown]
	v_pk_add_f32 v[20:21], v[20:21], v[26:27] neg_lo:[0,1] neg_hi:[0,1]
	v_mov_b32_e32 v22, v25
	v_mov_b32_e32 v23, v18
	v_pk_add_f32 v[18:19], v[22:23], v[20:21] neg_lo:[0,1] neg_hi:[0,1]
	v_mov_b32_e32 v30, v28
	v_pk_add_f32 v[20:21], v[30:31], v[18:19]
	s_nop 0
	v_mov_b32_e32 v22, v21
	v_pk_add_f32 v[22:23], v[20:21], v[22:23]
	s_nop 0
	v_pk_add_f32 v[24:25], v[14:15], v[22:23]
	v_mov_b32_e32 v19, v22
	v_mov_b32_e32 v21, v24
	v_pk_add_f32 v[26:27], v[20:21], v[28:29] neg_lo:[0,1] neg_hi:[0,1]
	s_nop 0
	v_sub_f32_e32 v13, v20, v26
	v_pk_add_f32 v[18:19], v[18:19], v[26:27] neg_lo:[0,1] neg_hi:[0,1]
	v_sub_f32_e32 v13, v28, v13
	v_add_f32_e32 v13, v18, v13
	v_add_f32_e32 v13, v13, v19
	;; [unrolled: 1-line block ×3, first 2 shown]
	v_cndmask_b32_e32 v56, v13, v32, vcc
.LBB135_28:                             ;   in Loop: Header=BB135_12 Depth=1
	s_or_b64 exec, exec, s[28:29]
	v_add_f32_e32 v57, s33, v15
	v_cmp_ge_f32_e32 vcc, s85, v57
	s_and_b64 s[26:27], s[64:65], vcc
	s_and_saveexec_b64 s[28:29], s[26:27]
	s_cbranch_execz .LBB135_30
; %bb.29:                               ;   in Loop: Header=BB135_12 Depth=1
	v_mul_f32_e32 v13, 0x3fb8aa3b, v57
	v_rndne_f32_e32 v14, v13
	v_sub_f32_e32 v15, v13, v14
	v_fma_f32 v13, v57, s86, -v13
	v_fmac_f32_e32 v13, 0x32a5705f, v57
	v_add_f32_e32 v13, v15, v13
	v_cvt_i32_f32_e32 v14, v14
	v_exp_f32_e32 v13, v13
	v_cmp_ngt_f32_e32 vcc, s87, v57
	v_ldexp_f32 v13, v13, v14
	s_nop 0
	v_cndmask_b32_e32 v13, 0, v13, vcc
	v_cmp_nlt_f32_e32 vcc, s97, v57
	s_nop 1
	v_cndmask_b32_e32 v32, v53, v13, vcc
	v_add_f32_e32 v13, 1.0, v32
	v_add_f32_e32 v14, -1.0, v13
	v_sub_f32_e32 v15, v14, v13
	v_add_f32_e32 v15, 1.0, v15
	v_sub_f32_e32 v14, v32, v14
	v_add_f32_e32 v18, v14, v15
	v_frexp_mant_f32_e32 v19, v13
	v_cvt_f64_f32_e32 v[14:15], v13
	v_frexp_exp_i32_f64_e32 v14, v[14:15]
	v_cmp_gt_f32_e32 vcc, s99, v19
	v_cmp_gt_f32_e64 s[26:27], s92, v32
	s_nop 0
	v_subbrev_co_u32_e32 v24, vcc, 0, v14, vcc
	v_sub_u32_e32 v14, 0, v24
	v_ldexp_f32 v13, v13, v14
	v_ldexp_f32 v14, v18, v14
	v_add_f32_e32 v18, -1.0, v13
	v_add_f32_e32 v15, 1.0, v18
	v_sub_f32_e32 v15, v13, v15
	v_add_f32_e32 v19, v14, v15
	v_add_f32_e32 v15, 1.0, v13
	v_add_f32_e32 v20, -1.0, v15
	v_sub_f32_e32 v13, v13, v20
	v_add_f32_e32 v13, v14, v13
	v_add_f32_e32 v25, v15, v13
	v_rcp_f32_e32 v26, v25
	v_sub_f32_e32 v14, v15, v25
	v_add_f32_e32 v15, v18, v19
	v_add_f32_e32 v13, v13, v14
	v_mul_f32_e32 v28, v15, v26
	v_sub_f32_e32 v14, v18, v15
	v_mul_f32_e32 v18, v25, v28
	v_fma_f32 v20, v28, v25, -v18
	v_fmac_f32_e32 v20, v28, v13
	v_add_f32_e32 v27, v19, v14
	v_add_f32_e32 v14, v18, v20
	v_sub_f32_e32 v19, v15, v14
	v_pk_add_f32 v[22:23], v[14:15], v[18:19] neg_lo:[0,1] neg_hi:[0,1]
	v_mov_b32_e32 v21, v14
	v_pk_add_f32 v[14:15], v[22:23], v[20:21] neg_lo:[0,1] neg_hi:[0,1]
	v_cmp_eq_f32_e32 vcc, s98, v32
	v_add_f32_e32 v15, v27, v15
	v_add_f32_e32 v14, v14, v15
	;; [unrolled: 1-line block ×3, first 2 shown]
	v_mul_f32_e32 v27, v26, v15
	v_mul_f32_e32 v18, v25, v27
	v_fma_f32 v20, v27, v25, -v18
	v_fmac_f32_e32 v20, v27, v13
	v_sub_f32_e32 v13, v19, v15
	v_add_f32_e32 v13, v14, v13
	v_add_f32_e32 v14, v18, v20
	v_sub_f32_e32 v19, v15, v14
	v_pk_add_f32 v[22:23], v[14:15], v[18:19] neg_lo:[0,1] neg_hi:[0,1]
	v_mov_b32_e32 v21, v14
	v_pk_add_f32 v[14:15], v[22:23], v[20:21] neg_lo:[0,1] neg_hi:[0,1]
	s_or_b64 vcc, s[26:27], vcc
	v_add_f32_e32 v13, v13, v15
	v_add_f32_e32 v13, v14, v13
	;; [unrolled: 1-line block ×4, first 2 shown]
	v_sub_f32_e32 v14, v15, v28
	v_mul_f32_e32 v13, v26, v13
	v_sub_f32_e32 v14, v27, v14
	v_add_f32_e32 v18, v14, v13
	v_add_f32_e32 v20, v15, v18
	v_cvt_f32_i32_e32 v14, v24
	v_mul_f32_e32 v21, v20, v20
	v_sub_f32_e32 v15, v20, v15
	v_fmamk_f32 v13, v21, 0x3e9b6dac, v52
	v_sub_f32_e32 v15, v18, v15
	v_fmaak_f32 v13, v21, v13, 0x3f2aaada
	v_ldexp_f32 v22, v15, 1
	v_mul_f32_e32 v15, v20, v21
	v_ldexp_f32 v19, v20, 1
	v_pk_mul_f32 v[20:21], v[14:15], v[12:13]
	s_nop 0
	v_fma_f32 v18, v14, s84, -v20
	v_fmac_f32_e32 v18, 0xb102e308, v14
	v_pk_add_f32 v[14:15], v[20:21], v[18:19]
	s_nop 0
	v_sub_f32_e32 v13, v15, v19
	v_sub_f32_e32 v13, v21, v13
	v_add_f32_e32 v23, v22, v13
	v_mov_b32_e32 v22, v20
	v_pk_add_f32 v[20:21], v[14:15], v[20:21] neg_lo:[0,1] neg_hi:[0,1]
	v_pk_add_f32 v[24:25], v[14:15], v[22:23]
	v_mov_b32_e32 v19, v14
	v_mov_b32_e32 v21, v25
	v_pk_add_f32 v[26:27], v[18:19], v[20:21] neg_lo:[0,1] neg_hi:[0,1]
	v_pk_add_f32 v[18:19], v[18:19], v[20:21]
	v_mov_b32_e32 v22, v23
	v_mov_b32_e32 v20, v19
	v_pk_add_f32 v[28:29], v[20:21], v[14:15] neg_lo:[0,1] neg_hi:[0,1]
	v_mov_b32_e32 v18, v25
	v_mov_b32_e32 v13, v28
	v_pk_add_f32 v[30:31], v[24:25], v[12:13] neg_lo:[0,1] neg_hi:[0,1]
	v_mov_b32_e32 v24, v15
	v_mov_b32_e32 v25, v28
	;; [unrolled: 1-line block ×3, first 2 shown]
	v_pk_add_f32 v[18:19], v[18:19], v[24:25] neg_lo:[0,1] neg_hi:[0,1]
	v_mov_b32_e32 v23, v14
	v_pk_add_f32 v[14:15], v[22:23], v[18:19] neg_lo:[0,1] neg_hi:[0,1]
	v_mov_b32_e32 v30, v26
	v_pk_add_f32 v[18:19], v[30:31], v[14:15]
	s_nop 0
	v_mov_b32_e32 v22, v19
	v_pk_add_f32 v[22:23], v[18:19], v[22:23]
	s_nop 0
	v_pk_add_f32 v[20:21], v[20:21], v[22:23]
	v_mov_b32_e32 v15, v22
	v_mov_b32_e32 v19, v20
	v_pk_add_f32 v[24:25], v[18:19], v[26:27] neg_lo:[0,1] neg_hi:[0,1]
	s_nop 0
	v_sub_f32_e32 v13, v18, v24
	v_pk_add_f32 v[14:15], v[14:15], v[24:25] neg_lo:[0,1] neg_hi:[0,1]
	v_sub_f32_e32 v13, v26, v13
	v_add_f32_e32 v13, v14, v13
	v_add_f32_e32 v13, v13, v15
	;; [unrolled: 1-line block ×3, first 2 shown]
	v_cndmask_b32_e32 v57, v13, v32, vcc
.LBB135_30:                             ;   in Loop: Header=BB135_12 Depth=1
	s_or_b64 exec, exec, s[28:29]
	s_waitcnt lgkmcnt(0)
	v_add_f32_e32 v15, s33, v16
	v_cmp_ge_f32_e32 vcc, s85, v15
	s_and_b64 s[26:27], s[64:65], vcc
	s_and_saveexec_b64 s[28:29], s[26:27]
	s_cbranch_execz .LBB135_32
; %bb.31:                               ;   in Loop: Header=BB135_12 Depth=1
	v_mul_f32_e32 v13, 0x3fb8aa3b, v15
	v_rndne_f32_e32 v14, v13
	v_sub_f32_e32 v16, v13, v14
	v_fma_f32 v13, v15, s86, -v13
	v_fmac_f32_e32 v13, 0x32a5705f, v15
	v_add_f32_e32 v13, v16, v13
	v_cvt_i32_f32_e32 v14, v14
	v_exp_f32_e32 v13, v13
	v_cmp_ngt_f32_e32 vcc, s87, v15
	v_ldexp_f32 v13, v13, v14
	s_nop 0
	v_cndmask_b32_e32 v13, 0, v13, vcc
	v_cmp_nlt_f32_e32 vcc, s97, v15
	s_nop 1
	v_cndmask_b32_e32 v30, v53, v13, vcc
	v_add_f32_e32 v13, 1.0, v30
	v_add_f32_e32 v14, -1.0, v13
	v_sub_f32_e32 v15, v14, v13
	v_add_f32_e32 v15, 1.0, v15
	v_sub_f32_e32 v14, v30, v14
	v_add_f32_e32 v16, v14, v15
	v_frexp_mant_f32_e32 v18, v13
	v_cvt_f64_f32_e32 v[14:15], v13
	v_frexp_exp_i32_f64_e32 v14, v[14:15]
	v_cmp_gt_f32_e32 vcc, s99, v18
	v_cmp_gt_f32_e64 s[26:27], s92, v30
	s_nop 0
	v_subbrev_co_u32_e32 v24, vcc, 0, v14, vcc
	v_sub_u32_e32 v14, 0, v24
	v_ldexp_f32 v13, v13, v14
	v_ldexp_f32 v14, v16, v14
	v_add_f32_e32 v16, -1.0, v13
	v_add_f32_e32 v15, 1.0, v16
	v_sub_f32_e32 v15, v13, v15
	v_add_f32_e32 v18, v14, v15
	v_add_f32_e32 v15, 1.0, v13
	v_add_f32_e32 v19, -1.0, v15
	v_sub_f32_e32 v13, v13, v19
	v_add_f32_e32 v13, v14, v13
	v_add_f32_e32 v25, v15, v13
	v_rcp_f32_e32 v26, v25
	v_sub_f32_e32 v14, v15, v25
	v_add_f32_e32 v15, v16, v18
	v_add_f32_e32 v13, v13, v14
	v_sub_f32_e32 v14, v16, v15
	v_mul_f32_e32 v27, v15, v26
	v_add_f32_e32 v16, v18, v14
	v_mul_f32_e32 v18, v25, v27
	v_fma_f32 v20, v27, v25, -v18
	v_fmac_f32_e32 v20, v27, v13
	v_add_f32_e32 v14, v18, v20
	v_sub_f32_e32 v19, v15, v14
	v_pk_add_f32 v[22:23], v[14:15], v[18:19] neg_lo:[0,1] neg_hi:[0,1]
	v_mov_b32_e32 v21, v14
	v_pk_add_f32 v[14:15], v[22:23], v[20:21] neg_lo:[0,1] neg_hi:[0,1]
	v_cmp_eq_f32_e32 vcc, s98, v30
	v_add_f32_e32 v15, v16, v15
	v_add_f32_e32 v14, v14, v15
	;; [unrolled: 1-line block ×3, first 2 shown]
	v_mul_f32_e32 v16, v26, v15
	v_mul_f32_e32 v18, v25, v16
	v_fma_f32 v20, v16, v25, -v18
	v_fmac_f32_e32 v20, v16, v13
	v_sub_f32_e32 v13, v19, v15
	v_add_f32_e32 v13, v14, v13
	v_add_f32_e32 v14, v18, v20
	v_sub_f32_e32 v19, v15, v14
	v_pk_add_f32 v[22:23], v[14:15], v[18:19] neg_lo:[0,1] neg_hi:[0,1]
	v_mov_b32_e32 v21, v14
	v_pk_add_f32 v[14:15], v[22:23], v[20:21] neg_lo:[0,1] neg_hi:[0,1]
	s_or_b64 vcc, s[26:27], vcc
	v_add_f32_e32 v13, v13, v15
	v_add_f32_e32 v13, v14, v13
	;; [unrolled: 1-line block ×4, first 2 shown]
	v_sub_f32_e32 v14, v15, v27
	v_mul_f32_e32 v13, v26, v13
	v_sub_f32_e32 v14, v16, v14
	v_add_f32_e32 v16, v14, v13
	v_add_f32_e32 v18, v15, v16
	v_cvt_f32_i32_e32 v14, v24
	v_mul_f32_e32 v20, v18, v18
	v_sub_f32_e32 v15, v18, v15
	v_fmamk_f32 v13, v20, 0x3e9b6dac, v52
	v_sub_f32_e32 v15, v16, v15
	v_fmaak_f32 v13, v20, v13, 0x3f2aaada
	v_ldexp_f32 v16, v15, 1
	v_mul_f32_e32 v15, v18, v20
	v_pk_mul_f32 v[20:21], v[14:15], v[12:13]
	v_ldexp_f32 v19, v18, 1
	v_fma_f32 v18, v14, s84, -v20
	v_fmac_f32_e32 v18, 0xb102e308, v14
	v_pk_add_f32 v[14:15], v[20:21], v[18:19]
	v_mov_b32_e32 v22, v20
	v_sub_f32_e32 v13, v15, v19
	v_sub_f32_e32 v13, v21, v13
	v_add_f32_e32 v23, v16, v13
	v_pk_add_f32 v[20:21], v[14:15], v[20:21] neg_lo:[0,1] neg_hi:[0,1]
	v_pk_add_f32 v[24:25], v[14:15], v[22:23]
	v_mov_b32_e32 v19, v14
	v_mov_b32_e32 v21, v25
	v_pk_add_f32 v[26:27], v[18:19], v[20:21] neg_lo:[0,1] neg_hi:[0,1]
	v_pk_add_f32 v[18:19], v[18:19], v[20:21]
	s_nop 0
	v_mov_b32_e32 v16, v19
	v_pk_add_f32 v[20:21], v[16:17], v[14:15] neg_lo:[0,1] neg_hi:[0,1]
	v_mov_b32_e32 v18, v25
	v_mov_b32_e32 v13, v20
	v_pk_add_f32 v[28:29], v[24:25], v[12:13] neg_lo:[0,1] neg_hi:[0,1]
	v_mov_b32_e32 v24, v15
	v_mov_b32_e32 v25, v20
	;; [unrolled: 1-line block ×3, first 2 shown]
	v_pk_add_f32 v[18:19], v[18:19], v[24:25] neg_lo:[0,1] neg_hi:[0,1]
	v_mov_b32_e32 v20, v23
	v_mov_b32_e32 v21, v14
	v_pk_add_f32 v[14:15], v[20:21], v[18:19] neg_lo:[0,1] neg_hi:[0,1]
	v_mov_b32_e32 v28, v26
	v_pk_add_f32 v[18:19], v[28:29], v[14:15]
	s_nop 0
	v_mov_b32_e32 v20, v19
	v_pk_add_f32 v[20:21], v[18:19], v[20:21]
	s_nop 0
	v_pk_add_f32 v[22:23], v[16:17], v[20:21]
	v_mov_b32_e32 v15, v20
	v_mov_b32_e32 v19, v22
	v_pk_add_f32 v[24:25], v[18:19], v[26:27] neg_lo:[0,1] neg_hi:[0,1]
	s_nop 0
	v_sub_f32_e32 v13, v18, v24
	v_pk_add_f32 v[14:15], v[14:15], v[24:25] neg_lo:[0,1] neg_hi:[0,1]
	v_sub_f32_e32 v13, v26, v13
	v_add_f32_e32 v13, v14, v13
	v_add_f32_e32 v13, v13, v15
	v_add_f32_e32 v13, v22, v13
	v_cndmask_b32_e32 v15, v13, v30, vcc
.LBB135_32:                             ;   in Loop: Header=BB135_12 Depth=1
	s_or_b64 exec, exec, s[28:29]
	v_add_f32_e32 v14, s33, v17
	v_cmp_ge_f32_e32 vcc, s85, v14
	s_and_b64 s[26:27], s[64:65], vcc
	s_and_saveexec_b64 s[28:29], s[26:27]
	s_cbranch_execz .LBB135_34
; %bb.33:                               ;   in Loop: Header=BB135_12 Depth=1
	v_mul_f32_e32 v13, 0x3fb8aa3b, v14
	v_rndne_f32_e32 v16, v13
	v_sub_f32_e32 v17, v13, v16
	v_fma_f32 v13, v14, s86, -v13
	v_fmac_f32_e32 v13, 0x32a5705f, v14
	v_add_f32_e32 v13, v17, v13
	v_cvt_i32_f32_e32 v16, v16
	v_exp_f32_e32 v13, v13
	v_cmp_ngt_f32_e32 vcc, s87, v14
	v_ldexp_f32 v13, v13, v16
	s_nop 0
	v_cndmask_b32_e32 v13, 0, v13, vcc
	v_cmp_nlt_f32_e32 vcc, s97, v14
	s_nop 1
	v_cndmask_b32_e32 v30, v53, v13, vcc
	v_add_f32_e32 v13, 1.0, v30
	v_add_f32_e32 v14, -1.0, v13
	v_sub_f32_e32 v16, v14, v13
	v_add_f32_e32 v16, 1.0, v16
	v_sub_f32_e32 v14, v30, v14
	v_add_f32_e32 v14, v14, v16
	v_frexp_mant_f32_e32 v18, v13
	v_cvt_f64_f32_e32 v[16:17], v13
	v_frexp_exp_i32_f64_e32 v16, v[16:17]
	v_cmp_gt_f32_e32 vcc, s99, v18
	v_cmp_gt_f32_e64 s[26:27], s92, v30
	s_nop 0
	v_subbrev_co_u32_e32 v24, vcc, 0, v16, vcc
	v_sub_u32_e32 v16, 0, v24
	v_ldexp_f32 v13, v13, v16
	v_ldexp_f32 v14, v14, v16
	v_add_f32_e32 v16, -1.0, v13
	v_add_f32_e32 v17, 1.0, v16
	v_sub_f32_e32 v17, v13, v17
	v_add_f32_e32 v18, v14, v17
	v_add_f32_e32 v17, 1.0, v13
	v_add_f32_e32 v19, -1.0, v17
	v_sub_f32_e32 v13, v13, v19
	v_add_f32_e32 v13, v14, v13
	v_add_f32_e32 v14, v17, v13
	v_rcp_f32_e32 v25, v14
	v_sub_f32_e32 v17, v17, v14
	v_add_f32_e32 v13, v13, v17
	v_add_f32_e32 v17, v16, v18
	v_sub_f32_e32 v16, v16, v17
	v_mul_f32_e32 v27, v17, v25
	v_add_f32_e32 v26, v18, v16
	v_mul_f32_e32 v18, v14, v27
	v_fma_f32 v20, v27, v14, -v18
	v_fmac_f32_e32 v20, v27, v13
	v_add_f32_e32 v16, v18, v20
	v_sub_f32_e32 v19, v17, v16
	v_pk_add_f32 v[22:23], v[16:17], v[18:19] neg_lo:[0,1] neg_hi:[0,1]
	v_mov_b32_e32 v21, v16
	v_pk_add_f32 v[16:17], v[22:23], v[20:21] neg_lo:[0,1] neg_hi:[0,1]
	v_cmp_eq_f32_e32 vcc, s98, v30
	v_add_f32_e32 v17, v26, v17
	v_add_f32_e32 v16, v16, v17
	;; [unrolled: 1-line block ×3, first 2 shown]
	v_mul_f32_e32 v26, v25, v17
	v_mul_f32_e32 v18, v14, v26
	v_fma_f32 v20, v26, v14, -v18
	v_fmac_f32_e32 v20, v26, v13
	v_sub_f32_e32 v13, v19, v17
	v_add_f32_e32 v13, v16, v13
	v_add_f32_e32 v16, v18, v20
	v_sub_f32_e32 v19, v17, v16
	v_pk_add_f32 v[22:23], v[16:17], v[18:19] neg_lo:[0,1] neg_hi:[0,1]
	v_mov_b32_e32 v21, v16
	v_pk_add_f32 v[16:17], v[22:23], v[20:21] neg_lo:[0,1] neg_hi:[0,1]
	v_add_f32_e32 v14, v27, v26
	v_add_f32_e32 v13, v13, v17
	;; [unrolled: 1-line block ×4, first 2 shown]
	v_sub_f32_e32 v16, v14, v27
	v_mul_f32_e32 v13, v25, v13
	v_sub_f32_e32 v16, v26, v16
	v_add_f32_e32 v17, v16, v13
	v_add_f32_e32 v18, v14, v17
	v_cvt_f32_i32_e32 v16, v24
	v_mul_f32_e32 v20, v18, v18
	v_fmamk_f32 v13, v20, 0x3e9b6dac, v52
	v_sub_f32_e32 v14, v18, v14
	v_fmaak_f32 v13, v20, v13, 0x3f2aaada
	v_sub_f32_e32 v14, v17, v14
	v_mul_f32_e32 v17, v18, v20
	v_pk_mul_f32 v[20:21], v[16:17], v[12:13]
	v_ldexp_f32 v19, v18, 1
	v_fma_f32 v18, v16, s84, -v20
	v_fmac_f32_e32 v18, 0xb102e308, v16
	v_pk_add_f32 v[16:17], v[20:21], v[18:19]
	v_ldexp_f32 v14, v14, 1
	v_sub_f32_e32 v13, v17, v19
	v_sub_f32_e32 v13, v21, v13
	v_add_f32_e32 v23, v14, v13
	v_mov_b32_e32 v22, v20
	v_pk_add_f32 v[20:21], v[16:17], v[20:21] neg_lo:[0,1] neg_hi:[0,1]
	v_pk_add_f32 v[24:25], v[16:17], v[22:23]
	v_mov_b32_e32 v19, v16
	v_mov_b32_e32 v21, v25
	v_pk_add_f32 v[26:27], v[18:19], v[20:21] neg_lo:[0,1] neg_hi:[0,1]
	v_pk_add_f32 v[18:19], v[18:19], v[20:21]
	s_or_b64 vcc, s[26:27], vcc
	v_mov_b32_e32 v14, v19
	v_pk_add_f32 v[20:21], v[14:15], v[16:17] neg_lo:[0,1] neg_hi:[0,1]
	v_mov_b32_e32 v18, v25
	v_mov_b32_e32 v13, v20
	v_pk_add_f32 v[28:29], v[24:25], v[12:13] neg_lo:[0,1] neg_hi:[0,1]
	v_mov_b32_e32 v24, v17
	v_mov_b32_e32 v25, v20
	;; [unrolled: 1-line block ×3, first 2 shown]
	v_pk_add_f32 v[18:19], v[18:19], v[24:25] neg_lo:[0,1] neg_hi:[0,1]
	v_mov_b32_e32 v20, v23
	v_mov_b32_e32 v21, v16
	v_pk_add_f32 v[16:17], v[20:21], v[18:19] neg_lo:[0,1] neg_hi:[0,1]
	v_mov_b32_e32 v28, v26
	v_pk_add_f32 v[18:19], v[28:29], v[16:17]
	s_nop 0
	v_mov_b32_e32 v20, v19
	v_pk_add_f32 v[20:21], v[18:19], v[20:21]
	s_nop 0
	v_pk_add_f32 v[22:23], v[14:15], v[20:21]
	v_mov_b32_e32 v17, v20
	v_mov_b32_e32 v19, v22
	v_pk_add_f32 v[24:25], v[18:19], v[26:27] neg_lo:[0,1] neg_hi:[0,1]
	s_nop 0
	v_sub_f32_e32 v13, v18, v24
	v_pk_add_f32 v[16:17], v[16:17], v[24:25] neg_lo:[0,1] neg_hi:[0,1]
	v_sub_f32_e32 v13, v26, v13
	v_add_f32_e32 v13, v16, v13
	v_add_f32_e32 v13, v13, v17
	;; [unrolled: 1-line block ×3, first 2 shown]
	v_cndmask_b32_e32 v14, v13, v30, vcc
.LBB135_34:                             ;   in Loop: Header=BB135_12 Depth=1
	s_or_b64 exec, exec, s[28:29]
	v_mul_f32_e32 v16, s82, v6
	v_mul_f32_e32 v19, s82, v5
	v_mul_f32_e32 v18, s82, v4
	v_mul_f32_e32 v17, s82, v7
	s_and_b64 vcc, exec, s[66:67]
	s_waitcnt lgkmcnt(0)
	; wave barrier
	s_cbranch_vccz .LBB135_76
; %bb.35:                               ;   in Loop: Header=BB135_12 Depth=1
	s_cmp_lg_u32 s95, 0
	v_readlane_b32 s26, v66, 0
	s_cselect_b64 s[72:73], -1, 0
	s_cmp_eq_u32 s95, s26
	v_cmp_gt_u32_e32 vcc, s34, v11
	s_cselect_b64 s[74:75], -1, 0
	s_or_b64 s[26:27], s[68:69], vcc
	v_cmp_gt_u32_e32 vcc, s34, v10
	v_cmp_gt_u32_e64 s[28:29], s34, v9
	s_or_b64 s[30:31], s[68:69], vcc
	v_cmp_gt_u32_e32 vcc, s34, v51
	v_mul_f32_e32 v13, v7, v14
	v_lshl_add_u64 v[20:21], s[42:43], 0, v[2:3]
	v_lshl_add_u64 v[22:23], s[46:47], 0, v[2:3]
	v_mul_f32_e32 v58, v6, v15
	v_mul_f32_e32 v59, v5, v57
	;; [unrolled: 1-line block ×3, first 2 shown]
	s_or_b64 s[28:29], s[68:69], s[28:29]
	s_or_b64 s[34:35], s[68:69], vcc
	s_mov_b32 s60, s52
	s_mov_b32 s76, 0
	;; [unrolled: 1-line block ×6, first 2 shown]
	s_branch .LBB135_37
.LBB135_36:                             ;   in Loop: Header=BB135_37 Depth=2
	s_or_b64 exec, exec, s[36:37]
	v_mul_f32_e32 v24, v31, v30
	v_fma_f32 v25, v31, v33, v28
	v_cndmask_b32_e64 v28, v25, v28, s[16:17]
	v_cndmask_b32_e64 v24, v24, v31, s[16:17]
	s_waitcnt lgkmcnt(0)
	v_fmac_f32_e32 v28, v36, v24
	v_fmac_f32_e32 v29, v28, v27
	;; [unrolled: 1-line block ×4, first 2 shown]
	v_mov_b32_e32 v27, v32
	s_add_i32 s96, s96, 8
	s_add_i32 s71, s71, -1
	s_add_i32 s80, s80, s38
	s_add_i32 s78, s78, s48
	s_add_i32 s76, s76, s44
	s_add_i32 s60, s60, s41
	v_pk_fma_f32 v[18:19], v[6:7], v[28:29], v[18:19]
	s_cmp_eq_u32 s71, 0
	v_pk_fma_f32 v[16:17], v[4:5], v[26:27], v[16:17]
	s_cbranch_scc1 .LBB135_76
.LBB135_37:                             ;   Parent Loop BB135_12 Depth=1
                                        ; =>  This Inner Loop Header: Depth=2
	s_lshl_b64 s[36:37], s[60:61], 2
	s_add_u32 s36, s39, s36
	s_addc_u32 s37, s40, s37
	global_load_dword v28, v3, s[36:37]
	s_mov_b32 s53, s52
	s_mov_b32 s77, s61
	;; [unrolled: 1-line block ×4, first 2 shown]
	v_mov_b64_e32 v[4:5], s[52:53]
	v_lshl_add_u64 v[24:25], s[76:77], 2, v[20:21]
	v_mov_b64_e32 v[6:7], s[54:55]
	v_mov_b32_e32 v26, 0
	s_and_saveexec_b64 s[36:37], s[18:19]
	s_cbranch_execnz .LBB135_49
; %bb.38:                               ;   in Loop: Header=BB135_37 Depth=2
	s_or_b64 exec, exec, s[36:37]
	s_and_saveexec_b64 s[36:37], s[20:21]
	s_cbranch_execnz .LBB135_50
.LBB135_39:                             ;   in Loop: Header=BB135_37 Depth=2
	s_or_b64 exec, exec, s[36:37]
	s_and_saveexec_b64 s[36:37], s[22:23]
	s_cbranch_execnz .LBB135_51
.LBB135_40:                             ;   in Loop: Header=BB135_37 Depth=2
	s_or_b64 exec, exec, s[36:37]
	s_and_saveexec_b64 s[36:37], s[24:25]
	s_cbranch_execz .LBB135_42
.LBB135_41:                             ;   in Loop: Header=BB135_37 Depth=2
	global_load_dword v7, v[24:25], off offset:768
.LBB135_42:                             ;   in Loop: Header=BB135_37 Depth=2
	s_or_b64 exec, exec, s[36:37]
	s_waitcnt vmcnt(0)
	ds_write_b32 v41, v26
	ds_write_b32 v42, v5 offset:256
	ds_write_b32 v43, v6 offset:512
	;; [unrolled: 1-line block ×3, first 2 shown]
	; wave barrier
	ds_read2_b32 v[26:27], v45 offset1:1
	ds_read2_b32 v[32:33], v45 offset0:2 offset1:3
	s_mov_b32 s88, s61
	s_mov_b32 s89, s61
	s_mov_b32 s79, s61
	s_mov_b32 s90, s61
	s_mov_b32 s91, s61
	v_mov_b64_e32 v[4:5], s[88:89]
	v_lshl_add_u64 v[24:25], s[78:79], 2, v[22:23]
	v_mov_b64_e32 v[6:7], s[90:91]
	v_mov_b32_e32 v29, 0
	s_and_saveexec_b64 s[36:37], s[18:19]
	s_cbranch_execnz .LBB135_52
; %bb.43:                               ;   in Loop: Header=BB135_37 Depth=2
	s_or_b64 exec, exec, s[36:37]
	s_and_saveexec_b64 s[36:37], s[20:21]
	s_cbranch_execnz .LBB135_53
.LBB135_44:                             ;   in Loop: Header=BB135_37 Depth=2
	s_or_b64 exec, exec, s[36:37]
	s_and_saveexec_b64 s[36:37], s[22:23]
	s_cbranch_execnz .LBB135_54
.LBB135_45:                             ;   in Loop: Header=BB135_37 Depth=2
	s_or_b64 exec, exec, s[36:37]
	s_and_saveexec_b64 s[36:37], s[24:25]
	s_cbranch_execz .LBB135_47
.LBB135_46:                             ;   in Loop: Header=BB135_37 Depth=2
	global_load_dword v7, v[24:25], off offset:768
.LBB135_47:                             ;   in Loop: Header=BB135_37 Depth=2
	s_or_b64 exec, exec, s[36:37]
	v_add_u32_e32 v4, 0x420, v45
	s_waitcnt vmcnt(0)
	ds_write_b32 v41, v29 offset:1056
	ds_write_b32 v46, v5 offset:256
	;; [unrolled: 1-line block ×4, first 2 shown]
	; wave barrier
	ds_read2_b32 v[6:7], v4 offset1:1
	ds_read2_b32 v[4:5], v49 offset0:2 offset1:3
	s_andn2_b64 vcc, exec, s[72:73]
	s_cbranch_vccnz .LBB135_55
; %bb.48:                               ;   in Loop: Header=BB135_37 Depth=2
	v_mov_b32_e32 v24, s96
	ds_read_b64 v[24:25], v24
	s_cbranch_execz .LBB135_56
	s_branch .LBB135_59
.LBB135_49:                             ;   in Loop: Header=BB135_37 Depth=2
	global_load_dword v26, v[24:25], off
	v_mov_b32_e32 v4, v3
	v_mov_b32_e32 v5, v3
	v_mov_b64_e32 v[6:7], v[4:5]
	v_mov_b64_e32 v[4:5], v[2:3]
	s_or_b64 exec, exec, s[36:37]
	s_and_saveexec_b64 s[36:37], s[20:21]
	s_cbranch_execz .LBB135_39
.LBB135_50:                             ;   in Loop: Header=BB135_37 Depth=2
	global_load_dword v5, v[24:25], off offset:256
	s_or_b64 exec, exec, s[36:37]
	s_and_saveexec_b64 s[36:37], s[22:23]
	s_cbranch_execz .LBB135_40
.LBB135_51:                             ;   in Loop: Header=BB135_37 Depth=2
	global_load_dword v6, v[24:25], off offset:512
	s_or_b64 exec, exec, s[36:37]
	s_and_saveexec_b64 s[36:37], s[24:25]
	s_cbranch_execnz .LBB135_41
	s_branch .LBB135_42
.LBB135_52:                             ;   in Loop: Header=BB135_37 Depth=2
	global_load_dword v29, v[24:25], off
	v_mov_b32_e32 v4, v3
	v_mov_b32_e32 v5, v3
	v_mov_b64_e32 v[6:7], v[4:5]
	v_mov_b64_e32 v[4:5], v[2:3]
	s_or_b64 exec, exec, s[36:37]
	s_and_saveexec_b64 s[36:37], s[20:21]
	s_cbranch_execz .LBB135_44
.LBB135_53:                             ;   in Loop: Header=BB135_37 Depth=2
	global_load_dword v5, v[24:25], off offset:256
	s_or_b64 exec, exec, s[36:37]
	s_and_saveexec_b64 s[36:37], s[22:23]
	s_cbranch_execz .LBB135_45
.LBB135_54:                             ;   in Loop: Header=BB135_37 Depth=2
	global_load_dword v6, v[24:25], off offset:512
	s_or_b64 exec, exec, s[36:37]
	s_and_saveexec_b64 s[36:37], s[24:25]
	s_cbranch_execnz .LBB135_46
	s_branch .LBB135_47
.LBB135_55:                             ;   in Loop: Header=BB135_37 Depth=2
                                        ; implicit-def: $vgpr25
.LBB135_56:                             ;   in Loop: Header=BB135_37 Depth=2
	s_andn2_b64 vcc, exec, s[56:57]
	s_waitcnt lgkmcnt(0)
	v_mov_b32_e32 v25, 0
	s_cbranch_vccnz .LBB135_58
; %bb.57:                               ;   in Loop: Header=BB135_37 Depth=2
	s_mov_b32 s81, s61
	s_lshl_b64 s[36:37], s[80:81], 2
	s_add_u32 s36, s45, s36
	s_addc_u32 s37, s49, s37
	global_load_dword v25, v3, s[36:37]
.LBB135_58:                             ;   in Loop: Header=BB135_37 Depth=2
	v_mov_b32_e32 v24, 1.0
.LBB135_59:                             ;   in Loop: Header=BB135_37 Depth=2
	v_mul_f32_e32 v30, 0x3fb8aa3b, v28
	v_mul_f32_e32 v28, v30, v56
	v_cmp_gt_f32_e32 vcc, s94, v28
	s_waitcnt lgkmcnt(7)
	v_mul_f32_e32 v26, v26, v60
	v_mul_f32_e32 v27, v27, v59
	v_cndmask_b32_e32 v28, 0, v54, vcc
	v_fmac_f32_e32 v28, v30, v56
	v_exp_f32_e32 v28, v28
	v_cndmask_b32_e32 v29, 1.0, v55, vcc
	v_mul_f32_e32 v29, v28, v29
	v_mul_f32_e32 v28, v30, v57
	v_cmp_gt_f32_e32 vcc, s94, v28
	v_cndmask_b32_e64 v31, 1.0, v29, s[26:27]
	v_cndmask_b32_e64 v29, 0, v27, s[28:29]
	v_cndmask_b32_e32 v28, 0, v54, vcc
	v_fmac_f32_e32 v28, v30, v57
	v_exp_f32_e32 v34, v28
	v_cndmask_b32_e64 v28, 0, v26, s[26:27]
	v_cndmask_b32_e32 v26, 1.0, v55, vcc
	v_mul_f32_e32 v26, v34, v26
	v_pk_mul_f32 v[34:35], v[30:31], v[14:15] op_sel_hi:[0,1]
	s_waitcnt lgkmcnt(6)
	v_mul_f32_e32 v30, v32, v58
	v_cmp_gt_f32_e32 vcc, s94, v34
	v_cndmask_b32_e64 v27, 1.0, v26, s[28:29]
	v_cndmask_b32_e64 v26, 0, v30, s[30:31]
	v_cndmask_b32_e32 v30, 0, v54, vcc
	v_cmp_gt_f32_e64 s[36:37], s94, v35
	v_add_f32_e32 v30, v34, v30
	v_exp_f32_e32 v30, v30
	v_cndmask_b32_e64 v32, 0, v54, s[36:37]
	v_add_f32_e32 v32, v35, v32
	v_exp_f32_e32 v32, v32
	v_cndmask_b32_e32 v34, 1.0, v55, vcc
	v_mul_f32_e32 v30, v30, v34
	v_cndmask_b32_e64 v34, 1.0, v55, s[36:37]
	v_mul_f32_e32 v34, v32, v34
	v_cndmask_b32_e64 v35, 1.0, v34, s[30:31]
	v_cndmask_b32_e64 v34, 1.0, v30, s[34:35]
	v_fma_f32 v30, v27, v28, v29
	v_mul_f32_e32 v30, v30, v35
	v_pk_add_f32 v[36:37], v[30:31], v[26:27]
	v_pk_mul_f32 v[62:63], v[30:31], v[26:27]
	v_mul_f32_e32 v32, v33, v13
	v_mov_b32_e32 v37, v63
	v_cndmask_b32_e64 v32, 0, v32, s[34:35]
	v_pk_mul_f32 v[62:63], v[36:37], v[34:35]
	v_mov_b32_e32 v33, v34
	v_pk_fma_f32 v[64:65], v[36:37], v[34:35], v[32:33]
	v_pk_mul_f32 v[62:63], v[62:63], v[32:33]
	s_nop 0
	v_mov_b32_dpp v33, v64 row_shr:1 row_mask:0xf bank_mask:0xf
	v_mov_b32_dpp v30, v63 row_shr:1 row_mask:0xf bank_mask:0xf
	v_mul_f32_e32 v61, v63, v30
	v_fma_f32 v30, v63, v33, v64
	v_cndmask_b32_e64 v37, v30, v64, s[0:1]
	v_cndmask_b32_e64 v30, v30, v64, s[0:1]
	;; [unrolled: 1-line block ×4, first 2 shown]
	v_mov_b32_dpp v62, v30 row_shr:2 row_mask:0xf bank_mask:0xf
	v_mov_b32_dpp v61, v33 row_shr:2 row_mask:0xf bank_mask:0xf
	s_and_saveexec_b64 s[36:37], s[2:3]
; %bb.60:                               ;   in Loop: Header=BB135_37 Depth=2
	v_fmac_f32_e32 v30, v33, v62
	v_mul_f32_e32 v33, v33, v61
	v_mov_b32_e32 v36, v33
	v_mov_b32_e32 v37, v30
; %bb.61:                               ;   in Loop: Header=BB135_37 Depth=2
	s_or_b64 exec, exec, s[36:37]
	v_mov_b32_dpp v61, v33 row_shr:4 row_mask:0xf bank_mask:0xf
	v_mov_b32_dpp v62, v30 row_shr:4 row_mask:0xf bank_mask:0xf
	s_and_saveexec_b64 s[36:37], s[4:5]
; %bb.62:                               ;   in Loop: Header=BB135_37 Depth=2
	v_fmac_f32_e32 v30, v33, v62
	v_mul_f32_e32 v33, v33, v61
	v_mov_b32_e32 v36, v33
	v_mov_b32_e32 v37, v30
; %bb.63:                               ;   in Loop: Header=BB135_37 Depth=2
	s_or_b64 exec, exec, s[36:37]
	;; [unrolled: 10-line block ×3, first 2 shown]
	v_mov_b32_dpp v61, v33 row_bcast:15 row_mask:0xf bank_mask:0xf
	v_mov_b32_dpp v62, v30 row_bcast:15 row_mask:0xf bank_mask:0xf
	s_and_saveexec_b64 s[36:37], s[8:9]
; %bb.66:                               ;   in Loop: Header=BB135_37 Depth=2
	v_fmac_f32_e32 v30, v33, v62
	v_mul_f32_e32 v33, v33, v61
	v_mov_b32_e32 v36, v33
	v_mov_b32_e32 v37, v30
; %bb.67:                               ;   in Loop: Header=BB135_37 Depth=2
	s_or_b64 exec, exec, s[36:37]
	v_mov_b32_dpp v61, v33 row_bcast:31 row_mask:0xf bank_mask:0xf
	v_mov_b32_dpp v62, v30 row_bcast:31 row_mask:0xf bank_mask:0xf
	v_mul_f32_e32 v61, v33, v61
	v_fmac_f32_e32 v30, v33, v62
	v_cndmask_b32_e64 v36, v36, v61, s[10:11]
	v_cndmask_b32_e64 v37, v37, v30, s[10:11]
	s_and_saveexec_b64 s[36:37], s[12:13]
	s_cbranch_execz .LBB135_69
; %bb.68:                               ;   in Loop: Header=BB135_37 Depth=2
	ds_write_b64 v3, v[36:37] offset:2112
.LBB135_69:                             ;   in Loop: Header=BB135_37 Depth=2
	s_or_b64 exec, exec, s[36:37]
	ds_bpermute_b32 v30, v50, v36
	ds_bpermute_b32 v33, v50, v37
	s_waitcnt vmcnt(0) lgkmcnt(2)
	v_mov_b32_e32 v37, v25
	s_waitcnt lgkmcnt(0)
	; wave barrier
	s_waitcnt lgkmcnt(0)
	s_and_saveexec_b64 s[36:37], s[14:15]
	s_cbranch_execz .LBB135_73
; %bb.70:                               ;   in Loop: Header=BB135_37 Depth=2
	ds_read_b64 v[36:37], v3 offset:2112
	s_and_saveexec_b64 s[54:55], s[16:17]
	s_cbranch_execz .LBB135_72
; %bb.71:                               ;   in Loop: Header=BB135_37 Depth=2
	ds_write_b64 v3, v[24:25] offset:2112
.LBB135_72:                             ;   in Loop: Header=BB135_37 Depth=2
	s_or_b64 exec, exec, s[54:55]
	s_waitcnt lgkmcnt(0)
	v_fmac_f32_e32 v37, v25, v36
	v_mul_f32_e32 v24, v24, v36
	v_mov_b32_e32 v25, v37
.LBB135_73:                             ;   in Loop: Header=BB135_37 Depth=2
	s_or_b64 exec, exec, s[36:37]
	s_waitcnt lgkmcnt(0)
	; wave barrier
	ds_read_b32 v36, v3 offset:2116
	s_and_saveexec_b64 s[36:37], s[16:17]
	s_cbranch_execz .LBB135_36
; %bb.74:                               ;   in Loop: Header=BB135_37 Depth=2
	v_mov_b32_e32 v61, s96
	s_andn2_b64 vcc, exec, s[74:75]
	ds_write_b64 v61, v[24:25]
	s_cbranch_vccnz .LBB135_36
; %bb.75:                               ;   in Loop: Header=BB135_37 Depth=2
	s_mov_b32 s81, s61
	s_lshl_b64 s[54:55], s[80:81], 2
	s_add_u32 s54, s45, s54
	s_addc_u32 s55, s49, s55
	global_store_dword v3, v37, s[54:55]
	s_branch .LBB135_36
.LBB135_76:                             ;   in Loop: Header=BB135_12 Depth=1
	s_waitcnt lgkmcnt(0)
	; wave barrier
	ds_write2_b32 v45, v18, v19 offset1:1
	ds_write2_b32 v45, v16, v17 offset0:2 offset1:3
	; wave barrier
	ds_read_b32 v13, v42 offset:256
	ds_read_b32 v7, v43 offset:512
	;; [unrolled: 1-line block ×3, first 2 shown]
	s_mov_b32 s71, s61
	v_lshl_add_u64 v[4:5], s[70:71], 2, v[0:1]
	s_and_saveexec_b64 s[26:27], s[18:19]
	s_cbranch_execnz .LBB135_82
; %bb.77:                               ;   in Loop: Header=BB135_12 Depth=1
	s_or_b64 exec, exec, s[26:27]
	s_and_saveexec_b64 s[18:19], s[20:21]
	s_cbranch_execnz .LBB135_83
.LBB135_78:                             ;   in Loop: Header=BB135_12 Depth=1
	s_or_b64 exec, exec, s[18:19]
	s_and_saveexec_b64 s[18:19], s[22:23]
	s_cbranch_execnz .LBB135_84
.LBB135_79:                             ;   in Loop: Header=BB135_12 Depth=1
	s_or_b64 exec, exec, s[18:19]
	s_and_saveexec_b64 s[18:19], s[24:25]
	s_cbranch_execz .LBB135_11
	s_branch .LBB135_85
.LBB135_80:                             ;   in Loop: Header=BB135_12 Depth=1
	global_load_dword v17, v[14:15], off offset:256
	s_or_b64 exec, exec, s[26:27]
	s_and_saveexec_b64 s[26:27], s[22:23]
	s_cbranch_execz .LBB135_24
.LBB135_81:                             ;   in Loop: Header=BB135_12 Depth=1
	global_load_dword v16, v[14:15], off offset:512
	s_or_b64 exec, exec, s[26:27]
	v_mov_b32_e32 v18, 0
	s_and_saveexec_b64 s[26:27], s[24:25]
	s_cbranch_execnz .LBB135_25
	s_branch .LBB135_26
.LBB135_82:                             ;   in Loop: Header=BB135_12 Depth=1
	ds_read_b32 v14, v41
	s_waitcnt lgkmcnt(0)
	global_store_dword v[4:5], v14, off
	s_or_b64 exec, exec, s[26:27]
	s_and_saveexec_b64 s[18:19], s[20:21]
	s_cbranch_execz .LBB135_78
.LBB135_83:                             ;   in Loop: Header=BB135_12 Depth=1
	s_waitcnt lgkmcnt(2)
	global_store_dword v[4:5], v13, off offset:256
	s_or_b64 exec, exec, s[18:19]
	s_and_saveexec_b64 s[18:19], s[22:23]
	s_cbranch_execz .LBB135_79
.LBB135_84:                             ;   in Loop: Header=BB135_12 Depth=1
	s_waitcnt lgkmcnt(1)
	global_store_dword v[4:5], v7, off offset:512
	s_or_b64 exec, exec, s[18:19]
	s_and_saveexec_b64 s[18:19], s[24:25]
	s_cbranch_execz .LBB135_11
.LBB135_85:                             ;   in Loop: Header=BB135_12 Depth=1
	s_waitcnt lgkmcnt(0)
	global_store_dword v[4:5], v6, off offset:768
	s_branch .LBB135_11
.LBB135_86:
	s_endpgm
	.section	.rodata,"a",@progbits
	.p2align	6, 0x0
	.amdhsa_kernel _Z25selective_scan_fwd_kernelI32Selective_Scan_fwd_kernel_traitsILi64ELi4ELi1ELb0ELb1ELb1ELb0ELb0EfffEEv13SSMParamsBase
		.amdhsa_group_segment_fixed_size 0
		.amdhsa_private_segment_fixed_size 0
		.amdhsa_kernarg_size 248
		.amdhsa_user_sgpr_count 2
		.amdhsa_user_sgpr_dispatch_ptr 0
		.amdhsa_user_sgpr_queue_ptr 0
		.amdhsa_user_sgpr_kernarg_segment_ptr 1
		.amdhsa_user_sgpr_dispatch_id 0
		.amdhsa_user_sgpr_kernarg_preload_length 0
		.amdhsa_user_sgpr_kernarg_preload_offset 0
		.amdhsa_user_sgpr_private_segment_size 0
		.amdhsa_uses_dynamic_stack 0
		.amdhsa_enable_private_segment 0
		.amdhsa_system_sgpr_workgroup_id_x 1
		.amdhsa_system_sgpr_workgroup_id_y 1
		.amdhsa_system_sgpr_workgroup_id_z 0
		.amdhsa_system_sgpr_workgroup_info 0
		.amdhsa_system_vgpr_workitem_id 0
		.amdhsa_next_free_vgpr 67
		.amdhsa_next_free_sgpr 100
		.amdhsa_accum_offset 68
		.amdhsa_reserve_vcc 1
		.amdhsa_float_round_mode_32 0
		.amdhsa_float_round_mode_16_64 0
		.amdhsa_float_denorm_mode_32 3
		.amdhsa_float_denorm_mode_16_64 3
		.amdhsa_dx10_clamp 1
		.amdhsa_ieee_mode 1
		.amdhsa_fp16_overflow 0
		.amdhsa_tg_split 0
		.amdhsa_exception_fp_ieee_invalid_op 0
		.amdhsa_exception_fp_denorm_src 0
		.amdhsa_exception_fp_ieee_div_zero 0
		.amdhsa_exception_fp_ieee_overflow 0
		.amdhsa_exception_fp_ieee_underflow 0
		.amdhsa_exception_fp_ieee_inexact 0
		.amdhsa_exception_int_div_zero 0
	.end_amdhsa_kernel
	.section	.text._Z25selective_scan_fwd_kernelI32Selective_Scan_fwd_kernel_traitsILi64ELi4ELi1ELb0ELb1ELb1ELb0ELb0EfffEEv13SSMParamsBase,"axG",@progbits,_Z25selective_scan_fwd_kernelI32Selective_Scan_fwd_kernel_traitsILi64ELi4ELi1ELb0ELb1ELb1ELb0ELb0EfffEEv13SSMParamsBase,comdat
.Lfunc_end135:
	.size	_Z25selective_scan_fwd_kernelI32Selective_Scan_fwd_kernel_traitsILi64ELi4ELi1ELb0ELb1ELb1ELb0ELb0EfffEEv13SSMParamsBase, .Lfunc_end135-_Z25selective_scan_fwd_kernelI32Selective_Scan_fwd_kernel_traitsILi64ELi4ELi1ELb0ELb1ELb1ELb0ELb0EfffEEv13SSMParamsBase
                                        ; -- End function
	.section	.AMDGPU.csdata,"",@progbits
; Kernel info:
; codeLenInByte = 6112
; NumSgprs: 106
; NumVgprs: 67
; NumAgprs: 0
; TotalNumVgprs: 67
; ScratchSize: 0
; MemoryBound: 0
; FloatMode: 240
; IeeeMode: 1
; LDSByteSize: 0 bytes/workgroup (compile time only)
; SGPRBlocks: 13
; VGPRBlocks: 8
; NumSGPRsForWavesPerEU: 106
; NumVGPRsForWavesPerEU: 67
; AccumOffset: 68
; Occupancy: 7
; WaveLimiterHint : 0
; COMPUTE_PGM_RSRC2:SCRATCH_EN: 0
; COMPUTE_PGM_RSRC2:USER_SGPR: 2
; COMPUTE_PGM_RSRC2:TRAP_HANDLER: 0
; COMPUTE_PGM_RSRC2:TGID_X_EN: 1
; COMPUTE_PGM_RSRC2:TGID_Y_EN: 1
; COMPUTE_PGM_RSRC2:TGID_Z_EN: 0
; COMPUTE_PGM_RSRC2:TIDIG_COMP_CNT: 0
; COMPUTE_PGM_RSRC3_GFX90A:ACCUM_OFFSET: 16
; COMPUTE_PGM_RSRC3_GFX90A:TG_SPLIT: 0
	.section	.text._Z25selective_scan_fwd_kernelI32Selective_Scan_fwd_kernel_traitsILi64ELi8ELi1ELb1ELb1ELb1ELb1ELb1EfffEEv13SSMParamsBase,"axG",@progbits,_Z25selective_scan_fwd_kernelI32Selective_Scan_fwd_kernel_traitsILi64ELi8ELi1ELb1ELb1ELb1ELb1ELb1EfffEEv13SSMParamsBase,comdat
	.protected	_Z25selective_scan_fwd_kernelI32Selective_Scan_fwd_kernel_traitsILi64ELi8ELi1ELb1ELb1ELb1ELb1ELb1EfffEEv13SSMParamsBase ; -- Begin function _Z25selective_scan_fwd_kernelI32Selective_Scan_fwd_kernel_traitsILi64ELi8ELi1ELb1ELb1ELb1ELb1ELb1EfffEEv13SSMParamsBase
	.globl	_Z25selective_scan_fwd_kernelI32Selective_Scan_fwd_kernel_traitsILi64ELi8ELi1ELb1ELb1ELb1ELb1ELb1EfffEEv13SSMParamsBase
	.p2align	8
	.type	_Z25selective_scan_fwd_kernelI32Selective_Scan_fwd_kernel_traitsILi64ELi8ELi1ELb1ELb1ELb1ELb1ELb1EfffEEv13SSMParamsBase,@function
_Z25selective_scan_fwd_kernelI32Selective_Scan_fwd_kernel_traitsILi64ELi8ELi1ELb1ELb1ELb1ELb1ELb1EfffEEv13SSMParamsBase: ; @_Z25selective_scan_fwd_kernelI32Selective_Scan_fwd_kernel_traitsILi64ELi8ELi1ELb1ELb1ELb1ELb1ELb1EfffEEv13SSMParamsBase
; %bb.0:
	s_load_dword s37, s[0:1], 0x18
	s_load_dwordx4 s[4:7], s[0:1], 0xe8
	s_load_dwordx8 s[20:27], s[0:1], 0xc8
	s_mov_b32 s34, s3
	s_ashr_i32 s3, s2, 31
	s_lshl_b64 s[8:9], s[2:3], 2
	s_waitcnt lgkmcnt(0)
	s_abs_i32 s36, s37
	v_cvt_f32_u32_e32 v1, s36
	s_add_u32 s28, s26, s8
	s_addc_u32 s29, s27, s9
	s_cmp_eq_u64 s[6:7], 0
	v_rcp_iflag_f32_e32 v1, v1
                                        ; implicit-def: $vgpr95 : SGPR spill to VGPR lane
	s_nop 0
	v_mul_f32_e32 v1, 0x4f7ffffe, v1
	v_cvt_u32_f32_e32 v1, v1
	s_nop 0
	v_readfirstlane_b32 s38, v1
	s_cbranch_scc1 .LBB136_2
; %bb.1:
	s_add_u32 s6, s6, s2
	s_addc_u32 s7, s7, s3
	v_mov_b32_e32 v1, 0
	global_load_ubyte v1, v1, s[6:7]
	s_waitcnt vmcnt(0)
	v_and_b32_e32 v1, 1, v1
	v_cmp_eq_u32_e64 s[6:7], 1, v1
	s_branch .LBB136_3
.LBB136_2:
	s_mov_b64 s[6:7], 0
.LBB136_3:
	s_nop 0
	v_writelane_b32 v95, s6, 0
	s_cmp_eq_u64 s[4:5], 0
	s_nop 0
	v_writelane_b32 v95, s7, 1
	s_load_dwordx2 s[6:7], s[0:1], 0x20
	s_cbranch_scc1 .LBB136_5
; %bb.4:
	s_add_u32 s2, s4, s8
	s_addc_u32 s3, s5, s9
	s_load_dword s2, s[2:3], 0x0
	s_waitcnt lgkmcnt(0)
	s_ashr_i32 s3, s2, 31
.LBB136_5:
	s_waitcnt lgkmcnt(0)
	s_cmp_eq_u64 s[6:7], s[2:3]
	s_cbranch_scc1 .LBB136_170
; %bb.6:
	s_load_dwordx16 s[4:19], s[0:1], 0x88
	s_load_dwordx2 s[26:27], s[28:29], 0x0
	s_mov_b32 s3, 0
	s_mov_b32 s40, 0
	v_writelane_b32 v95, s3, 2
	s_waitcnt lgkmcnt(0)
	s_cmp_eq_u64 s[10:11], 0
	s_cbranch_scc1 .LBB136_8
; %bb.7:
	s_ashr_i32 s35, s34, 31
	s_lshl_b64 s[28:29], s[34:35], 2
	s_add_u32 s10, s10, s28
	s_addc_u32 s11, s11, s29
	s_load_dword s3, s[10:11], 0x0
	s_waitcnt lgkmcnt(0)
	v_writelane_b32 v95, s3, 2
.LBB136_8:
	s_cmp_eq_u64 s[16:17], 0
	s_cbranch_scc1 .LBB136_10
; %bb.9:
	s_ashr_i32 s35, s34, 31
	s_lshl_b64 s[10:11], s[34:35], 2
	s_add_u32 s10, s16, s10
	s_addc_u32 s11, s17, s11
	s_load_dword s40, s[10:11], 0x0
.LBB136_10:
	s_sub_i32 s41, s27, s26
	s_cmp_lt_i32 s41, 1
	s_cbranch_scc1 .LBB136_170
; %bb.11:
	s_sub_i32 s3, 0, s36
	s_mul_i32 s3, s3, s38
	s_mul_hi_u32 s3, s38, s3
	s_abs_i32 s16, s34
	s_add_i32 s38, s38, s3
	s_mul_hi_u32 s3, s16, s38
	s_ashr_i32 s17, s34, 31
	s_ashr_i32 s27, s37, 31
	s_xor_b32 s17, s17, s27
	s_mul_i32 s27, s3, s36
	s_sub_i32 s16, s16, s27
	s_add_i32 s27, s3, 1
	s_sub_i32 s33, s16, s36
	s_load_dwordx8 s[52:59], s[0:1], 0x2c
	s_load_dwordx2 s[10:11], s[0:1], 0x7c
	s_load_dwordx4 s[28:31], s[0:1], 0x6c
	s_load_dwordx8 s[44:51], s[0:1], 0x4c
	s_cmp_ge_u32 s16, s36
	s_cselect_b32 s3, s27, s3
	s_cselect_b32 s16, s33, s16
	s_add_i32 s27, s3, 1
	s_cmp_ge_u32 s16, s36
	s_cselect_b32 s3, s27, s3
	s_xor_b32 s3, s3, s17
	s_waitcnt lgkmcnt(0)
	s_mul_i32 s80, s26, s46
	s_mov_b32 s81, 0
	s_sub_i32 s3, s3, s17
	s_lshl_b64 s[16:17], s[80:81], 2
	s_add_u32 s16, s12, s16
	s_mul_i32 s80, s47, s34
	s_addc_u32 s17, s13, s17
	s_lshl_b64 s[12:13], s[80:81], 2
	s_add_u32 s62, s16, s12
	s_mul_i32 s80, s26, s48
	s_addc_u32 s63, s17, s13
	;; [unrolled: 4-line block ×9, first 2 shown]
	s_lshl_b64 s[2:3], s[80:81], 2
	s_load_dword s7, s[0:1], 0xc
	s_load_dword s4, s[0:1], 0x28
	s_add_u32 s5, s20, s2
	s_mul_i32 s80, s11, s34
	s_addc_u32 s6, s21, s3
	s_lshl_b64 s[2:3], s[80:81], 2
	s_add_u32 s33, s5, s2
	s_addc_u32 s99, s6, s3
	s_add_i32 s2, s41, 0x7ff
	s_lshr_b32 s3, s2, 11
	s_waitcnt lgkmcnt(0)
	s_bitcmp1_b32 s4, 0
	s_cselect_b64 s[4:5], -1, 0
	v_writelane_b32 v95, s4, 3
	s_cmp_gt_i32 s7, 0
	s_mul_i32 s80, s26, s28
	v_writelane_b32 v95, s5, 4
	v_writelane_b32 v95, s7, 5
	s_cselect_b64 s[4:5], -1, 0
	v_writelane_b32 v95, s4, 6
	s_and_b32 s2, s41, 0x1ff
	v_mbcnt_lo_u32_b32 v1, -1, 0
	v_writelane_b32 v95, s5, 7
	s_add_i32 s4, 0, 0x840
	s_cmp_eq_u32 s2, 0
	s_cselect_b64 s[6:7], -1, 0
	v_writelane_b32 v95, s6, 8
	s_add_i32 s2, s3, -1
	v_mbcnt_hi_u32_b32 v12, -1, v1
	v_writelane_b32 v95, s7, 9
	v_writelane_b32 v95, s3, 10
	v_writelane_b32 v95, s2, 11
	s_lshl_b64 s[2:3], s[80:81], 2
	s_add_u32 s2, s18, s2
	v_lshrrev_b32_e32 v1, 5, v12
	s_mul_i32 s80, s29, s34
	s_addc_u32 s3, s19, s3
	s_load_dword s96, s[0:1], 0x84
	v_add_u32_e32 v2, 64, v12
	v_or_b32_e32 v4, 0x80, v12
	v_add_u32_e32 v5, 0xc0, v12
	v_or_b32_e32 v47, 0x100, v12
	;; [unrolled: 2-line block ×3, first 2 shown]
	v_add_u32_e32 v50, 0x1c0, v12
	v_add_u32_e32 v1, v1, v12
	s_lshl_b64 s[0:1], s[80:81], 2
	v_lshl_add_u32 v51, v1, 2, 0
	v_lshrrev_b32_e32 v1, 5, v2
	v_lshrrev_b32_e32 v2, 5, v4
	;; [unrolled: 1-line block ×7, first 2 shown]
	v_lshlrev_b32_e32 v9, 3, v12
	v_bfe_u32 v10, v12, 2, 27
	s_add_u32 s0, s2, s0
	s_mul_i32 s80, s26, s50
	v_add_lshl_u32 v1, v1, v12, 2
	v_add_lshl_u32 v2, v2, v12, 2
	;; [unrolled: 1-line block ×8, first 2 shown]
	s_addc_u32 s1, s3, s1
	s_lshl_b64 s[2:3], s[80:81], 2
	v_add_u32_e32 v52, 0, v1
	v_add_u32_e32 v60, s4, v1
	;; [unrolled: 1-line block ×9, first 2 shown]
	v_and_b32_e32 v1, 15, v12
	s_add_u32 s4, s22, s2
	v_writelane_b32 v95, s44, 12
	s_mul_i32 s80, s51, s34
	v_cmp_ne_u32_e64 s[78:79], 0, v1
	v_cmp_lt_u32_e64 s[60:61], 1, v1
	v_cmp_lt_u32_e64 s[54:55], 3, v1
	s_addc_u32 s5, s23, s3
	s_lshl_b64 s[2:3], s[80:81], 2
	v_cmp_lt_u32_e64 s[58:59], 7, v1
	v_and_b32_e32 v1, 16, v12
	v_add_u32_e32 v53, 0, v2
	v_writelane_b32 v95, s45, 13
	s_add_u32 s2, s4, s2
	s_mul_i32 s80, s26, s30
	v_cmp_ne_u32_e64 s[8:9], 0, v1
	v_add_u32_e32 v1, -1, v12
	v_and_b32_e32 v2, 64, v12
	v_writelane_b32 v95, s46, 14
	s_addc_u32 s3, s5, s3
	s_lshl_b64 s[4:5], s[80:81], 2
	v_cmp_lt_i32_e32 vcc, v1, v2
	v_mov_b32_e32 v3, 0
	v_lshlrev_b32_e32 v11, 3, v0
	v_writelane_b32 v95, s47, 15
	s_add_u32 s4, s24, s4
	v_cndmask_b32_e32 v1, v1, v12, vcc
	v_lshlrev_b32_e32 v2, 2, v12
	s_mul_i32 s80, s31, s34
	v_writelane_b32 v95, s48, 16
	s_addc_u32 s5, s25, s5
	v_lshlrev_b32_e32 v68, 2, v1
	v_lshl_add_u64 v[14:15], s[0:1], 0, v[2:3]
	s_lshl_b64 s[0:1], s[80:81], 2
	v_or_b32_e32 v1, 1, v11
	v_writelane_b32 v95, s49, 17
	s_add_u32 s0, s4, s0
	scratch_store_dword off, v1, off offset:4 ; 4-byte Folded Spill
	v_or_b32_e32 v1, 2, v11
	v_writelane_b32 v95, s50, 18
	s_addc_u32 s1, s5, s1
	scratch_store_dword off, v1, off offset:8 ; 4-byte Folded Spill
	v_or_b32_e32 v1, 3, v11
	v_writelane_b32 v95, s51, 19
	v_lshl_add_u64 v[18:19], s[0:1], 0, v[2:3]
	scratch_store_dword off, v1, off offset:12 ; 4-byte Folded Spill
	v_or_b32_e32 v1, 4, v11
	s_add_i32 s0, 0, 0x1088
	scratch_store_dword off, v1, off offset:16 ; 4-byte Folded Spill
	v_or_b32_e32 v1, 5, v11
	v_writelane_b32 v95, s0, 20
	scratch_store_dword off, v1, off offset:20 ; 4-byte Folded Spill
	v_or_b32_e32 v1, 6, v11
	v_writelane_b32 v95, s41, 21
	v_add_u32_e32 v54, 0, v4
	v_add_u32_e32 v55, 0, v5
	;; [unrolled: 1-line block ×6, first 2 shown]
	v_cmp_lt_u32_e64 s[10:11], 31, v12
	v_cmp_eq_u32_e64 s[12:13], 63, v0
	v_cmp_gt_u32_e64 s[14:15], 64, v0
	v_lshl_add_u64 v[16:17], s[2:3], 0, v[2:3]
	scratch_store_dword off, v1, off offset:24 ; 4-byte Folded Spill
	scratch_store_dword off, v11, off       ; 4-byte Folded Spill
	v_or_b32_e32 v1, 7, v11
	v_lshlrev_b32_e32 v2, 2, v12
	v_mov_b32_e32 v76, 0x3ecc95a3
	s_mov_b32 s97, 0xc2fc0000
	v_mov_b32_e32 v77, 0x7f800000
	v_mov_b32_e32 v20, 0x3f317218
	;; [unrolled: 1-line block ×4, first 2 shown]
	s_mov_b32 s66, 0
	v_cmp_eq_u32_e64 s[16:17], 0, v0
	v_writelane_b32 v95, s40, 22
	scratch_store_dword off, v1, off offset:28 ; 4-byte Folded Spill
                                        ; implicit-def: $vgpr1
	s_branch .LBB136_13
.LBB136_12:                             ;   in Loop: Header=BB136_13 Depth=1
	s_or_b64 exec, exec, s[18:19]
	s_add_u32 s64, s64, 0x800
	s_addc_u32 s65, s65, 0
	s_add_u32 s62, s62, 0x800
	s_addc_u32 s63, s63, 0
	s_add_u32 s42, s42, 0x800
	s_addc_u32 s43, s43, 0
	s_add_u32 s46, s46, 0x800
	s_addc_u32 s47, s47, 0
	s_add_i32 s66, s66, 1
	v_readlane_b32 s0, v95, 10
	s_cmp_lg_u32 s66, s0
	s_cbranch_scc0 .LBB136_170
.LBB136_13:                             ; =>This Loop Header: Depth=1
                                        ;     Child Loop BB136_62 Depth 2
	s_lshl_b32 s2, s66, 9
	s_mov_b32 s0, s2
	v_writelane_b32 v95, s0, 23
	s_sub_i32 s50, s41, s2
	v_lshl_add_u64 v[0:1], s[62:63], 0, v[2:3]
	v_writelane_b32 v95, s1, 24
	v_cmp_gt_u32_e64 s[18:19], s50, v12
	s_waitcnt lgkmcnt(0)
	v_mov_b32_e32 v4, v3
	s_waitcnt lgkmcnt(0)
	; wave barrier
	s_waitcnt lgkmcnt(0)
	s_and_saveexec_b64 s[20:21], s[18:19]
	s_cbranch_execz .LBB136_15
; %bb.14:                               ;   in Loop: Header=BB136_13 Depth=1
	global_load_dword v4, v[0:1], off
.LBB136_15:                             ;   in Loop: Header=BB136_13 Depth=1
	s_or_b64 exec, exec, s[20:21]
	v_add_u32_e32 v5, 64, v12
	v_cmp_gt_u32_e64 s[20:21], s50, v5
	v_mov_b32_e32 v5, 0
	v_mov_b32_e32 v6, 0
	s_and_saveexec_b64 s[22:23], s[20:21]
	s_cbranch_execz .LBB136_17
; %bb.16:                               ;   in Loop: Header=BB136_13 Depth=1
	global_load_dword v6, v[0:1], off offset:256
.LBB136_17:                             ;   in Loop: Header=BB136_13 Depth=1
	s_or_b64 exec, exec, s[22:23]
	v_or_b32_e32 v7, 0x80, v12
	v_cmp_gt_u32_e64 s[22:23], s50, v7
	s_and_saveexec_b64 s[24:25], s[22:23]
	s_cbranch_execz .LBB136_19
; %bb.18:                               ;   in Loop: Header=BB136_13 Depth=1
	global_load_dword v5, v[0:1], off offset:512
.LBB136_19:                             ;   in Loop: Header=BB136_13 Depth=1
	s_or_b64 exec, exec, s[24:25]
	v_add_u32_e32 v7, 0xc0, v12
	v_cmp_gt_u32_e64 s[24:25], s50, v7
	v_mov_b32_e32 v7, 0
	v_mov_b32_e32 v8, 0
	s_and_saveexec_b64 s[26:27], s[24:25]
	s_cbranch_execz .LBB136_21
; %bb.20:                               ;   in Loop: Header=BB136_13 Depth=1
	global_load_dword v8, v[0:1], off offset:768
.LBB136_21:                             ;   in Loop: Header=BB136_13 Depth=1
	s_or_b64 exec, exec, s[26:27]
	v_cmp_gt_u32_e64 s[26:27], s50, v47
	s_and_saveexec_b64 s[28:29], s[26:27]
	s_cbranch_execz .LBB136_23
; %bb.22:                               ;   in Loop: Header=BB136_13 Depth=1
	global_load_dword v7, v[0:1], off offset:1024
.LBB136_23:                             ;   in Loop: Header=BB136_13 Depth=1
	s_or_b64 exec, exec, s[28:29]
	v_cmp_gt_u32_e64 s[28:29], s50, v48
	v_mov_b32_e32 v9, 0
	v_mov_b32_e32 v10, 0
	s_and_saveexec_b64 s[30:31], s[28:29]
	s_cbranch_execz .LBB136_25
; %bb.24:                               ;   in Loop: Header=BB136_13 Depth=1
	global_load_dword v10, v[0:1], off offset:1280
.LBB136_25:                             ;   in Loop: Header=BB136_13 Depth=1
	s_or_b64 exec, exec, s[30:31]
	v_cmp_gt_u32_e64 s[30:31], s50, v49
	s_and_saveexec_b64 s[34:35], s[30:31]
	s_cbranch_execz .LBB136_27
; %bb.26:                               ;   in Loop: Header=BB136_13 Depth=1
	global_load_dword v9, v[0:1], off offset:1536
.LBB136_27:                             ;   in Loop: Header=BB136_13 Depth=1
	s_or_b64 exec, exec, s[34:35]
	v_cmp_gt_u32_e64 s[34:35], s50, v50
	v_mov_b32_e32 v13, 0
	v_mov_b32_e32 v11, 0
	s_and_saveexec_b64 s[36:37], s[34:35]
	s_cbranch_execz .LBB136_29
; %bb.28:                               ;   in Loop: Header=BB136_13 Depth=1
	global_load_dword v11, v[0:1], off offset:1792
.LBB136_29:                             ;   in Loop: Header=BB136_13 Depth=1
	s_or_b64 exec, exec, s[36:37]
	s_waitcnt vmcnt(0)
	ds_write_b32 v51, v4
	ds_write_b32 v52, v6 offset:256
	ds_write_b32 v53, v5 offset:512
	;; [unrolled: 1-line block ×7, first 2 shown]
	; wave barrier
	ds_read2_b32 v[0:1], v59 offset1:1
	ds_read2_b32 v[4:5], v59 offset0:2 offset1:3
	ds_read2_b32 v[6:7], v59 offset0:4 offset1:5
	;; [unrolled: 1-line block ×3, first 2 shown]
	v_lshl_add_u64 v[10:11], s[64:65], 0, v[2:3]
	s_waitcnt lgkmcnt(0)
	; wave barrier
	s_waitcnt lgkmcnt(0)
	s_and_saveexec_b64 s[36:37], s[18:19]
	s_cbranch_execz .LBB136_31
; %bb.30:                               ;   in Loop: Header=BB136_13 Depth=1
	global_load_dword v13, v[10:11], off
.LBB136_31:                             ;   in Loop: Header=BB136_13 Depth=1
	s_or_b64 exec, exec, s[36:37]
	v_mov_b32_e32 v21, 0
	v_mov_b32_e32 v22, 0
	s_and_saveexec_b64 s[36:37], s[20:21]
	s_cbranch_execz .LBB136_33
; %bb.32:                               ;   in Loop: Header=BB136_13 Depth=1
	global_load_dword v22, v[10:11], off offset:256
.LBB136_33:                             ;   in Loop: Header=BB136_13 Depth=1
	s_or_b64 exec, exec, s[36:37]
	s_and_saveexec_b64 s[36:37], s[22:23]
	s_cbranch_execz .LBB136_35
; %bb.34:                               ;   in Loop: Header=BB136_13 Depth=1
	global_load_dword v21, v[10:11], off offset:512
.LBB136_35:                             ;   in Loop: Header=BB136_13 Depth=1
	s_or_b64 exec, exec, s[36:37]
	v_mov_b32_e32 v23, 0
	v_mov_b32_e32 v24, 0
	s_and_saveexec_b64 s[36:37], s[24:25]
	s_cbranch_execz .LBB136_37
; %bb.36:                               ;   in Loop: Header=BB136_13 Depth=1
	global_load_dword v24, v[10:11], off offset:768
.LBB136_37:                             ;   in Loop: Header=BB136_13 Depth=1
	s_or_b64 exec, exec, s[36:37]
	s_and_saveexec_b64 s[36:37], s[26:27]
	s_cbranch_execz .LBB136_39
; %bb.38:                               ;   in Loop: Header=BB136_13 Depth=1
	global_load_dword v23, v[10:11], off offset:1024
.LBB136_39:                             ;   in Loop: Header=BB136_13 Depth=1
	s_or_b64 exec, exec, s[36:37]
	v_mov_b32_e32 v25, 0
	v_mov_b32_e32 v26, 0
	s_and_saveexec_b64 s[36:37], s[28:29]
	s_cbranch_execnz .LBB136_146
; %bb.40:                               ;   in Loop: Header=BB136_13 Depth=1
	s_or_b64 exec, exec, s[36:37]
	s_and_saveexec_b64 s[36:37], s[30:31]
	s_cbranch_execnz .LBB136_147
.LBB136_41:                             ;   in Loop: Header=BB136_13 Depth=1
	s_or_b64 exec, exec, s[36:37]
	v_mov_b32_e32 v27, 0
	s_and_saveexec_b64 s[36:37], s[34:35]
	s_cbranch_execz .LBB136_43
.LBB136_42:                             ;   in Loop: Header=BB136_13 Depth=1
	global_load_dword v27, v[10:11], off offset:1792
.LBB136_43:                             ;   in Loop: Header=BB136_13 Depth=1
	s_or_b64 exec, exec, s[36:37]
	s_waitcnt vmcnt(0)
	ds_write_b32 v51, v13
	ds_write_b32 v52, v22 offset:256
	ds_write_b32 v53, v21 offset:512
	;; [unrolled: 1-line block ×7, first 2 shown]
	; wave barrier
	ds_read2_b32 v[26:27], v59 offset1:1
	ds_read2_b32 v[24:25], v59 offset0:2 offset1:3
	ds_read2_b32 v[22:23], v59 offset0:4 offset1:5
	;; [unrolled: 1-line block ×3, first 2 shown]
	s_mov_b32 s0, 0x41a00000
	s_waitcnt lgkmcnt(3)
	v_add_f32_e32 v80, s40, v26
	v_cmp_ge_f32_e32 vcc, s0, v80
	v_readlane_b32 s0, v95, 3
	v_readlane_b32 s1, v95, 4
	s_and_b64 s[0:1], s[0:1], vcc
	s_and_saveexec_b64 s[38:39], s[0:1]
	s_cbranch_execz .LBB136_45
; %bb.44:                               ;   in Loop: Header=BB136_13 Depth=1
	v_mul_f32_e32 v13, 0x3fb8aa3b, v80
	v_rndne_f32_e32 v21, v13
	s_mov_b32 s0, 0x3fb8aa3b
	v_sub_f32_e32 v26, v13, v21
	v_fma_f32 v13, v80, s0, -v13
	v_fmac_f32_e32 v13, 0x32a5705f, v80
	v_add_f32_e32 v13, v26, v13
	v_cvt_i32_f32_e32 v21, v21
	v_exp_f32_e32 v13, v13
	s_mov_b32 s0, 0xc2ce8ed0
	v_cmp_ngt_f32_e32 vcc, s0, v80
	s_mov_b32 s0, 0x42b17218
	v_ldexp_f32 v13, v13, v21
	v_cndmask_b32_e32 v13, 0, v13, vcc
	v_cmp_nlt_f32_e32 vcc, s0, v80
	s_mov_b32 s0, 0x3f2aaaab
	s_nop 0
	v_cndmask_b32_e32 v42, v77, v13, vcc
	v_add_f32_e32 v13, 1.0, v42
	v_add_f32_e32 v21, -1.0, v13
	v_sub_f32_e32 v26, v21, v13
	v_add_f32_e32 v26, 1.0, v26
	v_sub_f32_e32 v21, v42, v21
	v_add_f32_e32 v21, v21, v26
	v_frexp_mant_f32_e32 v26, v13
	v_cvt_f64_f32_e32 v[28:29], v13
	v_frexp_exp_i32_f64_e32 v28, v[28:29]
	v_cmp_gt_f32_e32 vcc, s0, v26
	s_mov_b32 s0, 0x3f317218
	s_nop 0
	v_subbrev_co_u32_e32 v26, vcc, 0, v28, vcc
	v_sub_u32_e32 v28, 0, v26
	v_ldexp_f32 v13, v13, v28
	v_ldexp_f32 v21, v21, v28
	v_add_f32_e32 v28, -1.0, v13
	v_add_f32_e32 v29, 1.0, v28
	v_sub_f32_e32 v29, v13, v29
	v_add_f32_e32 v30, v21, v29
	v_add_f32_e32 v29, 1.0, v13
	v_add_f32_e32 v31, -1.0, v29
	v_sub_f32_e32 v13, v13, v31
	v_add_f32_e32 v13, v21, v13
	v_add_f32_e32 v21, v29, v13
	v_rcp_f32_e32 v36, v21
	v_sub_f32_e32 v29, v29, v21
	v_add_f32_e32 v13, v13, v29
	v_add_f32_e32 v29, v28, v30
	v_sub_f32_e32 v28, v28, v29
	v_mul_f32_e32 v38, v29, v36
	v_add_f32_e32 v37, v30, v28
	v_mul_f32_e32 v30, v21, v38
	v_fma_f32 v32, v38, v21, -v30
	v_fmac_f32_e32 v32, v38, v13
	v_add_f32_e32 v28, v30, v32
	v_sub_f32_e32 v31, v29, v28
	v_pk_add_f32 v[34:35], v[28:29], v[30:31] neg_lo:[0,1] neg_hi:[0,1]
	v_mov_b32_e32 v33, v28
	v_pk_add_f32 v[28:29], v[34:35], v[32:33] neg_lo:[0,1] neg_hi:[0,1]
	s_nop 0
	v_add_f32_e32 v29, v37, v29
	v_add_f32_e32 v28, v28, v29
	;; [unrolled: 1-line block ×3, first 2 shown]
	v_mul_f32_e32 v37, v36, v29
	v_mul_f32_e32 v30, v21, v37
	v_fma_f32 v32, v37, v21, -v30
	v_fmac_f32_e32 v32, v37, v13
	v_sub_f32_e32 v13, v31, v29
	v_add_f32_e32 v13, v28, v13
	v_add_f32_e32 v28, v30, v32
	v_sub_f32_e32 v31, v29, v28
	v_pk_add_f32 v[34:35], v[28:29], v[30:31] neg_lo:[0,1] neg_hi:[0,1]
	v_mov_b32_e32 v33, v28
	v_pk_add_f32 v[28:29], v[34:35], v[32:33] neg_lo:[0,1] neg_hi:[0,1]
	s_nop 0
	v_add_f32_e32 v13, v13, v29
	v_add_f32_e32 v13, v28, v13
	;; [unrolled: 1-line block ×4, first 2 shown]
	v_sub_f32_e32 v21, v29, v38
	v_mul_f32_e32 v13, v36, v13
	v_sub_f32_e32 v21, v37, v21
	v_add_f32_e32 v13, v21, v13
	v_add_f32_e32 v30, v29, v13
	v_cvt_f32_i32_e32 v28, v26
	v_mul_f32_e32 v32, v30, v30
	v_fmamk_f32 v21, v32, 0x3e9b6dac, v76
	v_fmaak_f32 v21, v32, v21, 0x3f2aaada
	v_sub_f32_e32 v26, v30, v29
	v_mul_f32_e32 v29, v30, v32
	v_pk_mul_f32 v[32:33], v[28:29], v[20:21]
	v_ldexp_f32 v31, v30, 1
	v_fma_f32 v30, v28, s0, -v32
	v_fmac_f32_e32 v30, 0xb102e308, v28
	v_pk_add_f32 v[28:29], v[32:33], v[30:31]
	v_sub_f32_e32 v13, v13, v26
	v_sub_f32_e32 v21, v29, v31
	v_ldexp_f32 v13, v13, 1
	v_sub_f32_e32 v21, v33, v21
	v_add_f32_e32 v35, v13, v21
	v_mov_b32_e32 v34, v32
	v_pk_add_f32 v[32:33], v[28:29], v[32:33] neg_lo:[0,1] neg_hi:[0,1]
	v_pk_add_f32 v[36:37], v[28:29], v[34:35]
	v_mov_b32_e32 v31, v28
	v_mov_b32_e32 v33, v37
	v_pk_add_f32 v[38:39], v[30:31], v[32:33] neg_lo:[0,1] neg_hi:[0,1]
	v_pk_add_f32 v[30:31], v[30:31], v[32:33]
	s_mov_b32 s0, 0x7f800000
	v_mov_b32_e32 v26, v31
	v_pk_add_f32 v[32:33], v[26:27], v[28:29] neg_lo:[0,1] neg_hi:[0,1]
	v_mov_b32_e32 v30, v37
	v_mov_b32_e32 v13, v32
	v_pk_add_f32 v[40:41], v[36:37], v[12:13] neg_lo:[0,1] neg_hi:[0,1]
	v_mov_b32_e32 v36, v29
	v_mov_b32_e32 v37, v32
	;; [unrolled: 1-line block ×3, first 2 shown]
	v_pk_add_f32 v[30:31], v[30:31], v[36:37] neg_lo:[0,1] neg_hi:[0,1]
	v_mov_b32_e32 v32, v35
	v_mov_b32_e32 v33, v28
	v_pk_add_f32 v[28:29], v[32:33], v[30:31] neg_lo:[0,1] neg_hi:[0,1]
	v_mov_b32_e32 v40, v38
	v_pk_add_f32 v[30:31], v[40:41], v[28:29]
	v_cmp_eq_f32_e32 vcc, s0, v42
	v_mov_b32_e32 v32, v31
	v_pk_add_f32 v[32:33], v[30:31], v[32:33]
	s_mov_b32 s0, 0x33800000
	v_pk_add_f32 v[34:35], v[26:27], v[32:33]
	v_mov_b32_e32 v29, v32
	v_mov_b32_e32 v31, v34
	v_pk_add_f32 v[36:37], v[30:31], v[38:39] neg_lo:[0,1] neg_hi:[0,1]
	v_cmp_gt_f32_e64 s[36:37], s0, v42
	v_sub_f32_e32 v13, v30, v36
	v_pk_add_f32 v[28:29], v[28:29], v[36:37] neg_lo:[0,1] neg_hi:[0,1]
	v_sub_f32_e32 v13, v38, v13
	v_add_f32_e32 v13, v28, v13
	v_add_f32_e32 v13, v13, v29
	v_add_f32_e32 v13, v34, v13
	s_or_b64 vcc, s[36:37], vcc
	v_cndmask_b32_e32 v80, v13, v42, vcc
.LBB136_45:                             ;   in Loop: Header=BB136_13 Depth=1
	s_or_b64 exec, exec, s[38:39]
	v_add_f32_e32 v81, s40, v27
	s_mov_b32 s0, 0x41a00000
	v_cmp_ge_f32_e32 vcc, s0, v81
	v_readlane_b32 s0, v95, 3
	v_readlane_b32 s1, v95, 4
	s_and_b64 s[0:1], s[0:1], vcc
	s_and_saveexec_b64 s[38:39], s[0:1]
	s_cbranch_execz .LBB136_47
; %bb.46:                               ;   in Loop: Header=BB136_13 Depth=1
	v_mul_f32_e32 v13, 0x3fb8aa3b, v81
	v_rndne_f32_e32 v21, v13
	s_mov_b32 s0, 0x3fb8aa3b
	v_sub_f32_e32 v26, v13, v21
	v_fma_f32 v13, v81, s0, -v13
	v_fmac_f32_e32 v13, 0x32a5705f, v81
	v_add_f32_e32 v13, v26, v13
	v_cvt_i32_f32_e32 v21, v21
	v_exp_f32_e32 v13, v13
	s_mov_b32 s0, 0xc2ce8ed0
	v_cmp_ngt_f32_e32 vcc, s0, v81
	s_mov_b32 s0, 0x42b17218
	v_ldexp_f32 v13, v13, v21
	v_cndmask_b32_e32 v13, 0, v13, vcc
	v_cmp_nlt_f32_e32 vcc, s0, v81
	s_mov_b32 s0, 0x3f2aaaab
	s_nop 0
	v_cndmask_b32_e32 v42, v77, v13, vcc
	v_add_f32_e32 v13, 1.0, v42
	v_add_f32_e32 v21, -1.0, v13
	v_sub_f32_e32 v26, v21, v13
	v_add_f32_e32 v26, 1.0, v26
	v_sub_f32_e32 v21, v42, v21
	v_add_f32_e32 v21, v21, v26
	v_frexp_mant_f32_e32 v28, v13
	v_cvt_f64_f32_e32 v[26:27], v13
	v_frexp_exp_i32_f64_e32 v26, v[26:27]
	v_cmp_gt_f32_e32 vcc, s0, v28
	s_mov_b32 s0, 0x3f317218
	s_nop 0
	v_subbrev_co_u32_e32 v34, vcc, 0, v26, vcc
	v_sub_u32_e32 v26, 0, v34
	v_ldexp_f32 v13, v13, v26
	v_ldexp_f32 v21, v21, v26
	v_add_f32_e32 v26, -1.0, v13
	v_add_f32_e32 v27, 1.0, v26
	v_sub_f32_e32 v27, v13, v27
	v_add_f32_e32 v28, v21, v27
	v_add_f32_e32 v27, 1.0, v13
	v_add_f32_e32 v29, -1.0, v27
	v_sub_f32_e32 v13, v13, v29
	v_add_f32_e32 v13, v21, v13
	v_add_f32_e32 v21, v27, v13
	v_rcp_f32_e32 v35, v21
	v_sub_f32_e32 v27, v27, v21
	v_add_f32_e32 v13, v13, v27
	v_add_f32_e32 v27, v26, v28
	v_sub_f32_e32 v26, v26, v27
	v_mul_f32_e32 v37, v27, v35
	v_add_f32_e32 v36, v28, v26
	v_mul_f32_e32 v28, v21, v37
	v_fma_f32 v30, v37, v21, -v28
	v_fmac_f32_e32 v30, v37, v13
	v_add_f32_e32 v26, v28, v30
	v_sub_f32_e32 v29, v27, v26
	v_pk_add_f32 v[32:33], v[26:27], v[28:29] neg_lo:[0,1] neg_hi:[0,1]
	v_mov_b32_e32 v31, v26
	v_pk_add_f32 v[26:27], v[32:33], v[30:31] neg_lo:[0,1] neg_hi:[0,1]
	s_nop 0
	v_add_f32_e32 v27, v36, v27
	v_add_f32_e32 v26, v26, v27
	;; [unrolled: 1-line block ×3, first 2 shown]
	v_mul_f32_e32 v36, v35, v27
	v_mul_f32_e32 v28, v21, v36
	v_fma_f32 v30, v36, v21, -v28
	v_fmac_f32_e32 v30, v36, v13
	v_sub_f32_e32 v13, v29, v27
	v_add_f32_e32 v13, v26, v13
	v_add_f32_e32 v26, v28, v30
	v_sub_f32_e32 v29, v27, v26
	v_pk_add_f32 v[32:33], v[26:27], v[28:29] neg_lo:[0,1] neg_hi:[0,1]
	v_mov_b32_e32 v31, v26
	v_pk_add_f32 v[26:27], v[32:33], v[30:31] neg_lo:[0,1] neg_hi:[0,1]
	s_nop 0
	v_add_f32_e32 v13, v13, v27
	v_add_f32_e32 v13, v26, v13
	;; [unrolled: 1-line block ×4, first 2 shown]
	v_sub_f32_e32 v21, v27, v37
	v_mul_f32_e32 v13, v35, v13
	v_sub_f32_e32 v21, v36, v21
	v_add_f32_e32 v13, v21, v13
	v_add_f32_e32 v28, v27, v13
	v_cvt_f32_i32_e32 v26, v34
	v_mul_f32_e32 v30, v28, v28
	v_fmamk_f32 v21, v30, 0x3e9b6dac, v76
	v_sub_f32_e32 v27, v28, v27
	v_fmaak_f32 v21, v30, v21, 0x3f2aaada
	v_sub_f32_e32 v13, v13, v27
	v_mul_f32_e32 v27, v28, v30
	v_pk_mul_f32 v[30:31], v[26:27], v[20:21]
	v_ldexp_f32 v29, v28, 1
	v_fma_f32 v28, v26, s0, -v30
	v_fmac_f32_e32 v28, 0xb102e308, v26
	v_pk_add_f32 v[26:27], v[30:31], v[28:29]
	v_ldexp_f32 v13, v13, 1
	v_sub_f32_e32 v21, v27, v29
	v_sub_f32_e32 v21, v31, v21
	v_add_f32_e32 v33, v13, v21
	v_mov_b32_e32 v32, v30
	v_pk_add_f32 v[30:31], v[26:27], v[30:31] neg_lo:[0,1] neg_hi:[0,1]
	v_pk_add_f32 v[34:35], v[26:27], v[32:33]
	v_mov_b32_e32 v29, v26
	v_mov_b32_e32 v31, v35
	v_pk_add_f32 v[36:37], v[28:29], v[30:31] neg_lo:[0,1] neg_hi:[0,1]
	v_pk_add_f32 v[28:29], v[28:29], v[30:31]
	v_mov_b32_e32 v32, v33
	v_mov_b32_e32 v30, v29
	v_pk_add_f32 v[38:39], v[30:31], v[26:27] neg_lo:[0,1] neg_hi:[0,1]
	v_mov_b32_e32 v28, v35
	v_mov_b32_e32 v13, v38
	v_pk_add_f32 v[40:41], v[34:35], v[12:13] neg_lo:[0,1] neg_hi:[0,1]
	v_mov_b32_e32 v34, v27
	v_mov_b32_e32 v35, v38
	;; [unrolled: 1-line block ×3, first 2 shown]
	v_pk_add_f32 v[28:29], v[28:29], v[34:35] neg_lo:[0,1] neg_hi:[0,1]
	v_mov_b32_e32 v33, v26
	v_pk_add_f32 v[26:27], v[32:33], v[28:29] neg_lo:[0,1] neg_hi:[0,1]
	v_mov_b32_e32 v40, v36
	v_pk_add_f32 v[28:29], v[40:41], v[26:27]
	s_mov_b32 s0, 0x7f800000
	v_mov_b32_e32 v32, v29
	v_pk_add_f32 v[32:33], v[28:29], v[32:33]
	v_cmp_eq_f32_e32 vcc, s0, v42
	v_pk_add_f32 v[30:31], v[30:31], v[32:33]
	v_mov_b32_e32 v27, v32
	v_mov_b32_e32 v29, v30
	v_pk_add_f32 v[34:35], v[28:29], v[36:37] neg_lo:[0,1] neg_hi:[0,1]
	s_mov_b32 s0, 0x33800000
	v_sub_f32_e32 v13, v28, v34
	v_pk_add_f32 v[26:27], v[26:27], v[34:35] neg_lo:[0,1] neg_hi:[0,1]
	v_sub_f32_e32 v13, v36, v13
	v_add_f32_e32 v13, v26, v13
	v_add_f32_e32 v13, v13, v27
	v_cmp_gt_f32_e64 s[36:37], s0, v42
	v_add_f32_e32 v13, v30, v13
	s_or_b64 vcc, s[36:37], vcc
	v_cndmask_b32_e32 v81, v13, v42, vcc
.LBB136_47:                             ;   in Loop: Header=BB136_13 Depth=1
	s_or_b64 exec, exec, s[38:39]
	s_waitcnt lgkmcnt(2)
	v_add_f32_e32 v82, s40, v24
	s_mov_b32 s0, 0x41a00000
	v_cmp_ge_f32_e32 vcc, s0, v82
	v_readlane_b32 s0, v95, 3
	v_readlane_b32 s1, v95, 4
	s_and_b64 s[0:1], s[0:1], vcc
	s_and_saveexec_b64 s[38:39], s[0:1]
	s_cbranch_execz .LBB136_49
; %bb.48:                               ;   in Loop: Header=BB136_13 Depth=1
	v_mul_f32_e32 v13, 0x3fb8aa3b, v82
	v_rndne_f32_e32 v21, v13
	s_mov_b32 s0, 0x3fb8aa3b
	v_sub_f32_e32 v24, v13, v21
	v_fma_f32 v13, v82, s0, -v13
	v_fmac_f32_e32 v13, 0x32a5705f, v82
	v_add_f32_e32 v13, v24, v13
	v_cvt_i32_f32_e32 v21, v21
	v_exp_f32_e32 v13, v13
	s_mov_b32 s0, 0xc2ce8ed0
	v_cmp_ngt_f32_e32 vcc, s0, v82
	s_mov_b32 s0, 0x42b17218
	v_ldexp_f32 v13, v13, v21
	v_cndmask_b32_e32 v13, 0, v13, vcc
	v_cmp_nlt_f32_e32 vcc, s0, v82
	s_mov_b32 s0, 0x3f2aaaab
	s_nop 0
	v_cndmask_b32_e32 v40, v77, v13, vcc
	v_add_f32_e32 v13, 1.0, v40
	v_add_f32_e32 v21, -1.0, v13
	v_sub_f32_e32 v24, v21, v13
	v_add_f32_e32 v24, 1.0, v24
	v_sub_f32_e32 v21, v40, v21
	v_add_f32_e32 v21, v21, v24
	v_frexp_mant_f32_e32 v24, v13
	v_cvt_f64_f32_e32 v[26:27], v13
	v_frexp_exp_i32_f64_e32 v26, v[26:27]
	v_cmp_gt_f32_e32 vcc, s0, v24
	s_mov_b32 s0, 0x3f317218
	s_nop 0
	v_subbrev_co_u32_e32 v24, vcc, 0, v26, vcc
	v_sub_u32_e32 v26, 0, v24
	v_ldexp_f32 v13, v13, v26
	v_ldexp_f32 v21, v21, v26
	v_add_f32_e32 v26, -1.0, v13
	v_add_f32_e32 v27, 1.0, v26
	v_sub_f32_e32 v27, v13, v27
	v_add_f32_e32 v28, v21, v27
	v_add_f32_e32 v27, 1.0, v13
	v_add_f32_e32 v29, -1.0, v27
	v_sub_f32_e32 v13, v13, v29
	v_add_f32_e32 v13, v21, v13
	v_add_f32_e32 v21, v27, v13
	v_rcp_f32_e32 v34, v21
	v_sub_f32_e32 v27, v27, v21
	v_add_f32_e32 v13, v13, v27
	v_add_f32_e32 v27, v26, v28
	v_sub_f32_e32 v26, v26, v27
	v_mul_f32_e32 v36, v27, v34
	v_add_f32_e32 v35, v28, v26
	v_mul_f32_e32 v28, v21, v36
	v_fma_f32 v30, v36, v21, -v28
	v_fmac_f32_e32 v30, v36, v13
	v_add_f32_e32 v26, v28, v30
	v_sub_f32_e32 v29, v27, v26
	v_pk_add_f32 v[32:33], v[26:27], v[28:29] neg_lo:[0,1] neg_hi:[0,1]
	v_mov_b32_e32 v31, v26
	v_pk_add_f32 v[26:27], v[32:33], v[30:31] neg_lo:[0,1] neg_hi:[0,1]
	s_nop 0
	v_add_f32_e32 v27, v35, v27
	v_add_f32_e32 v26, v26, v27
	;; [unrolled: 1-line block ×3, first 2 shown]
	v_mul_f32_e32 v35, v34, v27
	v_mul_f32_e32 v28, v21, v35
	v_fma_f32 v30, v35, v21, -v28
	v_fmac_f32_e32 v30, v35, v13
	v_sub_f32_e32 v13, v29, v27
	v_add_f32_e32 v13, v26, v13
	v_add_f32_e32 v26, v28, v30
	v_sub_f32_e32 v29, v27, v26
	v_pk_add_f32 v[32:33], v[26:27], v[28:29] neg_lo:[0,1] neg_hi:[0,1]
	v_mov_b32_e32 v31, v26
	v_pk_add_f32 v[26:27], v[32:33], v[30:31] neg_lo:[0,1] neg_hi:[0,1]
	s_nop 0
	v_add_f32_e32 v13, v13, v27
	v_add_f32_e32 v13, v26, v13
	v_add_f32_e32 v27, v36, v35
	v_add_f32_e32 v13, v29, v13
	v_sub_f32_e32 v21, v27, v36
	v_mul_f32_e32 v13, v34, v13
	v_sub_f32_e32 v21, v35, v21
	v_add_f32_e32 v13, v21, v13
	v_add_f32_e32 v28, v27, v13
	v_cvt_f32_i32_e32 v26, v24
	v_mul_f32_e32 v30, v28, v28
	v_fmamk_f32 v21, v30, 0x3e9b6dac, v76
	v_fmaak_f32 v21, v30, v21, 0x3f2aaada
	v_sub_f32_e32 v24, v28, v27
	v_mul_f32_e32 v27, v28, v30
	v_pk_mul_f32 v[30:31], v[26:27], v[20:21]
	v_ldexp_f32 v29, v28, 1
	v_fma_f32 v28, v26, s0, -v30
	v_fmac_f32_e32 v28, 0xb102e308, v26
	v_pk_add_f32 v[26:27], v[30:31], v[28:29]
	v_sub_f32_e32 v13, v13, v24
	v_sub_f32_e32 v21, v27, v29
	v_ldexp_f32 v13, v13, 1
	v_sub_f32_e32 v21, v31, v21
	v_add_f32_e32 v33, v13, v21
	v_mov_b32_e32 v32, v30
	v_pk_add_f32 v[30:31], v[26:27], v[30:31] neg_lo:[0,1] neg_hi:[0,1]
	v_pk_add_f32 v[34:35], v[26:27], v[32:33]
	v_mov_b32_e32 v29, v26
	v_mov_b32_e32 v31, v35
	v_pk_add_f32 v[36:37], v[28:29], v[30:31] neg_lo:[0,1] neg_hi:[0,1]
	v_pk_add_f32 v[28:29], v[28:29], v[30:31]
	s_mov_b32 s0, 0x7f800000
	v_mov_b32_e32 v24, v29
	v_pk_add_f32 v[30:31], v[24:25], v[26:27] neg_lo:[0,1] neg_hi:[0,1]
	v_mov_b32_e32 v28, v35
	v_mov_b32_e32 v13, v30
	v_pk_add_f32 v[38:39], v[34:35], v[12:13] neg_lo:[0,1] neg_hi:[0,1]
	v_mov_b32_e32 v34, v27
	v_mov_b32_e32 v35, v30
	;; [unrolled: 1-line block ×3, first 2 shown]
	v_pk_add_f32 v[28:29], v[28:29], v[34:35] neg_lo:[0,1] neg_hi:[0,1]
	v_mov_b32_e32 v30, v33
	v_mov_b32_e32 v31, v26
	v_pk_add_f32 v[26:27], v[30:31], v[28:29] neg_lo:[0,1] neg_hi:[0,1]
	v_mov_b32_e32 v38, v36
	v_pk_add_f32 v[28:29], v[38:39], v[26:27]
	v_cmp_eq_f32_e32 vcc, s0, v40
	v_mov_b32_e32 v30, v29
	v_pk_add_f32 v[30:31], v[28:29], v[30:31]
	s_mov_b32 s0, 0x33800000
	v_pk_add_f32 v[32:33], v[24:25], v[30:31]
	v_mov_b32_e32 v27, v30
	v_mov_b32_e32 v29, v32
	v_pk_add_f32 v[34:35], v[28:29], v[36:37] neg_lo:[0,1] neg_hi:[0,1]
	v_cmp_gt_f32_e64 s[36:37], s0, v40
	v_sub_f32_e32 v13, v28, v34
	v_pk_add_f32 v[26:27], v[26:27], v[34:35] neg_lo:[0,1] neg_hi:[0,1]
	v_sub_f32_e32 v13, v36, v13
	v_add_f32_e32 v13, v26, v13
	v_add_f32_e32 v13, v13, v27
	;; [unrolled: 1-line block ×3, first 2 shown]
	s_or_b64 vcc, s[36:37], vcc
	v_cndmask_b32_e32 v82, v13, v40, vcc
.LBB136_49:                             ;   in Loop: Header=BB136_13 Depth=1
	s_or_b64 exec, exec, s[38:39]
	v_add_f32_e32 v83, s40, v25
	s_mov_b32 s0, 0x41a00000
	v_cmp_ge_f32_e32 vcc, s0, v83
	v_readlane_b32 s0, v95, 3
	v_readlane_b32 s1, v95, 4
	s_and_b64 s[0:1], s[0:1], vcc
	s_and_saveexec_b64 s[38:39], s[0:1]
	s_cbranch_execz .LBB136_51
; %bb.50:                               ;   in Loop: Header=BB136_13 Depth=1
	v_mul_f32_e32 v13, 0x3fb8aa3b, v83
	v_rndne_f32_e32 v21, v13
	s_mov_b32 s0, 0x3fb8aa3b
	v_sub_f32_e32 v24, v13, v21
	v_fma_f32 v13, v83, s0, -v13
	v_fmac_f32_e32 v13, 0x32a5705f, v83
	v_add_f32_e32 v13, v24, v13
	v_cvt_i32_f32_e32 v21, v21
	v_exp_f32_e32 v13, v13
	s_mov_b32 s0, 0xc2ce8ed0
	v_cmp_ngt_f32_e32 vcc, s0, v83
	s_mov_b32 s0, 0x42b17218
	v_ldexp_f32 v13, v13, v21
	v_cndmask_b32_e32 v13, 0, v13, vcc
	v_cmp_nlt_f32_e32 vcc, s0, v83
	s_mov_b32 s0, 0x3f2aaaab
	s_nop 0
	v_cndmask_b32_e32 v40, v77, v13, vcc
	v_add_f32_e32 v13, 1.0, v40
	v_add_f32_e32 v21, -1.0, v13
	v_sub_f32_e32 v24, v21, v13
	v_add_f32_e32 v24, 1.0, v24
	v_sub_f32_e32 v21, v40, v21
	v_add_f32_e32 v21, v21, v24
	v_frexp_mant_f32_e32 v26, v13
	v_cvt_f64_f32_e32 v[24:25], v13
	v_frexp_exp_i32_f64_e32 v24, v[24:25]
	v_cmp_gt_f32_e32 vcc, s0, v26
	s_mov_b32 s0, 0x3f317218
	s_nop 0
	v_subbrev_co_u32_e32 v32, vcc, 0, v24, vcc
	v_sub_u32_e32 v24, 0, v32
	v_ldexp_f32 v13, v13, v24
	v_ldexp_f32 v21, v21, v24
	v_add_f32_e32 v24, -1.0, v13
	v_add_f32_e32 v25, 1.0, v24
	v_sub_f32_e32 v25, v13, v25
	v_add_f32_e32 v26, v21, v25
	v_add_f32_e32 v25, 1.0, v13
	v_add_f32_e32 v27, -1.0, v25
	v_sub_f32_e32 v13, v13, v27
	v_add_f32_e32 v13, v21, v13
	v_add_f32_e32 v21, v25, v13
	v_rcp_f32_e32 v33, v21
	v_sub_f32_e32 v25, v25, v21
	v_add_f32_e32 v13, v13, v25
	v_add_f32_e32 v25, v24, v26
	v_sub_f32_e32 v24, v24, v25
	v_mul_f32_e32 v35, v25, v33
	v_add_f32_e32 v34, v26, v24
	v_mul_f32_e32 v26, v21, v35
	v_fma_f32 v28, v35, v21, -v26
	v_fmac_f32_e32 v28, v35, v13
	v_add_f32_e32 v24, v26, v28
	v_sub_f32_e32 v27, v25, v24
	v_pk_add_f32 v[30:31], v[24:25], v[26:27] neg_lo:[0,1] neg_hi:[0,1]
	v_mov_b32_e32 v29, v24
	v_pk_add_f32 v[24:25], v[30:31], v[28:29] neg_lo:[0,1] neg_hi:[0,1]
	s_nop 0
	v_add_f32_e32 v25, v34, v25
	v_add_f32_e32 v24, v24, v25
	;; [unrolled: 1-line block ×3, first 2 shown]
	v_mul_f32_e32 v34, v33, v25
	v_mul_f32_e32 v26, v21, v34
	v_fma_f32 v28, v34, v21, -v26
	v_fmac_f32_e32 v28, v34, v13
	v_sub_f32_e32 v13, v27, v25
	v_add_f32_e32 v13, v24, v13
	v_add_f32_e32 v24, v26, v28
	v_sub_f32_e32 v27, v25, v24
	v_pk_add_f32 v[30:31], v[24:25], v[26:27] neg_lo:[0,1] neg_hi:[0,1]
	v_mov_b32_e32 v29, v24
	v_pk_add_f32 v[24:25], v[30:31], v[28:29] neg_lo:[0,1] neg_hi:[0,1]
	s_nop 0
	v_add_f32_e32 v13, v13, v25
	v_add_f32_e32 v13, v24, v13
	;; [unrolled: 1-line block ×4, first 2 shown]
	v_sub_f32_e32 v21, v25, v35
	v_mul_f32_e32 v13, v33, v13
	v_sub_f32_e32 v21, v34, v21
	v_add_f32_e32 v13, v21, v13
	v_add_f32_e32 v26, v25, v13
	v_cvt_f32_i32_e32 v24, v32
	v_mul_f32_e32 v28, v26, v26
	v_fmamk_f32 v21, v28, 0x3e9b6dac, v76
	v_sub_f32_e32 v25, v26, v25
	v_fmaak_f32 v21, v28, v21, 0x3f2aaada
	v_sub_f32_e32 v13, v13, v25
	v_mul_f32_e32 v25, v26, v28
	v_pk_mul_f32 v[28:29], v[24:25], v[20:21]
	v_ldexp_f32 v27, v26, 1
	v_fma_f32 v26, v24, s0, -v28
	v_fmac_f32_e32 v26, 0xb102e308, v24
	v_pk_add_f32 v[24:25], v[28:29], v[26:27]
	v_ldexp_f32 v13, v13, 1
	v_sub_f32_e32 v21, v25, v27
	v_sub_f32_e32 v21, v29, v21
	v_add_f32_e32 v31, v13, v21
	v_mov_b32_e32 v30, v28
	v_pk_add_f32 v[28:29], v[24:25], v[28:29] neg_lo:[0,1] neg_hi:[0,1]
	v_pk_add_f32 v[32:33], v[24:25], v[30:31]
	v_mov_b32_e32 v27, v24
	v_mov_b32_e32 v29, v33
	v_pk_add_f32 v[34:35], v[26:27], v[28:29] neg_lo:[0,1] neg_hi:[0,1]
	v_pk_add_f32 v[26:27], v[26:27], v[28:29]
	v_mov_b32_e32 v30, v31
	v_mov_b32_e32 v28, v27
	v_pk_add_f32 v[36:37], v[28:29], v[24:25] neg_lo:[0,1] neg_hi:[0,1]
	v_mov_b32_e32 v26, v33
	v_mov_b32_e32 v13, v36
	v_pk_add_f32 v[38:39], v[32:33], v[12:13] neg_lo:[0,1] neg_hi:[0,1]
	v_mov_b32_e32 v32, v25
	v_mov_b32_e32 v33, v36
	;; [unrolled: 1-line block ×3, first 2 shown]
	v_pk_add_f32 v[26:27], v[26:27], v[32:33] neg_lo:[0,1] neg_hi:[0,1]
	v_mov_b32_e32 v31, v24
	v_pk_add_f32 v[24:25], v[30:31], v[26:27] neg_lo:[0,1] neg_hi:[0,1]
	v_mov_b32_e32 v38, v34
	v_pk_add_f32 v[26:27], v[38:39], v[24:25]
	s_mov_b32 s0, 0x7f800000
	v_mov_b32_e32 v30, v27
	v_pk_add_f32 v[30:31], v[26:27], v[30:31]
	v_cmp_eq_f32_e32 vcc, s0, v40
	v_pk_add_f32 v[28:29], v[28:29], v[30:31]
	v_mov_b32_e32 v25, v30
	v_mov_b32_e32 v27, v28
	v_pk_add_f32 v[32:33], v[26:27], v[34:35] neg_lo:[0,1] neg_hi:[0,1]
	s_mov_b32 s0, 0x33800000
	v_sub_f32_e32 v13, v26, v32
	v_pk_add_f32 v[24:25], v[24:25], v[32:33] neg_lo:[0,1] neg_hi:[0,1]
	v_sub_f32_e32 v13, v34, v13
	v_add_f32_e32 v13, v24, v13
	v_add_f32_e32 v13, v13, v25
	v_cmp_gt_f32_e64 s[36:37], s0, v40
	v_add_f32_e32 v13, v28, v13
	s_or_b64 vcc, s[36:37], vcc
	v_cndmask_b32_e32 v83, v13, v40, vcc
.LBB136_51:                             ;   in Loop: Header=BB136_13 Depth=1
	s_or_b64 exec, exec, s[38:39]
	s_waitcnt lgkmcnt(1)
	v_add_f32_e32 v84, s40, v22
	s_mov_b32 s0, 0x41a00000
	v_cmp_ge_f32_e32 vcc, s0, v84
	v_readlane_b32 s0, v95, 3
	v_readlane_b32 s1, v95, 4
	s_and_b64 s[0:1], s[0:1], vcc
	s_and_saveexec_b64 s[38:39], s[0:1]
	s_cbranch_execz .LBB136_53
; %bb.52:                               ;   in Loop: Header=BB136_13 Depth=1
	v_mul_f32_e32 v13, 0x3fb8aa3b, v84
	v_rndne_f32_e32 v21, v13
	s_mov_b32 s0, 0x3fb8aa3b
	v_sub_f32_e32 v22, v13, v21
	v_fma_f32 v13, v84, s0, -v13
	v_fmac_f32_e32 v13, 0x32a5705f, v84
	v_add_f32_e32 v13, v22, v13
	v_cvt_i32_f32_e32 v21, v21
	v_exp_f32_e32 v13, v13
	s_mov_b32 s0, 0xc2ce8ed0
	v_cmp_ngt_f32_e32 vcc, s0, v84
	s_mov_b32 s0, 0x42b17218
	v_ldexp_f32 v13, v13, v21
	v_cndmask_b32_e32 v13, 0, v13, vcc
	v_cmp_nlt_f32_e32 vcc, s0, v84
	s_mov_b32 s0, 0x3f2aaaab
	s_nop 0
	v_cndmask_b32_e32 v38, v77, v13, vcc
	v_add_f32_e32 v13, 1.0, v38
	v_add_f32_e32 v21, -1.0, v13
	v_sub_f32_e32 v22, v21, v13
	v_add_f32_e32 v22, 1.0, v22
	v_sub_f32_e32 v21, v38, v21
	v_add_f32_e32 v21, v21, v22
	v_frexp_mant_f32_e32 v22, v13
	v_cvt_f64_f32_e32 v[24:25], v13
	v_frexp_exp_i32_f64_e32 v24, v[24:25]
	v_cmp_gt_f32_e32 vcc, s0, v22
	s_mov_b32 s0, 0x3f317218
	s_nop 0
	v_subbrev_co_u32_e32 v22, vcc, 0, v24, vcc
	v_sub_u32_e32 v24, 0, v22
	v_ldexp_f32 v13, v13, v24
	v_ldexp_f32 v21, v21, v24
	v_add_f32_e32 v24, -1.0, v13
	v_add_f32_e32 v25, 1.0, v24
	v_sub_f32_e32 v25, v13, v25
	v_add_f32_e32 v26, v21, v25
	v_add_f32_e32 v25, 1.0, v13
	v_add_f32_e32 v27, -1.0, v25
	v_sub_f32_e32 v13, v13, v27
	v_add_f32_e32 v13, v21, v13
	v_add_f32_e32 v21, v25, v13
	v_rcp_f32_e32 v32, v21
	v_sub_f32_e32 v25, v25, v21
	v_add_f32_e32 v13, v13, v25
	v_add_f32_e32 v25, v24, v26
	v_sub_f32_e32 v24, v24, v25
	v_mul_f32_e32 v34, v25, v32
	v_add_f32_e32 v33, v26, v24
	v_mul_f32_e32 v26, v21, v34
	v_fma_f32 v28, v34, v21, -v26
	v_fmac_f32_e32 v28, v34, v13
	v_add_f32_e32 v24, v26, v28
	v_sub_f32_e32 v27, v25, v24
	v_pk_add_f32 v[30:31], v[24:25], v[26:27] neg_lo:[0,1] neg_hi:[0,1]
	v_mov_b32_e32 v29, v24
	v_pk_add_f32 v[24:25], v[30:31], v[28:29] neg_lo:[0,1] neg_hi:[0,1]
	s_nop 0
	v_add_f32_e32 v25, v33, v25
	v_add_f32_e32 v24, v24, v25
	;; [unrolled: 1-line block ×3, first 2 shown]
	v_mul_f32_e32 v33, v32, v25
	v_mul_f32_e32 v26, v21, v33
	v_fma_f32 v28, v33, v21, -v26
	v_fmac_f32_e32 v28, v33, v13
	v_sub_f32_e32 v13, v27, v25
	v_add_f32_e32 v13, v24, v13
	v_add_f32_e32 v24, v26, v28
	v_sub_f32_e32 v27, v25, v24
	v_pk_add_f32 v[30:31], v[24:25], v[26:27] neg_lo:[0,1] neg_hi:[0,1]
	v_mov_b32_e32 v29, v24
	v_pk_add_f32 v[24:25], v[30:31], v[28:29] neg_lo:[0,1] neg_hi:[0,1]
	s_nop 0
	v_add_f32_e32 v13, v13, v25
	v_add_f32_e32 v13, v24, v13
	;; [unrolled: 1-line block ×4, first 2 shown]
	v_sub_f32_e32 v21, v25, v34
	v_mul_f32_e32 v13, v32, v13
	v_sub_f32_e32 v21, v33, v21
	v_add_f32_e32 v13, v21, v13
	v_add_f32_e32 v26, v25, v13
	v_cvt_f32_i32_e32 v24, v22
	v_mul_f32_e32 v28, v26, v26
	v_fmamk_f32 v21, v28, 0x3e9b6dac, v76
	v_fmaak_f32 v21, v28, v21, 0x3f2aaada
	v_sub_f32_e32 v22, v26, v25
	v_mul_f32_e32 v25, v26, v28
	v_pk_mul_f32 v[28:29], v[24:25], v[20:21]
	v_ldexp_f32 v27, v26, 1
	v_fma_f32 v26, v24, s0, -v28
	v_fmac_f32_e32 v26, 0xb102e308, v24
	v_pk_add_f32 v[24:25], v[28:29], v[26:27]
	v_sub_f32_e32 v13, v13, v22
	v_sub_f32_e32 v21, v25, v27
	v_ldexp_f32 v13, v13, 1
	v_sub_f32_e32 v21, v29, v21
	v_add_f32_e32 v31, v13, v21
	v_mov_b32_e32 v30, v28
	v_pk_add_f32 v[28:29], v[24:25], v[28:29] neg_lo:[0,1] neg_hi:[0,1]
	v_pk_add_f32 v[32:33], v[24:25], v[30:31]
	v_mov_b32_e32 v27, v24
	v_mov_b32_e32 v29, v33
	v_pk_add_f32 v[34:35], v[26:27], v[28:29] neg_lo:[0,1] neg_hi:[0,1]
	v_pk_add_f32 v[26:27], v[26:27], v[28:29]
	s_mov_b32 s0, 0x7f800000
	v_mov_b32_e32 v22, v27
	v_pk_add_f32 v[28:29], v[22:23], v[24:25] neg_lo:[0,1] neg_hi:[0,1]
	v_mov_b32_e32 v26, v33
	v_mov_b32_e32 v13, v28
	v_pk_add_f32 v[36:37], v[32:33], v[12:13] neg_lo:[0,1] neg_hi:[0,1]
	v_mov_b32_e32 v32, v25
	v_mov_b32_e32 v33, v28
	v_mov_b32_e32 v35, v27
	v_pk_add_f32 v[26:27], v[26:27], v[32:33] neg_lo:[0,1] neg_hi:[0,1]
	v_mov_b32_e32 v28, v31
	v_mov_b32_e32 v29, v24
	v_pk_add_f32 v[24:25], v[28:29], v[26:27] neg_lo:[0,1] neg_hi:[0,1]
	v_mov_b32_e32 v36, v34
	v_pk_add_f32 v[26:27], v[36:37], v[24:25]
	v_cmp_eq_f32_e32 vcc, s0, v38
	v_mov_b32_e32 v28, v27
	v_pk_add_f32 v[28:29], v[26:27], v[28:29]
	s_mov_b32 s0, 0x33800000
	v_pk_add_f32 v[30:31], v[22:23], v[28:29]
	v_mov_b32_e32 v25, v28
	v_mov_b32_e32 v27, v30
	v_pk_add_f32 v[32:33], v[26:27], v[34:35] neg_lo:[0,1] neg_hi:[0,1]
	v_cmp_gt_f32_e64 s[36:37], s0, v38
	v_sub_f32_e32 v13, v26, v32
	v_pk_add_f32 v[24:25], v[24:25], v[32:33] neg_lo:[0,1] neg_hi:[0,1]
	v_sub_f32_e32 v13, v34, v13
	v_add_f32_e32 v13, v24, v13
	v_add_f32_e32 v13, v13, v25
	;; [unrolled: 1-line block ×3, first 2 shown]
	s_or_b64 vcc, s[36:37], vcc
	v_cndmask_b32_e32 v84, v13, v38, vcc
.LBB136_53:                             ;   in Loop: Header=BB136_13 Depth=1
	s_or_b64 exec, exec, s[38:39]
	v_add_f32_e32 v85, s40, v23
	s_mov_b32 s0, 0x41a00000
	v_cmp_ge_f32_e32 vcc, s0, v85
	v_readlane_b32 s0, v95, 3
	v_readlane_b32 s1, v95, 4
	s_and_b64 s[0:1], s[0:1], vcc
	s_and_saveexec_b64 s[38:39], s[0:1]
	s_cbranch_execz .LBB136_55
; %bb.54:                               ;   in Loop: Header=BB136_13 Depth=1
	v_mul_f32_e32 v13, 0x3fb8aa3b, v85
	v_rndne_f32_e32 v21, v13
	s_mov_b32 s0, 0x3fb8aa3b
	v_sub_f32_e32 v22, v13, v21
	v_fma_f32 v13, v85, s0, -v13
	v_fmac_f32_e32 v13, 0x32a5705f, v85
	v_add_f32_e32 v13, v22, v13
	v_cvt_i32_f32_e32 v21, v21
	v_exp_f32_e32 v13, v13
	s_mov_b32 s0, 0xc2ce8ed0
	v_cmp_ngt_f32_e32 vcc, s0, v85
	s_mov_b32 s0, 0x42b17218
	v_ldexp_f32 v13, v13, v21
	v_cndmask_b32_e32 v13, 0, v13, vcc
	v_cmp_nlt_f32_e32 vcc, s0, v85
	s_mov_b32 s0, 0x3f2aaaab
	s_nop 0
	v_cndmask_b32_e32 v38, v77, v13, vcc
	v_add_f32_e32 v13, 1.0, v38
	v_add_f32_e32 v21, -1.0, v13
	v_sub_f32_e32 v22, v21, v13
	v_add_f32_e32 v22, 1.0, v22
	v_sub_f32_e32 v21, v38, v21
	v_add_f32_e32 v21, v21, v22
	v_frexp_mant_f32_e32 v24, v13
	v_cvt_f64_f32_e32 v[22:23], v13
	v_frexp_exp_i32_f64_e32 v22, v[22:23]
	v_cmp_gt_f32_e32 vcc, s0, v24
	s_mov_b32 s0, 0x3f317218
	s_nop 0
	v_subbrev_co_u32_e32 v30, vcc, 0, v22, vcc
	v_sub_u32_e32 v22, 0, v30
	v_ldexp_f32 v13, v13, v22
	v_ldexp_f32 v21, v21, v22
	v_add_f32_e32 v22, -1.0, v13
	v_add_f32_e32 v23, 1.0, v22
	v_sub_f32_e32 v23, v13, v23
	v_add_f32_e32 v24, v21, v23
	v_add_f32_e32 v23, 1.0, v13
	v_add_f32_e32 v25, -1.0, v23
	v_sub_f32_e32 v13, v13, v25
	v_add_f32_e32 v13, v21, v13
	v_add_f32_e32 v21, v23, v13
	v_rcp_f32_e32 v31, v21
	v_sub_f32_e32 v23, v23, v21
	v_add_f32_e32 v13, v13, v23
	v_add_f32_e32 v23, v22, v24
	v_sub_f32_e32 v22, v22, v23
	v_mul_f32_e32 v33, v23, v31
	v_add_f32_e32 v32, v24, v22
	v_mul_f32_e32 v24, v21, v33
	v_fma_f32 v26, v33, v21, -v24
	v_fmac_f32_e32 v26, v33, v13
	v_add_f32_e32 v22, v24, v26
	v_sub_f32_e32 v25, v23, v22
	v_pk_add_f32 v[28:29], v[22:23], v[24:25] neg_lo:[0,1] neg_hi:[0,1]
	v_mov_b32_e32 v27, v22
	v_pk_add_f32 v[22:23], v[28:29], v[26:27] neg_lo:[0,1] neg_hi:[0,1]
	s_nop 0
	v_add_f32_e32 v23, v32, v23
	v_add_f32_e32 v22, v22, v23
	;; [unrolled: 1-line block ×3, first 2 shown]
	v_mul_f32_e32 v32, v31, v23
	v_mul_f32_e32 v24, v21, v32
	v_fma_f32 v26, v32, v21, -v24
	v_fmac_f32_e32 v26, v32, v13
	v_sub_f32_e32 v13, v25, v23
	v_add_f32_e32 v13, v22, v13
	v_add_f32_e32 v22, v24, v26
	v_sub_f32_e32 v25, v23, v22
	v_pk_add_f32 v[28:29], v[22:23], v[24:25] neg_lo:[0,1] neg_hi:[0,1]
	v_mov_b32_e32 v27, v22
	v_pk_add_f32 v[22:23], v[28:29], v[26:27] neg_lo:[0,1] neg_hi:[0,1]
	s_nop 0
	v_add_f32_e32 v13, v13, v23
	v_add_f32_e32 v13, v22, v13
	;; [unrolled: 1-line block ×4, first 2 shown]
	v_sub_f32_e32 v21, v23, v33
	v_mul_f32_e32 v13, v31, v13
	v_sub_f32_e32 v21, v32, v21
	v_add_f32_e32 v13, v21, v13
	v_add_f32_e32 v24, v23, v13
	v_cvt_f32_i32_e32 v22, v30
	v_mul_f32_e32 v26, v24, v24
	v_fmamk_f32 v21, v26, 0x3e9b6dac, v76
	v_sub_f32_e32 v23, v24, v23
	v_fmaak_f32 v21, v26, v21, 0x3f2aaada
	v_sub_f32_e32 v13, v13, v23
	v_mul_f32_e32 v23, v24, v26
	v_pk_mul_f32 v[26:27], v[22:23], v[20:21]
	v_ldexp_f32 v25, v24, 1
	v_fma_f32 v24, v22, s0, -v26
	v_fmac_f32_e32 v24, 0xb102e308, v22
	v_pk_add_f32 v[22:23], v[26:27], v[24:25]
	v_ldexp_f32 v13, v13, 1
	v_sub_f32_e32 v21, v23, v25
	v_sub_f32_e32 v21, v27, v21
	v_add_f32_e32 v29, v13, v21
	v_mov_b32_e32 v28, v26
	v_pk_add_f32 v[26:27], v[22:23], v[26:27] neg_lo:[0,1] neg_hi:[0,1]
	v_pk_add_f32 v[30:31], v[22:23], v[28:29]
	v_mov_b32_e32 v25, v22
	v_mov_b32_e32 v27, v31
	v_pk_add_f32 v[32:33], v[24:25], v[26:27] neg_lo:[0,1] neg_hi:[0,1]
	v_pk_add_f32 v[24:25], v[24:25], v[26:27]
	v_mov_b32_e32 v28, v29
	v_mov_b32_e32 v26, v25
	v_pk_add_f32 v[34:35], v[26:27], v[22:23] neg_lo:[0,1] neg_hi:[0,1]
	v_mov_b32_e32 v24, v31
	v_mov_b32_e32 v13, v34
	v_pk_add_f32 v[36:37], v[30:31], v[12:13] neg_lo:[0,1] neg_hi:[0,1]
	v_mov_b32_e32 v30, v23
	v_mov_b32_e32 v31, v34
	;; [unrolled: 1-line block ×3, first 2 shown]
	v_pk_add_f32 v[24:25], v[24:25], v[30:31] neg_lo:[0,1] neg_hi:[0,1]
	v_mov_b32_e32 v29, v22
	v_pk_add_f32 v[22:23], v[28:29], v[24:25] neg_lo:[0,1] neg_hi:[0,1]
	v_mov_b32_e32 v36, v32
	v_pk_add_f32 v[24:25], v[36:37], v[22:23]
	s_mov_b32 s0, 0x7f800000
	v_mov_b32_e32 v28, v25
	v_pk_add_f32 v[28:29], v[24:25], v[28:29]
	v_cmp_eq_f32_e32 vcc, s0, v38
	v_pk_add_f32 v[26:27], v[26:27], v[28:29]
	v_mov_b32_e32 v23, v28
	v_mov_b32_e32 v25, v26
	v_pk_add_f32 v[30:31], v[24:25], v[32:33] neg_lo:[0,1] neg_hi:[0,1]
	s_mov_b32 s0, 0x33800000
	v_sub_f32_e32 v13, v24, v30
	v_pk_add_f32 v[22:23], v[22:23], v[30:31] neg_lo:[0,1] neg_hi:[0,1]
	v_sub_f32_e32 v13, v32, v13
	v_add_f32_e32 v13, v22, v13
	v_add_f32_e32 v13, v13, v23
	v_cmp_gt_f32_e64 s[36:37], s0, v38
	v_add_f32_e32 v13, v26, v13
	s_or_b64 vcc, s[36:37], vcc
	v_cndmask_b32_e32 v85, v13, v38, vcc
.LBB136_55:                             ;   in Loop: Header=BB136_13 Depth=1
	s_or_b64 exec, exec, s[38:39]
	s_waitcnt lgkmcnt(0)
	v_add_f32_e32 v86, s40, v10
	s_mov_b32 s0, 0x41a00000
	v_cmp_ge_f32_e32 vcc, s0, v86
	v_readlane_b32 s0, v95, 3
	v_readlane_b32 s1, v95, 4
	s_and_b64 s[0:1], s[0:1], vcc
	s_and_saveexec_b64 s[38:39], s[0:1]
	s_cbranch_execz .LBB136_57
; %bb.56:                               ;   in Loop: Header=BB136_13 Depth=1
	v_mul_f32_e32 v10, 0x3fb8aa3b, v86
	v_rndne_f32_e32 v13, v10
	s_mov_b32 s0, 0x3fb8aa3b
	v_sub_f32_e32 v21, v10, v13
	v_fma_f32 v10, v86, s0, -v10
	v_fmac_f32_e32 v10, 0x32a5705f, v86
	v_add_f32_e32 v10, v21, v10
	v_cvt_i32_f32_e32 v13, v13
	v_exp_f32_e32 v10, v10
	s_mov_b32 s0, 0xc2ce8ed0
	v_cmp_ngt_f32_e32 vcc, s0, v86
	s_mov_b32 s0, 0x42b17218
	v_ldexp_f32 v10, v10, v13
	v_cndmask_b32_e32 v10, 0, v10, vcc
	v_cmp_nlt_f32_e32 vcc, s0, v86
	s_mov_b32 s0, 0x3f2aaaab
	s_nop 0
	v_cndmask_b32_e32 v36, v77, v10, vcc
	v_add_f32_e32 v10, 1.0, v36
	v_add_f32_e32 v13, -1.0, v10
	v_sub_f32_e32 v21, v13, v10
	v_add_f32_e32 v21, 1.0, v21
	v_sub_f32_e32 v13, v36, v13
	v_add_f32_e32 v13, v13, v21
	v_frexp_mant_f32_e32 v21, v10
	v_cvt_f64_f32_e32 v[22:23], v10
	v_frexp_exp_i32_f64_e32 v22, v[22:23]
	v_cmp_gt_f32_e32 vcc, s0, v21
	s_mov_b32 s0, 0x3f317218
	s_nop 0
	v_subbrev_co_u32_e32 v30, vcc, 0, v22, vcc
	v_sub_u32_e32 v21, 0, v30
	v_ldexp_f32 v10, v10, v21
	v_ldexp_f32 v13, v13, v21
	v_add_f32_e32 v21, -1.0, v10
	v_add_f32_e32 v23, 1.0, v10
	v_add_f32_e32 v22, 1.0, v21
	v_add_f32_e32 v24, -1.0, v23
	v_sub_f32_e32 v22, v10, v22
	v_sub_f32_e32 v10, v10, v24
	v_add_f32_e32 v10, v13, v10
	v_add_f32_e32 v22, v13, v22
	;; [unrolled: 1-line block ×3, first 2 shown]
	v_rcp_f32_e32 v31, v13
	v_sub_f32_e32 v23, v23, v13
	v_add_f32_e32 v10, v10, v23
	v_add_f32_e32 v23, v21, v22
	v_mul_f32_e32 v32, v23, v31
	v_mul_f32_e32 v24, v13, v32
	v_fma_f32 v26, v32, v13, -v24
	v_sub_f32_e32 v21, v21, v23
	v_fmac_f32_e32 v26, v32, v10
	v_add_f32_e32 v21, v22, v21
	v_add_f32_e32 v22, v24, v26
	v_sub_f32_e32 v25, v23, v22
	v_pk_add_f32 v[28:29], v[22:23], v[24:25] neg_lo:[0,1] neg_hi:[0,1]
	v_mov_b32_e32 v27, v22
	v_pk_add_f32 v[22:23], v[28:29], v[26:27] neg_lo:[0,1] neg_hi:[0,1]
	s_nop 0
	v_add_f32_e32 v21, v21, v23
	v_add_f32_e32 v21, v22, v21
	;; [unrolled: 1-line block ×3, first 2 shown]
	v_mul_f32_e32 v33, v31, v23
	v_mul_f32_e32 v24, v13, v33
	v_fma_f32 v26, v33, v13, -v24
	v_fmac_f32_e32 v26, v33, v10
	v_add_f32_e32 v22, v24, v26
	v_sub_f32_e32 v10, v25, v23
	v_sub_f32_e32 v25, v23, v22
	v_pk_add_f32 v[28:29], v[22:23], v[24:25] neg_lo:[0,1] neg_hi:[0,1]
	v_mov_b32_e32 v27, v22
	v_add_f32_e32 v10, v21, v10
	v_pk_add_f32 v[22:23], v[28:29], v[26:27] neg_lo:[0,1] neg_hi:[0,1]
	v_add_f32_e32 v13, v32, v33
	v_add_f32_e32 v10, v10, v23
	;; [unrolled: 1-line block ×4, first 2 shown]
	v_sub_f32_e32 v21, v13, v32
	v_mul_f32_e32 v10, v31, v10
	v_sub_f32_e32 v21, v33, v21
	v_add_f32_e32 v10, v21, v10
	v_add_f32_e32 v23, v13, v10
	v_cvt_f32_i32_e32 v22, v30
	v_mul_f32_e32 v24, v23, v23
	v_fmamk_f32 v21, v24, 0x3e9b6dac, v76
	v_fmaak_f32 v21, v24, v21, 0x3f2aaada
	v_sub_f32_e32 v13, v23, v13
	v_ldexp_f32 v25, v23, 1
	v_mul_f32_e32 v23, v23, v24
	v_pk_mul_f32 v[26:27], v[22:23], v[20:21]
	v_sub_f32_e32 v10, v10, v13
	v_fma_f32 v24, v22, s0, -v26
	v_fmac_f32_e32 v24, 0xb102e308, v22
	v_pk_add_f32 v[22:23], v[26:27], v[24:25]
	v_ldexp_f32 v10, v10, 1
	v_sub_f32_e32 v13, v23, v25
	v_sub_f32_e32 v13, v27, v13
	v_add_f32_e32 v29, v10, v13
	v_mov_b32_e32 v28, v26
	v_pk_add_f32 v[26:27], v[22:23], v[26:27] neg_lo:[0,1] neg_hi:[0,1]
	v_pk_add_f32 v[30:31], v[22:23], v[28:29]
	v_mov_b32_e32 v25, v22
	v_mov_b32_e32 v27, v31
	v_pk_add_f32 v[32:33], v[24:25], v[26:27] neg_lo:[0,1] neg_hi:[0,1]
	v_pk_add_f32 v[24:25], v[24:25], v[26:27]
	s_mov_b32 s0, 0x7f800000
	v_mov_b32_e32 v10, v25
	v_pk_add_f32 v[26:27], v[10:11], v[22:23] neg_lo:[0,1] neg_hi:[0,1]
	v_mov_b32_e32 v24, v31
	v_mov_b32_e32 v13, v26
	v_pk_add_f32 v[34:35], v[30:31], v[12:13] neg_lo:[0,1] neg_hi:[0,1]
	v_mov_b32_e32 v30, v23
	v_mov_b32_e32 v31, v26
	;; [unrolled: 1-line block ×3, first 2 shown]
	v_pk_add_f32 v[24:25], v[24:25], v[30:31] neg_lo:[0,1] neg_hi:[0,1]
	v_mov_b32_e32 v26, v29
	v_mov_b32_e32 v27, v22
	v_pk_add_f32 v[22:23], v[26:27], v[24:25] neg_lo:[0,1] neg_hi:[0,1]
	v_mov_b32_e32 v34, v32
	v_pk_add_f32 v[24:25], v[34:35], v[22:23]
	v_cmp_eq_f32_e32 vcc, s0, v36
	v_mov_b32_e32 v26, v25
	v_pk_add_f32 v[26:27], v[24:25], v[26:27]
	s_mov_b32 s0, 0x33800000
	v_pk_add_f32 v[28:29], v[10:11], v[26:27]
	v_mov_b32_e32 v23, v26
	v_mov_b32_e32 v25, v28
	v_pk_add_f32 v[30:31], v[24:25], v[32:33] neg_lo:[0,1] neg_hi:[0,1]
	v_cmp_gt_f32_e64 s[36:37], s0, v36
	v_sub_f32_e32 v10, v24, v30
	v_pk_add_f32 v[22:23], v[22:23], v[30:31] neg_lo:[0,1] neg_hi:[0,1]
	v_sub_f32_e32 v10, v32, v10
	v_add_f32_e32 v10, v22, v10
	v_add_f32_e32 v10, v10, v23
	;; [unrolled: 1-line block ×3, first 2 shown]
	s_or_b64 vcc, s[36:37], vcc
	v_cndmask_b32_e32 v86, v10, v36, vcc
.LBB136_57:                             ;   in Loop: Header=BB136_13 Depth=1
	s_or_b64 exec, exec, s[38:39]
	v_add_f32_e32 v21, s40, v11
	s_mov_b32 s0, 0x41a00000
	v_cmp_ge_f32_e32 vcc, s0, v21
	v_readlane_b32 s0, v95, 3
	v_readlane_b32 s1, v95, 4
	s_and_b64 s[0:1], s[0:1], vcc
	s_and_saveexec_b64 s[38:39], s[0:1]
	s_cbranch_execz .LBB136_59
; %bb.58:                               ;   in Loop: Header=BB136_13 Depth=1
	v_mul_f32_e32 v10, 0x3fb8aa3b, v21
	v_rndne_f32_e32 v11, v10
	s_mov_b32 s0, 0x3fb8aa3b
	v_sub_f32_e32 v13, v10, v11
	v_fma_f32 v10, v21, s0, -v10
	v_fmac_f32_e32 v10, 0x32a5705f, v21
	v_add_f32_e32 v10, v13, v10
	v_cvt_i32_f32_e32 v11, v11
	v_exp_f32_e32 v10, v10
	s_mov_b32 s0, 0xc2ce8ed0
	v_cmp_ngt_f32_e32 vcc, s0, v21
	s_mov_b32 s0, 0x42b17218
	v_ldexp_f32 v10, v10, v11
	v_cndmask_b32_e32 v10, 0, v10, vcc
	v_cmp_nlt_f32_e32 vcc, s0, v21
	s_mov_b32 s0, 0x3f2aaaab
	s_nop 0
	v_cndmask_b32_e32 v36, v77, v10, vcc
	v_add_f32_e32 v13, 1.0, v36
	v_add_f32_e32 v10, -1.0, v13
	v_sub_f32_e32 v11, v10, v13
	v_add_f32_e32 v11, 1.0, v11
	v_sub_f32_e32 v10, v36, v10
	v_add_f32_e32 v21, v10, v11
	v_frexp_mant_f32_e32 v22, v13
	v_cvt_f64_f32_e32 v[10:11], v13
	v_frexp_exp_i32_f64_e32 v10, v[10:11]
	v_cmp_gt_f32_e32 vcc, s0, v22
	s_mov_b32 s0, 0x3f317218
	s_nop 0
	v_subbrev_co_u32_e32 v28, vcc, 0, v10, vcc
	v_sub_u32_e32 v10, 0, v28
	v_ldexp_f32 v11, v13, v10
	v_add_f32_e32 v13, -1.0, v11
	v_add_f32_e32 v22, 1.0, v11
	v_ldexp_f32 v10, v21, v10
	v_add_f32_e32 v21, 1.0, v13
	v_add_f32_e32 v23, -1.0, v22
	v_sub_f32_e32 v21, v11, v21
	v_sub_f32_e32 v11, v11, v23
	v_add_f32_e32 v21, v10, v21
	v_add_f32_e32 v10, v10, v11
	;; [unrolled: 1-line block ×3, first 2 shown]
	v_rcp_f32_e32 v31, v29
	v_sub_f32_e32 v11, v22, v29
	v_add_f32_e32 v30, v10, v11
	v_add_f32_e32 v11, v13, v21
	v_sub_f32_e32 v10, v13, v11
	v_add_f32_e32 v13, v21, v10
	v_mul_f32_e32 v21, v11, v31
	v_mul_f32_e32 v22, v29, v21
	v_fma_f32 v24, v21, v29, -v22
	v_fmac_f32_e32 v24, v21, v30
	v_add_f32_e32 v10, v22, v24
	v_sub_f32_e32 v23, v11, v10
	v_pk_add_f32 v[26:27], v[10:11], v[22:23] neg_lo:[0,1] neg_hi:[0,1]
	v_mov_b32_e32 v25, v10
	v_pk_add_f32 v[10:11], v[26:27], v[24:25] neg_lo:[0,1] neg_hi:[0,1]
	s_nop 0
	v_add_f32_e32 v11, v13, v11
	v_add_f32_e32 v10, v10, v11
	;; [unrolled: 1-line block ×3, first 2 shown]
	v_mul_f32_e32 v13, v31, v11
	v_mul_f32_e32 v22, v29, v13
	v_fma_f32 v24, v13, v29, -v22
	v_fmac_f32_e32 v24, v13, v30
	v_sub_f32_e32 v23, v23, v11
	v_add_f32_e32 v29, v10, v23
	v_add_f32_e32 v10, v22, v24
	v_sub_f32_e32 v23, v11, v10
	v_pk_add_f32 v[26:27], v[10:11], v[22:23] neg_lo:[0,1] neg_hi:[0,1]
	v_mov_b32_e32 v25, v10
	v_pk_add_f32 v[10:11], v[26:27], v[24:25] neg_lo:[0,1] neg_hi:[0,1]
	s_nop 0
	v_add_f32_e32 v11, v29, v11
	v_add_f32_e32 v10, v10, v11
	;; [unrolled: 1-line block ×4, first 2 shown]
	v_sub_f32_e32 v21, v11, v21
	v_mul_f32_e32 v10, v31, v10
	v_sub_f32_e32 v13, v13, v21
	v_add_f32_e32 v13, v13, v10
	v_add_f32_e32 v22, v11, v13
	v_mul_f32_e32 v24, v22, v22
	v_fmamk_f32 v10, v24, 0x3e9b6dac, v76
	v_fmaak_f32 v21, v24, v10, 0x3f2aaada
	v_cvt_f32_i32_e32 v10, v28
	v_sub_f32_e32 v11, v22, v11
	v_sub_f32_e32 v11, v13, v11
	v_ldexp_f32 v13, v11, 1
	v_mul_f32_e32 v11, v22, v24
	v_pk_mul_f32 v[24:25], v[10:11], v[20:21]
	v_ldexp_f32 v23, v22, 1
	v_fma_f32 v22, v10, s0, -v24
	v_fmac_f32_e32 v22, 0xb102e308, v10
	v_pk_add_f32 v[10:11], v[24:25], v[22:23]
	v_mov_b32_e32 v26, v24
	v_sub_f32_e32 v21, v11, v23
	v_sub_f32_e32 v21, v25, v21
	v_add_f32_e32 v27, v13, v21
	v_pk_add_f32 v[24:25], v[10:11], v[24:25] neg_lo:[0,1] neg_hi:[0,1]
	v_pk_add_f32 v[28:29], v[10:11], v[26:27]
	v_mov_b32_e32 v23, v10
	v_mov_b32_e32 v25, v29
	v_pk_add_f32 v[30:31], v[22:23], v[24:25] neg_lo:[0,1] neg_hi:[0,1]
	v_pk_add_f32 v[22:23], v[22:23], v[24:25]
	v_mov_b32_e32 v26, v27
	v_mov_b32_e32 v24, v23
	v_pk_add_f32 v[32:33], v[24:25], v[10:11] neg_lo:[0,1] neg_hi:[0,1]
	v_mov_b32_e32 v22, v29
	v_mov_b32_e32 v13, v32
	v_pk_add_f32 v[34:35], v[28:29], v[12:13] neg_lo:[0,1] neg_hi:[0,1]
	v_mov_b32_e32 v28, v11
	v_mov_b32_e32 v29, v32
	;; [unrolled: 1-line block ×3, first 2 shown]
	v_pk_add_f32 v[22:23], v[22:23], v[28:29] neg_lo:[0,1] neg_hi:[0,1]
	v_mov_b32_e32 v27, v10
	v_pk_add_f32 v[10:11], v[26:27], v[22:23] neg_lo:[0,1] neg_hi:[0,1]
	v_mov_b32_e32 v34, v30
	v_pk_add_f32 v[22:23], v[34:35], v[10:11]
	s_mov_b32 s0, 0x7f800000
	v_mov_b32_e32 v26, v23
	v_pk_add_f32 v[26:27], v[22:23], v[26:27]
	v_cmp_eq_f32_e32 vcc, s0, v36
	v_pk_add_f32 v[24:25], v[24:25], v[26:27]
	v_mov_b32_e32 v11, v26
	v_mov_b32_e32 v23, v24
	v_pk_add_f32 v[28:29], v[22:23], v[30:31] neg_lo:[0,1] neg_hi:[0,1]
	s_mov_b32 s0, 0x33800000
	v_sub_f32_e32 v13, v22, v28
	v_pk_add_f32 v[10:11], v[10:11], v[28:29] neg_lo:[0,1] neg_hi:[0,1]
	v_sub_f32_e32 v13, v30, v13
	v_add_f32_e32 v10, v10, v13
	v_add_f32_e32 v10, v10, v11
	v_cmp_gt_f32_e64 s[36:37], s0, v36
	v_add_f32_e32 v10, v24, v10
	s_or_b64 vcc, s[36:37], vcc
	v_cndmask_b32_e32 v21, v10, v36, vcc
.LBB136_59:                             ;   in Loop: Header=BB136_13 Depth=1
	s_or_b64 exec, exec, s[38:39]
	v_readlane_b32 s0, v95, 2
	s_waitcnt lgkmcnt(0)
	; wave barrier
	s_nop 0
	v_mul_f32_e32 v22, s0, v8
	v_mul_f32_e32 v25, s0, v7
	;; [unrolled: 1-line block ×8, first 2 shown]
	v_readlane_b32 s0, v95, 6
	v_readlane_b32 s1, v95, 7
	s_and_b64 vcc, exec, s[0:1]
	s_cbranch_vccz .LBB136_120
; %bb.60:                               ;   in Loop: Header=BB136_13 Depth=1
	v_mul_f32_e32 v94, v0, v80
	scratch_load_dword v0, off, off         ; 4-byte Folded Reload
	s_cmp_lg_u32 s66, 0
	v_readlane_b32 s1, v95, 11
	v_readlane_b32 s2, v95, 8
	s_cselect_b64 s[82:83], -1, 0
	s_cmp_eq_u32 s66, s1
	v_readlane_b32 s3, v95, 9
	s_cselect_b64 s[88:89], -1, 0
	s_mov_b64 s[86:87], s[42:43]
	v_lshl_add_u64 v[30:31], s[42:43], 0, v[2:3]
	s_mov_b64 s[84:85], s[46:47]
	v_lshl_add_u64 v[32:33], s[46:47], 0, v[2:3]
	s_mov_b32 s0, 0
	v_mul_f32_e32 v87, v9, v21
	v_mul_f32_e32 v88, v8, v86
	;; [unrolled: 1-line block ×7, first 2 shown]
	s_mov_b32 s80, s0
	s_mov_b32 s90, 0
	;; [unrolled: 1-line block ×4, first 2 shown]
	v_readlane_b32 s67, v95, 5
	v_readlane_b32 s57, v95, 20
	s_waitcnt vmcnt(0)
	v_cmp_gt_u32_e32 vcc, s50, v0
	scratch_load_dword v0, off, off offset:4 ; 4-byte Folded Reload
	s_or_b64 s[36:37], s[2:3], vcc
	s_waitcnt vmcnt(0)
	v_cmp_gt_u32_e32 vcc, s50, v0
	scratch_load_dword v0, off, off offset:8 ; 4-byte Folded Reload
	s_or_b64 s[38:39], s[2:3], vcc
	;; [unrolled: 4-line block ×7, first 2 shown]
	s_waitcnt vmcnt(0)
	v_cmp_gt_u32_e32 vcc, s50, v0
	s_or_b64 s[50:51], s[2:3], vcc
	s_branch .LBB136_62
.LBB136_61:                             ;   in Loop: Header=BB136_62 Depth=2
	s_or_b64 exec, exec, s[74:75]
	v_mul_f32_e32 v10, v69, v44
	v_fma_f32 v11, v69, v45, v34
	v_cndmask_b32_e64 v34, v11, v34, s[16:17]
	v_cndmask_b32_e64 v10, v10, v69, s[16:17]
	s_waitcnt lgkmcnt(0)
	v_fmac_f32_e32 v34, v42, v10
	v_fmac_f32_e32 v35, v34, v70
	;; [unrolled: 1-line block ×7, first 2 shown]
	v_readlane_b32 s68, v95, 12
	v_fmac_f32_e32 v39, v38, v13
	s_add_i32 s57, s57, 8
	s_add_i32 s67, s67, -1
	s_add_i32 s94, s94, s96
	s_add_i32 s92, s92, s68
	;; [unrolled: 1-line block ×4, first 2 shown]
	v_pk_fma_f32 v[28:29], v[8:9], v[34:35], v[28:29]
	v_pk_fma_f32 v[26:27], v[6:7], v[36:37], v[26:27]
	;; [unrolled: 1-line block ×3, first 2 shown]
	s_cmp_eq_u32 s67, 0
	v_pk_fma_f32 v[22:23], v[0:1], v[38:39], v[22:23]
	v_readlane_b32 s69, v95, 13
	v_readlane_b32 s70, v95, 14
	;; [unrolled: 1-line block ×7, first 2 shown]
	s_cbranch_scc1 .LBB136_119
.LBB136_62:                             ;   Parent Loop BB136_13 Depth=1
                                        ; =>  This Inner Loop Header: Depth=2
	s_lshl_b64 s[2:3], s[80:81], 2
	s_add_u32 s2, s52, s2
	s_addc_u32 s3, s98, s3
	global_load_dword v42, v3, s[2:3]
	s_mov_b32 s6, s0
	s_mov_b32 s7, s0
	;; [unrolled: 1-line block ×8, first 2 shown]
	v_mov_b64_e32 v[10:11], s[6:7]
	v_lshl_add_u64 v[0:1], s[90:91], 2, v[30:31]
	v_mov_b64_e32 v[8:9], s[4:5]
	v_mov_b64_e32 v[6:7], s[2:3]
	;; [unrolled: 1-line block ×3, first 2 shown]
	v_mov_b32_e32 v13, 0
	s_and_saveexec_b64 s[74:75], s[18:19]
	s_cbranch_execnz .LBB136_82
; %bb.63:                               ;   in Loop: Header=BB136_62 Depth=2
	s_or_b64 exec, exec, s[74:75]
	s_and_saveexec_b64 s[74:75], s[20:21]
	s_cbranch_execnz .LBB136_83
.LBB136_64:                             ;   in Loop: Header=BB136_62 Depth=2
	s_or_b64 exec, exec, s[74:75]
	s_and_saveexec_b64 s[74:75], s[22:23]
	s_cbranch_execnz .LBB136_84
.LBB136_65:                             ;   in Loop: Header=BB136_62 Depth=2
	s_or_b64 exec, exec, s[74:75]
	s_and_saveexec_b64 s[74:75], s[24:25]
	s_cbranch_execnz .LBB136_85
.LBB136_66:                             ;   in Loop: Header=BB136_62 Depth=2
	s_or_b64 exec, exec, s[74:75]
	s_and_saveexec_b64 s[74:75], s[26:27]
	s_cbranch_execnz .LBB136_86
.LBB136_67:                             ;   in Loop: Header=BB136_62 Depth=2
	s_or_b64 exec, exec, s[74:75]
	s_and_saveexec_b64 s[74:75], s[28:29]
	s_cbranch_execnz .LBB136_87
.LBB136_68:                             ;   in Loop: Header=BB136_62 Depth=2
	s_or_b64 exec, exec, s[74:75]
	s_and_saveexec_b64 s[74:75], s[30:31]
	s_cbranch_execnz .LBB136_88
.LBB136_69:                             ;   in Loop: Header=BB136_62 Depth=2
	s_or_b64 exec, exec, s[74:75]
	s_and_saveexec_b64 s[74:75], s[34:35]
	s_cbranch_execz .LBB136_71
.LBB136_70:                             ;   in Loop: Header=BB136_62 Depth=2
	global_load_dword v11, v[0:1], off offset:1792
.LBB136_71:                             ;   in Loop: Header=BB136_62 Depth=2
	s_or_b64 exec, exec, s[74:75]
	s_waitcnt vmcnt(0)
	ds_write_b32 v51, v13
	ds_write_b32 v52, v5 offset:256
	ds_write_b32 v53, v6 offset:512
	;; [unrolled: 1-line block ×7, first 2 shown]
	; wave barrier
	ds_read2_b32 v[34:35], v59 offset1:1
	ds_read2_b32 v[36:37], v59 offset0:2 offset1:3
	ds_read2_b32 v[40:41], v59 offset0:4 offset1:5
	;; [unrolled: 1-line block ×3, first 2 shown]
	s_mov_b32 s68, s81
	s_mov_b32 s69, s81
	;; [unrolled: 1-line block ×9, first 2 shown]
	v_mov_b64_e32 v[4:5], s[68:69]
	v_lshl_add_u64 v[0:1], s[92:93], 2, v[32:33]
	v_mov_b64_e32 v[6:7], s[70:71]
	v_mov_b64_e32 v[8:9], s[72:73]
	;; [unrolled: 1-line block ×3, first 2 shown]
	v_mov_b32_e32 v13, 0
	s_and_saveexec_b64 s[74:75], s[18:19]
	s_cbranch_execnz .LBB136_89
; %bb.72:                               ;   in Loop: Header=BB136_62 Depth=2
	s_or_b64 exec, exec, s[74:75]
	s_and_saveexec_b64 s[74:75], s[20:21]
	s_cbranch_execnz .LBB136_90
.LBB136_73:                             ;   in Loop: Header=BB136_62 Depth=2
	s_or_b64 exec, exec, s[74:75]
	s_and_saveexec_b64 s[74:75], s[22:23]
	s_cbranch_execnz .LBB136_91
.LBB136_74:                             ;   in Loop: Header=BB136_62 Depth=2
	s_or_b64 exec, exec, s[74:75]
	s_and_saveexec_b64 s[74:75], s[24:25]
	s_cbranch_execnz .LBB136_92
.LBB136_75:                             ;   in Loop: Header=BB136_62 Depth=2
	s_or_b64 exec, exec, s[74:75]
	s_and_saveexec_b64 s[74:75], s[26:27]
	s_cbranch_execnz .LBB136_93
.LBB136_76:                             ;   in Loop: Header=BB136_62 Depth=2
	s_or_b64 exec, exec, s[74:75]
	s_and_saveexec_b64 s[74:75], s[28:29]
	s_cbranch_execnz .LBB136_94
.LBB136_77:                             ;   in Loop: Header=BB136_62 Depth=2
	s_or_b64 exec, exec, s[74:75]
	s_and_saveexec_b64 s[74:75], s[30:31]
	s_cbranch_execnz .LBB136_95
.LBB136_78:                             ;   in Loop: Header=BB136_62 Depth=2
	s_or_b64 exec, exec, s[74:75]
	s_and_saveexec_b64 s[74:75], s[34:35]
	s_cbranch_execz .LBB136_80
.LBB136_79:                             ;   in Loop: Header=BB136_62 Depth=2
	global_load_dword v11, v[0:1], off offset:1792
.LBB136_80:                             ;   in Loop: Header=BB136_62 Depth=2
	s_or_b64 exec, exec, s[74:75]
	v_add_u32_e32 v0, 0x840, v59
	s_waitcnt vmcnt(0)
	ds_write_b32 v51, v13 offset:2112
	ds_write_b32 v60, v5 offset:256
	;; [unrolled: 1-line block ×8, first 2 shown]
	; wave barrier
	ds_read2_b32 v[6:7], v67 offset0:2 offset1:3
	ds_read2_b32 v[4:5], v67 offset0:4 offset1:5
	ds_read2_b32 v[8:9], v0 offset1:1
	ds_read2_b32 v[0:1], v67 offset0:6 offset1:7
	s_andn2_b64 vcc, exec, s[82:83]
	s_cbranch_vccnz .LBB136_96
; %bb.81:                               ;   in Loop: Header=BB136_62 Depth=2
	v_mov_b32_e32 v10, s57
	ds_read_b64 v[10:11], v10
	s_cbranch_execz .LBB136_97
	s_branch .LBB136_100
.LBB136_82:                             ;   in Loop: Header=BB136_62 Depth=2
	global_load_dword v13, v[0:1], off
	v_mov_b32_e32 v4, v3
	v_mov_b32_e32 v5, v3
	;; [unrolled: 1-line block ×6, first 2 shown]
	v_mov_b64_e32 v[10:11], v[8:9]
	v_mov_b64_e32 v[8:9], v[6:7]
	;; [unrolled: 1-line block ×4, first 2 shown]
	s_or_b64 exec, exec, s[74:75]
	s_and_saveexec_b64 s[74:75], s[20:21]
	s_cbranch_execz .LBB136_64
.LBB136_83:                             ;   in Loop: Header=BB136_62 Depth=2
	global_load_dword v5, v[0:1], off offset:256
	s_or_b64 exec, exec, s[74:75]
	s_and_saveexec_b64 s[74:75], s[22:23]
	s_cbranch_execz .LBB136_65
.LBB136_84:                             ;   in Loop: Header=BB136_62 Depth=2
	global_load_dword v6, v[0:1], off offset:512
	s_or_b64 exec, exec, s[74:75]
	s_and_saveexec_b64 s[74:75], s[24:25]
	s_cbranch_execz .LBB136_66
.LBB136_85:                             ;   in Loop: Header=BB136_62 Depth=2
	global_load_dword v7, v[0:1], off offset:768
	s_or_b64 exec, exec, s[74:75]
	s_and_saveexec_b64 s[74:75], s[26:27]
	s_cbranch_execz .LBB136_67
.LBB136_86:                             ;   in Loop: Header=BB136_62 Depth=2
	global_load_dword v8, v[0:1], off offset:1024
	s_or_b64 exec, exec, s[74:75]
	s_and_saveexec_b64 s[74:75], s[28:29]
	s_cbranch_execz .LBB136_68
.LBB136_87:                             ;   in Loop: Header=BB136_62 Depth=2
	global_load_dword v9, v[0:1], off offset:1280
	s_or_b64 exec, exec, s[74:75]
	s_and_saveexec_b64 s[74:75], s[30:31]
	s_cbranch_execz .LBB136_69
.LBB136_88:                             ;   in Loop: Header=BB136_62 Depth=2
	global_load_dword v10, v[0:1], off offset:1536
	s_or_b64 exec, exec, s[74:75]
	s_and_saveexec_b64 s[74:75], s[34:35]
	s_cbranch_execnz .LBB136_70
	s_branch .LBB136_71
.LBB136_89:                             ;   in Loop: Header=BB136_62 Depth=2
	global_load_dword v13, v[0:1], off
	v_mov_b32_e32 v4, v3
	v_mov_b32_e32 v5, v3
	;; [unrolled: 1-line block ×6, first 2 shown]
	v_mov_b64_e32 v[10:11], v[8:9]
	v_mov_b64_e32 v[8:9], v[6:7]
	;; [unrolled: 1-line block ×4, first 2 shown]
	s_or_b64 exec, exec, s[74:75]
	s_and_saveexec_b64 s[74:75], s[20:21]
	s_cbranch_execz .LBB136_73
.LBB136_90:                             ;   in Loop: Header=BB136_62 Depth=2
	global_load_dword v5, v[0:1], off offset:256
	s_or_b64 exec, exec, s[74:75]
	s_and_saveexec_b64 s[74:75], s[22:23]
	s_cbranch_execz .LBB136_74
.LBB136_91:                             ;   in Loop: Header=BB136_62 Depth=2
	global_load_dword v6, v[0:1], off offset:512
	s_or_b64 exec, exec, s[74:75]
	s_and_saveexec_b64 s[74:75], s[24:25]
	s_cbranch_execz .LBB136_75
.LBB136_92:                             ;   in Loop: Header=BB136_62 Depth=2
	global_load_dword v7, v[0:1], off offset:768
	s_or_b64 exec, exec, s[74:75]
	s_and_saveexec_b64 s[74:75], s[26:27]
	s_cbranch_execz .LBB136_76
.LBB136_93:                             ;   in Loop: Header=BB136_62 Depth=2
	global_load_dword v8, v[0:1], off offset:1024
	s_or_b64 exec, exec, s[74:75]
	s_and_saveexec_b64 s[74:75], s[28:29]
	s_cbranch_execz .LBB136_77
.LBB136_94:                             ;   in Loop: Header=BB136_62 Depth=2
	global_load_dword v9, v[0:1], off offset:1280
	s_or_b64 exec, exec, s[74:75]
	s_and_saveexec_b64 s[74:75], s[30:31]
	s_cbranch_execz .LBB136_78
.LBB136_95:                             ;   in Loop: Header=BB136_62 Depth=2
	global_load_dword v10, v[0:1], off offset:1536
	s_or_b64 exec, exec, s[74:75]
	s_and_saveexec_b64 s[74:75], s[34:35]
	s_cbranch_execnz .LBB136_79
	s_branch .LBB136_80
.LBB136_96:                             ;   in Loop: Header=BB136_62 Depth=2
                                        ; implicit-def: $vgpr11
.LBB136_97:                             ;   in Loop: Header=BB136_62 Depth=2
	v_readlane_b32 s2, v95, 0
	v_readlane_b32 s3, v95, 1
	s_andn2_b64 vcc, exec, s[2:3]
	s_waitcnt lgkmcnt(0)
	v_mov_b32_e32 v11, 0
	s_cbranch_vccnz .LBB136_99
; %bb.98:                               ;   in Loop: Header=BB136_62 Depth=2
	s_mov_b32 s95, s81
	s_lshl_b64 s[2:3], s[94:95], 2
	s_add_u32 s2, s33, s2
	s_addc_u32 s3, s99, s3
	global_load_dword v11, v3, s[2:3]
.LBB136_99:                             ;   in Loop: Header=BB136_62 Depth=2
	v_mov_b32_e32 v10, 1.0
.LBB136_100:                            ;   in Loop: Header=BB136_62 Depth=2
	v_mul_f32_e32 v13, 0x3fb8aa3b, v42
	v_mul_f32_e32 v42, v13, v80
	v_cmp_gt_f32_e32 vcc, s97, v42
	s_waitcnt lgkmcnt(14)
	v_mul_f32_e32 v34, v34, v94
	v_mul_f32_e32 v35, v35, v93
	v_cndmask_b32_e32 v42, 0, v78, vcc
	v_fmac_f32_e32 v42, v13, v80
	v_exp_f32_e32 v42, v42
	v_cndmask_b32_e32 v43, 1.0, v79, vcc
	v_cndmask_b32_e64 v34, 0, v34, s[36:37]
	v_cndmask_b32_e64 v35, 0, v35, s[38:39]
	v_mul_f32_e32 v42, v42, v43
	v_mul_f32_e32 v43, v13, v81
	v_cmp_gt_f32_e32 vcc, s97, v43
	v_cndmask_b32_e64 v69, 1.0, v42, s[36:37]
	v_mul_f32_e32 v36, v36, v92
	v_cndmask_b32_e32 v43, 0, v78, vcc
	v_fmac_f32_e32 v43, v13, v81
	v_exp_f32_e32 v43, v43
	v_cndmask_b32_e32 v42, 1.0, v79, vcc
	v_cndmask_b32_e64 v36, 0, v36, s[40:41]
	v_mul_f32_e32 v37, v37, v91
	v_mul_f32_e32 v42, v43, v42
	;; [unrolled: 1-line block ×3, first 2 shown]
	v_cmp_gt_f32_e32 vcc, s97, v43
	v_cndmask_b32_e64 v70, 1.0, v42, s[38:39]
	v_cndmask_b32_e64 v37, 0, v37, s[42:43]
	v_cndmask_b32_e32 v43, 0, v78, vcc
	v_fmac_f32_e32 v43, v13, v82
	v_exp_f32_e32 v43, v43
	v_cndmask_b32_e32 v42, 1.0, v79, vcc
	s_waitcnt lgkmcnt(13)
	v_mul_f32_e32 v40, v40, v90
	v_cndmask_b32_e64 v40, 0, v40, s[44:45]
	v_mul_f32_e32 v42, v43, v42
	v_mul_f32_e32 v43, v13, v83
	v_cmp_gt_f32_e32 vcc, s97, v43
	v_cndmask_b32_e64 v71, 1.0, v42, s[40:41]
	v_mul_f32_e32 v41, v41, v89
	v_cndmask_b32_e32 v43, 0, v78, vcc
	v_fmac_f32_e32 v43, v13, v83
	v_exp_f32_e32 v43, v43
	v_cndmask_b32_e32 v42, 1.0, v79, vcc
	v_cndmask_b32_e64 v41, 0, v41, s[46:47]
	s_waitcnt lgkmcnt(12)
	v_mul_f32_e32 v38, v38, v88
	v_mul_f32_e32 v42, v43, v42
	;; [unrolled: 1-line block ×3, first 2 shown]
	v_cmp_gt_f32_e32 vcc, s97, v43
	v_cndmask_b32_e64 v72, 1.0, v42, s[42:43]
	v_cndmask_b32_e64 v38, 0, v38, s[48:49]
	v_cndmask_b32_e32 v43, 0, v78, vcc
	v_fmac_f32_e32 v43, v13, v84
	v_exp_f32_e32 v43, v43
	v_cndmask_b32_e32 v42, 1.0, v79, vcc
	v_mul_f32_e32 v39, v39, v87
	v_cndmask_b32_e64 v39, 0, v39, s[50:51]
	v_mul_f32_e32 v42, v43, v42
	v_mul_f32_e32 v43, v13, v85
	v_cmp_gt_f32_e32 vcc, s97, v43
	v_cndmask_b32_e64 v73, 1.0, v42, s[44:45]
	s_nop 0
	v_cndmask_b32_e32 v43, 0, v78, vcc
	v_fmac_f32_e32 v43, v13, v85
	v_exp_f32_e32 v43, v43
	v_cndmask_b32_e32 v42, 1.0, v79, vcc
	v_mul_f32_e32 v42, v43, v42
	v_mul_f32_e32 v43, v13, v86
	v_cmp_gt_f32_e32 vcc, s97, v43
	v_cndmask_b32_e64 v74, 1.0, v42, s[46:47]
	s_nop 0
	v_cndmask_b32_e32 v43, 0, v78, vcc
	v_fmac_f32_e32 v43, v13, v86
	v_exp_f32_e32 v43, v43
	v_cndmask_b32_e32 v42, 1.0, v79, vcc
	;; [unrolled: 9-line block ×3, first 2 shown]
	v_fma_f32 v43, v70, v34, v35
	v_fma_f32 v43, v43, v71, v36
	v_mul_f32_e32 v13, v13, v42
	v_mul_f32_e32 v42, v70, v69
	;; [unrolled: 1-line block ×4, first 2 shown]
	v_fma_f32 v43, v43, v72, v37
	v_mul_f32_e32 v42, v42, v73
	v_fma_f32 v43, v43, v73, v40
	v_mul_f32_e32 v42, v42, v74
	v_fma_f32 v43, v43, v74, v41
	v_cndmask_b32_e64 v13, 1.0, v13, s[50:51]
	v_mul_f32_e32 v42, v42, v75
	v_fma_f32 v43, v43, v75, v38
	v_mul_f32_e32 v42, v42, v13
	v_fma_f32 v46, v43, v13, v39
	s_nop 0
	v_mov_b32_dpp v45, v42 row_shr:1 row_mask:0xf bank_mask:0xf
	v_mov_b32_dpp v44, v46 row_shr:1 row_mask:0xf bank_mask:0xf
	s_and_saveexec_b64 s[74:75], s[78:79]
; %bb.101:                              ;   in Loop: Header=BB136_62 Depth=2
	v_mul_f32_e32 v45, v42, v45
	v_fmac_f32_e32 v46, v42, v44
	v_mov_b32_e32 v42, v45
; %bb.102:                              ;   in Loop: Header=BB136_62 Depth=2
	s_or_b64 exec, exec, s[74:75]
	s_nop 0
	v_mov_b32_dpp v44, v42 row_shr:2 row_mask:0xf bank_mask:0xf
	v_mov_b32_dpp v45, v46 row_shr:2 row_mask:0xf bank_mask:0xf
	s_and_saveexec_b64 s[74:75], s[60:61]
; %bb.103:                              ;   in Loop: Header=BB136_62 Depth=2
	v_fmac_f32_e32 v46, v42, v45
	v_mul_f32_e32 v42, v42, v44
; %bb.104:                              ;   in Loop: Header=BB136_62 Depth=2
	s_or_b64 exec, exec, s[74:75]
	s_nop 0
	v_mov_b32_dpp v44, v42 row_shr:4 row_mask:0xf bank_mask:0xf
	v_mov_b32_dpp v45, v46 row_shr:4 row_mask:0xf bank_mask:0xf
	s_and_saveexec_b64 s[74:75], s[54:55]
; %bb.105:                              ;   in Loop: Header=BB136_62 Depth=2
	v_fmac_f32_e32 v46, v42, v45
	v_mul_f32_e32 v42, v42, v44
	;; [unrolled: 9-line block ×3, first 2 shown]
; %bb.108:                              ;   in Loop: Header=BB136_62 Depth=2
	s_or_b64 exec, exec, s[74:75]
	s_nop 0
	v_mov_b32_dpp v44, v42 row_bcast:15 row_mask:0xf bank_mask:0xf
	v_mov_b32_dpp v45, v46 row_bcast:15 row_mask:0xf bank_mask:0xf
	s_and_saveexec_b64 s[74:75], s[8:9]
; %bb.109:                              ;   in Loop: Header=BB136_62 Depth=2
	v_fmac_f32_e32 v46, v42, v45
	v_mul_f32_e32 v42, v42, v44
; %bb.110:                              ;   in Loop: Header=BB136_62 Depth=2
	s_or_b64 exec, exec, s[74:75]
	s_nop 0
	v_mov_b32_dpp v44, v42 row_bcast:31 row_mask:0xf bank_mask:0xf
	v_mov_b32_dpp v45, v46 row_bcast:31 row_mask:0xf bank_mask:0xf
	v_mov_b32_e32 v43, v46
	v_mul_f32_e32 v44, v42, v44
	v_fmac_f32_e32 v43, v42, v45
	v_cndmask_b32_e64 v42, v42, v44, s[10:11]
	v_cndmask_b32_e64 v43, v46, v43, s[10:11]
	s_and_saveexec_b64 s[74:75], s[12:13]
	s_cbranch_execz .LBB136_112
; %bb.111:                              ;   in Loop: Header=BB136_62 Depth=2
	ds_write_b64 v3, v[42:43] offset:4224
.LBB136_112:                            ;   in Loop: Header=BB136_62 Depth=2
	s_or_b64 exec, exec, s[74:75]
	ds_bpermute_b32 v44, v68, v42
	ds_bpermute_b32 v45, v68, v43
	s_waitcnt vmcnt(0) lgkmcnt(2)
	v_mov_b32_e32 v43, v11
	s_waitcnt lgkmcnt(0)
	; wave barrier
	s_waitcnt lgkmcnt(0)
	s_and_saveexec_b64 s[74:75], s[14:15]
	s_cbranch_execz .LBB136_116
; %bb.113:                              ;   in Loop: Header=BB136_62 Depth=2
	ds_read_b64 v[42:43], v3 offset:4224
	s_and_saveexec_b64 s[76:77], s[16:17]
	s_cbranch_execz .LBB136_115
; %bb.114:                              ;   in Loop: Header=BB136_62 Depth=2
	ds_write_b64 v3, v[10:11] offset:4224
.LBB136_115:                            ;   in Loop: Header=BB136_62 Depth=2
	s_or_b64 exec, exec, s[76:77]
	s_waitcnt lgkmcnt(0)
	v_fmac_f32_e32 v43, v11, v42
	v_mul_f32_e32 v10, v10, v42
	v_mov_b32_e32 v11, v43
.LBB136_116:                            ;   in Loop: Header=BB136_62 Depth=2
	s_or_b64 exec, exec, s[74:75]
	s_waitcnt lgkmcnt(0)
	; wave barrier
	ds_read_b32 v42, v3 offset:4228
	s_and_saveexec_b64 s[74:75], s[16:17]
	s_cbranch_execz .LBB136_61
; %bb.117:                              ;   in Loop: Header=BB136_62 Depth=2
	v_mov_b32_e32 v46, s57
	s_andn2_b64 vcc, exec, s[88:89]
	ds_write_b64 v46, v[10:11]
	s_cbranch_vccnz .LBB136_61
; %bb.118:                              ;   in Loop: Header=BB136_62 Depth=2
	s_mov_b32 s95, s81
	s_lshl_b64 s[2:3], s[94:95], 2
	s_add_u32 s2, s33, s2
	s_addc_u32 s3, s99, s3
	global_store_dword v3, v43, s[2:3]
	s_branch .LBB136_61
.LBB136_119:                            ;   in Loop: Header=BB136_13 Depth=1
	v_readlane_b32 s40, v95, 22
	v_readlane_b32 s41, v95, 21
	s_mov_b64 s[42:43], s[86:87]
	s_mov_b64 s[46:47], s[84:85]
.LBB136_120:                            ;   in Loop: Header=BB136_13 Depth=1
	s_waitcnt lgkmcnt(0)
	; wave barrier
	ds_write2_b32 v59, v28, v29 offset1:1
	ds_write2_b32 v59, v26, v27 offset0:2 offset1:3
	ds_write2_b32 v59, v24, v25 offset0:4 offset1:5
	;; [unrolled: 1-line block ×3, first 2 shown]
	; wave barrier
	ds_read_b32 v10, v52 offset:256
	ds_read_b32 v9, v53 offset:512
	;; [unrolled: 1-line block ×7, first 2 shown]
	v_readlane_b32 s0, v95, 23
	v_readlane_b32 s1, v95, 24
	s_mov_b32 s1, s81
	s_mov_b64 s[6:7], s[0:1]
	v_lshl_add_u64 v[0:1], s[0:1], 2, v[14:15]
	s_and_saveexec_b64 s[36:37], s[18:19]
	s_cbranch_execnz .LBB136_148
; %bb.121:                              ;   in Loop: Header=BB136_13 Depth=1
	s_or_b64 exec, exec, s[36:37]
	s_and_saveexec_b64 s[36:37], s[20:21]
	s_cbranch_execnz .LBB136_149
.LBB136_122:                            ;   in Loop: Header=BB136_13 Depth=1
	s_or_b64 exec, exec, s[36:37]
	s_and_saveexec_b64 s[36:37], s[22:23]
	s_cbranch_execnz .LBB136_150
.LBB136_123:                            ;   in Loop: Header=BB136_13 Depth=1
	s_or_b64 exec, exec, s[36:37]
	s_and_saveexec_b64 s[36:37], s[24:25]
	s_cbranch_execnz .LBB136_151
.LBB136_124:                            ;   in Loop: Header=BB136_13 Depth=1
	s_or_b64 exec, exec, s[36:37]
	s_and_saveexec_b64 s[36:37], s[26:27]
	s_cbranch_execnz .LBB136_152
.LBB136_125:                            ;   in Loop: Header=BB136_13 Depth=1
	s_or_b64 exec, exec, s[36:37]
	s_and_saveexec_b64 s[36:37], s[28:29]
	s_cbranch_execnz .LBB136_153
.LBB136_126:                            ;   in Loop: Header=BB136_13 Depth=1
	s_or_b64 exec, exec, s[36:37]
	s_and_saveexec_b64 s[36:37], s[30:31]
	s_cbranch_execnz .LBB136_154
.LBB136_127:                            ;   in Loop: Header=BB136_13 Depth=1
	s_or_b64 exec, exec, s[36:37]
	s_and_saveexec_b64 s[36:37], s[34:35]
	s_cbranch_execz .LBB136_129
.LBB136_128:                            ;   in Loop: Header=BB136_13 Depth=1
	s_waitcnt lgkmcnt(0)
	global_store_dword v[0:1], v4, off offset:1792
.LBB136_129:                            ;   in Loop: Header=BB136_13 Depth=1
	s_or_b64 exec, exec, s[36:37]
	s_mov_b32 s80, s81
	s_mov_b32 s82, s81
	;; [unrolled: 1-line block ×7, first 2 shown]
	s_waitcnt lgkmcnt(0)
	v_mov_b64_e32 v[4:5], s[80:81]
	v_lshl_add_u64 v[0:1], s[6:7], 2, v[16:17]
	v_mov_b64_e32 v[6:7], s[82:83]
	v_mov_b64_e32 v[8:9], s[84:85]
	;; [unrolled: 1-line block ×3, first 2 shown]
	v_mov_b32_e32 v13, 0
	s_waitcnt lgkmcnt(0)
	; wave barrier
	s_and_saveexec_b64 s[36:37], s[18:19]
	s_cbranch_execnz .LBB136_155
; %bb.130:                              ;   in Loop: Header=BB136_13 Depth=1
	s_or_b64 exec, exec, s[36:37]
	s_and_saveexec_b64 s[36:37], s[20:21]
	s_cbranch_execnz .LBB136_156
.LBB136_131:                            ;   in Loop: Header=BB136_13 Depth=1
	s_or_b64 exec, exec, s[36:37]
	s_and_saveexec_b64 s[36:37], s[22:23]
	s_cbranch_execnz .LBB136_157
.LBB136_132:                            ;   in Loop: Header=BB136_13 Depth=1
	s_or_b64 exec, exec, s[36:37]
	s_and_saveexec_b64 s[36:37], s[24:25]
	s_cbranch_execnz .LBB136_158
.LBB136_133:                            ;   in Loop: Header=BB136_13 Depth=1
	s_or_b64 exec, exec, s[36:37]
	s_and_saveexec_b64 s[36:37], s[26:27]
	s_cbranch_execnz .LBB136_159
.LBB136_134:                            ;   in Loop: Header=BB136_13 Depth=1
	s_or_b64 exec, exec, s[36:37]
	s_and_saveexec_b64 s[36:37], s[28:29]
	s_cbranch_execnz .LBB136_160
.LBB136_135:                            ;   in Loop: Header=BB136_13 Depth=1
	s_or_b64 exec, exec, s[36:37]
	s_and_saveexec_b64 s[36:37], s[30:31]
	s_cbranch_execnz .LBB136_161
.LBB136_136:                            ;   in Loop: Header=BB136_13 Depth=1
	s_or_b64 exec, exec, s[36:37]
	s_and_saveexec_b64 s[36:37], s[34:35]
	s_cbranch_execz .LBB136_138
.LBB136_137:                            ;   in Loop: Header=BB136_13 Depth=1
	global_load_dword v11, v[0:1], off offset:1792
.LBB136_138:                            ;   in Loop: Header=BB136_13 Depth=1
	s_or_b64 exec, exec, s[36:37]
	s_waitcnt vmcnt(0)
	ds_write_b32 v51, v13
	ds_write_b32 v52, v5 offset:256
	ds_write_b32 v53, v6 offset:512
	;; [unrolled: 1-line block ×7, first 2 shown]
	; wave barrier
	ds_read2_b32 v[0:1], v59 offset1:1
	ds_read2_b32 v[4:5], v59 offset0:2 offset1:3
	ds_read2_b32 v[6:7], v59 offset0:4 offset1:5
	;; [unrolled: 1-line block ×3, first 2 shown]
	s_mov_b32 s2, 0xbfb8aa3b
	s_waitcnt lgkmcnt(3)
	v_mul_f32_e32 v10, 0xbfb8aa3b, v1
	v_rndne_f32_e32 v11, v10
	v_sub_f32_e32 v13, v10, v11
	v_fma_f32 v10, v1, s2, -v10
	v_fmac_f32_e32 v10, 0xb2a5705f, v1
	v_add_f32_e32 v10, v13, v10
	v_exp_f32_e32 v10, v10
	v_cvt_i32_f32_e32 v11, v11
	s_mov_b32 s3, 0x42ce8ed0
	v_cmp_nlt_f32_e32 vcc, s3, v1
	s_mov_b32 s4, 0xc2b17218
	v_ldexp_f32 v10, v10, v11
	v_mul_f32_e32 v11, 0xbfb8aa3b, v0
	v_rndne_f32_e32 v13, v11
	v_sub_f32_e32 v21, v11, v13
	v_fma_f32 v11, v0, s2, -v11
	v_fmac_f32_e32 v11, 0xb2a5705f, v0
	v_add_f32_e32 v11, v21, v11
	v_exp_f32_e32 v21, v11
	v_cvt_i32_f32_e32 v13, v13
	v_cndmask_b32_e32 v10, 0, v10, vcc
	v_cmp_ngt_f32_e32 vcc, s4, v1
	s_waitcnt lgkmcnt(2)
	v_cmp_nlt_f32_e64 s[36:37], s3, v5
	s_waitcnt lgkmcnt(0)
	v_cndmask_b32_e32 v11, v77, v10, vcc
	v_ldexp_f32 v10, v21, v13
	v_cmp_nlt_f32_e32 vcc, s3, v0
	; wave barrier
	s_nop 1
	v_cndmask_b32_e32 v10, 0, v10, vcc
	v_cmp_ngt_f32_e32 vcc, s4, v0
	s_nop 1
	v_cndmask_b32_e32 v10, v77, v10, vcc
	v_pk_add_f32 v[10:11], v[10:11], 1.0 op_sel_hi:[1,0]
	s_nop 0
	v_div_scale_f32 v13, s[0:1], v11, v11, v1
	v_rcp_f32_e32 v21, v13
	s_nop 0
	v_fma_f32 v30, -v13, v21, 1.0
	v_fmac_f32_e32 v21, v30, v21
	v_div_scale_f32 v30, vcc, v1, v11, v1
	v_mul_f32_e32 v31, v30, v21
	v_fma_f32 v32, -v13, v31, v30
	v_fmac_f32_e32 v31, v32, v21
	v_fma_f32 v13, -v13, v31, v30
	v_div_scale_f32 v30, s[0:1], v10, v10, v0
	v_rcp_f32_e32 v32, v30
	v_div_fmas_f32 v13, v13, v21, v31
	v_mul_f32_e32 v21, 0xbfb8aa3b, v5
	v_rndne_f32_e32 v31, v21
	v_sub_f32_e32 v33, v21, v31
	v_fma_f32 v21, v5, s2, -v21
	v_div_fixup_f32 v1, v13, v11, v1
	v_fma_f32 v11, -v30, v32, 1.0
	v_fmac_f32_e32 v21, 0xb2a5705f, v5
	v_fmac_f32_e32 v32, v11, v32
	v_div_scale_f32 v11, vcc, v0, v10, v0
	v_add_f32_e32 v21, v33, v21
	v_mul_f32_e32 v13, v11, v32
	v_exp_f32_e32 v21, v21
	v_cvt_i32_f32_e32 v31, v31
	v_fma_f32 v33, -v30, v13, v11
	v_fmac_f32_e32 v13, v33, v32
	v_fma_f32 v11, -v30, v13, v11
	v_mul_f32_e32 v30, 0xbfb8aa3b, v4
	v_ldexp_f32 v21, v21, v31
	v_rndne_f32_e32 v31, v30
	v_sub_f32_e32 v33, v30, v31
	v_fma_f32 v30, v4, s2, -v30
	v_fmac_f32_e32 v30, 0xb2a5705f, v4
	v_add_f32_e32 v30, v33, v30
	v_exp_f32_e32 v30, v30
	v_cvt_i32_f32_e32 v33, v31
	v_cndmask_b32_e64 v21, 0, v21, s[36:37]
	v_cmp_ngt_f32_e64 s[36:37], s4, v5
	v_div_fmas_f32 v11, v11, v32, v13
	v_div_fixup_f32 v0, v11, v10, v0
	v_cndmask_b32_e64 v31, v77, v21, s[36:37]
	v_ldexp_f32 v21, v30, v33
	v_cmp_nlt_f32_e64 s[36:37], s3, v4
	v_pk_mul_f32 v[0:1], v[0:1], v[28:29]
	s_nop 0
	v_cndmask_b32_e64 v21, 0, v21, s[36:37]
	v_cmp_ngt_f32_e64 s[36:37], s4, v4
	s_nop 1
	v_cndmask_b32_e64 v30, v77, v21, s[36:37]
	v_pk_add_f32 v[30:31], v[30:31], 1.0 op_sel_hi:[1,0]
	v_cmp_nlt_f32_e64 s[36:37], s3, v7
	v_div_scale_f32 v21, s[0:1], v31, v31, v5
	v_rcp_f32_e32 v33, v21
	s_nop 0
	v_fma_f32 v10, -v21, v33, 1.0
	v_fmac_f32_e32 v33, v10, v33
	v_div_scale_f32 v10, vcc, v5, v31, v5
	v_mul_f32_e32 v11, v10, v33
	v_fma_f32 v13, -v21, v11, v10
	v_fmac_f32_e32 v11, v13, v33
	v_fma_f32 v10, -v21, v11, v10
	v_div_scale_f32 v13, s[0:1], v30, v30, v4
	v_rcp_f32_e32 v21, v13
	v_div_fmas_f32 v10, v10, v33, v11
	v_mul_f32_e32 v11, 0xbfb8aa3b, v7
	v_rndne_f32_e32 v29, v11
	v_div_fixup_f32 v5, v10, v31, v5
	v_sub_f32_e32 v31, v11, v29
	v_fma_f32 v11, v7, s2, -v11
	v_fmac_f32_e32 v11, 0xb2a5705f, v7
	v_fma_f32 v10, -v13, v21, 1.0
	v_add_f32_e32 v11, v31, v11
	v_fmac_f32_e32 v21, v10, v21
	v_div_scale_f32 v10, vcc, v4, v30, v4
	v_exp_f32_e32 v11, v11
	v_cvt_i32_f32_e32 v29, v29
	v_mul_f32_e32 v28, v10, v21
	v_fma_f32 v31, -v13, v28, v10
	v_fmac_f32_e32 v28, v31, v21
	v_fma_f32 v13, -v13, v28, v10
	v_ldexp_f32 v10, v11, v29
	v_mul_f32_e32 v11, 0xbfb8aa3b, v6
	v_rndne_f32_e32 v29, v11
	v_sub_f32_e32 v31, v11, v29
	v_fma_f32 v11, v6, s2, -v11
	v_fmac_f32_e32 v11, 0xb2a5705f, v6
	v_add_f32_e32 v11, v31, v11
	v_exp_f32_e32 v31, v11
	v_cvt_i32_f32_e32 v29, v29
	v_cndmask_b32_e64 v10, 0, v10, s[36:37]
	v_cmp_ngt_f32_e64 s[36:37], s4, v7
	v_div_fmas_f32 v13, v13, v21, v28
	v_div_fixup_f32 v4, v13, v30, v4
	v_cndmask_b32_e64 v11, v77, v10, s[36:37]
	v_ldexp_f32 v10, v31, v29
	v_cmp_nlt_f32_e64 s[36:37], s3, v6
	v_pk_mul_f32 v[4:5], v[4:5], v[26:27]
	s_nop 0
	v_cndmask_b32_e64 v10, 0, v10, s[36:37]
	v_cmp_ngt_f32_e64 s[36:37], s4, v6
	s_nop 1
	v_cndmask_b32_e64 v10, v77, v10, s[36:37]
	v_pk_add_f32 v[10:11], v[10:11], 1.0 op_sel_hi:[1,0]
	v_cmp_nlt_f32_e64 s[36:37], s3, v9
	v_div_scale_f32 v29, s[0:1], v11, v11, v7
	v_rcp_f32_e32 v31, v29
	s_nop 0
	v_fma_f32 v13, -v29, v31, 1.0
	v_fmac_f32_e32 v31, v13, v31
	v_div_scale_f32 v13, vcc, v7, v11, v7
	v_mul_f32_e32 v21, v13, v31
	v_fma_f32 v26, -v29, v21, v13
	v_fmac_f32_e32 v21, v26, v31
	v_div_scale_f32 v26, s[0:1], v10, v10, v6
	v_fma_f32 v13, -v29, v21, v13
	v_rcp_f32_e32 v28, v26
	v_div_fmas_f32 v13, v13, v31, v21
	v_mul_f32_e32 v21, 0xbfb8aa3b, v9
	v_rndne_f32_e32 v27, v21
	v_sub_f32_e32 v29, v21, v27
	v_fma_f32 v21, v9, s2, -v21
	v_div_fixup_f32 v7, v13, v11, v7
	v_fma_f32 v11, -v26, v28, 1.0
	v_fmac_f32_e32 v21, 0xb2a5705f, v9
	v_fmac_f32_e32 v28, v11, v28
	v_div_scale_f32 v11, vcc, v6, v10, v6
	v_add_f32_e32 v21, v29, v21
	v_mul_f32_e32 v13, v11, v28
	v_exp_f32_e32 v21, v21
	v_cvt_i32_f32_e32 v27, v27
	v_fma_f32 v29, -v26, v13, v11
	v_fmac_f32_e32 v13, v29, v28
	v_fma_f32 v11, -v26, v13, v11
	v_mul_f32_e32 v26, 0xbfb8aa3b, v8
	v_ldexp_f32 v21, v21, v27
	v_rndne_f32_e32 v27, v26
	v_sub_f32_e32 v29, v26, v27
	v_fma_f32 v26, v8, s2, -v26
	v_fmac_f32_e32 v26, 0xb2a5705f, v8
	v_add_f32_e32 v26, v29, v26
	v_exp_f32_e32 v26, v26
	v_cvt_i32_f32_e32 v29, v27
	v_cndmask_b32_e64 v21, 0, v21, s[36:37]
	v_cmp_ngt_f32_e64 s[36:37], s4, v9
	v_div_fmas_f32 v11, v11, v28, v13
	v_div_fixup_f32 v6, v11, v10, v6
	v_cndmask_b32_e64 v27, v77, v21, s[36:37]
	v_ldexp_f32 v21, v26, v29
	v_cmp_nlt_f32_e64 s[36:37], s3, v8
	v_pk_mul_f32 v[6:7], v[6:7], v[24:25]
	s_nop 0
	v_cndmask_b32_e64 v21, 0, v21, s[36:37]
	v_cmp_ngt_f32_e64 s[36:37], s4, v8
	s_nop 1
	v_cndmask_b32_e64 v26, v77, v21, s[36:37]
	v_pk_add_f32 v[26:27], v[26:27], 1.0 op_sel_hi:[1,0]
	s_nop 0
	v_div_scale_f32 v21, s[0:1], v27, v27, v9
	v_rcp_f32_e32 v29, v21
	s_nop 0
	v_fma_f32 v10, -v21, v29, 1.0
	v_fmac_f32_e32 v29, v10, v29
	v_div_scale_f32 v10, vcc, v9, v27, v9
	v_mul_f32_e32 v11, v10, v29
	v_fma_f32 v13, -v21, v11, v10
	v_fmac_f32_e32 v11, v13, v29
	v_div_scale_f32 v13, s[0:1], v26, v26, v8
	v_fma_f32 v10, -v21, v11, v10
	v_rcp_f32_e32 v21, v13
	v_div_fmas_f32 v10, v10, v29, v11
	v_div_fixup_f32 v9, v10, v27, v9
	v_fma_f32 v10, -v13, v21, 1.0
	v_fmac_f32_e32 v21, v10, v21
	v_div_scale_f32 v10, vcc, v8, v26, v8
	v_mul_f32_e32 v11, v10, v21
	v_fma_f32 v24, -v13, v11, v10
	v_fmac_f32_e32 v11, v24, v21
	v_fma_f32 v10, -v13, v11, v10
	v_div_fmas_f32 v10, v10, v21, v11
	v_div_fixup_f32 v8, v10, v26, v8
	v_pk_mul_f32 v[8:9], v[8:9], v[22:23]
	ds_write2_b32 v59, v0, v1 offset1:1
	ds_write2_b32 v59, v4, v5 offset0:2 offset1:3
	ds_write2_b32 v59, v6, v7 offset0:4 offset1:5
	;; [unrolled: 1-line block ×3, first 2 shown]
	; wave barrier
	ds_read_b32 v10, v52 offset:256
	ds_read_b32 v9, v53 offset:512
	;; [unrolled: 1-line block ×7, first 2 shown]
	v_lshl_add_u64 v[0:1], s[6:7], 2, v[18:19]
	s_and_saveexec_b64 s[36:37], s[18:19]
	s_cbranch_execnz .LBB136_162
; %bb.139:                              ;   in Loop: Header=BB136_13 Depth=1
	s_or_b64 exec, exec, s[36:37]
	s_and_saveexec_b64 s[18:19], s[20:21]
	s_cbranch_execnz .LBB136_163
.LBB136_140:                            ;   in Loop: Header=BB136_13 Depth=1
	s_or_b64 exec, exec, s[18:19]
	s_and_saveexec_b64 s[18:19], s[22:23]
	s_cbranch_execnz .LBB136_164
.LBB136_141:                            ;   in Loop: Header=BB136_13 Depth=1
	s_or_b64 exec, exec, s[18:19]
	s_and_saveexec_b64 s[18:19], s[24:25]
	s_cbranch_execnz .LBB136_165
.LBB136_142:                            ;   in Loop: Header=BB136_13 Depth=1
	s_or_b64 exec, exec, s[18:19]
	s_and_saveexec_b64 s[18:19], s[26:27]
	s_cbranch_execnz .LBB136_166
.LBB136_143:                            ;   in Loop: Header=BB136_13 Depth=1
	s_or_b64 exec, exec, s[18:19]
	s_and_saveexec_b64 s[18:19], s[28:29]
	s_cbranch_execnz .LBB136_167
.LBB136_144:                            ;   in Loop: Header=BB136_13 Depth=1
	s_or_b64 exec, exec, s[18:19]
	s_and_saveexec_b64 s[18:19], s[30:31]
	s_cbranch_execnz .LBB136_168
.LBB136_145:                            ;   in Loop: Header=BB136_13 Depth=1
	s_or_b64 exec, exec, s[18:19]
	s_and_saveexec_b64 s[18:19], s[34:35]
	s_cbranch_execz .LBB136_12
	s_branch .LBB136_169
.LBB136_146:                            ;   in Loop: Header=BB136_13 Depth=1
	global_load_dword v26, v[10:11], off offset:1280
	s_or_b64 exec, exec, s[36:37]
	s_and_saveexec_b64 s[36:37], s[30:31]
	s_cbranch_execz .LBB136_41
.LBB136_147:                            ;   in Loop: Header=BB136_13 Depth=1
	global_load_dword v25, v[10:11], off offset:1536
	s_or_b64 exec, exec, s[36:37]
	v_mov_b32_e32 v27, 0
	s_and_saveexec_b64 s[36:37], s[34:35]
	s_cbranch_execnz .LBB136_42
	s_branch .LBB136_43
.LBB136_148:                            ;   in Loop: Header=BB136_13 Depth=1
	ds_read_b32 v11, v51
	s_waitcnt lgkmcnt(0)
	global_store_dword v[0:1], v11, off
	s_or_b64 exec, exec, s[36:37]
	s_and_saveexec_b64 s[36:37], s[20:21]
	s_cbranch_execz .LBB136_122
.LBB136_149:                            ;   in Loop: Header=BB136_13 Depth=1
	s_waitcnt lgkmcnt(6)
	global_store_dword v[0:1], v10, off offset:256
	s_or_b64 exec, exec, s[36:37]
	s_and_saveexec_b64 s[36:37], s[22:23]
	s_cbranch_execz .LBB136_123
.LBB136_150:                            ;   in Loop: Header=BB136_13 Depth=1
	s_waitcnt lgkmcnt(5)
	global_store_dword v[0:1], v9, off offset:512
	s_or_b64 exec, exec, s[36:37]
	s_and_saveexec_b64 s[36:37], s[24:25]
	s_cbranch_execz .LBB136_124
.LBB136_151:                            ;   in Loop: Header=BB136_13 Depth=1
	s_waitcnt lgkmcnt(4)
	global_store_dword v[0:1], v8, off offset:768
	s_or_b64 exec, exec, s[36:37]
	s_and_saveexec_b64 s[36:37], s[26:27]
	s_cbranch_execz .LBB136_125
.LBB136_152:                            ;   in Loop: Header=BB136_13 Depth=1
	s_waitcnt lgkmcnt(3)
	global_store_dword v[0:1], v7, off offset:1024
	s_or_b64 exec, exec, s[36:37]
	s_and_saveexec_b64 s[36:37], s[28:29]
	s_cbranch_execz .LBB136_126
.LBB136_153:                            ;   in Loop: Header=BB136_13 Depth=1
	s_waitcnt lgkmcnt(2)
	global_store_dword v[0:1], v6, off offset:1280
	s_or_b64 exec, exec, s[36:37]
	s_and_saveexec_b64 s[36:37], s[30:31]
	s_cbranch_execz .LBB136_127
.LBB136_154:                            ;   in Loop: Header=BB136_13 Depth=1
	s_waitcnt lgkmcnt(1)
	global_store_dword v[0:1], v5, off offset:1536
	s_or_b64 exec, exec, s[36:37]
	s_and_saveexec_b64 s[36:37], s[34:35]
	s_cbranch_execnz .LBB136_128
	s_branch .LBB136_129
.LBB136_155:                            ;   in Loop: Header=BB136_13 Depth=1
	global_load_dword v13, v[0:1], off
	v_mov_b32_e32 v4, v3
	v_mov_b32_e32 v5, v3
	;; [unrolled: 1-line block ×6, first 2 shown]
	v_mov_b64_e32 v[10:11], v[8:9]
	v_mov_b64_e32 v[8:9], v[6:7]
	;; [unrolled: 1-line block ×4, first 2 shown]
	s_or_b64 exec, exec, s[36:37]
	s_and_saveexec_b64 s[36:37], s[20:21]
	s_cbranch_execz .LBB136_131
.LBB136_156:                            ;   in Loop: Header=BB136_13 Depth=1
	global_load_dword v5, v[0:1], off offset:256
	s_or_b64 exec, exec, s[36:37]
	s_and_saveexec_b64 s[36:37], s[22:23]
	s_cbranch_execz .LBB136_132
.LBB136_157:                            ;   in Loop: Header=BB136_13 Depth=1
	global_load_dword v6, v[0:1], off offset:512
	s_or_b64 exec, exec, s[36:37]
	s_and_saveexec_b64 s[36:37], s[24:25]
	s_cbranch_execz .LBB136_133
.LBB136_158:                            ;   in Loop: Header=BB136_13 Depth=1
	global_load_dword v7, v[0:1], off offset:768
	s_or_b64 exec, exec, s[36:37]
	s_and_saveexec_b64 s[36:37], s[26:27]
	s_cbranch_execz .LBB136_134
.LBB136_159:                            ;   in Loop: Header=BB136_13 Depth=1
	global_load_dword v8, v[0:1], off offset:1024
	s_or_b64 exec, exec, s[36:37]
	s_and_saveexec_b64 s[36:37], s[28:29]
	s_cbranch_execz .LBB136_135
.LBB136_160:                            ;   in Loop: Header=BB136_13 Depth=1
	global_load_dword v9, v[0:1], off offset:1280
	s_or_b64 exec, exec, s[36:37]
	s_and_saveexec_b64 s[36:37], s[30:31]
	s_cbranch_execz .LBB136_136
.LBB136_161:                            ;   in Loop: Header=BB136_13 Depth=1
	global_load_dword v10, v[0:1], off offset:1536
	s_or_b64 exec, exec, s[36:37]
	s_and_saveexec_b64 s[36:37], s[34:35]
	s_cbranch_execnz .LBB136_137
	s_branch .LBB136_138
.LBB136_162:                            ;   in Loop: Header=BB136_13 Depth=1
	ds_read_b32 v11, v51
	s_waitcnt lgkmcnt(0)
	global_store_dword v[0:1], v11, off
	s_or_b64 exec, exec, s[36:37]
	s_and_saveexec_b64 s[18:19], s[20:21]
	s_cbranch_execz .LBB136_140
.LBB136_163:                            ;   in Loop: Header=BB136_13 Depth=1
	s_waitcnt lgkmcnt(6)
	global_store_dword v[0:1], v10, off offset:256
	s_or_b64 exec, exec, s[18:19]
	s_and_saveexec_b64 s[18:19], s[22:23]
	s_cbranch_execz .LBB136_141
.LBB136_164:                            ;   in Loop: Header=BB136_13 Depth=1
	s_waitcnt lgkmcnt(5)
	global_store_dword v[0:1], v9, off offset:512
	s_or_b64 exec, exec, s[18:19]
	s_and_saveexec_b64 s[18:19], s[24:25]
	s_cbranch_execz .LBB136_142
.LBB136_165:                            ;   in Loop: Header=BB136_13 Depth=1
	s_waitcnt lgkmcnt(4)
	global_store_dword v[0:1], v8, off offset:768
	s_or_b64 exec, exec, s[18:19]
	s_and_saveexec_b64 s[18:19], s[26:27]
	s_cbranch_execz .LBB136_143
.LBB136_166:                            ;   in Loop: Header=BB136_13 Depth=1
	s_waitcnt lgkmcnt(3)
	global_store_dword v[0:1], v7, off offset:1024
	s_or_b64 exec, exec, s[18:19]
	s_and_saveexec_b64 s[18:19], s[28:29]
	s_cbranch_execz .LBB136_144
.LBB136_167:                            ;   in Loop: Header=BB136_13 Depth=1
	s_waitcnt lgkmcnt(2)
	global_store_dword v[0:1], v6, off offset:1280
	s_or_b64 exec, exec, s[18:19]
	s_and_saveexec_b64 s[18:19], s[30:31]
	s_cbranch_execz .LBB136_145
.LBB136_168:                            ;   in Loop: Header=BB136_13 Depth=1
	s_waitcnt lgkmcnt(1)
	global_store_dword v[0:1], v5, off offset:1536
	s_or_b64 exec, exec, s[18:19]
	s_and_saveexec_b64 s[18:19], s[34:35]
	s_cbranch_execz .LBB136_12
.LBB136_169:                            ;   in Loop: Header=BB136_13 Depth=1
	s_waitcnt lgkmcnt(0)
	global_store_dword v[0:1], v4, off offset:1792
	s_branch .LBB136_12
.LBB136_170:
	s_endpgm
	.section	.rodata,"a",@progbits
	.p2align	6, 0x0
	.amdhsa_kernel _Z25selective_scan_fwd_kernelI32Selective_Scan_fwd_kernel_traitsILi64ELi8ELi1ELb1ELb1ELb1ELb1ELb1EfffEEv13SSMParamsBase
		.amdhsa_group_segment_fixed_size 0
		.amdhsa_private_segment_fixed_size 36
		.amdhsa_kernarg_size 248
		.amdhsa_user_sgpr_count 2
		.amdhsa_user_sgpr_dispatch_ptr 0
		.amdhsa_user_sgpr_queue_ptr 0
		.amdhsa_user_sgpr_kernarg_segment_ptr 1
		.amdhsa_user_sgpr_dispatch_id 0
		.amdhsa_user_sgpr_kernarg_preload_length 0
		.amdhsa_user_sgpr_kernarg_preload_offset 0
		.amdhsa_user_sgpr_private_segment_size 0
		.amdhsa_uses_dynamic_stack 0
		.amdhsa_enable_private_segment 1
		.amdhsa_system_sgpr_workgroup_id_x 1
		.amdhsa_system_sgpr_workgroup_id_y 1
		.amdhsa_system_sgpr_workgroup_id_z 0
		.amdhsa_system_sgpr_workgroup_info 0
		.amdhsa_system_vgpr_workitem_id 0
		.amdhsa_next_free_vgpr 96
		.amdhsa_next_free_sgpr 100
		.amdhsa_accum_offset 96
		.amdhsa_reserve_vcc 1
		.amdhsa_float_round_mode_32 0
		.amdhsa_float_round_mode_16_64 0
		.amdhsa_float_denorm_mode_32 3
		.amdhsa_float_denorm_mode_16_64 3
		.amdhsa_dx10_clamp 1
		.amdhsa_ieee_mode 1
		.amdhsa_fp16_overflow 0
		.amdhsa_tg_split 0
		.amdhsa_exception_fp_ieee_invalid_op 0
		.amdhsa_exception_fp_denorm_src 0
		.amdhsa_exception_fp_ieee_div_zero 0
		.amdhsa_exception_fp_ieee_overflow 0
		.amdhsa_exception_fp_ieee_underflow 0
		.amdhsa_exception_fp_ieee_inexact 0
		.amdhsa_exception_int_div_zero 0
	.end_amdhsa_kernel
	.section	.text._Z25selective_scan_fwd_kernelI32Selective_Scan_fwd_kernel_traitsILi64ELi8ELi1ELb1ELb1ELb1ELb1ELb1EfffEEv13SSMParamsBase,"axG",@progbits,_Z25selective_scan_fwd_kernelI32Selective_Scan_fwd_kernel_traitsILi64ELi8ELi1ELb1ELb1ELb1ELb1ELb1EfffEEv13SSMParamsBase,comdat
.Lfunc_end136:
	.size	_Z25selective_scan_fwd_kernelI32Selective_Scan_fwd_kernel_traitsILi64ELi8ELi1ELb1ELb1ELb1ELb1ELb1EfffEEv13SSMParamsBase, .Lfunc_end136-_Z25selective_scan_fwd_kernelI32Selective_Scan_fwd_kernel_traitsILi64ELi8ELi1ELb1ELb1ELb1ELb1ELb1EfffEEv13SSMParamsBase
                                        ; -- End function
	.section	.AMDGPU.csdata,"",@progbits
; Kernel info:
; codeLenInByte = 13620
; NumSgprs: 106
; NumVgprs: 96
; NumAgprs: 0
; TotalNumVgprs: 96
; ScratchSize: 36
; MemoryBound: 0
; FloatMode: 240
; IeeeMode: 1
; LDSByteSize: 0 bytes/workgroup (compile time only)
; SGPRBlocks: 13
; VGPRBlocks: 11
; NumSGPRsForWavesPerEU: 106
; NumVGPRsForWavesPerEU: 96
; AccumOffset: 96
; Occupancy: 5
; WaveLimiterHint : 1
; COMPUTE_PGM_RSRC2:SCRATCH_EN: 1
; COMPUTE_PGM_RSRC2:USER_SGPR: 2
; COMPUTE_PGM_RSRC2:TRAP_HANDLER: 0
; COMPUTE_PGM_RSRC2:TGID_X_EN: 1
; COMPUTE_PGM_RSRC2:TGID_Y_EN: 1
; COMPUTE_PGM_RSRC2:TGID_Z_EN: 0
; COMPUTE_PGM_RSRC2:TIDIG_COMP_CNT: 0
; COMPUTE_PGM_RSRC3_GFX90A:ACCUM_OFFSET: 23
; COMPUTE_PGM_RSRC3_GFX90A:TG_SPLIT: 0
	.section	.text._Z25selective_scan_fwd_kernelI32Selective_Scan_fwd_kernel_traitsILi64ELi8ELi1ELb1ELb1ELb1ELb1ELb0EfffEEv13SSMParamsBase,"axG",@progbits,_Z25selective_scan_fwd_kernelI32Selective_Scan_fwd_kernel_traitsILi64ELi8ELi1ELb1ELb1ELb1ELb1ELb0EfffEEv13SSMParamsBase,comdat
	.protected	_Z25selective_scan_fwd_kernelI32Selective_Scan_fwd_kernel_traitsILi64ELi8ELi1ELb1ELb1ELb1ELb1ELb0EfffEEv13SSMParamsBase ; -- Begin function _Z25selective_scan_fwd_kernelI32Selective_Scan_fwd_kernel_traitsILi64ELi8ELi1ELb1ELb1ELb1ELb1ELb0EfffEEv13SSMParamsBase
	.globl	_Z25selective_scan_fwd_kernelI32Selective_Scan_fwd_kernel_traitsILi64ELi8ELi1ELb1ELb1ELb1ELb1ELb0EfffEEv13SSMParamsBase
	.p2align	8
	.type	_Z25selective_scan_fwd_kernelI32Selective_Scan_fwd_kernel_traitsILi64ELi8ELi1ELb1ELb1ELb1ELb1ELb0EfffEEv13SSMParamsBase,@function
_Z25selective_scan_fwd_kernelI32Selective_Scan_fwd_kernel_traitsILi64ELi8ELi1ELb1ELb1ELb1ELb1ELb0EfffEEv13SSMParamsBase: ; @_Z25selective_scan_fwd_kernelI32Selective_Scan_fwd_kernel_traitsILi64ELi8ELi1ELb1ELb1ELb1ELb1ELb0EfffEEv13SSMParamsBase
; %bb.0:
	s_load_dword s37, s[0:1], 0x18
	s_load_dwordx4 s[4:7], s[0:1], 0xe8
	s_mov_b32 s28, s3
	s_waitcnt lgkmcnt(0)
	s_abs_i32 s36, s37
	v_cvt_f32_u32_e32 v1, s36
	s_cmp_eq_u64 s[6:7], 0
	v_rcp_iflag_f32_e32 v1, v1
	s_nop 0
	v_mul_f32_e32 v1, 0x4f7ffffe, v1
	v_cvt_u32_f32_e32 v1, v1
	s_nop 0
	v_readfirstlane_b32 s24, v1
	s_cbranch_scc1 .LBB137_3
; %bb.1:
	s_ashr_i32 s3, s2, 31
	s_add_u32 s6, s6, s2
	s_addc_u32 s7, s7, s3
	v_mov_b32_e32 v1, 0
	global_load_ubyte v1, v1, s[6:7]
	s_waitcnt vmcnt(0)
	v_and_b32_e32 v1, 1, v1
	v_cmp_eq_u32_e64 s[42:43], 1, v1
	s_load_dwordx2 s[6:7], s[0:1], 0x20
	s_cmp_eq_u64 s[4:5], 0
	s_cbranch_scc1 .LBB137_4
.LBB137_2:
	s_ashr_i32 s3, s2, 31
	s_lshl_b64 s[8:9], s[2:3], 2
	s_add_u32 s4, s4, s8
	s_addc_u32 s5, s5, s9
	s_load_dword s34, s[4:5], 0x0
	s_waitcnt lgkmcnt(0)
	s_ashr_i32 s35, s34, 31
	s_cmp_eq_u64 s[6:7], s[34:35]
	s_cbranch_scc0 .LBB137_5
	s_branch .LBB137_68
.LBB137_3:
	s_mov_b64 s[42:43], 0
	s_load_dwordx2 s[6:7], s[0:1], 0x20
	s_cmp_eq_u64 s[4:5], 0
	s_cbranch_scc0 .LBB137_2
.LBB137_4:
	s_mov_b32 s34, s2
	s_ashr_i32 s35, s34, 31
	s_waitcnt lgkmcnt(0)
	s_cmp_eq_u64 s[6:7], s[34:35]
	s_cbranch_scc1 .LBB137_68
.LBB137_5:
	s_load_dwordx16 s[4:19], s[0:1], 0x88
	s_load_dwordx2 s[38:39], s[0:1], 0x8
	s_mov_b32 s33, 0
	s_mov_b32 s82, 0
	s_waitcnt lgkmcnt(0)
	s_cmp_eq_u64 s[10:11], 0
	s_cbranch_scc1 .LBB137_7
; %bb.6:
	s_ashr_i32 s29, s28, 31
	s_lshl_b64 s[20:21], s[28:29], 2
	s_add_u32 s10, s10, s20
	s_addc_u32 s11, s11, s21
	s_load_dword s82, s[10:11], 0x0
.LBB137_7:
	s_cmp_eq_u64 s[16:17], 0
	s_cbranch_scc1 .LBB137_9
; %bb.8:
	s_ashr_i32 s29, s28, 31
	s_lshl_b64 s[10:11], s[28:29], 2
	s_add_u32 s10, s16, s10
	s_addc_u32 s11, s17, s11
	s_load_dword s33, s[10:11], 0x0
.LBB137_9:
	s_cmp_lt_i32 s38, 1
	s_cbranch_scc1 .LBB137_68
; %bb.10:
	s_sub_i32 s3, 0, s36
	s_mul_i32 s3, s3, s24
	s_mul_hi_u32 s3, s24, s3
	s_abs_i32 s16, s28
	s_add_i32 s3, s24, s3
	s_load_dwordx8 s[44:51], s[0:1], 0x2c
	s_load_dwordx2 s[10:11], s[0:1], 0x7c
	s_load_dwordx4 s[20:23], s[0:1], 0x6c
	s_load_dwordx8 s[52:59], s[0:1], 0x4c
	s_load_dwordx2 s[30:31], s[0:1], 0xd8
	s_load_dwordx4 s[24:27], s[0:1], 0xc8
	s_load_dword s83, s[0:1], 0x84
	s_mul_hi_u32 s3, s16, s3
	s_load_dword s17, s[0:1], 0x28
	s_ashr_i32 s0, s28, 31
	s_ashr_i32 s1, s37, 31
	s_xor_b32 s0, s0, s1
	s_mul_i32 s1, s3, s36
	s_sub_i32 s1, s16, s1
	s_add_i32 s16, s3, 1
	s_sub_i32 s29, s1, s36
	s_cmp_ge_u32 s1, s36
	s_cselect_b32 s3, s16, s3
	s_cselect_b32 s1, s29, s1
	s_add_i32 s16, s3, 1
	s_cmp_ge_u32 s1, s36
	s_cselect_b32 s1, s16, s3
	s_xor_b32 s1, s1, s0
	s_waitcnt lgkmcnt(0)
	s_mul_i32 s62, s54, s2
	s_mov_b32 s63, 0
	s_sub_i32 s3, s1, s0
	s_lshl_b64 s[0:1], s[62:63], 2
	s_add_u32 s12, s12, s0
	s_mul_i32 s62, s55, s28
	s_addc_u32 s13, s13, s1
	s_lshl_b64 s[0:1], s[62:63], 2
	s_add_u32 s54, s12, s0
	s_mul_i32 s62, s56, s2
	s_addc_u32 s55, s13, s1
	;; [unrolled: 4-line block ×10, first 2 shown]
	s_lshl_b64 s[0:1], s[62:63], 2
	s_add_u32 s49, s3, s0
	s_addc_u32 s53, s4, s1
	s_add_i32 s0, s38, 0x7ff
	s_lshr_b32 s85, s0, 11
	s_bitcmp1_b32 s17, 0
	s_cselect_b64 s[64:65], -1, 0
	s_cmp_gt_i32 s39, 0
                                        ; implicit-def: $vgpr95 : SGPR spill to VGPR lane
	s_cselect_b64 s[66:67], -1, 0
	s_add_i32 s4, 0, 0x840
	v_writelane_b32 v95, s38, 0
	s_and_b32 s0, s38, 0x1ff
	s_cmp_eq_u32 s0, 0
	s_mul_i32 s62, s20, s2
	s_cselect_b64 s[68:69], -1, 0
	s_add_i32 s61, s85, -1
	s_lshl_b64 s[0:1], s[62:63], 2
	s_add_u32 s18, s18, s0
	s_mul_i32 s62, s21, s28
	v_mbcnt_lo_u32_b32 v1, -1, 0
	s_addc_u32 s19, s19, s1
	s_lshl_b64 s[16:17], s[62:63], 2
	v_mbcnt_hi_u32_b32 v2, -1, v1
	s_add_u32 s20, s18, s16
	s_mul_i32 s62, s58, s2
	s_movk_i32 s3, 0x80
	v_add_u32_e32 v1, 64, v2
	v_lshrrev_b32_e32 v3, 5, v2
	s_addc_u32 s21, s19, s17
	s_lshl_b64 s[16:17], s[62:63], 2
	v_mov_b32_e32 v49, 0
	v_cmp_gt_u32_e64 s[0:1], s3, v2
	v_cmp_gt_u32_e64 s[40:41], s3, v1
	v_add_u32_e32 v3, v3, v2
	v_lshrrev_b32_e32 v1, 5, v1
	s_add_u32 s3, s26, s16
	v_lshlrev_b32_e32 v48, 4, v2
	s_mul_i32 s62, s59, s28
	v_lshl_add_u32 v66, v3, 4, 0
	v_add_lshl_u32 v1, v1, v2, 4
	v_lshlrev_b32_e32 v3, 1, v2
	v_bfe_u32 v4, v2, 4, 27
	s_addc_u32 s25, s27, s17
	v_lshl_add_u64 v[6:7], s[20:21], 0, v[48:49]
	s_lshl_b64 s[20:21], s[62:63], 2
	v_add_u32_e32 v67, 0, v1
	v_add_lshl_u32 v3, v4, v3, 4
	v_add_u32_e32 v69, s4, v1
	v_and_b32_e32 v1, 15, v2
	s_add_u32 s24, s3, s20
	s_mul_i32 s62, s22, s2
	v_add_u32_e32 v70, s4, v3
	v_cmp_ne_u32_e64 s[4:5], 0, v1
	v_cmp_lt_u32_e64 s[6:7], 1, v1
	v_cmp_lt_u32_e64 s[8:9], 3, v1
	;; [unrolled: 1-line block ×3, first 2 shown]
	v_and_b32_e32 v1, 16, v2
	s_addc_u32 s25, s25, s21
	s_lshl_b64 s[2:3], s[62:63], 2
	v_add_u32_e32 v68, 0, v3
	v_cmp_ne_u32_e64 s[12:13], 0, v1
	v_add_u32_e32 v1, -1, v2
	v_and_b32_e32 v3, 64, v2
	s_add_u32 s22, s30, s2
	s_mul_i32 s62, s23, s28
	v_cmp_lt_i32_e32 vcc, v1, v3
	s_addc_u32 s26, s31, s3
	s_lshl_b64 s[2:3], s[62:63], 2
	v_cndmask_b32_e32 v1, v1, v2, vcc
	s_add_u32 s2, s22, s2
	v_lshlrev_b32_e32 v4, 3, v0
	v_cmp_eq_u32_e64 s[16:17], 63, v0
	v_lshlrev_b32_e32 v72, 2, v1
	v_cmp_gt_u32_e64 s[18:19], 64, v0
	v_cmp_eq_u32_e64 s[20:21], 0, v0
	s_addc_u32 s3, s26, s3
	v_lshl_add_u64 v[0:1], s[24:25], 0, v[48:49]
	scratch_store_dwordx2 off, v[0:1], off offset:8 ; 8-byte Folded Spill
	v_lshl_add_u64 v[0:1], s[2:3], 0, v[48:49]
	scratch_store_dwordx2 off, v[0:1], off offset:16 ; 8-byte Folded Spill
	v_or_b32_e32 v0, 1, v4
	scratch_store_dword off, v0, off offset:28 ; 4-byte Folded Spill
	v_or_b32_e32 v0, 2, v4
	scratch_store_dword off, v0, off offset:32 ; 4-byte Folded Spill
	;; [unrolled: 2-line block ×5, first 2 shown]
	v_or_b32_e32 v0, 6, v4
	scratch_store_dwordx2 off, v[6:7], off  ; 8-byte Folded Spill
	scratch_store_dword off, v0, off offset:48 ; 4-byte Folded Spill
	scratch_store_dword off, v4, off offset:24 ; 4-byte Folded Spill
	v_or_b32_e32 v0, 7, v4
	v_writelane_b32 v95, s39, 1
	v_cmp_lt_u32_e64 s[14:15], 31, v2
	scratch_store_dword off, v0, off offset:52 ; 4-byte Folded Spill
	v_lshlrev_b32_e32 v48, 4, v2
	s_mov_b32 s87, 0x41a00000
	s_mov_b32 s88, 0x3fb8aa3b
	;; [unrolled: 1-line block ×6, first 2 shown]
	v_mov_b32_e32 v41, 0x3ecc95a3
                                        ; implicit-def: $vgpr0
	s_mov_b32 s93, 0x3f317218
	s_mov_b32 s94, 0x33800000
	s_add_i32 s60, 0, 0x1088
	s_mov_b32 s96, 0xc2fc0000
	s_mov_b32 s97, 0xbfb8aa3b
	;; [unrolled: 1-line block ×4, first 2 shown]
	v_mov_b32_e32 v81, 0x7f800000
	v_mov_b32_e32 v56, 0x3f317218
	;; [unrolled: 1-line block ×4, first 2 shown]
	s_mov_b32 s86, 0
                                        ; implicit-def: $vgpr8_vgpr9
                                        ; implicit-def: $vgpr0_vgpr1
                                        ; implicit-def: $vgpr16_vgpr17
                                        ; implicit-def: $vgpr4_vgpr5
                                        ; implicit-def: $vgpr20_vgpr21
                                        ; implicit-def: $vgpr12_vgpr13
	s_branch .LBB137_12
.LBB137_11:                             ;   in Loop: Header=BB137_12 Depth=1
	s_or_b64 exec, exec, s[2:3]
	s_waitcnt vmcnt(0)
	ds_write2_b64 v66, v[8:9], v[10:11] offset1:1
	ds_write_b128 v67, v[0:3] offset:1024
	; wave barrier
	ds_read_b128 v[8:11], v68
	ds_read_b128 v[0:3], v68 offset:16
	s_waitcnt lgkmcnt(0)
	; wave barrier
	s_waitcnt lgkmcnt(0)
	s_add_u32 s56, s56, 0x800
	v_mul_f32_e32 v32, 0xbfb8aa3b, v9
	v_rndne_f32_e32 v33, v32
	v_sub_f32_e32 v34, v32, v33
	v_fma_f32 v32, v9, s97, -v32
	v_fmac_f32_e32 v32, 0xb2a5705f, v9
	v_add_f32_e32 v32, v34, v32
	v_exp_f32_e32 v32, v32
	v_cvt_i32_f32_e32 v33, v33
	v_cmp_nlt_f32_e32 vcc, s98, v9
	s_addc_u32 s57, s57, 0
	s_add_u32 s54, s54, 0x800
	v_ldexp_f32 v32, v32, v33
	v_mul_f32_e32 v33, 0xbfb8aa3b, v8
	v_rndne_f32_e32 v34, v33
	v_sub_f32_e32 v35, v33, v34
	v_fma_f32 v33, v8, s97, -v33
	v_fmac_f32_e32 v33, 0xb2a5705f, v8
	v_add_f32_e32 v33, v35, v33
	v_exp_f32_e32 v35, v33
	v_cvt_i32_f32_e32 v34, v34
	v_cndmask_b32_e32 v32, 0, v32, vcc
	v_cmp_ngt_f32_e32 vcc, s99, v9
	s_addc_u32 s55, s55, 0
	s_add_u32 s46, s46, 0x800
	v_cndmask_b32_e32 v33, v81, v32, vcc
	v_ldexp_f32 v32, v35, v34
	v_cmp_nlt_f32_e32 vcc, s98, v8
	s_addc_u32 s47, s47, 0
	s_add_u32 s50, s50, 0x800
	v_cndmask_b32_e32 v32, 0, v32, vcc
	v_cmp_ngt_f32_e32 vcc, s99, v8
	s_addc_u32 s51, s51, 0
	s_add_i32 s86, s86, 1
	v_cndmask_b32_e32 v32, v81, v32, vcc
	v_pk_add_f32 v[32:33], v[32:33], 1.0 op_sel_hi:[1,0]
	s_cmp_eq_u32 s86, s85
	v_div_scale_f32 v34, s[2:3], v33, v33, v9
	v_rcp_f32_e32 v35, v34
	s_nop 0
	v_fma_f32 v36, -v34, v35, 1.0
	v_fmac_f32_e32 v35, v36, v35
	v_div_scale_f32 v36, vcc, v9, v33, v9
	v_mul_f32_e32 v37, v36, v35
	v_fma_f32 v38, -v34, v37, v36
	v_fmac_f32_e32 v37, v38, v35
	v_fma_f32 v34, -v34, v37, v36
	v_div_scale_f32 v36, s[2:3], v32, v32, v8
	v_rcp_f32_e32 v38, v36
	v_div_fmas_f32 v34, v34, v35, v37
	v_mul_f32_e32 v35, 0xbfb8aa3b, v11
	v_rndne_f32_e32 v39, v35
	v_sub_f32_e32 v40, v35, v39
	v_fma_f32 v35, v11, s97, -v35
	v_fmac_f32_e32 v35, 0xb2a5705f, v11
	v_div_fixup_f32 v33, v34, v33, v9
	v_fma_f32 v34, -v36, v38, 1.0
	v_add_f32_e32 v35, v40, v35
	v_fmac_f32_e32 v38, v34, v38
	v_div_scale_f32 v34, vcc, v8, v32, v8
	v_exp_f32_e32 v35, v35
	v_cvt_i32_f32_e32 v39, v39
	v_mul_f32_e32 v37, v34, v38
	v_fma_f32 v40, -v36, v37, v34
	v_fmac_f32_e32 v37, v40, v38
	v_fma_f32 v36, -v36, v37, v34
	v_ldexp_f32 v34, v35, v39
	v_mul_f32_e32 v35, 0xbfb8aa3b, v10
	v_rndne_f32_e32 v39, v35
	v_sub_f32_e32 v40, v35, v39
	v_fma_f32 v35, v10, s97, -v35
	v_fmac_f32_e32 v35, 0xb2a5705f, v10
	v_add_f32_e32 v35, v40, v35
	v_exp_f32_e32 v40, v35
	v_cvt_i32_f32_e32 v39, v39
	v_cmp_nlt_f32_e64 s[2:3], s98, v11
	v_div_fmas_f32 v36, v36, v38, v37
	v_div_fixup_f32 v32, v36, v32, v8
	v_cndmask_b32_e64 v34, 0, v34, s[2:3]
	v_cmp_ngt_f32_e64 s[2:3], s99, v11
	v_pk_mul_f32 v[28:29], v[28:29], v[32:33]
	v_mul_f32_e32 v37, 0xbfb8aa3b, v1
	v_cndmask_b32_e64 v35, v81, v34, s[2:3]
	v_ldexp_f32 v34, v40, v39
	v_cmp_nlt_f32_e64 s[2:3], s98, v10
	s_nop 1
	v_cndmask_b32_e64 v34, 0, v34, s[2:3]
	v_cmp_ngt_f32_e64 s[2:3], s99, v10
	s_nop 1
	v_cndmask_b32_e64 v34, v81, v34, s[2:3]
	v_pk_add_f32 v[34:35], v[34:35], 1.0 op_sel_hi:[1,0]
	s_nop 0
	v_div_scale_f32 v39, s[2:3], v35, v35, v11
	v_rcp_f32_e32 v40, v39
	s_nop 0
	v_fma_f32 v32, -v39, v40, 1.0
	v_fmac_f32_e32 v40, v32, v40
	v_div_scale_f32 v32, vcc, v11, v35, v11
	v_mul_f32_e32 v33, v32, v40
	v_fma_f32 v36, -v39, v33, v32
	v_fmac_f32_e32 v33, v36, v40
	v_div_scale_f32 v36, s[2:3], v34, v34, v10
	v_rcp_f32_e32 v38, v36
	v_fma_f32 v32, -v39, v33, v32
	v_rndne_f32_e32 v39, v37
	v_div_fmas_f32 v32, v32, v40, v33
	v_sub_f32_e32 v40, v37, v39
	v_fma_f32 v37, v1, s97, -v37
	v_fmac_f32_e32 v37, 0xb2a5705f, v1
	v_div_fixup_f32 v33, v32, v35, v11
	v_fma_f32 v32, -v36, v38, 1.0
	v_add_f32_e32 v37, v40, v37
	v_fmac_f32_e32 v38, v32, v38
	v_div_scale_f32 v32, vcc, v10, v34, v10
	v_exp_f32_e32 v37, v37
	v_cvt_i32_f32_e32 v39, v39
	v_mul_f32_e32 v35, v32, v38
	v_fma_f32 v40, -v36, v35, v32
	v_fmac_f32_e32 v35, v40, v38
	v_fma_f32 v32, -v36, v35, v32
	v_ldexp_f32 v36, v37, v39
	v_mul_f32_e32 v37, 0xbfb8aa3b, v0
	v_rndne_f32_e32 v39, v37
	v_sub_f32_e32 v40, v37, v39
	v_fma_f32 v37, v0, s97, -v37
	v_fmac_f32_e32 v37, 0xb2a5705f, v0
	v_add_f32_e32 v37, v40, v37
	v_exp_f32_e32 v40, v37
	v_cvt_i32_f32_e32 v39, v39
	v_cmp_nlt_f32_e64 s[2:3], s98, v1
	v_div_fmas_f32 v32, v32, v38, v35
	v_div_fixup_f32 v32, v32, v34, v10
	v_cndmask_b32_e64 v36, 0, v36, s[2:3]
	v_cmp_ngt_f32_e64 s[2:3], s99, v1
	v_pk_mul_f32 v[30:31], v[30:31], v[32:33]
	v_mul_f32_e32 v35, 0xbfb8aa3b, v3
	v_cndmask_b32_e64 v37, v81, v36, s[2:3]
	v_ldexp_f32 v36, v40, v39
	v_cmp_nlt_f32_e64 s[2:3], s98, v0
	s_nop 1
	v_cndmask_b32_e64 v36, 0, v36, s[2:3]
	v_cmp_ngt_f32_e64 s[2:3], s99, v0
	s_nop 1
	v_cndmask_b32_e64 v36, v81, v36, s[2:3]
	v_pk_add_f32 v[36:37], v[36:37], 1.0 op_sel_hi:[1,0]
	s_nop 0
	v_div_scale_f32 v39, s[2:3], v37, v37, v1
	v_rcp_f32_e32 v40, v39
	s_nop 0
	v_fma_f32 v32, -v39, v40, 1.0
	v_fmac_f32_e32 v40, v32, v40
	v_div_scale_f32 v32, vcc, v1, v37, v1
	v_mul_f32_e32 v33, v32, v40
	v_fma_f32 v34, -v39, v33, v32
	v_fmac_f32_e32 v33, v34, v40
	v_div_scale_f32 v34, s[2:3], v36, v36, v0
	v_rcp_f32_e32 v38, v34
	v_fma_f32 v32, -v39, v33, v32
	v_rndne_f32_e32 v39, v35
	v_div_fmas_f32 v32, v32, v40, v33
	v_sub_f32_e32 v40, v35, v39
	v_fma_f32 v35, v3, s97, -v35
	v_fmac_f32_e32 v35, 0xb2a5705f, v3
	v_div_fixup_f32 v33, v32, v37, v1
	v_fma_f32 v32, -v34, v38, 1.0
	v_add_f32_e32 v35, v40, v35
	v_fmac_f32_e32 v38, v32, v38
	v_div_scale_f32 v32, vcc, v0, v36, v0
	v_exp_f32_e32 v35, v35
	v_cvt_i32_f32_e32 v39, v39
	v_mul_f32_e32 v37, v32, v38
	v_fma_f32 v40, -v34, v37, v32
	v_fmac_f32_e32 v37, v40, v38
	v_fma_f32 v32, -v34, v37, v32
	v_ldexp_f32 v34, v35, v39
	v_mul_f32_e32 v35, 0xbfb8aa3b, v2
	v_rndne_f32_e32 v39, v35
	v_sub_f32_e32 v40, v35, v39
	v_fma_f32 v35, v2, s97, -v35
	v_fmac_f32_e32 v35, 0xb2a5705f, v2
	v_add_f32_e32 v35, v40, v35
	v_exp_f32_e32 v40, v35
	v_cvt_i32_f32_e32 v39, v39
	v_cmp_nlt_f32_e64 s[2:3], s98, v3
	v_div_fmas_f32 v32, v32, v38, v37
	v_div_fixup_f32 v32, v32, v36, v0
	v_cndmask_b32_e64 v34, 0, v34, s[2:3]
	v_cmp_ngt_f32_e64 s[2:3], s99, v3
	v_pk_mul_f32 v[24:25], v[24:25], v[32:33]
	s_nop 0
	v_cndmask_b32_e64 v35, v81, v34, s[2:3]
	v_ldexp_f32 v34, v40, v39
	v_cmp_nlt_f32_e64 s[2:3], s98, v2
	s_nop 1
	v_cndmask_b32_e64 v34, 0, v34, s[2:3]
	v_cmp_ngt_f32_e64 s[2:3], s99, v2
	s_nop 1
	v_cndmask_b32_e64 v34, v81, v34, s[2:3]
	v_pk_add_f32 v[34:35], v[34:35], 1.0 op_sel_hi:[1,0]
	s_nop 0
	v_div_scale_f32 v39, s[2:3], v35, v35, v3
	v_rcp_f32_e32 v40, v39
	s_nop 0
	v_fma_f32 v32, -v39, v40, 1.0
	v_fmac_f32_e32 v40, v32, v40
	v_div_scale_f32 v32, vcc, v3, v35, v3
	v_mul_f32_e32 v33, v32, v40
	v_fma_f32 v36, -v39, v33, v32
	v_fmac_f32_e32 v33, v36, v40
	v_div_scale_f32 v36, s[2:3], v34, v34, v2
	v_rcp_f32_e32 v37, v36
	v_fma_f32 v32, -v39, v33, v32
	v_div_fmas_f32 v32, v32, v40, v33
	v_div_fixup_f32 v33, v32, v35, v3
	v_fma_f32 v32, -v36, v37, 1.0
	v_fmac_f32_e32 v37, v32, v37
	v_div_scale_f32 v32, vcc, v2, v34, v2
	v_mul_f32_e32 v35, v32, v37
	v_fma_f32 v38, -v36, v35, v32
	v_fmac_f32_e32 v35, v38, v37
	v_fma_f32 v32, -v36, v35, v32
	v_div_fmas_f32 v32, v32, v37, v35
	v_div_fixup_f32 v32, v32, v34, v2
	v_pk_mul_f32 v[26:27], v[26:27], v[32:33]
	ds_write_b128 v68, v[28:31]
	ds_write_b128 v68, v[24:27] offset:16
	; wave barrier
	scratch_load_dwordx2 v[28:29], off, off offset:16 ; 8-byte Folded Reload
	ds_read_b128 v[24:27], v66
	s_waitcnt vmcnt(0)
	v_lshl_add_u64 v[36:37], s[58:59], 2, v[28:29]
	ds_read_b128 v[28:31], v67 offset:1024
	s_waitcnt lgkmcnt(1)
	v_mov_b32_e32 v32, v25
	v_mov_b32_e32 v33, v26
	;; [unrolled: 1-line block ×6, first 2 shown]
	global_store_dwordx4 v[36:37], v[24:27], off
	s_waitcnt lgkmcnt(0)
	global_store_dwordx4 v[36:37], v[28:31], off offset:1024
	s_cbranch_scc1 .LBB137_68
.LBB137_12:                             ; =>This Loop Header: Depth=1
                                        ;     Child Loop BB137_39 Depth 2
	v_lshl_add_u64 v[24:25], s[54:55], 0, v[48:49]
	s_waitcnt lgkmcnt(0)
	; wave barrier
	s_and_saveexec_b64 s[2:3], s[0:1]
	s_cbranch_execz .LBB137_14
; %bb.13:                               ;   in Loop: Header=BB137_12 Depth=1
	global_load_dwordx4 v[20:23], v[24:25], off
.LBB137_14:                             ;   in Loop: Header=BB137_12 Depth=1
	s_or_b64 exec, exec, s[2:3]
	s_and_saveexec_b64 s[2:3], s[40:41]
	s_cbranch_execz .LBB137_16
; %bb.15:                               ;   in Loop: Header=BB137_12 Depth=1
	global_load_dwordx4 v[12:15], v[24:25], off offset:1024
.LBB137_16:                             ;   in Loop: Header=BB137_12 Depth=1
	s_or_b64 exec, exec, s[2:3]
	s_waitcnt vmcnt(0)
	ds_write_b128 v66, v[20:23]
	ds_write_b128 v67, v[12:15] offset:1024
	; wave barrier
	ds_read_b128 v[20:23], v68
	ds_read_b128 v[12:15], v68 offset:16
	v_lshl_add_u64 v[24:25], s[56:57], 0, v[48:49]
	s_waitcnt lgkmcnt(0)
	; wave barrier
	s_waitcnt lgkmcnt(0)
	s_and_saveexec_b64 s[2:3], s[0:1]
	s_cbranch_execz .LBB137_18
; %bb.17:                               ;   in Loop: Header=BB137_12 Depth=1
	global_load_dwordx4 v[16:19], v[24:25], off
.LBB137_18:                             ;   in Loop: Header=BB137_12 Depth=1
	s_or_b64 exec, exec, s[2:3]
	s_and_saveexec_b64 s[2:3], s[40:41]
	s_cbranch_execz .LBB137_20
; %bb.19:                               ;   in Loop: Header=BB137_12 Depth=1
	global_load_dwordx4 v[4:7], v[24:25], off offset:1024
.LBB137_20:                             ;   in Loop: Header=BB137_12 Depth=1
	s_or_b64 exec, exec, s[2:3]
	s_waitcnt vmcnt(0)
	ds_write_b128 v66, v[16:19]
	ds_write_b128 v67, v[4:7] offset:1024
	; wave barrier
	ds_read_b128 v[16:19], v68
	ds_read_b128 v[4:7], v68 offset:16
	s_waitcnt lgkmcnt(1)
	v_add_f32_e32 v84, s33, v16
	v_cmp_ge_f32_e32 vcc, s87, v84
	s_and_b64 s[2:3], s[64:65], vcc
	s_and_saveexec_b64 s[22:23], s[2:3]
	s_cbranch_execz .LBB137_22
; %bb.21:                               ;   in Loop: Header=BB137_12 Depth=1
	v_mul_f32_e32 v24, 0x3fb8aa3b, v84
	v_rndne_f32_e32 v25, v24
	v_sub_f32_e32 v26, v24, v25
	v_fma_f32 v24, v84, s88, -v24
	v_fmac_f32_e32 v24, 0x32a5705f, v84
	v_add_f32_e32 v24, v26, v24
	v_cvt_i32_f32_e32 v25, v25
	v_exp_f32_e32 v24, v24
	v_cmp_ngt_f32_e32 vcc, s89, v84
	v_ldexp_f32 v24, v24, v25
	s_nop 0
	v_cndmask_b32_e32 v24, 0, v24, vcc
	v_cmp_nlt_f32_e32 vcc, s90, v84
	s_nop 1
	v_cndmask_b32_e32 v40, v81, v24, vcc
	v_add_f32_e32 v26, 1.0, v40
	v_add_f32_e32 v24, -1.0, v26
	v_sub_f32_e32 v25, v24, v26
	v_add_f32_e32 v25, 1.0, v25
	v_sub_f32_e32 v24, v40, v24
	v_add_f32_e32 v27, v24, v25
	v_frexp_mant_f32_e32 v28, v26
	v_cvt_f64_f32_e32 v[24:25], v26
	v_frexp_exp_i32_f64_e32 v24, v[24:25]
	v_cmp_gt_f32_e32 vcc, s92, v28
	v_cmp_gt_f32_e64 s[2:3], s94, v40
	s_nop 0
	v_subbrev_co_u32_e32 v32, vcc, 0, v24, vcc
	v_sub_u32_e32 v24, 0, v32
	v_ldexp_f32 v25, v26, v24
	v_add_f32_e32 v26, -1.0, v25
	v_add_f32_e32 v28, 1.0, v25
	v_ldexp_f32 v24, v27, v24
	v_add_f32_e32 v27, 1.0, v26
	v_add_f32_e32 v29, -1.0, v28
	v_sub_f32_e32 v27, v25, v27
	v_sub_f32_e32 v25, v25, v29
	v_add_f32_e32 v27, v24, v27
	v_add_f32_e32 v24, v24, v25
	;; [unrolled: 1-line block ×3, first 2 shown]
	v_rcp_f32_e32 v35, v33
	v_sub_f32_e32 v25, v28, v33
	v_add_f32_e32 v34, v24, v25
	v_add_f32_e32 v25, v26, v27
	v_mul_f32_e32 v37, v25, v35
	v_sub_f32_e32 v24, v26, v25
	v_mul_f32_e32 v26, v33, v37
	v_fma_f32 v28, v37, v33, -v26
	v_fmac_f32_e32 v28, v37, v34
	v_add_f32_e32 v36, v27, v24
	v_add_f32_e32 v24, v26, v28
	v_sub_f32_e32 v27, v25, v24
	v_pk_add_f32 v[30:31], v[24:25], v[26:27] neg_lo:[0,1] neg_hi:[0,1]
	v_mov_b32_e32 v29, v24
	v_pk_add_f32 v[24:25], v[30:31], v[28:29] neg_lo:[0,1] neg_hi:[0,1]
	v_cmp_eq_f32_e32 vcc, s91, v40
	v_add_f32_e32 v25, v36, v25
	v_add_f32_e32 v24, v24, v25
	;; [unrolled: 1-line block ×3, first 2 shown]
	v_mul_f32_e32 v36, v35, v25
	v_mul_f32_e32 v26, v33, v36
	v_fma_f32 v28, v36, v33, -v26
	v_fmac_f32_e32 v28, v36, v34
	v_sub_f32_e32 v27, v27, v25
	v_add_f32_e32 v33, v24, v27
	v_add_f32_e32 v24, v26, v28
	v_sub_f32_e32 v27, v25, v24
	v_pk_add_f32 v[30:31], v[24:25], v[26:27] neg_lo:[0,1] neg_hi:[0,1]
	v_mov_b32_e32 v29, v24
	v_pk_add_f32 v[24:25], v[30:31], v[28:29] neg_lo:[0,1] neg_hi:[0,1]
	s_or_b64 vcc, s[2:3], vcc
	v_add_f32_e32 v25, v33, v25
	v_add_f32_e32 v24, v24, v25
	v_add_f32_e32 v25, v37, v36
	v_add_f32_e32 v24, v27, v24
	v_sub_f32_e32 v26, v25, v37
	v_mul_f32_e32 v24, v35, v24
	v_sub_f32_e32 v26, v36, v26
	v_add_f32_e32 v26, v26, v24
	v_add_f32_e32 v28, v25, v26
	v_mul_f32_e32 v29, v28, v28
	v_fmamk_f32 v24, v29, 0x3e9b6dac, v41
	v_fmaak_f32 v57, v29, v24, 0x3f2aaada
	v_cvt_f32_i32_e32 v24, v32
	v_sub_f32_e32 v25, v28, v25
	v_sub_f32_e32 v25, v26, v25
	v_ldexp_f32 v30, v25, 1
	v_mul_f32_e32 v25, v28, v29
	v_ldexp_f32 v27, v28, 1
	v_pk_mul_f32 v[28:29], v[24:25], v[56:57]
	s_nop 0
	v_fma_f32 v26, v24, s93, -v28
	v_fmac_f32_e32 v26, 0xb102e308, v24
	v_pk_add_f32 v[24:25], v[28:29], v[26:27]
	s_nop 0
	v_sub_f32_e32 v27, v25, v27
	v_sub_f32_e32 v27, v29, v27
	v_add_f32_e32 v31, v30, v27
	v_mov_b32_e32 v30, v28
	v_pk_add_f32 v[28:29], v[24:25], v[28:29] neg_lo:[0,1] neg_hi:[0,1]
	v_pk_add_f32 v[32:33], v[24:25], v[30:31]
	v_mov_b32_e32 v27, v24
	v_mov_b32_e32 v29, v33
	v_pk_add_f32 v[34:35], v[26:27], v[28:29] neg_lo:[0,1] neg_hi:[0,1]
	v_pk_add_f32 v[26:27], v[26:27], v[28:29]
	v_mov_b32_e32 v30, v31
	v_mov_b32_e32 v28, v27
	v_pk_add_f32 v[36:37], v[28:29], v[24:25] neg_lo:[0,1] neg_hi:[0,1]
	v_mov_b32_e32 v26, v33
	v_mov_b32_e32 v29, v36
	v_pk_add_f32 v[38:39], v[32:33], v[28:29] neg_lo:[0,1] neg_hi:[0,1]
	v_mov_b32_e32 v32, v25
	v_mov_b32_e32 v33, v36
	;; [unrolled: 1-line block ×3, first 2 shown]
	v_pk_add_f32 v[26:27], v[26:27], v[32:33] neg_lo:[0,1] neg_hi:[0,1]
	v_mov_b32_e32 v31, v24
	v_pk_add_f32 v[24:25], v[30:31], v[26:27] neg_lo:[0,1] neg_hi:[0,1]
	v_mov_b32_e32 v38, v34
	v_pk_add_f32 v[26:27], v[38:39], v[24:25]
	s_nop 0
	v_mov_b32_e32 v30, v27
	v_pk_add_f32 v[30:31], v[26:27], v[30:31]
	s_nop 0
	v_pk_add_f32 v[28:29], v[28:29], v[30:31]
	v_mov_b32_e32 v25, v30
	v_mov_b32_e32 v27, v28
	v_pk_add_f32 v[32:33], v[26:27], v[34:35] neg_lo:[0,1] neg_hi:[0,1]
	s_nop 0
	v_sub_f32_e32 v26, v26, v32
	v_pk_add_f32 v[24:25], v[24:25], v[32:33] neg_lo:[0,1] neg_hi:[0,1]
	v_sub_f32_e32 v26, v34, v26
	v_add_f32_e32 v24, v24, v26
	v_add_f32_e32 v24, v24, v25
	;; [unrolled: 1-line block ×3, first 2 shown]
	v_cndmask_b32_e32 v84, v24, v40, vcc
.LBB137_22:                             ;   in Loop: Header=BB137_12 Depth=1
	s_or_b64 exec, exec, s[22:23]
	v_add_f32_e32 v85, s33, v17
	v_cmp_ge_f32_e32 vcc, s87, v85
	s_and_b64 s[2:3], s[64:65], vcc
	s_and_saveexec_b64 s[22:23], s[2:3]
	s_cbranch_execz .LBB137_24
; %bb.23:                               ;   in Loop: Header=BB137_12 Depth=1
	v_mul_f32_e32 v24, 0x3fb8aa3b, v85
	v_rndne_f32_e32 v25, v24
	v_sub_f32_e32 v26, v24, v25
	v_fma_f32 v24, v85, s88, -v24
	v_fmac_f32_e32 v24, 0x32a5705f, v85
	v_add_f32_e32 v24, v26, v24
	v_cvt_i32_f32_e32 v25, v25
	v_exp_f32_e32 v24, v24
	v_cmp_ngt_f32_e32 vcc, s89, v85
	v_ldexp_f32 v24, v24, v25
	s_nop 0
	v_cndmask_b32_e32 v24, 0, v24, vcc
	v_cmp_nlt_f32_e32 vcc, s90, v85
	s_nop 1
	v_cndmask_b32_e32 v40, v81, v24, vcc
	v_add_f32_e32 v26, 1.0, v40
	v_add_f32_e32 v24, -1.0, v26
	v_sub_f32_e32 v25, v24, v26
	v_add_f32_e32 v25, 1.0, v25
	v_sub_f32_e32 v24, v40, v24
	v_add_f32_e32 v27, v24, v25
	v_frexp_mant_f32_e32 v28, v26
	v_cvt_f64_f32_e32 v[24:25], v26
	v_frexp_exp_i32_f64_e32 v24, v[24:25]
	v_cmp_gt_f32_e32 vcc, s92, v28
	v_cmp_gt_f32_e64 s[2:3], s94, v40
	s_nop 0
	v_subbrev_co_u32_e32 v32, vcc, 0, v24, vcc
	v_sub_u32_e32 v24, 0, v32
	v_ldexp_f32 v25, v26, v24
	v_add_f32_e32 v26, -1.0, v25
	v_add_f32_e32 v28, 1.0, v25
	v_ldexp_f32 v24, v27, v24
	v_add_f32_e32 v27, 1.0, v26
	v_add_f32_e32 v29, -1.0, v28
	v_sub_f32_e32 v27, v25, v27
	v_sub_f32_e32 v25, v25, v29
	v_add_f32_e32 v27, v24, v27
	v_add_f32_e32 v24, v24, v25
	;; [unrolled: 1-line block ×3, first 2 shown]
	v_rcp_f32_e32 v35, v33
	v_sub_f32_e32 v25, v28, v33
	v_add_f32_e32 v34, v24, v25
	v_add_f32_e32 v25, v26, v27
	v_mul_f32_e32 v37, v25, v35
	v_sub_f32_e32 v24, v26, v25
	v_mul_f32_e32 v26, v33, v37
	v_fma_f32 v28, v37, v33, -v26
	v_fmac_f32_e32 v28, v37, v34
	v_add_f32_e32 v36, v27, v24
	v_add_f32_e32 v24, v26, v28
	v_sub_f32_e32 v27, v25, v24
	v_pk_add_f32 v[30:31], v[24:25], v[26:27] neg_lo:[0,1] neg_hi:[0,1]
	v_mov_b32_e32 v29, v24
	v_pk_add_f32 v[24:25], v[30:31], v[28:29] neg_lo:[0,1] neg_hi:[0,1]
	v_cmp_eq_f32_e32 vcc, s91, v40
	v_add_f32_e32 v25, v36, v25
	v_add_f32_e32 v24, v24, v25
	;; [unrolled: 1-line block ×3, first 2 shown]
	v_mul_f32_e32 v36, v35, v25
	v_mul_f32_e32 v26, v33, v36
	v_fma_f32 v28, v36, v33, -v26
	v_fmac_f32_e32 v28, v36, v34
	v_sub_f32_e32 v27, v27, v25
	v_add_f32_e32 v33, v24, v27
	v_add_f32_e32 v24, v26, v28
	v_sub_f32_e32 v27, v25, v24
	v_pk_add_f32 v[30:31], v[24:25], v[26:27] neg_lo:[0,1] neg_hi:[0,1]
	v_mov_b32_e32 v29, v24
	v_pk_add_f32 v[24:25], v[30:31], v[28:29] neg_lo:[0,1] neg_hi:[0,1]
	s_or_b64 vcc, s[2:3], vcc
	v_add_f32_e32 v25, v33, v25
	v_add_f32_e32 v24, v24, v25
	;; [unrolled: 1-line block ×4, first 2 shown]
	v_sub_f32_e32 v26, v25, v37
	v_mul_f32_e32 v24, v35, v24
	v_sub_f32_e32 v26, v36, v26
	v_add_f32_e32 v26, v26, v24
	v_add_f32_e32 v28, v25, v26
	v_mul_f32_e32 v29, v28, v28
	v_fmamk_f32 v24, v29, 0x3e9b6dac, v41
	v_fmaak_f32 v57, v29, v24, 0x3f2aaada
	v_cvt_f32_i32_e32 v24, v32
	v_sub_f32_e32 v25, v28, v25
	v_sub_f32_e32 v25, v26, v25
	v_ldexp_f32 v30, v25, 1
	v_mul_f32_e32 v25, v28, v29
	v_ldexp_f32 v27, v28, 1
	v_pk_mul_f32 v[28:29], v[24:25], v[56:57]
	s_nop 0
	v_fma_f32 v26, v24, s93, -v28
	v_fmac_f32_e32 v26, 0xb102e308, v24
	v_pk_add_f32 v[24:25], v[28:29], v[26:27]
	s_nop 0
	v_sub_f32_e32 v27, v25, v27
	v_sub_f32_e32 v27, v29, v27
	v_add_f32_e32 v31, v30, v27
	v_mov_b32_e32 v30, v28
	v_pk_add_f32 v[28:29], v[24:25], v[28:29] neg_lo:[0,1] neg_hi:[0,1]
	v_pk_add_f32 v[32:33], v[24:25], v[30:31]
	v_mov_b32_e32 v27, v24
	v_mov_b32_e32 v29, v33
	v_pk_add_f32 v[34:35], v[26:27], v[28:29] neg_lo:[0,1] neg_hi:[0,1]
	v_pk_add_f32 v[26:27], v[26:27], v[28:29]
	v_mov_b32_e32 v30, v31
	v_mov_b32_e32 v28, v27
	v_pk_add_f32 v[36:37], v[28:29], v[24:25] neg_lo:[0,1] neg_hi:[0,1]
	v_mov_b32_e32 v26, v33
	v_mov_b32_e32 v29, v36
	v_pk_add_f32 v[38:39], v[32:33], v[28:29] neg_lo:[0,1] neg_hi:[0,1]
	v_mov_b32_e32 v32, v25
	v_mov_b32_e32 v33, v36
	v_mov_b32_e32 v35, v27
	v_pk_add_f32 v[26:27], v[26:27], v[32:33] neg_lo:[0,1] neg_hi:[0,1]
	v_mov_b32_e32 v31, v24
	v_pk_add_f32 v[24:25], v[30:31], v[26:27] neg_lo:[0,1] neg_hi:[0,1]
	v_mov_b32_e32 v38, v34
	v_pk_add_f32 v[26:27], v[38:39], v[24:25]
	s_nop 0
	v_mov_b32_e32 v30, v27
	v_pk_add_f32 v[30:31], v[26:27], v[30:31]
	s_nop 0
	v_pk_add_f32 v[28:29], v[28:29], v[30:31]
	v_mov_b32_e32 v25, v30
	v_mov_b32_e32 v27, v28
	v_pk_add_f32 v[32:33], v[26:27], v[34:35] neg_lo:[0,1] neg_hi:[0,1]
	s_nop 0
	v_sub_f32_e32 v26, v26, v32
	v_pk_add_f32 v[24:25], v[24:25], v[32:33] neg_lo:[0,1] neg_hi:[0,1]
	v_sub_f32_e32 v26, v34, v26
	v_add_f32_e32 v24, v24, v26
	v_add_f32_e32 v24, v24, v25
	v_add_f32_e32 v24, v28, v24
	v_cndmask_b32_e32 v85, v24, v40, vcc
.LBB137_24:                             ;   in Loop: Header=BB137_12 Depth=1
	s_or_b64 exec, exec, s[22:23]
	v_add_f32_e32 v86, s33, v18
	v_cmp_ge_f32_e32 vcc, s87, v86
	s_and_b64 s[2:3], s[64:65], vcc
	s_and_saveexec_b64 s[22:23], s[2:3]
	s_cbranch_execz .LBB137_26
; %bb.25:                               ;   in Loop: Header=BB137_12 Depth=1
	v_mul_f32_e32 v24, 0x3fb8aa3b, v86
	v_rndne_f32_e32 v25, v24
	v_sub_f32_e32 v26, v24, v25
	v_fma_f32 v24, v86, s88, -v24
	v_fmac_f32_e32 v24, 0x32a5705f, v86
	v_add_f32_e32 v24, v26, v24
	v_cvt_i32_f32_e32 v25, v25
	v_exp_f32_e32 v24, v24
	v_cmp_ngt_f32_e32 vcc, s89, v86
	v_ldexp_f32 v24, v24, v25
	s_nop 0
	v_cndmask_b32_e32 v24, 0, v24, vcc
	v_cmp_nlt_f32_e32 vcc, s90, v86
	s_nop 1
	v_cndmask_b32_e32 v40, v81, v24, vcc
	v_add_f32_e32 v26, 1.0, v40
	v_add_f32_e32 v24, -1.0, v26
	v_sub_f32_e32 v25, v24, v26
	v_add_f32_e32 v25, 1.0, v25
	v_sub_f32_e32 v24, v40, v24
	v_add_f32_e32 v27, v24, v25
	v_frexp_mant_f32_e32 v28, v26
	v_cvt_f64_f32_e32 v[24:25], v26
	v_frexp_exp_i32_f64_e32 v24, v[24:25]
	v_cmp_gt_f32_e32 vcc, s92, v28
	v_cmp_gt_f32_e64 s[2:3], s94, v40
	s_nop 0
	v_subbrev_co_u32_e32 v32, vcc, 0, v24, vcc
	v_sub_u32_e32 v24, 0, v32
	v_ldexp_f32 v25, v26, v24
	v_add_f32_e32 v26, -1.0, v25
	v_add_f32_e32 v28, 1.0, v25
	v_ldexp_f32 v24, v27, v24
	v_add_f32_e32 v27, 1.0, v26
	v_add_f32_e32 v29, -1.0, v28
	v_sub_f32_e32 v27, v25, v27
	v_sub_f32_e32 v25, v25, v29
	v_add_f32_e32 v27, v24, v27
	v_add_f32_e32 v24, v24, v25
	;; [unrolled: 1-line block ×3, first 2 shown]
	v_rcp_f32_e32 v35, v33
	v_sub_f32_e32 v25, v28, v33
	v_add_f32_e32 v34, v24, v25
	v_add_f32_e32 v25, v26, v27
	v_mul_f32_e32 v37, v25, v35
	v_sub_f32_e32 v24, v26, v25
	v_mul_f32_e32 v26, v33, v37
	v_fma_f32 v28, v37, v33, -v26
	v_fmac_f32_e32 v28, v37, v34
	v_add_f32_e32 v36, v27, v24
	v_add_f32_e32 v24, v26, v28
	v_sub_f32_e32 v27, v25, v24
	v_pk_add_f32 v[30:31], v[24:25], v[26:27] neg_lo:[0,1] neg_hi:[0,1]
	v_mov_b32_e32 v29, v24
	v_pk_add_f32 v[24:25], v[30:31], v[28:29] neg_lo:[0,1] neg_hi:[0,1]
	v_cmp_eq_f32_e32 vcc, s91, v40
	v_add_f32_e32 v25, v36, v25
	v_add_f32_e32 v24, v24, v25
	;; [unrolled: 1-line block ×3, first 2 shown]
	v_mul_f32_e32 v36, v35, v25
	v_mul_f32_e32 v26, v33, v36
	v_fma_f32 v28, v36, v33, -v26
	v_fmac_f32_e32 v28, v36, v34
	v_sub_f32_e32 v27, v27, v25
	v_add_f32_e32 v33, v24, v27
	v_add_f32_e32 v24, v26, v28
	v_sub_f32_e32 v27, v25, v24
	v_pk_add_f32 v[30:31], v[24:25], v[26:27] neg_lo:[0,1] neg_hi:[0,1]
	v_mov_b32_e32 v29, v24
	v_pk_add_f32 v[24:25], v[30:31], v[28:29] neg_lo:[0,1] neg_hi:[0,1]
	s_or_b64 vcc, s[2:3], vcc
	v_add_f32_e32 v25, v33, v25
	v_add_f32_e32 v24, v24, v25
	v_add_f32_e32 v25, v37, v36
	v_add_f32_e32 v24, v27, v24
	v_sub_f32_e32 v26, v25, v37
	v_mul_f32_e32 v24, v35, v24
	v_sub_f32_e32 v26, v36, v26
	v_add_f32_e32 v26, v26, v24
	v_add_f32_e32 v28, v25, v26
	v_mul_f32_e32 v29, v28, v28
	v_fmamk_f32 v24, v29, 0x3e9b6dac, v41
	v_fmaak_f32 v57, v29, v24, 0x3f2aaada
	v_cvt_f32_i32_e32 v24, v32
	v_sub_f32_e32 v25, v28, v25
	v_sub_f32_e32 v25, v26, v25
	v_ldexp_f32 v30, v25, 1
	v_mul_f32_e32 v25, v28, v29
	v_ldexp_f32 v27, v28, 1
	v_pk_mul_f32 v[28:29], v[24:25], v[56:57]
	s_nop 0
	v_fma_f32 v26, v24, s93, -v28
	v_fmac_f32_e32 v26, 0xb102e308, v24
	v_pk_add_f32 v[24:25], v[28:29], v[26:27]
	s_nop 0
	v_sub_f32_e32 v27, v25, v27
	v_sub_f32_e32 v27, v29, v27
	v_add_f32_e32 v31, v30, v27
	v_mov_b32_e32 v30, v28
	v_pk_add_f32 v[28:29], v[24:25], v[28:29] neg_lo:[0,1] neg_hi:[0,1]
	v_pk_add_f32 v[32:33], v[24:25], v[30:31]
	v_mov_b32_e32 v27, v24
	v_mov_b32_e32 v29, v33
	v_pk_add_f32 v[34:35], v[26:27], v[28:29] neg_lo:[0,1] neg_hi:[0,1]
	v_pk_add_f32 v[26:27], v[26:27], v[28:29]
	v_mov_b32_e32 v30, v31
	v_mov_b32_e32 v28, v27
	v_pk_add_f32 v[36:37], v[28:29], v[24:25] neg_lo:[0,1] neg_hi:[0,1]
	v_mov_b32_e32 v26, v33
	v_mov_b32_e32 v29, v36
	v_pk_add_f32 v[38:39], v[32:33], v[28:29] neg_lo:[0,1] neg_hi:[0,1]
	v_mov_b32_e32 v32, v25
	v_mov_b32_e32 v33, v36
	;; [unrolled: 1-line block ×3, first 2 shown]
	v_pk_add_f32 v[26:27], v[26:27], v[32:33] neg_lo:[0,1] neg_hi:[0,1]
	v_mov_b32_e32 v31, v24
	v_pk_add_f32 v[24:25], v[30:31], v[26:27] neg_lo:[0,1] neg_hi:[0,1]
	v_mov_b32_e32 v38, v34
	v_pk_add_f32 v[26:27], v[38:39], v[24:25]
	s_nop 0
	v_mov_b32_e32 v30, v27
	v_pk_add_f32 v[30:31], v[26:27], v[30:31]
	s_nop 0
	v_pk_add_f32 v[28:29], v[28:29], v[30:31]
	v_mov_b32_e32 v25, v30
	v_mov_b32_e32 v27, v28
	v_pk_add_f32 v[32:33], v[26:27], v[34:35] neg_lo:[0,1] neg_hi:[0,1]
	s_nop 0
	v_sub_f32_e32 v26, v26, v32
	v_pk_add_f32 v[24:25], v[24:25], v[32:33] neg_lo:[0,1] neg_hi:[0,1]
	v_sub_f32_e32 v26, v34, v26
	v_add_f32_e32 v24, v24, v26
	v_add_f32_e32 v24, v24, v25
	v_add_f32_e32 v24, v28, v24
	v_cndmask_b32_e32 v86, v24, v40, vcc
.LBB137_26:                             ;   in Loop: Header=BB137_12 Depth=1
	s_or_b64 exec, exec, s[22:23]
	v_add_f32_e32 v87, s33, v19
	v_cmp_ge_f32_e32 vcc, s87, v87
	s_and_b64 s[2:3], s[64:65], vcc
	s_and_saveexec_b64 s[22:23], s[2:3]
	s_cbranch_execz .LBB137_28
; %bb.27:                               ;   in Loop: Header=BB137_12 Depth=1
	v_mul_f32_e32 v24, 0x3fb8aa3b, v87
	v_rndne_f32_e32 v25, v24
	v_sub_f32_e32 v26, v24, v25
	v_fma_f32 v24, v87, s88, -v24
	v_fmac_f32_e32 v24, 0x32a5705f, v87
	v_add_f32_e32 v24, v26, v24
	v_cvt_i32_f32_e32 v25, v25
	v_exp_f32_e32 v24, v24
	v_cmp_ngt_f32_e32 vcc, s89, v87
	v_ldexp_f32 v24, v24, v25
	s_nop 0
	v_cndmask_b32_e32 v24, 0, v24, vcc
	v_cmp_nlt_f32_e32 vcc, s90, v87
	s_nop 1
	v_cndmask_b32_e32 v40, v81, v24, vcc
	v_add_f32_e32 v26, 1.0, v40
	v_add_f32_e32 v24, -1.0, v26
	v_sub_f32_e32 v25, v24, v26
	v_add_f32_e32 v25, 1.0, v25
	v_sub_f32_e32 v24, v40, v24
	v_add_f32_e32 v27, v24, v25
	v_frexp_mant_f32_e32 v28, v26
	v_cvt_f64_f32_e32 v[24:25], v26
	v_frexp_exp_i32_f64_e32 v24, v[24:25]
	v_cmp_gt_f32_e32 vcc, s92, v28
	v_cmp_gt_f32_e64 s[2:3], s94, v40
	s_nop 0
	v_subbrev_co_u32_e32 v32, vcc, 0, v24, vcc
	v_sub_u32_e32 v24, 0, v32
	v_ldexp_f32 v25, v26, v24
	v_add_f32_e32 v26, -1.0, v25
	v_add_f32_e32 v28, 1.0, v25
	v_ldexp_f32 v24, v27, v24
	v_add_f32_e32 v27, 1.0, v26
	v_add_f32_e32 v29, -1.0, v28
	v_sub_f32_e32 v27, v25, v27
	v_sub_f32_e32 v25, v25, v29
	v_add_f32_e32 v27, v24, v27
	v_add_f32_e32 v24, v24, v25
	;; [unrolled: 1-line block ×3, first 2 shown]
	v_rcp_f32_e32 v35, v33
	v_sub_f32_e32 v25, v28, v33
	v_add_f32_e32 v34, v24, v25
	v_add_f32_e32 v25, v26, v27
	v_mul_f32_e32 v37, v25, v35
	v_sub_f32_e32 v24, v26, v25
	v_mul_f32_e32 v26, v33, v37
	v_fma_f32 v28, v37, v33, -v26
	v_fmac_f32_e32 v28, v37, v34
	v_add_f32_e32 v36, v27, v24
	v_add_f32_e32 v24, v26, v28
	v_sub_f32_e32 v27, v25, v24
	v_pk_add_f32 v[30:31], v[24:25], v[26:27] neg_lo:[0,1] neg_hi:[0,1]
	v_mov_b32_e32 v29, v24
	v_pk_add_f32 v[24:25], v[30:31], v[28:29] neg_lo:[0,1] neg_hi:[0,1]
	v_cmp_eq_f32_e32 vcc, s91, v40
	v_add_f32_e32 v25, v36, v25
	v_add_f32_e32 v24, v24, v25
	v_add_f32_e32 v25, v27, v24
	v_mul_f32_e32 v36, v35, v25
	v_mul_f32_e32 v26, v33, v36
	v_fma_f32 v28, v36, v33, -v26
	v_fmac_f32_e32 v28, v36, v34
	v_sub_f32_e32 v27, v27, v25
	v_add_f32_e32 v33, v24, v27
	v_add_f32_e32 v24, v26, v28
	v_sub_f32_e32 v27, v25, v24
	v_pk_add_f32 v[30:31], v[24:25], v[26:27] neg_lo:[0,1] neg_hi:[0,1]
	v_mov_b32_e32 v29, v24
	v_pk_add_f32 v[24:25], v[30:31], v[28:29] neg_lo:[0,1] neg_hi:[0,1]
	s_or_b64 vcc, s[2:3], vcc
	v_add_f32_e32 v25, v33, v25
	v_add_f32_e32 v24, v24, v25
	;; [unrolled: 1-line block ×4, first 2 shown]
	v_sub_f32_e32 v26, v25, v37
	v_mul_f32_e32 v24, v35, v24
	v_sub_f32_e32 v26, v36, v26
	v_add_f32_e32 v26, v26, v24
	v_add_f32_e32 v28, v25, v26
	v_mul_f32_e32 v29, v28, v28
	v_fmamk_f32 v24, v29, 0x3e9b6dac, v41
	v_fmaak_f32 v57, v29, v24, 0x3f2aaada
	v_cvt_f32_i32_e32 v24, v32
	v_sub_f32_e32 v25, v28, v25
	v_sub_f32_e32 v25, v26, v25
	v_ldexp_f32 v30, v25, 1
	v_mul_f32_e32 v25, v28, v29
	v_ldexp_f32 v27, v28, 1
	v_pk_mul_f32 v[28:29], v[24:25], v[56:57]
	s_nop 0
	v_fma_f32 v26, v24, s93, -v28
	v_fmac_f32_e32 v26, 0xb102e308, v24
	v_pk_add_f32 v[24:25], v[28:29], v[26:27]
	s_nop 0
	v_sub_f32_e32 v27, v25, v27
	v_sub_f32_e32 v27, v29, v27
	v_add_f32_e32 v31, v30, v27
	v_mov_b32_e32 v30, v28
	v_pk_add_f32 v[28:29], v[24:25], v[28:29] neg_lo:[0,1] neg_hi:[0,1]
	v_pk_add_f32 v[32:33], v[24:25], v[30:31]
	v_mov_b32_e32 v27, v24
	v_mov_b32_e32 v29, v33
	v_pk_add_f32 v[34:35], v[26:27], v[28:29] neg_lo:[0,1] neg_hi:[0,1]
	v_pk_add_f32 v[26:27], v[26:27], v[28:29]
	v_mov_b32_e32 v30, v31
	v_mov_b32_e32 v28, v27
	v_pk_add_f32 v[36:37], v[28:29], v[24:25] neg_lo:[0,1] neg_hi:[0,1]
	v_mov_b32_e32 v26, v33
	v_mov_b32_e32 v29, v36
	v_pk_add_f32 v[38:39], v[32:33], v[28:29] neg_lo:[0,1] neg_hi:[0,1]
	v_mov_b32_e32 v32, v25
	v_mov_b32_e32 v33, v36
	v_mov_b32_e32 v35, v27
	v_pk_add_f32 v[26:27], v[26:27], v[32:33] neg_lo:[0,1] neg_hi:[0,1]
	v_mov_b32_e32 v31, v24
	v_pk_add_f32 v[24:25], v[30:31], v[26:27] neg_lo:[0,1] neg_hi:[0,1]
	v_mov_b32_e32 v38, v34
	v_pk_add_f32 v[26:27], v[38:39], v[24:25]
	s_nop 0
	v_mov_b32_e32 v30, v27
	v_pk_add_f32 v[30:31], v[26:27], v[30:31]
	s_nop 0
	v_pk_add_f32 v[28:29], v[28:29], v[30:31]
	v_mov_b32_e32 v25, v30
	v_mov_b32_e32 v27, v28
	v_pk_add_f32 v[32:33], v[26:27], v[34:35] neg_lo:[0,1] neg_hi:[0,1]
	s_nop 0
	v_sub_f32_e32 v26, v26, v32
	v_pk_add_f32 v[24:25], v[24:25], v[32:33] neg_lo:[0,1] neg_hi:[0,1]
	v_sub_f32_e32 v26, v34, v26
	v_add_f32_e32 v24, v24, v26
	v_add_f32_e32 v24, v24, v25
	;; [unrolled: 1-line block ×3, first 2 shown]
	v_cndmask_b32_e32 v87, v24, v40, vcc
.LBB137_28:                             ;   in Loop: Header=BB137_12 Depth=1
	s_or_b64 exec, exec, s[22:23]
	s_waitcnt lgkmcnt(0)
	v_add_f32_e32 v88, s33, v4
	v_cmp_ge_f32_e32 vcc, s87, v88
	s_and_b64 s[2:3], s[64:65], vcc
	s_and_saveexec_b64 s[22:23], s[2:3]
	s_cbranch_execz .LBB137_30
; %bb.29:                               ;   in Loop: Header=BB137_12 Depth=1
	v_mul_f32_e32 v24, 0x3fb8aa3b, v88
	v_rndne_f32_e32 v25, v24
	v_sub_f32_e32 v26, v24, v25
	v_fma_f32 v24, v88, s88, -v24
	v_fmac_f32_e32 v24, 0x32a5705f, v88
	v_add_f32_e32 v24, v26, v24
	v_cvt_i32_f32_e32 v25, v25
	v_exp_f32_e32 v24, v24
	v_cmp_ngt_f32_e32 vcc, s89, v88
	v_ldexp_f32 v24, v24, v25
	s_nop 0
	v_cndmask_b32_e32 v24, 0, v24, vcc
	v_cmp_nlt_f32_e32 vcc, s90, v88
	s_nop 1
	v_cndmask_b32_e32 v40, v81, v24, vcc
	v_add_f32_e32 v26, 1.0, v40
	v_add_f32_e32 v24, -1.0, v26
	v_sub_f32_e32 v25, v24, v26
	v_add_f32_e32 v25, 1.0, v25
	v_sub_f32_e32 v24, v40, v24
	v_add_f32_e32 v27, v24, v25
	v_frexp_mant_f32_e32 v28, v26
	v_cvt_f64_f32_e32 v[24:25], v26
	v_frexp_exp_i32_f64_e32 v24, v[24:25]
	v_cmp_gt_f32_e32 vcc, s92, v28
	v_cmp_gt_f32_e64 s[2:3], s94, v40
	s_nop 0
	v_subbrev_co_u32_e32 v32, vcc, 0, v24, vcc
	v_sub_u32_e32 v24, 0, v32
	v_ldexp_f32 v25, v26, v24
	v_add_f32_e32 v26, -1.0, v25
	v_add_f32_e32 v28, 1.0, v25
	v_ldexp_f32 v24, v27, v24
	v_add_f32_e32 v27, 1.0, v26
	v_add_f32_e32 v29, -1.0, v28
	v_sub_f32_e32 v27, v25, v27
	v_sub_f32_e32 v25, v25, v29
	v_add_f32_e32 v27, v24, v27
	v_add_f32_e32 v24, v24, v25
	;; [unrolled: 1-line block ×3, first 2 shown]
	v_rcp_f32_e32 v35, v33
	v_sub_f32_e32 v25, v28, v33
	v_add_f32_e32 v34, v24, v25
	v_add_f32_e32 v25, v26, v27
	v_mul_f32_e32 v37, v25, v35
	v_sub_f32_e32 v24, v26, v25
	v_mul_f32_e32 v26, v33, v37
	v_fma_f32 v28, v37, v33, -v26
	v_fmac_f32_e32 v28, v37, v34
	v_add_f32_e32 v36, v27, v24
	v_add_f32_e32 v24, v26, v28
	v_sub_f32_e32 v27, v25, v24
	v_pk_add_f32 v[30:31], v[24:25], v[26:27] neg_lo:[0,1] neg_hi:[0,1]
	v_mov_b32_e32 v29, v24
	v_pk_add_f32 v[24:25], v[30:31], v[28:29] neg_lo:[0,1] neg_hi:[0,1]
	v_cmp_eq_f32_e32 vcc, s91, v40
	v_add_f32_e32 v25, v36, v25
	v_add_f32_e32 v24, v24, v25
	v_add_f32_e32 v25, v27, v24
	v_mul_f32_e32 v36, v35, v25
	v_mul_f32_e32 v26, v33, v36
	v_fma_f32 v28, v36, v33, -v26
	v_fmac_f32_e32 v28, v36, v34
	v_sub_f32_e32 v27, v27, v25
	v_add_f32_e32 v33, v24, v27
	v_add_f32_e32 v24, v26, v28
	v_sub_f32_e32 v27, v25, v24
	v_pk_add_f32 v[30:31], v[24:25], v[26:27] neg_lo:[0,1] neg_hi:[0,1]
	v_mov_b32_e32 v29, v24
	v_pk_add_f32 v[24:25], v[30:31], v[28:29] neg_lo:[0,1] neg_hi:[0,1]
	s_or_b64 vcc, s[2:3], vcc
	v_add_f32_e32 v25, v33, v25
	v_add_f32_e32 v24, v24, v25
	;; [unrolled: 1-line block ×4, first 2 shown]
	v_sub_f32_e32 v26, v25, v37
	v_mul_f32_e32 v24, v35, v24
	v_sub_f32_e32 v26, v36, v26
	v_add_f32_e32 v26, v26, v24
	v_add_f32_e32 v28, v25, v26
	v_mul_f32_e32 v29, v28, v28
	v_fmamk_f32 v24, v29, 0x3e9b6dac, v41
	v_fmaak_f32 v57, v29, v24, 0x3f2aaada
	v_cvt_f32_i32_e32 v24, v32
	v_sub_f32_e32 v25, v28, v25
	v_sub_f32_e32 v25, v26, v25
	v_ldexp_f32 v30, v25, 1
	v_mul_f32_e32 v25, v28, v29
	v_ldexp_f32 v27, v28, 1
	v_pk_mul_f32 v[28:29], v[24:25], v[56:57]
	s_nop 0
	v_fma_f32 v26, v24, s93, -v28
	v_fmac_f32_e32 v26, 0xb102e308, v24
	v_pk_add_f32 v[24:25], v[28:29], v[26:27]
	s_nop 0
	v_sub_f32_e32 v27, v25, v27
	v_sub_f32_e32 v27, v29, v27
	v_add_f32_e32 v31, v30, v27
	v_mov_b32_e32 v30, v28
	v_pk_add_f32 v[28:29], v[24:25], v[28:29] neg_lo:[0,1] neg_hi:[0,1]
	v_pk_add_f32 v[32:33], v[24:25], v[30:31]
	v_mov_b32_e32 v27, v24
	v_mov_b32_e32 v29, v33
	v_pk_add_f32 v[34:35], v[26:27], v[28:29] neg_lo:[0,1] neg_hi:[0,1]
	v_pk_add_f32 v[26:27], v[26:27], v[28:29]
	v_mov_b32_e32 v30, v31
	v_mov_b32_e32 v28, v27
	v_pk_add_f32 v[36:37], v[28:29], v[24:25] neg_lo:[0,1] neg_hi:[0,1]
	v_mov_b32_e32 v26, v33
	v_mov_b32_e32 v29, v36
	v_pk_add_f32 v[38:39], v[32:33], v[28:29] neg_lo:[0,1] neg_hi:[0,1]
	v_mov_b32_e32 v32, v25
	v_mov_b32_e32 v33, v36
	;; [unrolled: 1-line block ×3, first 2 shown]
	v_pk_add_f32 v[26:27], v[26:27], v[32:33] neg_lo:[0,1] neg_hi:[0,1]
	v_mov_b32_e32 v31, v24
	v_pk_add_f32 v[24:25], v[30:31], v[26:27] neg_lo:[0,1] neg_hi:[0,1]
	v_mov_b32_e32 v38, v34
	v_pk_add_f32 v[26:27], v[38:39], v[24:25]
	s_nop 0
	v_mov_b32_e32 v30, v27
	v_pk_add_f32 v[30:31], v[26:27], v[30:31]
	s_nop 0
	v_pk_add_f32 v[28:29], v[28:29], v[30:31]
	v_mov_b32_e32 v25, v30
	v_mov_b32_e32 v27, v28
	v_pk_add_f32 v[32:33], v[26:27], v[34:35] neg_lo:[0,1] neg_hi:[0,1]
	s_nop 0
	v_sub_f32_e32 v26, v26, v32
	v_pk_add_f32 v[24:25], v[24:25], v[32:33] neg_lo:[0,1] neg_hi:[0,1]
	v_sub_f32_e32 v26, v34, v26
	v_add_f32_e32 v24, v24, v26
	v_add_f32_e32 v24, v24, v25
	;; [unrolled: 1-line block ×3, first 2 shown]
	v_cndmask_b32_e32 v88, v24, v40, vcc
.LBB137_30:                             ;   in Loop: Header=BB137_12 Depth=1
	s_or_b64 exec, exec, s[22:23]
	v_add_f32_e32 v89, s33, v5
	v_cmp_ge_f32_e32 vcc, s87, v89
	s_and_b64 s[2:3], s[64:65], vcc
	s_and_saveexec_b64 s[22:23], s[2:3]
	s_cbranch_execz .LBB137_32
; %bb.31:                               ;   in Loop: Header=BB137_12 Depth=1
	v_mul_f32_e32 v24, 0x3fb8aa3b, v89
	v_rndne_f32_e32 v25, v24
	v_sub_f32_e32 v26, v24, v25
	v_fma_f32 v24, v89, s88, -v24
	v_fmac_f32_e32 v24, 0x32a5705f, v89
	v_add_f32_e32 v24, v26, v24
	v_cvt_i32_f32_e32 v25, v25
	v_exp_f32_e32 v24, v24
	v_cmp_ngt_f32_e32 vcc, s89, v89
	v_ldexp_f32 v24, v24, v25
	s_nop 0
	v_cndmask_b32_e32 v24, 0, v24, vcc
	v_cmp_nlt_f32_e32 vcc, s90, v89
	s_nop 1
	v_cndmask_b32_e32 v40, v81, v24, vcc
	v_add_f32_e32 v26, 1.0, v40
	v_add_f32_e32 v24, -1.0, v26
	v_sub_f32_e32 v25, v24, v26
	v_add_f32_e32 v25, 1.0, v25
	v_sub_f32_e32 v24, v40, v24
	v_add_f32_e32 v27, v24, v25
	v_frexp_mant_f32_e32 v28, v26
	v_cvt_f64_f32_e32 v[24:25], v26
	v_frexp_exp_i32_f64_e32 v24, v[24:25]
	v_cmp_gt_f32_e32 vcc, s92, v28
	v_cmp_gt_f32_e64 s[2:3], s94, v40
	s_nop 0
	v_subbrev_co_u32_e32 v32, vcc, 0, v24, vcc
	v_sub_u32_e32 v24, 0, v32
	v_ldexp_f32 v25, v26, v24
	v_add_f32_e32 v26, -1.0, v25
	v_add_f32_e32 v28, 1.0, v25
	v_ldexp_f32 v24, v27, v24
	v_add_f32_e32 v27, 1.0, v26
	v_add_f32_e32 v29, -1.0, v28
	v_sub_f32_e32 v27, v25, v27
	v_sub_f32_e32 v25, v25, v29
	v_add_f32_e32 v27, v24, v27
	v_add_f32_e32 v24, v24, v25
	;; [unrolled: 1-line block ×3, first 2 shown]
	v_rcp_f32_e32 v35, v33
	v_sub_f32_e32 v25, v28, v33
	v_add_f32_e32 v34, v24, v25
	v_add_f32_e32 v25, v26, v27
	v_mul_f32_e32 v37, v25, v35
	v_sub_f32_e32 v24, v26, v25
	v_mul_f32_e32 v26, v33, v37
	v_fma_f32 v28, v37, v33, -v26
	v_fmac_f32_e32 v28, v37, v34
	v_add_f32_e32 v36, v27, v24
	v_add_f32_e32 v24, v26, v28
	v_sub_f32_e32 v27, v25, v24
	v_pk_add_f32 v[30:31], v[24:25], v[26:27] neg_lo:[0,1] neg_hi:[0,1]
	v_mov_b32_e32 v29, v24
	v_pk_add_f32 v[24:25], v[30:31], v[28:29] neg_lo:[0,1] neg_hi:[0,1]
	v_cmp_eq_f32_e32 vcc, s91, v40
	v_add_f32_e32 v25, v36, v25
	v_add_f32_e32 v24, v24, v25
	;; [unrolled: 1-line block ×3, first 2 shown]
	v_mul_f32_e32 v36, v35, v25
	v_mul_f32_e32 v26, v33, v36
	v_fma_f32 v28, v36, v33, -v26
	v_fmac_f32_e32 v28, v36, v34
	v_sub_f32_e32 v27, v27, v25
	v_add_f32_e32 v33, v24, v27
	v_add_f32_e32 v24, v26, v28
	v_sub_f32_e32 v27, v25, v24
	v_pk_add_f32 v[30:31], v[24:25], v[26:27] neg_lo:[0,1] neg_hi:[0,1]
	v_mov_b32_e32 v29, v24
	v_pk_add_f32 v[24:25], v[30:31], v[28:29] neg_lo:[0,1] neg_hi:[0,1]
	s_or_b64 vcc, s[2:3], vcc
	v_add_f32_e32 v25, v33, v25
	v_add_f32_e32 v24, v24, v25
	;; [unrolled: 1-line block ×4, first 2 shown]
	v_sub_f32_e32 v26, v25, v37
	v_mul_f32_e32 v24, v35, v24
	v_sub_f32_e32 v26, v36, v26
	v_add_f32_e32 v26, v26, v24
	v_add_f32_e32 v28, v25, v26
	v_mul_f32_e32 v29, v28, v28
	v_fmamk_f32 v24, v29, 0x3e9b6dac, v41
	v_fmaak_f32 v57, v29, v24, 0x3f2aaada
	v_cvt_f32_i32_e32 v24, v32
	v_sub_f32_e32 v25, v28, v25
	v_sub_f32_e32 v25, v26, v25
	v_ldexp_f32 v30, v25, 1
	v_mul_f32_e32 v25, v28, v29
	v_ldexp_f32 v27, v28, 1
	v_pk_mul_f32 v[28:29], v[24:25], v[56:57]
	s_nop 0
	v_fma_f32 v26, v24, s93, -v28
	v_fmac_f32_e32 v26, 0xb102e308, v24
	v_pk_add_f32 v[24:25], v[28:29], v[26:27]
	s_nop 0
	v_sub_f32_e32 v27, v25, v27
	v_sub_f32_e32 v27, v29, v27
	v_add_f32_e32 v31, v30, v27
	v_mov_b32_e32 v30, v28
	v_pk_add_f32 v[28:29], v[24:25], v[28:29] neg_lo:[0,1] neg_hi:[0,1]
	v_pk_add_f32 v[32:33], v[24:25], v[30:31]
	v_mov_b32_e32 v27, v24
	v_mov_b32_e32 v29, v33
	v_pk_add_f32 v[34:35], v[26:27], v[28:29] neg_lo:[0,1] neg_hi:[0,1]
	v_pk_add_f32 v[26:27], v[26:27], v[28:29]
	v_mov_b32_e32 v30, v31
	v_mov_b32_e32 v28, v27
	v_pk_add_f32 v[36:37], v[28:29], v[24:25] neg_lo:[0,1] neg_hi:[0,1]
	v_mov_b32_e32 v26, v33
	v_mov_b32_e32 v29, v36
	v_pk_add_f32 v[38:39], v[32:33], v[28:29] neg_lo:[0,1] neg_hi:[0,1]
	v_mov_b32_e32 v32, v25
	v_mov_b32_e32 v33, v36
	v_mov_b32_e32 v35, v27
	v_pk_add_f32 v[26:27], v[26:27], v[32:33] neg_lo:[0,1] neg_hi:[0,1]
	v_mov_b32_e32 v31, v24
	v_pk_add_f32 v[24:25], v[30:31], v[26:27] neg_lo:[0,1] neg_hi:[0,1]
	v_mov_b32_e32 v38, v34
	v_pk_add_f32 v[26:27], v[38:39], v[24:25]
	s_nop 0
	v_mov_b32_e32 v30, v27
	v_pk_add_f32 v[30:31], v[26:27], v[30:31]
	s_nop 0
	v_pk_add_f32 v[28:29], v[28:29], v[30:31]
	v_mov_b32_e32 v25, v30
	v_mov_b32_e32 v27, v28
	v_pk_add_f32 v[32:33], v[26:27], v[34:35] neg_lo:[0,1] neg_hi:[0,1]
	s_nop 0
	v_sub_f32_e32 v26, v26, v32
	v_pk_add_f32 v[24:25], v[24:25], v[32:33] neg_lo:[0,1] neg_hi:[0,1]
	v_sub_f32_e32 v26, v34, v26
	v_add_f32_e32 v24, v24, v26
	v_add_f32_e32 v24, v24, v25
	;; [unrolled: 1-line block ×3, first 2 shown]
	v_cndmask_b32_e32 v89, v24, v40, vcc
.LBB137_32:                             ;   in Loop: Header=BB137_12 Depth=1
	s_or_b64 exec, exec, s[22:23]
	v_add_f32_e32 v90, s33, v6
	v_cmp_ge_f32_e32 vcc, s87, v90
	s_and_b64 s[2:3], s[64:65], vcc
	s_and_saveexec_b64 s[22:23], s[2:3]
	s_cbranch_execz .LBB137_34
; %bb.33:                               ;   in Loop: Header=BB137_12 Depth=1
	v_mul_f32_e32 v24, 0x3fb8aa3b, v90
	v_rndne_f32_e32 v25, v24
	v_sub_f32_e32 v26, v24, v25
	v_fma_f32 v24, v90, s88, -v24
	v_fmac_f32_e32 v24, 0x32a5705f, v90
	v_add_f32_e32 v24, v26, v24
	v_cvt_i32_f32_e32 v25, v25
	v_exp_f32_e32 v24, v24
	v_cmp_ngt_f32_e32 vcc, s89, v90
	v_ldexp_f32 v24, v24, v25
	s_nop 0
	v_cndmask_b32_e32 v24, 0, v24, vcc
	v_cmp_nlt_f32_e32 vcc, s90, v90
	s_nop 1
	v_cndmask_b32_e32 v40, v81, v24, vcc
	v_add_f32_e32 v26, 1.0, v40
	v_add_f32_e32 v24, -1.0, v26
	v_sub_f32_e32 v25, v24, v26
	v_add_f32_e32 v25, 1.0, v25
	v_sub_f32_e32 v24, v40, v24
	v_add_f32_e32 v27, v24, v25
	v_frexp_mant_f32_e32 v28, v26
	v_cvt_f64_f32_e32 v[24:25], v26
	v_frexp_exp_i32_f64_e32 v24, v[24:25]
	v_cmp_gt_f32_e32 vcc, s92, v28
	v_cmp_gt_f32_e64 s[2:3], s94, v40
	s_nop 0
	v_subbrev_co_u32_e32 v32, vcc, 0, v24, vcc
	v_sub_u32_e32 v24, 0, v32
	v_ldexp_f32 v25, v26, v24
	v_add_f32_e32 v26, -1.0, v25
	v_add_f32_e32 v28, 1.0, v25
	v_ldexp_f32 v24, v27, v24
	v_add_f32_e32 v27, 1.0, v26
	v_add_f32_e32 v29, -1.0, v28
	v_sub_f32_e32 v27, v25, v27
	v_sub_f32_e32 v25, v25, v29
	v_add_f32_e32 v27, v24, v27
	v_add_f32_e32 v24, v24, v25
	;; [unrolled: 1-line block ×3, first 2 shown]
	v_rcp_f32_e32 v35, v33
	v_sub_f32_e32 v25, v28, v33
	v_add_f32_e32 v34, v24, v25
	v_add_f32_e32 v25, v26, v27
	v_mul_f32_e32 v37, v25, v35
	v_sub_f32_e32 v24, v26, v25
	v_mul_f32_e32 v26, v33, v37
	v_fma_f32 v28, v37, v33, -v26
	v_fmac_f32_e32 v28, v37, v34
	v_add_f32_e32 v36, v27, v24
	v_add_f32_e32 v24, v26, v28
	v_sub_f32_e32 v27, v25, v24
	v_pk_add_f32 v[30:31], v[24:25], v[26:27] neg_lo:[0,1] neg_hi:[0,1]
	v_mov_b32_e32 v29, v24
	v_pk_add_f32 v[24:25], v[30:31], v[28:29] neg_lo:[0,1] neg_hi:[0,1]
	v_cmp_eq_f32_e32 vcc, s91, v40
	v_add_f32_e32 v25, v36, v25
	v_add_f32_e32 v24, v24, v25
	;; [unrolled: 1-line block ×3, first 2 shown]
	v_mul_f32_e32 v36, v35, v25
	v_mul_f32_e32 v26, v33, v36
	v_fma_f32 v28, v36, v33, -v26
	v_fmac_f32_e32 v28, v36, v34
	v_sub_f32_e32 v27, v27, v25
	v_add_f32_e32 v33, v24, v27
	v_add_f32_e32 v24, v26, v28
	v_sub_f32_e32 v27, v25, v24
	v_pk_add_f32 v[30:31], v[24:25], v[26:27] neg_lo:[0,1] neg_hi:[0,1]
	v_mov_b32_e32 v29, v24
	v_pk_add_f32 v[24:25], v[30:31], v[28:29] neg_lo:[0,1] neg_hi:[0,1]
	s_or_b64 vcc, s[2:3], vcc
	v_add_f32_e32 v25, v33, v25
	v_add_f32_e32 v24, v24, v25
	;; [unrolled: 1-line block ×4, first 2 shown]
	v_sub_f32_e32 v26, v25, v37
	v_mul_f32_e32 v24, v35, v24
	v_sub_f32_e32 v26, v36, v26
	v_add_f32_e32 v26, v26, v24
	v_add_f32_e32 v28, v25, v26
	v_mul_f32_e32 v29, v28, v28
	v_fmamk_f32 v24, v29, 0x3e9b6dac, v41
	v_fmaak_f32 v57, v29, v24, 0x3f2aaada
	v_cvt_f32_i32_e32 v24, v32
	v_sub_f32_e32 v25, v28, v25
	v_sub_f32_e32 v25, v26, v25
	v_ldexp_f32 v30, v25, 1
	v_mul_f32_e32 v25, v28, v29
	v_ldexp_f32 v27, v28, 1
	v_pk_mul_f32 v[28:29], v[24:25], v[56:57]
	s_nop 0
	v_fma_f32 v26, v24, s93, -v28
	v_fmac_f32_e32 v26, 0xb102e308, v24
	v_pk_add_f32 v[24:25], v[28:29], v[26:27]
	s_nop 0
	v_sub_f32_e32 v27, v25, v27
	v_sub_f32_e32 v27, v29, v27
	v_add_f32_e32 v31, v30, v27
	v_mov_b32_e32 v30, v28
	v_pk_add_f32 v[28:29], v[24:25], v[28:29] neg_lo:[0,1] neg_hi:[0,1]
	v_pk_add_f32 v[32:33], v[24:25], v[30:31]
	v_mov_b32_e32 v27, v24
	v_mov_b32_e32 v29, v33
	v_pk_add_f32 v[34:35], v[26:27], v[28:29] neg_lo:[0,1] neg_hi:[0,1]
	v_pk_add_f32 v[26:27], v[26:27], v[28:29]
	v_mov_b32_e32 v30, v31
	v_mov_b32_e32 v28, v27
	v_pk_add_f32 v[36:37], v[28:29], v[24:25] neg_lo:[0,1] neg_hi:[0,1]
	v_mov_b32_e32 v26, v33
	v_mov_b32_e32 v29, v36
	v_pk_add_f32 v[38:39], v[32:33], v[28:29] neg_lo:[0,1] neg_hi:[0,1]
	v_mov_b32_e32 v32, v25
	v_mov_b32_e32 v33, v36
	;; [unrolled: 1-line block ×3, first 2 shown]
	v_pk_add_f32 v[26:27], v[26:27], v[32:33] neg_lo:[0,1] neg_hi:[0,1]
	v_mov_b32_e32 v31, v24
	v_pk_add_f32 v[24:25], v[30:31], v[26:27] neg_lo:[0,1] neg_hi:[0,1]
	v_mov_b32_e32 v38, v34
	v_pk_add_f32 v[26:27], v[38:39], v[24:25]
	s_nop 0
	v_mov_b32_e32 v30, v27
	v_pk_add_f32 v[30:31], v[26:27], v[30:31]
	s_nop 0
	v_pk_add_f32 v[28:29], v[28:29], v[30:31]
	v_mov_b32_e32 v25, v30
	v_mov_b32_e32 v27, v28
	v_pk_add_f32 v[32:33], v[26:27], v[34:35] neg_lo:[0,1] neg_hi:[0,1]
	s_nop 0
	v_sub_f32_e32 v26, v26, v32
	v_pk_add_f32 v[24:25], v[24:25], v[32:33] neg_lo:[0,1] neg_hi:[0,1]
	v_sub_f32_e32 v26, v34, v26
	v_add_f32_e32 v24, v24, v26
	v_add_f32_e32 v24, v24, v25
	;; [unrolled: 1-line block ×3, first 2 shown]
	v_cndmask_b32_e32 v90, v24, v40, vcc
.LBB137_34:                             ;   in Loop: Header=BB137_12 Depth=1
	s_or_b64 exec, exec, s[22:23]
	v_add_f32_e32 v57, s33, v7
	v_cmp_ge_f32_e32 vcc, s87, v57
	s_and_b64 s[2:3], s[64:65], vcc
	s_and_saveexec_b64 s[22:23], s[2:3]
	s_cbranch_execz .LBB137_36
; %bb.35:                               ;   in Loop: Header=BB137_12 Depth=1
	v_mul_f32_e32 v24, 0x3fb8aa3b, v57
	v_rndne_f32_e32 v25, v24
	v_sub_f32_e32 v26, v24, v25
	v_fma_f32 v24, v57, s88, -v24
	v_fmac_f32_e32 v24, 0x32a5705f, v57
	v_add_f32_e32 v24, v26, v24
	v_cvt_i32_f32_e32 v25, v25
	v_exp_f32_e32 v24, v24
	v_cmp_ngt_f32_e32 vcc, s89, v57
	v_ldexp_f32 v24, v24, v25
	s_nop 0
	v_cndmask_b32_e32 v24, 0, v24, vcc
	v_cmp_nlt_f32_e32 vcc, s90, v57
	s_nop 1
	v_cndmask_b32_e32 v40, v81, v24, vcc
	v_add_f32_e32 v26, 1.0, v40
	v_add_f32_e32 v24, -1.0, v26
	v_sub_f32_e32 v25, v24, v26
	v_add_f32_e32 v25, 1.0, v25
	v_sub_f32_e32 v24, v40, v24
	v_add_f32_e32 v27, v24, v25
	v_frexp_mant_f32_e32 v28, v26
	v_cvt_f64_f32_e32 v[24:25], v26
	v_frexp_exp_i32_f64_e32 v24, v[24:25]
	v_cmp_gt_f32_e32 vcc, s92, v28
	v_cmp_gt_f32_e64 s[2:3], s94, v40
	s_nop 0
	v_subbrev_co_u32_e32 v32, vcc, 0, v24, vcc
	v_sub_u32_e32 v24, 0, v32
	v_ldexp_f32 v25, v26, v24
	v_add_f32_e32 v26, -1.0, v25
	v_add_f32_e32 v28, 1.0, v25
	v_ldexp_f32 v24, v27, v24
	v_add_f32_e32 v27, 1.0, v26
	v_add_f32_e32 v29, -1.0, v28
	v_sub_f32_e32 v27, v25, v27
	v_sub_f32_e32 v25, v25, v29
	v_add_f32_e32 v27, v24, v27
	v_add_f32_e32 v24, v24, v25
	;; [unrolled: 1-line block ×3, first 2 shown]
	v_rcp_f32_e32 v35, v33
	v_sub_f32_e32 v25, v28, v33
	v_add_f32_e32 v34, v24, v25
	v_add_f32_e32 v25, v26, v27
	v_mul_f32_e32 v37, v25, v35
	v_sub_f32_e32 v24, v26, v25
	v_mul_f32_e32 v26, v33, v37
	v_fma_f32 v28, v37, v33, -v26
	v_fmac_f32_e32 v28, v37, v34
	v_add_f32_e32 v36, v27, v24
	v_add_f32_e32 v24, v26, v28
	v_sub_f32_e32 v27, v25, v24
	v_pk_add_f32 v[30:31], v[24:25], v[26:27] neg_lo:[0,1] neg_hi:[0,1]
	v_mov_b32_e32 v29, v24
	v_pk_add_f32 v[24:25], v[30:31], v[28:29] neg_lo:[0,1] neg_hi:[0,1]
	v_cmp_eq_f32_e32 vcc, s91, v40
	v_add_f32_e32 v25, v36, v25
	v_add_f32_e32 v24, v24, v25
	;; [unrolled: 1-line block ×3, first 2 shown]
	v_mul_f32_e32 v36, v35, v25
	v_mul_f32_e32 v26, v33, v36
	v_fma_f32 v28, v36, v33, -v26
	v_fmac_f32_e32 v28, v36, v34
	v_sub_f32_e32 v27, v27, v25
	v_add_f32_e32 v33, v24, v27
	v_add_f32_e32 v24, v26, v28
	v_sub_f32_e32 v27, v25, v24
	v_pk_add_f32 v[30:31], v[24:25], v[26:27] neg_lo:[0,1] neg_hi:[0,1]
	v_mov_b32_e32 v29, v24
	v_pk_add_f32 v[24:25], v[30:31], v[28:29] neg_lo:[0,1] neg_hi:[0,1]
	s_or_b64 vcc, s[2:3], vcc
	v_add_f32_e32 v25, v33, v25
	v_add_f32_e32 v24, v24, v25
	;; [unrolled: 1-line block ×4, first 2 shown]
	v_sub_f32_e32 v26, v25, v37
	v_mul_f32_e32 v24, v35, v24
	v_sub_f32_e32 v26, v36, v26
	v_add_f32_e32 v26, v26, v24
	v_add_f32_e32 v28, v25, v26
	v_mul_f32_e32 v29, v28, v28
	v_fmamk_f32 v24, v29, 0x3e9b6dac, v41
	v_fmaak_f32 v57, v29, v24, 0x3f2aaada
	v_cvt_f32_i32_e32 v24, v32
	v_sub_f32_e32 v25, v28, v25
	v_sub_f32_e32 v25, v26, v25
	v_ldexp_f32 v30, v25, 1
	v_mul_f32_e32 v25, v28, v29
	v_ldexp_f32 v27, v28, 1
	v_pk_mul_f32 v[28:29], v[24:25], v[56:57]
	s_nop 0
	v_fma_f32 v26, v24, s93, -v28
	v_fmac_f32_e32 v26, 0xb102e308, v24
	v_pk_add_f32 v[24:25], v[28:29], v[26:27]
	s_nop 0
	v_sub_f32_e32 v27, v25, v27
	v_sub_f32_e32 v27, v29, v27
	v_add_f32_e32 v31, v30, v27
	v_mov_b32_e32 v30, v28
	v_pk_add_f32 v[28:29], v[24:25], v[28:29] neg_lo:[0,1] neg_hi:[0,1]
	v_pk_add_f32 v[32:33], v[24:25], v[30:31]
	v_mov_b32_e32 v27, v24
	v_mov_b32_e32 v29, v33
	v_pk_add_f32 v[34:35], v[26:27], v[28:29] neg_lo:[0,1] neg_hi:[0,1]
	v_pk_add_f32 v[26:27], v[26:27], v[28:29]
	v_mov_b32_e32 v30, v31
	v_mov_b32_e32 v28, v27
	v_pk_add_f32 v[36:37], v[28:29], v[24:25] neg_lo:[0,1] neg_hi:[0,1]
	v_mov_b32_e32 v26, v33
	v_mov_b32_e32 v29, v36
	v_pk_add_f32 v[38:39], v[32:33], v[28:29] neg_lo:[0,1] neg_hi:[0,1]
	v_mov_b32_e32 v32, v25
	v_mov_b32_e32 v33, v36
	;; [unrolled: 1-line block ×3, first 2 shown]
	v_pk_add_f32 v[26:27], v[26:27], v[32:33] neg_lo:[0,1] neg_hi:[0,1]
	v_mov_b32_e32 v31, v24
	v_pk_add_f32 v[24:25], v[30:31], v[26:27] neg_lo:[0,1] neg_hi:[0,1]
	v_mov_b32_e32 v38, v34
	v_pk_add_f32 v[26:27], v[38:39], v[24:25]
	s_nop 0
	v_mov_b32_e32 v30, v27
	v_pk_add_f32 v[30:31], v[26:27], v[30:31]
	s_nop 0
	v_pk_add_f32 v[28:29], v[28:29], v[30:31]
	v_mov_b32_e32 v25, v30
	v_mov_b32_e32 v27, v28
	v_pk_add_f32 v[32:33], v[26:27], v[34:35] neg_lo:[0,1] neg_hi:[0,1]
	s_nop 0
	v_sub_f32_e32 v26, v26, v32
	v_pk_add_f32 v[24:25], v[24:25], v[32:33] neg_lo:[0,1] neg_hi:[0,1]
	v_sub_f32_e32 v26, v34, v26
	v_add_f32_e32 v24, v24, v26
	v_add_f32_e32 v24, v24, v25
	;; [unrolled: 1-line block ×3, first 2 shown]
	v_cndmask_b32_e32 v57, v24, v40, vcc
.LBB137_36:                             ;   in Loop: Header=BB137_12 Depth=1
	s_or_b64 exec, exec, s[22:23]
	v_mul_f32_e32 v26, s82, v14
	v_mul_f32_e32 v25, s82, v13
	v_mul_f32_e32 v24, s82, v12
	v_mul_f32_e32 v31, s82, v23
	v_mul_f32_e32 v30, s82, v22
	v_mul_f32_e32 v29, s82, v21
	v_mul_f32_e32 v28, s82, v20
	s_lshl_b32 s58, s86, 9
	v_mul_f32_e32 v27, s82, v15
	s_and_b64 vcc, exec, s[66:67]
	s_waitcnt lgkmcnt(0)
	; wave barrier
	s_cbranch_vccz .LBB137_64
; %bb.37:                               ;   in Loop: Header=BB137_12 Depth=1
	scratch_load_dword v32, off, off offset:24 ; 4-byte Folded Reload
	v_readlane_b32 s72, v95, 0
	s_sub_i32 s38, s72, s58
	s_cmp_lg_u32 s86, 0
	s_cselect_b64 s[2:3], -1, 0
	s_cmp_eq_u32 s86, s61
	s_cselect_b64 s[70:71], -1, 0
	v_readlane_b32 s73, v95, 1
	s_mov_b32 s62, 0
	v_mul_f32_e32 v91, v15, v57
	v_lshl_add_u64 v[58:59], s[46:47], 0, v[48:49]
	v_lshl_add_u64 v[60:61], s[50:51], 0, v[48:49]
	v_mul_f32_e32 v92, v14, v90
	v_mul_f32_e32 v93, v13, v89
	;; [unrolled: 1-line block ×7, first 2 shown]
	s_mov_b32 s72, s62
	s_mov_b32 s74, s62
	;; [unrolled: 1-line block ×5, first 2 shown]
	s_waitcnt vmcnt(0)
	v_cmp_gt_u32_e32 vcc, s38, v32
	scratch_load_dword v32, off, off offset:28 ; 4-byte Folded Reload
	s_or_b64 s[22:23], s[68:69], vcc
	s_waitcnt vmcnt(0)
	v_cmp_gt_u32_e32 vcc, s38, v32
	scratch_load_dword v32, off, off offset:32 ; 4-byte Folded Reload
	s_or_b64 s[24:25], s[68:69], vcc
	s_waitcnt vmcnt(0)
	v_cmp_gt_u32_e32 vcc, s38, v32
	scratch_load_dword v32, off, off offset:36 ; 4-byte Folded Reload
	s_or_b64 s[26:27], s[68:69], vcc
	s_waitcnt vmcnt(0)
	v_cmp_gt_u32_e32 vcc, s38, v32
	scratch_load_dword v32, off, off offset:40 ; 4-byte Folded Reload
	s_or_b64 s[28:29], s[68:69], vcc
	s_waitcnt vmcnt(0)
	v_cmp_gt_u32_e32 vcc, s38, v32
	scratch_load_dword v32, off, off offset:44 ; 4-byte Folded Reload
	s_or_b64 s[30:31], s[68:69], vcc
	s_waitcnt vmcnt(0)
	v_cmp_gt_u32_e32 vcc, s38, v32
	scratch_load_dword v32, off, off offset:48 ; 4-byte Folded Reload
	s_or_b64 s[34:35], s[68:69], vcc
	s_waitcnt vmcnt(0)
	v_cmp_gt_u32_e32 vcc, s38, v32
	scratch_load_dword v32, off, off offset:52 ; 4-byte Folded Reload
	s_or_b64 s[36:37], s[68:69], vcc
	s_waitcnt vmcnt(0)
	v_cmp_gt_u32_e32 vcc, s38, v32
	s_or_b64 s[38:39], s[68:69], vcc
	s_branch .LBB137_39
.LBB137_38:                             ;   in Loop: Header=BB137_39 Depth=2
	s_or_b64 exec, exec, s[78:79]
	v_mul_f32_e32 v54, v77, v54
	v_fma_f32 v55, v77, v55, v44
	v_cndmask_b32_e64 v44, v55, v44, s[20:21]
	v_cndmask_b32_e64 v54, v54, v77, s[20:21]
	s_waitcnt lgkmcnt(0)
	v_fmac_f32_e32 v44, v64, v54
	v_fmac_f32_e32 v45, v44, v78
	;; [unrolled: 1-line block ×8, first 2 shown]
	s_add_i32 s95, s95, 8
	s_add_i32 s59, s59, -1
	s_add_i32 s76, s76, s83
	s_add_i32 s74, s74, s52
	;; [unrolled: 1-line block ×4, first 2 shown]
	v_pk_fma_f32 v[28:29], v[36:37], v[44:45], v[28:29]
	v_pk_fma_f32 v[30:31], v[38:39], v[46:47], v[30:31]
	;; [unrolled: 1-line block ×3, first 2 shown]
	s_cmp_eq_u32 s59, 0
	v_pk_fma_f32 v[26:27], v[34:35], v[42:43], v[26:27]
	s_cbranch_scc1 .LBB137_64
.LBB137_39:                             ;   Parent Loop BB137_12 Depth=1
                                        ; =>  This Inner Loop Header: Depth=2
	s_mov_b32 s73, s63
	v_lshl_add_u64 v[36:37], s[72:73], 2, v[58:59]
	global_load_dwordx4 v[32:35], v[36:37], off
	s_lshl_b64 s[78:79], s[62:63], 2
	s_add_u32 s78, s44, s78
	s_mov_b32 s75, s63
	s_addc_u32 s79, s84, s79
	global_load_dword v50, v49, s[78:79]
	s_andn2_b64 vcc, exec, s[2:3]
	s_waitcnt vmcnt(1)
	ds_write_b128 v66, v[32:35]
	global_load_dwordx4 v[32:35], v[36:37], off offset:1024
	v_lshl_add_u64 v[36:37], s[74:75], 2, v[60:61]
	s_waitcnt vmcnt(0)
	ds_write_b128 v67, v[32:35] offset:1024
	; wave barrier
	ds_read_b128 v[44:47], v68
	ds_read_b128 v[40:43], v68 offset:16
	global_load_dwordx4 v[32:35], v[36:37], off
	s_waitcnt vmcnt(0)
	ds_write_b128 v66, v[32:35] offset:2112
	global_load_dwordx4 v[32:35], v[36:37], off offset:1024
	s_waitcnt vmcnt(0)
	ds_write_b128 v69, v[32:35] offset:1024
	; wave barrier
	ds_read_b128 v[36:39], v68 offset:2112
	ds_read_b128 v[32:35], v70 offset:16
	s_cbranch_vccnz .LBB137_41
; %bb.40:                               ;   in Loop: Header=BB137_39 Depth=2
	v_mov_b32_e32 v51, s95
	ds_read_b64 v[62:63], v51
	s_cbranch_execz .LBB137_42
	s_branch .LBB137_45
.LBB137_41:                             ;   in Loop: Header=BB137_39 Depth=2
                                        ; implicit-def: $vgpr63
.LBB137_42:                             ;   in Loop: Header=BB137_39 Depth=2
	s_andn2_b64 vcc, exec, s[42:43]
	s_waitcnt lgkmcnt(0)
	v_mov_b32_e32 v63, 0
	s_cbranch_vccnz .LBB137_44
; %bb.43:                               ;   in Loop: Header=BB137_39 Depth=2
	s_mov_b32 s77, s63
	s_lshl_b64 s[78:79], s[76:77], 2
	s_add_u32 s78, s49, s78
	s_addc_u32 s79, s53, s79
	global_load_dword v63, v49, s[78:79]
.LBB137_44:                             ;   in Loop: Header=BB137_39 Depth=2
	v_mov_b32_e32 v62, 1.0
.LBB137_45:                             ;   in Loop: Header=BB137_39 Depth=2
	v_mul_f32_e32 v52, 0x3fb8aa3b, v50
	v_mul_f32_e32 v50, v52, v84
	v_cmp_gt_f32_e32 vcc, s96, v50
	s_waitcnt lgkmcnt(5)
	v_mul_f32_e32 v44, v44, v76
	v_mul_f32_e32 v45, v45, v75
	v_cndmask_b32_e32 v50, 0, v82, vcc
	v_fmac_f32_e32 v50, v52, v84
	v_exp_f32_e32 v50, v50
	v_cndmask_b32_e32 v51, 1.0, v83, vcc
	v_cndmask_b32_e64 v44, 0, v44, s[22:23]
	v_cndmask_b32_e64 v45, 0, v45, s[24:25]
	v_mul_f32_e32 v50, v50, v51
	v_mul_f32_e32 v51, v52, v85
	v_cmp_gt_f32_e32 vcc, s96, v51
	v_cndmask_b32_e64 v77, 1.0, v50, s[22:23]
	v_mul_f32_e32 v46, v46, v74
	v_cndmask_b32_e32 v51, 0, v82, vcc
	v_fmac_f32_e32 v51, v52, v85
	v_exp_f32_e32 v51, v51
	v_cndmask_b32_e32 v50, 1.0, v83, vcc
	v_cndmask_b32_e64 v46, 0, v46, s[26:27]
	v_mul_f32_e32 v47, v47, v73
	v_mul_f32_e32 v50, v51, v50
	;; [unrolled: 1-line block ×3, first 2 shown]
	v_cmp_gt_f32_e32 vcc, s96, v51
	v_cndmask_b32_e64 v78, 1.0, v50, s[24:25]
	v_fma_f32 v55, v78, v44, v45
	v_cndmask_b32_e32 v51, 0, v82, vcc
	v_fmac_f32_e32 v51, v52, v86
	v_exp_f32_e32 v51, v51
	v_cndmask_b32_e32 v50, 1.0, v83, vcc
	v_cndmask_b32_e64 v47, 0, v47, s[28:29]
	s_waitcnt lgkmcnt(4)
	v_mul_f32_e32 v40, v40, v94
	v_mul_f32_e32 v50, v51, v50
	v_mul_f32_e32 v51, v52, v87
	v_cmp_gt_f32_e32 vcc, s96, v51
	v_cndmask_b32_e64 v79, 1.0, v50, s[26:27]
	v_fma_f32 v55, v55, v79, v46
	v_cndmask_b32_e32 v51, 0, v82, vcc
	v_fmac_f32_e32 v51, v52, v87
	v_exp_f32_e32 v51, v51
	v_cndmask_b32_e32 v50, 1.0, v83, vcc
	v_cndmask_b32_e64 v40, 0, v40, s[30:31]
	v_mul_f32_e32 v41, v41, v93
	v_mul_f32_e32 v50, v51, v50
	v_mul_f32_e32 v51, v52, v88
	v_cmp_gt_f32_e32 vcc, s96, v51
	v_cndmask_b32_e64 v71, 1.0, v50, s[28:29]
	v_fma_f32 v55, v55, v71, v47
	v_cndmask_b32_e32 v51, 0, v82, vcc
	v_fmac_f32_e32 v51, v52, v88
	v_exp_f32_e32 v51, v51
	v_cndmask_b32_e32 v50, 1.0, v83, vcc
	v_cndmask_b32_e64 v41, 0, v41, s[34:35]
	;; [unrolled: 11-line block ×4, first 2 shown]
	v_mul_f32_e32 v53, v53, v54
	v_mul_f32_e32 v54, v52, v57
	v_cmp_gt_f32_e32 vcc, s96, v54
	s_nop 1
	v_cndmask_b32_e32 v54, 0, v82, vcc
	v_fmac_f32_e32 v54, v52, v57
	v_exp_f32_e32 v54, v54
	v_cndmask_b32_e64 v52, 1.0, v53, s[36:37]
	v_cndmask_b32_e32 v53, 1.0, v83, vcc
	v_fma_f32 v55, v55, v52, v42
	v_mul_f32_e32 v53, v54, v53
	v_mul_f32_e32 v54, v78, v77
	;; [unrolled: 1-line block ×6, first 2 shown]
	v_cndmask_b32_e64 v53, 1.0, v53, s[38:39]
	v_mul_f32_e32 v54, v54, v52
	v_mul_f32_e32 v64, v54, v53
	v_fma_f32 v80, v55, v53, v43
	s_nop 0
	v_mov_b32_dpp v55, v64 row_shr:1 row_mask:0xf bank_mask:0xf
	v_mov_b32_dpp v54, v80 row_shr:1 row_mask:0xf bank_mask:0xf
	s_and_saveexec_b64 s[78:79], s[4:5]
; %bb.46:                               ;   in Loop: Header=BB137_39 Depth=2
	v_mul_f32_e32 v55, v64, v55
	v_fmac_f32_e32 v80, v64, v54
	v_mov_b32_e32 v64, v55
; %bb.47:                               ;   in Loop: Header=BB137_39 Depth=2
	s_or_b64 exec, exec, s[78:79]
	s_nop 0
	v_mov_b32_dpp v54, v64 row_shr:2 row_mask:0xf bank_mask:0xf
	v_mov_b32_dpp v55, v80 row_shr:2 row_mask:0xf bank_mask:0xf
	s_and_saveexec_b64 s[78:79], s[6:7]
; %bb.48:                               ;   in Loop: Header=BB137_39 Depth=2
	v_fmac_f32_e32 v80, v64, v55
	v_mul_f32_e32 v64, v64, v54
; %bb.49:                               ;   in Loop: Header=BB137_39 Depth=2
	s_or_b64 exec, exec, s[78:79]
	s_nop 0
	v_mov_b32_dpp v54, v64 row_shr:4 row_mask:0xf bank_mask:0xf
	v_mov_b32_dpp v55, v80 row_shr:4 row_mask:0xf bank_mask:0xf
	s_and_saveexec_b64 s[78:79], s[8:9]
; %bb.50:                               ;   in Loop: Header=BB137_39 Depth=2
	v_fmac_f32_e32 v80, v64, v55
	v_mul_f32_e32 v64, v64, v54
	;; [unrolled: 9-line block ×3, first 2 shown]
; %bb.53:                               ;   in Loop: Header=BB137_39 Depth=2
	s_or_b64 exec, exec, s[78:79]
	s_nop 0
	v_mov_b32_dpp v54, v64 row_bcast:15 row_mask:0xf bank_mask:0xf
	v_mov_b32_dpp v55, v80 row_bcast:15 row_mask:0xf bank_mask:0xf
	s_and_saveexec_b64 s[78:79], s[12:13]
; %bb.54:                               ;   in Loop: Header=BB137_39 Depth=2
	v_fmac_f32_e32 v80, v64, v55
	v_mul_f32_e32 v64, v64, v54
; %bb.55:                               ;   in Loop: Header=BB137_39 Depth=2
	s_or_b64 exec, exec, s[78:79]
	s_nop 0
	v_mov_b32_dpp v54, v64 row_bcast:31 row_mask:0xf bank_mask:0xf
	v_mov_b32_dpp v55, v80 row_bcast:31 row_mask:0xf bank_mask:0xf
	v_mov_b32_e32 v65, v80
	v_mul_f32_e32 v54, v64, v54
	v_fmac_f32_e32 v65, v64, v55
	v_cndmask_b32_e64 v64, v64, v54, s[14:15]
	v_cndmask_b32_e64 v65, v80, v65, s[14:15]
	s_and_saveexec_b64 s[78:79], s[16:17]
	s_cbranch_execz .LBB137_57
; %bb.56:                               ;   in Loop: Header=BB137_39 Depth=2
	ds_write_b64 v49, v[64:65] offset:4224
.LBB137_57:                             ;   in Loop: Header=BB137_39 Depth=2
	s_or_b64 exec, exec, s[78:79]
	ds_bpermute_b32 v54, v72, v64
	ds_bpermute_b32 v55, v72, v65
	s_waitcnt vmcnt(0) lgkmcnt(2)
	v_mov_b32_e32 v65, v63
	s_waitcnt lgkmcnt(0)
	; wave barrier
	s_waitcnt lgkmcnt(0)
	s_and_saveexec_b64 s[78:79], s[18:19]
	s_cbranch_execz .LBB137_61
; %bb.58:                               ;   in Loop: Header=BB137_39 Depth=2
	ds_read_b64 v[64:65], v49 offset:4224
	s_and_saveexec_b64 s[80:81], s[20:21]
	s_cbranch_execz .LBB137_60
; %bb.59:                               ;   in Loop: Header=BB137_39 Depth=2
	ds_write_b64 v49, v[62:63] offset:4224
.LBB137_60:                             ;   in Loop: Header=BB137_39 Depth=2
	s_or_b64 exec, exec, s[80:81]
	s_waitcnt lgkmcnt(0)
	v_fmac_f32_e32 v65, v63, v64
	v_mul_f32_e32 v62, v62, v64
	v_mov_b32_e32 v63, v65
.LBB137_61:                             ;   in Loop: Header=BB137_39 Depth=2
	s_or_b64 exec, exec, s[78:79]
	s_waitcnt lgkmcnt(0)
	; wave barrier
	ds_read_b32 v64, v49 offset:4228
	s_and_saveexec_b64 s[78:79], s[20:21]
	s_cbranch_execz .LBB137_38
; %bb.62:                               ;   in Loop: Header=BB137_39 Depth=2
	v_mov_b32_e32 v80, s95
	s_andn2_b64 vcc, exec, s[70:71]
	ds_write_b64 v80, v[62:63]
	s_cbranch_vccnz .LBB137_38
; %bb.63:                               ;   in Loop: Header=BB137_39 Depth=2
	s_mov_b32 s77, s63
	s_lshl_b64 s[80:81], s[76:77], 2
	s_add_u32 s80, s49, s80
	s_addc_u32 s81, s53, s81
	global_store_dword v49, v65, s[80:81]
	s_branch .LBB137_38
.LBB137_64:                             ;   in Loop: Header=BB137_12 Depth=1
	s_waitcnt lgkmcnt(0)
	; wave barrier
	ds_write_b128 v68, v[28:31]
	ds_write_b128 v68, v[24:27] offset:16
	; wave barrier
	scratch_load_dwordx2 v[36:37], off, off ; 8-byte Folded Reload
	ds_read_b128 v[32:35], v66
	s_mov_b32 s59, s63
	s_lshl_b64 s[2:3], s[58:59], 2
	s_waitcnt vmcnt(0)
	v_lshl_add_u64 v[44:45], v[36:37], 0, s[2:3]
	ds_read_b128 v[36:39], v67 offset:1024
	s_waitcnt lgkmcnt(1)
	v_mov_b32_e32 v40, v33
	v_mov_b32_e32 v41, v34
	v_mov_b32_e32 v42, v35
	v_mov_b32_e32 v33, v40
	v_mov_b32_e32 v34, v41
	v_mov_b32_e32 v35, v42
	global_store_dwordx4 v[44:45], v[32:35], off
	s_waitcnt lgkmcnt(0)
	global_store_dwordx4 v[44:45], v[36:39], off offset:1024
	s_waitcnt lgkmcnt(0)
	; wave barrier
	scratch_load_dwordx2 v[32:33], off, off offset:8 ; 8-byte Folded Reload
	s_waitcnt vmcnt(0)
	v_lshl_add_u64 v[32:33], v[32:33], 0, s[2:3]
	s_mov_b64 s[2:3], exec
	s_and_b64 s[22:23], s[2:3], s[0:1]
	v_mov_b32_e32 v41, 0x3ecc95a3
	s_mov_b64 exec, s[22:23]
	s_cbranch_execz .LBB137_66
; %bb.65:                               ;   in Loop: Header=BB137_12 Depth=1
	global_load_dwordx4 v[8:11], v[32:33], off
.LBB137_66:                             ;   in Loop: Header=BB137_12 Depth=1
	s_or_b64 exec, exec, s[2:3]
	s_and_saveexec_b64 s[2:3], s[40:41]
	s_cbranch_execz .LBB137_11
; %bb.67:                               ;   in Loop: Header=BB137_12 Depth=1
	global_load_dwordx4 v[0:3], v[32:33], off offset:1024
	s_branch .LBB137_11
.LBB137_68:
	s_endpgm
	.section	.rodata,"a",@progbits
	.p2align	6, 0x0
	.amdhsa_kernel _Z25selective_scan_fwd_kernelI32Selective_Scan_fwd_kernel_traitsILi64ELi8ELi1ELb1ELb1ELb1ELb1ELb0EfffEEv13SSMParamsBase
		.amdhsa_group_segment_fixed_size 0
		.amdhsa_private_segment_fixed_size 60
		.amdhsa_kernarg_size 248
		.amdhsa_user_sgpr_count 2
		.amdhsa_user_sgpr_dispatch_ptr 0
		.amdhsa_user_sgpr_queue_ptr 0
		.amdhsa_user_sgpr_kernarg_segment_ptr 1
		.amdhsa_user_sgpr_dispatch_id 0
		.amdhsa_user_sgpr_kernarg_preload_length 0
		.amdhsa_user_sgpr_kernarg_preload_offset 0
		.amdhsa_user_sgpr_private_segment_size 0
		.amdhsa_uses_dynamic_stack 0
		.amdhsa_enable_private_segment 1
		.amdhsa_system_sgpr_workgroup_id_x 1
		.amdhsa_system_sgpr_workgroup_id_y 1
		.amdhsa_system_sgpr_workgroup_id_z 0
		.amdhsa_system_sgpr_workgroup_info 0
		.amdhsa_system_vgpr_workitem_id 0
		.amdhsa_next_free_vgpr 96
		.amdhsa_next_free_sgpr 100
		.amdhsa_accum_offset 96
		.amdhsa_reserve_vcc 1
		.amdhsa_float_round_mode_32 0
		.amdhsa_float_round_mode_16_64 0
		.amdhsa_float_denorm_mode_32 3
		.amdhsa_float_denorm_mode_16_64 3
		.amdhsa_dx10_clamp 1
		.amdhsa_ieee_mode 1
		.amdhsa_fp16_overflow 0
		.amdhsa_tg_split 0
		.amdhsa_exception_fp_ieee_invalid_op 0
		.amdhsa_exception_fp_denorm_src 0
		.amdhsa_exception_fp_ieee_div_zero 0
		.amdhsa_exception_fp_ieee_overflow 0
		.amdhsa_exception_fp_ieee_underflow 0
		.amdhsa_exception_fp_ieee_inexact 0
		.amdhsa_exception_int_div_zero 0
	.end_amdhsa_kernel
	.section	.text._Z25selective_scan_fwd_kernelI32Selective_Scan_fwd_kernel_traitsILi64ELi8ELi1ELb1ELb1ELb1ELb1ELb0EfffEEv13SSMParamsBase,"axG",@progbits,_Z25selective_scan_fwd_kernelI32Selective_Scan_fwd_kernel_traitsILi64ELi8ELi1ELb1ELb1ELb1ELb1ELb0EfffEEv13SSMParamsBase,comdat
.Lfunc_end137:
	.size	_Z25selective_scan_fwd_kernelI32Selective_Scan_fwd_kernel_traitsILi64ELi8ELi1ELb1ELb1ELb1ELb1ELb0EfffEEv13SSMParamsBase, .Lfunc_end137-_Z25selective_scan_fwd_kernelI32Selective_Scan_fwd_kernel_traitsILi64ELi8ELi1ELb1ELb1ELb1ELb1ELb0EfffEEv13SSMParamsBase
                                        ; -- End function
	.section	.AMDGPU.csdata,"",@progbits
; Kernel info:
; codeLenInByte = 10424
; NumSgprs: 106
; NumVgprs: 96
; NumAgprs: 0
; TotalNumVgprs: 96
; ScratchSize: 60
; MemoryBound: 1
; FloatMode: 240
; IeeeMode: 1
; LDSByteSize: 0 bytes/workgroup (compile time only)
; SGPRBlocks: 13
; VGPRBlocks: 11
; NumSGPRsForWavesPerEU: 106
; NumVGPRsForWavesPerEU: 96
; AccumOffset: 96
; Occupancy: 5
; WaveLimiterHint : 1
; COMPUTE_PGM_RSRC2:SCRATCH_EN: 1
; COMPUTE_PGM_RSRC2:USER_SGPR: 2
; COMPUTE_PGM_RSRC2:TRAP_HANDLER: 0
; COMPUTE_PGM_RSRC2:TGID_X_EN: 1
; COMPUTE_PGM_RSRC2:TGID_Y_EN: 1
; COMPUTE_PGM_RSRC2:TGID_Z_EN: 0
; COMPUTE_PGM_RSRC2:TIDIG_COMP_CNT: 0
; COMPUTE_PGM_RSRC3_GFX90A:ACCUM_OFFSET: 23
; COMPUTE_PGM_RSRC3_GFX90A:TG_SPLIT: 0
	.section	.text._Z25selective_scan_fwd_kernelI32Selective_Scan_fwd_kernel_traitsILi64ELi8ELi1ELb1ELb1ELb1ELb0ELb1EfffEEv13SSMParamsBase,"axG",@progbits,_Z25selective_scan_fwd_kernelI32Selective_Scan_fwd_kernel_traitsILi64ELi8ELi1ELb1ELb1ELb1ELb0ELb1EfffEEv13SSMParamsBase,comdat
	.protected	_Z25selective_scan_fwd_kernelI32Selective_Scan_fwd_kernel_traitsILi64ELi8ELi1ELb1ELb1ELb1ELb0ELb1EfffEEv13SSMParamsBase ; -- Begin function _Z25selective_scan_fwd_kernelI32Selective_Scan_fwd_kernel_traitsILi64ELi8ELi1ELb1ELb1ELb1ELb0ELb1EfffEEv13SSMParamsBase
	.globl	_Z25selective_scan_fwd_kernelI32Selective_Scan_fwd_kernel_traitsILi64ELi8ELi1ELb1ELb1ELb1ELb0ELb1EfffEEv13SSMParamsBase
	.p2align	8
	.type	_Z25selective_scan_fwd_kernelI32Selective_Scan_fwd_kernel_traitsILi64ELi8ELi1ELb1ELb1ELb1ELb0ELb1EfffEEv13SSMParamsBase,@function
_Z25selective_scan_fwd_kernelI32Selective_Scan_fwd_kernel_traitsILi64ELi8ELi1ELb1ELb1ELb1ELb0ELb1EfffEEv13SSMParamsBase: ; @_Z25selective_scan_fwd_kernelI32Selective_Scan_fwd_kernel_traitsILi64ELi8ELi1ELb1ELb1ELb1ELb0ELb1EfffEEv13SSMParamsBase
; %bb.0:
	s_load_dword s27, s[0:1], 0x18
	s_load_dwordx4 s[4:7], s[0:1], 0xe0
	s_load_dwordx2 s[10:11], s[0:1], 0xf0
	s_mov_b32 s20, s3
	s_ashr_i32 s3, s2, 31
	s_waitcnt lgkmcnt(0)
	s_abs_i32 s26, s27
	v_cvt_f32_u32_e32 v1, s26
	s_lshl_b64 s[8:9], s[2:3], 2
	s_add_u32 s24, s4, s8
	s_addc_u32 s25, s5, s9
	v_rcp_iflag_f32_e32 v1, v1
	s_cmp_eq_u64 s[10:11], 0
	v_mul_f32_e32 v1, 0x4f7ffffe, v1
	v_cvt_u32_f32_e32 v1, v1
	s_nop 0
	v_readfirstlane_b32 s28, v1
	s_cbranch_scc1 .LBB138_137
; %bb.1:
	s_add_u32 s4, s10, s2
	s_addc_u32 s5, s11, s3
	v_mov_b32_e32 v1, 0
	global_load_ubyte v1, v1, s[4:5]
	s_waitcnt vmcnt(0)
	v_and_b32_e32 v1, 1, v1
	v_cmp_eq_u32_e64 s[76:77], 1, v1
	s_load_dwordx2 s[4:5], s[0:1], 0x20
	s_cmp_eq_u64 s[6:7], 0
	s_cbranch_scc1 .LBB138_3
.LBB138_2:
	s_add_u32 s2, s6, s8
	s_addc_u32 s3, s7, s9
	s_load_dword s2, s[2:3], 0x0
	s_waitcnt lgkmcnt(0)
	s_ashr_i32 s3, s2, 31
.LBB138_3:
	s_waitcnt lgkmcnt(0)
	s_cmp_eq_u64 s[4:5], s[2:3]
	s_cbranch_scc1 .LBB138_136
; %bb.4:
	s_load_dwordx16 s[4:19], s[0:1], 0x88
	s_load_dwordx2 s[22:23], s[24:25], 0x0
	s_mov_b32 s3, 0
                                        ; implicit-def: $vgpr95 : SGPR spill to VGPR lane
	s_mov_b32 s57, 0
	v_writelane_b32 v95, s3, 0
	s_waitcnt lgkmcnt(0)
	s_cmp_eq_u64 s[10:11], 0
	s_cbranch_scc1 .LBB138_6
; %bb.5:
	s_ashr_i32 s21, s20, 31
	s_lshl_b64 s[24:25], s[20:21], 2
	s_add_u32 s10, s10, s24
	s_addc_u32 s11, s11, s25
	s_load_dword s3, s[10:11], 0x0
	s_waitcnt lgkmcnt(0)
	v_writelane_b32 v95, s3, 0
.LBB138_6:
	s_cmp_eq_u64 s[16:17], 0
	s_cbranch_scc1 .LBB138_8
; %bb.7:
	s_ashr_i32 s21, s20, 31
	s_lshl_b64 s[10:11], s[20:21], 2
	s_add_u32 s10, s16, s10
	s_addc_u32 s11, s17, s11
	s_load_dword s57, s[10:11], 0x0
.LBB138_8:
	s_sub_i32 s29, s23, s22
	s_cmp_lt_i32 s29, 1
	s_cbranch_scc1 .LBB138_136
; %bb.9:
	s_sub_i32 s3, 0, s26
	s_mul_i32 s3, s3, s28
	s_mul_hi_u32 s3, s28, s3
	s_abs_i32 s21, s20
	s_add_i32 s28, s28, s3
	s_load_dwordx8 s[40:47], s[0:1], 0x2c
	s_load_dwordx2 s[10:11], s[0:1], 0x5c
	s_load_dwordx4 s[36:39], s[0:1], 0x4c
	s_load_dwordx4 s[72:75], s[0:1], 0x7c
	s_load_dwordx2 s[24:25], s[0:1], 0x6c
	s_load_dwordx2 s[16:17], s[0:1], 0xc8
	s_mul_hi_u32 s3, s21, s28
	s_load_dword s28, s[0:1], 0xc
	s_load_dword s23, s[0:1], 0x28
	s_ashr_i32 s0, s20, 31
	s_ashr_i32 s1, s27, 31
	s_xor_b32 s0, s0, s1
	s_mul_i32 s1, s3, s26
	s_sub_i32 s1, s21, s1
	s_add_i32 s21, s3, 1
	s_sub_i32 s27, s1, s26
	s_cmp_ge_u32 s1, s26
	s_cselect_b32 s3, s21, s3
	s_cselect_b32 s1, s27, s1
	s_add_i32 s21, s3, 1
	s_cmp_ge_u32 s1, s26
	s_cselect_b32 s1, s21, s3
	s_xor_b32 s1, s1, s0
	s_waitcnt lgkmcnt(0)
	s_mul_i32 s78, s22, s38
	s_mov_b32 s79, 0
	s_sub_i32 s3, s1, s0
	s_lshl_b64 s[0:1], s[78:79], 2
	s_add_u32 s12, s12, s0
	s_mul_i32 s78, s39, s20
	s_addc_u32 s13, s13, s1
	s_lshl_b64 s[0:1], s[78:79], 2
	s_add_u32 s84, s12, s0
	s_mul_i32 s78, s22, s10
	s_addc_u32 s85, s13, s1
	;; [unrolled: 4-line block ×10, first 2 shown]
	s_lshl_b64 s[0:1], s[78:79], 2
	s_add_u32 s98, s2, s0
	s_addc_u32 s86, s3, s1
	s_add_i32 s0, s29, 0x7ff
	s_lshr_b32 s12, s0, 11
	v_mbcnt_lo_u32_b32 v2, -1, 0
	v_mbcnt_hi_u32_b32 v10, -1, v2
	s_bitcmp1_b32 s23, 0
	v_lshrrev_b32_e32 v2, 5, v10
	s_cselect_b64 s[72:73], -1, 0
	s_cmp_gt_i32 s28, 0
	v_add_u32_e32 v40, 64, v10
	v_or_b32_e32 v41, 0x80, v10
	v_add_u32_e32 v42, 0xc0, v10
	v_or_b32_e32 v43, 0x100, v10
	;; [unrolled: 2-line block ×3, first 2 shown]
	v_add_u32_e32 v46, 0x1c0, v10
	v_add_u32_e32 v2, v2, v10
	v_writelane_b32 v95, s28, 1
	s_cselect_b64 s[0:1], -1, 0
	v_lshl_add_u32 v47, v2, 2, 0
	v_lshrrev_b32_e32 v2, 5, v40
	v_lshrrev_b32_e32 v3, 5, v41
	;; [unrolled: 1-line block ×7, first 2 shown]
	v_lshlrev_b32_e32 v9, 3, v10
	v_bfe_u32 v12, v10, 2, 27
	v_writelane_b32 v95, s0, 2
	v_add_lshl_u32 v2, v2, v10, 2
	v_add_lshl_u32 v3, v3, v10, 2
	v_add_lshl_u32 v4, v4, v10, 2
	v_add_lshl_u32 v5, v5, v10, 2
	v_add_lshl_u32 v6, v6, v10, 2
	v_add_lshl_u32 v7, v7, v10, 2
	v_add_lshl_u32 v8, v8, v10, 2
	v_add_lshl_u32 v9, v12, v9, 2
	v_writelane_b32 v95, s1, 3
	s_add_i32 s0, 0, 0x840
	v_add_u32_e32 v56, s0, v2
	v_add_u32_e32 v57, s0, v3
	;; [unrolled: 1-line block ×8, first 2 shown]
	s_and_b32 s0, s29, 0x1ff
	s_cmp_eq_u32 s0, 0
	v_writelane_b32 v95, s29, 4
	s_cselect_b64 s[0:1], -1, 0
	v_writelane_b32 v95, s0, 5
	s_mul_i32 s78, s22, s24
	v_add_u32_e32 v48, 0, v2
	v_writelane_b32 v95, s1, 6
	v_writelane_b32 v95, s12, 7
	s_add_i32 s12, s12, -1
	v_writelane_b32 v95, s12, 8
	s_lshl_b64 s[12:13], s[78:79], 2
	v_and_b32_e32 v2, 15, v10
	s_add_u32 s21, s18, s12
	s_mul_i32 s78, s25, s20
	v_cmp_ne_u32_e64 s[0:1], 0, v2
	v_cmp_lt_u32_e64 s[2:3], 1, v2
	v_cmp_lt_u32_e64 s[4:5], 3, v2
	;; [unrolled: 1-line block ×3, first 2 shown]
	v_and_b32_e32 v2, 16, v10
	s_addc_u32 s22, s19, s13
	s_lshl_b64 s[18:19], s[78:79], 2
	v_add_u32_e32 v49, 0, v3
	v_cmp_ne_u32_e64 s[8:9], 0, v2
	v_add_u32_e32 v2, -1, v10
	v_and_b32_e32 v3, 64, v10
	s_add_u32 s18, s21, s18
	v_mov_b32_e32 v1, 0
	v_lshlrev_b32_e32 v11, 3, v0
	v_cmp_eq_u32_e64 s[12:13], 63, v0
	v_cmp_lt_i32_e32 vcc, v2, v3
	v_cmp_gt_u32_e64 s[14:15], 64, v0
	v_cmp_eq_u32_e64 s[16:17], 0, v0
	s_addc_u32 s19, s22, s19
	v_lshlrev_b32_e32 v0, 2, v10
	v_cndmask_b32_e32 v2, v2, v10, vcc
	v_lshl_add_u64 v[12:13], s[18:19], 0, v[0:1]
	s_add_i32 s18, 0, 0x1088
	s_mov_b32 s53, s41
	s_mov_b32 s56, s44
	s_mov_b32 s52, s36
	v_add_u32_e32 v50, 0, v4
	v_add_u32_e32 v51, 0, v5
	;; [unrolled: 1-line block ×6, first 2 shown]
	v_cmp_lt_u32_e64 s[10:11], 31, v10
	v_lshlrev_b32_e32 v64, 2, v2
	v_lshlrev_b32_e32 v0, 2, v10
	s_mov_b32 s40, 0x41a00000
	s_mov_b32 s41, 0x3fb8aa3b
	;; [unrolled: 1-line block ×6, first 2 shown]
	v_mov_b32_e32 v72, 0x3ecc95a3
	s_mov_b32 s46, 0x3f317218
	s_mov_b32 s47, 0x33800000
	v_writelane_b32 v95, s18, 9
	s_mov_b32 s99, 0xc2fc0000
	v_mov_b32_e32 v73, 0x7f800000
	v_mov_b32_e32 v14, 0x3f317218
	;; [unrolled: 1-line block ×4, first 2 shown]
	s_mov_b32 s82, 0
	s_mov_b32 s60, 0
                                        ; implicit-def: $vgpr2
	s_branch .LBB138_11
.LBB138_10:                             ;   in Loop: Header=BB138_11 Depth=1
	s_or_b64 exec, exec, s[18:19]
	s_add_u32 s80, s80, 0x800
	s_addc_u32 s81, s81, 0
	s_add_u32 s84, s84, 0x800
	s_addc_u32 s85, s85, 0
	;; [unrolled: 2-line block ×4, first 2 shown]
	s_add_i32 s82, s82, 1
	v_readlane_b32 s18, v95, 7
	s_cmp_eq_u32 s82, s18
	s_cbranch_scc1 .LBB138_136
.LBB138_11:                             ; =>This Loop Header: Depth=1
                                        ;     Child Loop BB138_60 Depth 2
	s_lshl_b32 s22, s82, 9
	v_readlane_b32 s18, v95, 4
	s_mov_b32 s20, s22
	v_writelane_b32 v95, s20, 10
	s_sub_i32 s50, s18, s22
	v_lshl_add_u64 v[2:3], s[84:85], 0, v[0:1]
	v_writelane_b32 v95, s21, 11
	v_cmp_gt_u32_e64 s[18:19], s50, v10
	s_waitcnt lgkmcnt(0)
	v_mov_b32_e32 v4, v1
	s_waitcnt lgkmcnt(0)
	; wave barrier
	s_and_saveexec_b64 s[20:21], s[18:19]
	s_cbranch_execz .LBB138_13
; %bb.12:                               ;   in Loop: Header=BB138_11 Depth=1
	global_load_dword v4, v[2:3], off
.LBB138_13:                             ;   in Loop: Header=BB138_11 Depth=1
	s_or_b64 exec, exec, s[20:21]
	v_cmp_gt_u32_e64 s[20:21], s50, v40
	v_mov_b32_e32 v5, 0
	v_mov_b32_e32 v6, 0
	s_and_saveexec_b64 s[22:23], s[20:21]
	s_cbranch_execz .LBB138_15
; %bb.14:                               ;   in Loop: Header=BB138_11 Depth=1
	global_load_dword v6, v[2:3], off offset:256
.LBB138_15:                             ;   in Loop: Header=BB138_11 Depth=1
	s_or_b64 exec, exec, s[22:23]
	v_cmp_gt_u32_e64 s[22:23], s50, v41
	s_and_saveexec_b64 s[24:25], s[22:23]
	s_cbranch_execz .LBB138_17
; %bb.16:                               ;   in Loop: Header=BB138_11 Depth=1
	global_load_dword v5, v[2:3], off offset:512
.LBB138_17:                             ;   in Loop: Header=BB138_11 Depth=1
	s_or_b64 exec, exec, s[24:25]
	v_cmp_gt_u32_e64 s[24:25], s50, v42
	v_mov_b32_e32 v7, 0
	v_mov_b32_e32 v8, 0
	s_and_saveexec_b64 s[26:27], s[24:25]
	s_cbranch_execz .LBB138_19
; %bb.18:                               ;   in Loop: Header=BB138_11 Depth=1
	global_load_dword v8, v[2:3], off offset:768
.LBB138_19:                             ;   in Loop: Header=BB138_11 Depth=1
	s_or_b64 exec, exec, s[26:27]
	v_cmp_gt_u32_e64 s[26:27], s50, v43
	s_and_saveexec_b64 s[28:29], s[26:27]
	s_cbranch_execz .LBB138_21
; %bb.20:                               ;   in Loop: Header=BB138_11 Depth=1
	global_load_dword v7, v[2:3], off offset:1024
.LBB138_21:                             ;   in Loop: Header=BB138_11 Depth=1
	;; [unrolled: 16-line block ×3, first 2 shown]
	s_or_b64 exec, exec, s[34:35]
	v_cmp_gt_u32_e64 s[34:35], s50, v46
	v_mov_b32_e32 v15, 0
	v_mov_b32_e32 v17, 0
	s_and_saveexec_b64 s[36:37], s[34:35]
	s_cbranch_execz .LBB138_27
; %bb.26:                               ;   in Loop: Header=BB138_11 Depth=1
	global_load_dword v17, v[2:3], off offset:1792
.LBB138_27:                             ;   in Loop: Header=BB138_11 Depth=1
	s_or_b64 exec, exec, s[36:37]
	s_waitcnt vmcnt(0)
	ds_write_b32 v47, v4
	ds_write_b32 v48, v6 offset:256
	ds_write_b32 v49, v5 offset:512
	;; [unrolled: 1-line block ×7, first 2 shown]
	; wave barrier
	ds_read2_b32 v[2:3], v55 offset1:1
	ds_read2_b32 v[4:5], v55 offset0:2 offset1:3
	ds_read2_b32 v[6:7], v55 offset0:4 offset1:5
	ds_read2_b32 v[8:9], v55 offset0:6 offset1:7
	v_lshl_add_u64 v[16:17], s[80:81], 0, v[0:1]
	s_waitcnt lgkmcnt(0)
	; wave barrier
	s_waitcnt lgkmcnt(0)
	s_and_saveexec_b64 s[36:37], s[18:19]
	s_cbranch_execz .LBB138_29
; %bb.28:                               ;   in Loop: Header=BB138_11 Depth=1
	global_load_dword v15, v[16:17], off
.LBB138_29:                             ;   in Loop: Header=BB138_11 Depth=1
	s_or_b64 exec, exec, s[36:37]
	v_mov_b32_e32 v18, 0
	v_mov_b32_e32 v19, 0
	s_and_saveexec_b64 s[36:37], s[20:21]
	s_cbranch_execz .LBB138_31
; %bb.30:                               ;   in Loop: Header=BB138_11 Depth=1
	global_load_dword v19, v[16:17], off offset:256
.LBB138_31:                             ;   in Loop: Header=BB138_11 Depth=1
	s_or_b64 exec, exec, s[36:37]
	s_and_saveexec_b64 s[36:37], s[22:23]
	s_cbranch_execz .LBB138_33
; %bb.32:                               ;   in Loop: Header=BB138_11 Depth=1
	global_load_dword v18, v[16:17], off offset:512
.LBB138_33:                             ;   in Loop: Header=BB138_11 Depth=1
	s_or_b64 exec, exec, s[36:37]
	v_mov_b32_e32 v20, 0
	v_mov_b32_e32 v21, 0
	s_and_saveexec_b64 s[36:37], s[24:25]
	s_cbranch_execz .LBB138_35
; %bb.34:                               ;   in Loop: Header=BB138_11 Depth=1
	global_load_dword v21, v[16:17], off offset:768
.LBB138_35:                             ;   in Loop: Header=BB138_11 Depth=1
	s_or_b64 exec, exec, s[36:37]
	s_and_saveexec_b64 s[36:37], s[26:27]
	s_cbranch_execz .LBB138_37
; %bb.36:                               ;   in Loop: Header=BB138_11 Depth=1
	global_load_dword v20, v[16:17], off offset:1024
.LBB138_37:                             ;   in Loop: Header=BB138_11 Depth=1
	s_or_b64 exec, exec, s[36:37]
	v_mov_b32_e32 v22, 0
	v_mov_b32_e32 v23, 0
	s_and_saveexec_b64 s[36:37], s[28:29]
	s_cbranch_execnz .LBB138_126
; %bb.38:                               ;   in Loop: Header=BB138_11 Depth=1
	s_or_b64 exec, exec, s[36:37]
	s_and_saveexec_b64 s[36:37], s[30:31]
	s_cbranch_execnz .LBB138_127
.LBB138_39:                             ;   in Loop: Header=BB138_11 Depth=1
	s_or_b64 exec, exec, s[36:37]
	v_mov_b32_e32 v24, 0
	s_and_saveexec_b64 s[36:37], s[34:35]
	s_cbranch_execz .LBB138_41
.LBB138_40:                             ;   in Loop: Header=BB138_11 Depth=1
	global_load_dword v24, v[16:17], off offset:1792
.LBB138_41:                             ;   in Loop: Header=BB138_11 Depth=1
	s_or_b64 exec, exec, s[36:37]
	s_waitcnt vmcnt(0)
	ds_write_b32 v47, v15
	ds_write_b32 v48, v19 offset:256
	ds_write_b32 v49, v18 offset:512
	;; [unrolled: 1-line block ×7, first 2 shown]
	; wave barrier
	ds_read2_b32 v[22:23], v55 offset1:1
	ds_read2_b32 v[20:21], v55 offset0:2 offset1:3
	ds_read2_b32 v[18:19], v55 offset0:4 offset1:5
	;; [unrolled: 1-line block ×3, first 2 shown]
	s_waitcnt lgkmcnt(3)
	v_add_f32_e32 v76, s57, v22
	v_cmp_ge_f32_e32 vcc, s40, v76
	s_and_b64 s[36:37], s[72:73], vcc
	s_and_saveexec_b64 s[38:39], s[36:37]
	s_cbranch_execz .LBB138_43
; %bb.42:                               ;   in Loop: Header=BB138_11 Depth=1
	v_mul_f32_e32 v15, 0x3fb8aa3b, v76
	v_rndne_f32_e32 v22, v15
	v_sub_f32_e32 v24, v15, v22
	v_fma_f32 v15, v76, s41, -v15
	v_fmac_f32_e32 v15, 0x32a5705f, v76
	v_add_f32_e32 v15, v24, v15
	v_cvt_i32_f32_e32 v22, v22
	v_exp_f32_e32 v15, v15
	v_cmp_ngt_f32_e32 vcc, s42, v76
	v_ldexp_f32 v15, v15, v22
	s_nop 0
	v_cndmask_b32_e32 v15, 0, v15, vcc
	v_cmp_nlt_f32_e32 vcc, s43, v76
	s_nop 1
	v_cndmask_b32_e32 v38, v73, v15, vcc
	v_add_f32_e32 v15, 1.0, v38
	v_add_f32_e32 v22, -1.0, v15
	v_sub_f32_e32 v24, v22, v15
	v_add_f32_e32 v24, 1.0, v24
	v_sub_f32_e32 v22, v38, v22
	v_add_f32_e32 v22, v22, v24
	v_frexp_mant_f32_e32 v26, v15
	v_cvt_f64_f32_e32 v[24:25], v15
	v_frexp_exp_i32_f64_e32 v24, v[24:25]
	v_cmp_gt_f32_e32 vcc, s45, v26
	v_cmp_gt_f32_e64 s[36:37], s47, v38
	s_nop 0
	v_subbrev_co_u32_e32 v32, vcc, 0, v24, vcc
	v_sub_u32_e32 v24, 0, v32
	v_ldexp_f32 v15, v15, v24
	v_ldexp_f32 v22, v22, v24
	v_add_f32_e32 v24, -1.0, v15
	v_add_f32_e32 v25, 1.0, v24
	v_sub_f32_e32 v25, v15, v25
	v_add_f32_e32 v26, v22, v25
	v_add_f32_e32 v25, 1.0, v15
	v_add_f32_e32 v27, -1.0, v25
	v_sub_f32_e32 v15, v15, v27
	v_add_f32_e32 v15, v22, v15
	v_add_f32_e32 v22, v25, v15
	v_rcp_f32_e32 v33, v22
	v_sub_f32_e32 v25, v25, v22
	v_add_f32_e32 v15, v15, v25
	v_add_f32_e32 v25, v24, v26
	v_sub_f32_e32 v24, v24, v25
	v_mul_f32_e32 v35, v25, v33
	v_add_f32_e32 v34, v26, v24
	v_mul_f32_e32 v26, v22, v35
	v_fma_f32 v28, v35, v22, -v26
	v_fmac_f32_e32 v28, v35, v15
	v_add_f32_e32 v24, v26, v28
	v_sub_f32_e32 v27, v25, v24
	v_pk_add_f32 v[30:31], v[24:25], v[26:27] neg_lo:[0,1] neg_hi:[0,1]
	v_mov_b32_e32 v29, v24
	v_pk_add_f32 v[24:25], v[30:31], v[28:29] neg_lo:[0,1] neg_hi:[0,1]
	v_cmp_eq_f32_e32 vcc, s44, v38
	v_add_f32_e32 v25, v34, v25
	v_add_f32_e32 v24, v24, v25
	;; [unrolled: 1-line block ×3, first 2 shown]
	v_mul_f32_e32 v34, v33, v25
	v_mul_f32_e32 v26, v22, v34
	v_fma_f32 v28, v34, v22, -v26
	v_fmac_f32_e32 v28, v34, v15
	v_sub_f32_e32 v15, v27, v25
	v_add_f32_e32 v15, v24, v15
	v_add_f32_e32 v24, v26, v28
	v_sub_f32_e32 v27, v25, v24
	v_pk_add_f32 v[30:31], v[24:25], v[26:27] neg_lo:[0,1] neg_hi:[0,1]
	v_mov_b32_e32 v29, v24
	v_pk_add_f32 v[24:25], v[30:31], v[28:29] neg_lo:[0,1] neg_hi:[0,1]
	v_add_f32_e32 v22, v35, v34
	v_add_f32_e32 v15, v15, v25
	;; [unrolled: 1-line block ×4, first 2 shown]
	v_sub_f32_e32 v24, v22, v35
	v_mul_f32_e32 v15, v33, v15
	v_sub_f32_e32 v24, v34, v24
	v_add_f32_e32 v25, v24, v15
	v_add_f32_e32 v26, v22, v25
	v_cvt_f32_i32_e32 v24, v32
	v_mul_f32_e32 v28, v26, v26
	v_fmamk_f32 v15, v28, 0x3e9b6dac, v72
	v_sub_f32_e32 v22, v26, v22
	v_fmaak_f32 v15, v28, v15, 0x3f2aaada
	v_sub_f32_e32 v22, v25, v22
	v_mul_f32_e32 v25, v26, v28
	v_pk_mul_f32 v[28:29], v[24:25], v[14:15]
	v_ldexp_f32 v27, v26, 1
	v_fma_f32 v26, v24, s46, -v28
	v_fmac_f32_e32 v26, 0xb102e308, v24
	v_pk_add_f32 v[24:25], v[28:29], v[26:27]
	v_ldexp_f32 v22, v22, 1
	v_sub_f32_e32 v15, v25, v27
	v_sub_f32_e32 v15, v29, v15
	v_add_f32_e32 v31, v22, v15
	v_mov_b32_e32 v30, v28
	v_pk_add_f32 v[28:29], v[24:25], v[28:29] neg_lo:[0,1] neg_hi:[0,1]
	v_pk_add_f32 v[32:33], v[24:25], v[30:31]
	v_mov_b32_e32 v27, v24
	v_mov_b32_e32 v29, v33
	v_pk_add_f32 v[34:35], v[26:27], v[28:29] neg_lo:[0,1] neg_hi:[0,1]
	v_pk_add_f32 v[26:27], v[26:27], v[28:29]
	s_or_b64 vcc, s[36:37], vcc
	v_mov_b32_e32 v22, v27
	v_pk_add_f32 v[28:29], v[22:23], v[24:25] neg_lo:[0,1] neg_hi:[0,1]
	v_mov_b32_e32 v26, v33
	v_mov_b32_e32 v15, v28
	v_pk_add_f32 v[36:37], v[32:33], v[14:15] neg_lo:[0,1] neg_hi:[0,1]
	v_mov_b32_e32 v32, v25
	v_mov_b32_e32 v33, v28
	;; [unrolled: 1-line block ×3, first 2 shown]
	v_pk_add_f32 v[26:27], v[26:27], v[32:33] neg_lo:[0,1] neg_hi:[0,1]
	v_mov_b32_e32 v28, v31
	v_mov_b32_e32 v29, v24
	v_pk_add_f32 v[24:25], v[28:29], v[26:27] neg_lo:[0,1] neg_hi:[0,1]
	v_mov_b32_e32 v36, v34
	v_pk_add_f32 v[26:27], v[36:37], v[24:25]
	s_nop 0
	v_mov_b32_e32 v28, v27
	v_pk_add_f32 v[28:29], v[26:27], v[28:29]
	s_nop 0
	v_pk_add_f32 v[30:31], v[22:23], v[28:29]
	v_mov_b32_e32 v25, v28
	v_mov_b32_e32 v27, v30
	v_pk_add_f32 v[32:33], v[26:27], v[34:35] neg_lo:[0,1] neg_hi:[0,1]
	s_nop 0
	v_sub_f32_e32 v15, v26, v32
	v_pk_add_f32 v[24:25], v[24:25], v[32:33] neg_lo:[0,1] neg_hi:[0,1]
	v_sub_f32_e32 v15, v34, v15
	v_add_f32_e32 v15, v24, v15
	v_add_f32_e32 v15, v15, v25
	;; [unrolled: 1-line block ×3, first 2 shown]
	v_cndmask_b32_e32 v76, v15, v38, vcc
.LBB138_43:                             ;   in Loop: Header=BB138_11 Depth=1
	s_or_b64 exec, exec, s[38:39]
	v_add_f32_e32 v77, s57, v23
	v_cmp_ge_f32_e32 vcc, s40, v77
	s_and_b64 s[36:37], s[72:73], vcc
	s_and_saveexec_b64 s[38:39], s[36:37]
	s_cbranch_execz .LBB138_45
; %bb.44:                               ;   in Loop: Header=BB138_11 Depth=1
	v_mul_f32_e32 v15, 0x3fb8aa3b, v77
	v_rndne_f32_e32 v22, v15
	v_sub_f32_e32 v23, v15, v22
	v_fma_f32 v15, v77, s41, -v15
	v_fmac_f32_e32 v15, 0x32a5705f, v77
	v_add_f32_e32 v15, v23, v15
	v_cvt_i32_f32_e32 v22, v22
	v_exp_f32_e32 v15, v15
	v_cmp_ngt_f32_e32 vcc, s42, v77
	v_ldexp_f32 v15, v15, v22
	s_nop 0
	v_cndmask_b32_e32 v15, 0, v15, vcc
	v_cmp_nlt_f32_e32 vcc, s43, v77
	s_nop 1
	v_cndmask_b32_e32 v38, v73, v15, vcc
	v_add_f32_e32 v15, 1.0, v38
	v_add_f32_e32 v22, -1.0, v15
	v_sub_f32_e32 v23, v22, v15
	v_add_f32_e32 v23, 1.0, v23
	v_sub_f32_e32 v22, v38, v22
	v_add_f32_e32 v24, v22, v23
	v_frexp_mant_f32_e32 v25, v15
	v_cvt_f64_f32_e32 v[22:23], v15
	v_frexp_exp_i32_f64_e32 v22, v[22:23]
	v_cmp_gt_f32_e32 vcc, s45, v25
	v_cmp_gt_f32_e64 s[36:37], s47, v38
	s_nop 0
	v_subbrev_co_u32_e32 v30, vcc, 0, v22, vcc
	v_sub_u32_e32 v22, 0, v30
	v_ldexp_f32 v15, v15, v22
	v_ldexp_f32 v22, v24, v22
	v_add_f32_e32 v24, -1.0, v15
	v_add_f32_e32 v23, 1.0, v24
	v_sub_f32_e32 v23, v15, v23
	v_add_f32_e32 v25, v22, v23
	v_add_f32_e32 v23, 1.0, v15
	v_add_f32_e32 v26, -1.0, v23
	v_sub_f32_e32 v15, v15, v26
	v_add_f32_e32 v15, v22, v15
	v_add_f32_e32 v31, v23, v15
	v_rcp_f32_e32 v32, v31
	v_sub_f32_e32 v22, v23, v31
	v_add_f32_e32 v23, v24, v25
	v_add_f32_e32 v15, v15, v22
	v_mul_f32_e32 v34, v23, v32
	v_sub_f32_e32 v22, v24, v23
	v_mul_f32_e32 v24, v31, v34
	v_fma_f32 v26, v34, v31, -v24
	v_fmac_f32_e32 v26, v34, v15
	v_add_f32_e32 v33, v25, v22
	v_add_f32_e32 v22, v24, v26
	v_sub_f32_e32 v25, v23, v22
	v_pk_add_f32 v[28:29], v[22:23], v[24:25] neg_lo:[0,1] neg_hi:[0,1]
	v_mov_b32_e32 v27, v22
	v_pk_add_f32 v[22:23], v[28:29], v[26:27] neg_lo:[0,1] neg_hi:[0,1]
	v_cmp_eq_f32_e32 vcc, s44, v38
	v_add_f32_e32 v23, v33, v23
	v_add_f32_e32 v22, v22, v23
	;; [unrolled: 1-line block ×3, first 2 shown]
	v_mul_f32_e32 v33, v32, v23
	v_mul_f32_e32 v24, v31, v33
	v_fma_f32 v26, v33, v31, -v24
	v_fmac_f32_e32 v26, v33, v15
	v_sub_f32_e32 v15, v25, v23
	v_add_f32_e32 v15, v22, v15
	v_add_f32_e32 v22, v24, v26
	v_sub_f32_e32 v25, v23, v22
	v_pk_add_f32 v[28:29], v[22:23], v[24:25] neg_lo:[0,1] neg_hi:[0,1]
	v_mov_b32_e32 v27, v22
	v_pk_add_f32 v[22:23], v[28:29], v[26:27] neg_lo:[0,1] neg_hi:[0,1]
	s_or_b64 vcc, s[36:37], vcc
	v_add_f32_e32 v15, v15, v23
	v_add_f32_e32 v15, v22, v15
	;; [unrolled: 1-line block ×4, first 2 shown]
	v_sub_f32_e32 v22, v23, v34
	v_mul_f32_e32 v15, v32, v15
	v_sub_f32_e32 v22, v33, v22
	v_add_f32_e32 v24, v22, v15
	v_add_f32_e32 v26, v23, v24
	v_cvt_f32_i32_e32 v22, v30
	v_mul_f32_e32 v27, v26, v26
	v_sub_f32_e32 v23, v26, v23
	v_fmamk_f32 v15, v27, 0x3e9b6dac, v72
	v_sub_f32_e32 v23, v24, v23
	v_fmaak_f32 v15, v27, v15, 0x3f2aaada
	v_ldexp_f32 v28, v23, 1
	v_mul_f32_e32 v23, v26, v27
	v_ldexp_f32 v25, v26, 1
	v_pk_mul_f32 v[26:27], v[22:23], v[14:15]
	s_nop 0
	v_fma_f32 v24, v22, s46, -v26
	v_fmac_f32_e32 v24, 0xb102e308, v22
	v_pk_add_f32 v[22:23], v[26:27], v[24:25]
	s_nop 0
	v_sub_f32_e32 v15, v23, v25
	v_sub_f32_e32 v15, v27, v15
	v_add_f32_e32 v29, v28, v15
	v_mov_b32_e32 v28, v26
	v_pk_add_f32 v[26:27], v[22:23], v[26:27] neg_lo:[0,1] neg_hi:[0,1]
	v_pk_add_f32 v[30:31], v[22:23], v[28:29]
	v_mov_b32_e32 v25, v22
	v_mov_b32_e32 v27, v31
	v_pk_add_f32 v[32:33], v[24:25], v[26:27] neg_lo:[0,1] neg_hi:[0,1]
	v_pk_add_f32 v[24:25], v[24:25], v[26:27]
	v_mov_b32_e32 v28, v29
	v_mov_b32_e32 v26, v25
	v_pk_add_f32 v[34:35], v[26:27], v[22:23] neg_lo:[0,1] neg_hi:[0,1]
	v_mov_b32_e32 v24, v31
	v_mov_b32_e32 v15, v34
	v_pk_add_f32 v[36:37], v[30:31], v[14:15] neg_lo:[0,1] neg_hi:[0,1]
	v_mov_b32_e32 v30, v23
	v_mov_b32_e32 v31, v34
	;; [unrolled: 1-line block ×3, first 2 shown]
	v_pk_add_f32 v[24:25], v[24:25], v[30:31] neg_lo:[0,1] neg_hi:[0,1]
	v_mov_b32_e32 v29, v22
	v_pk_add_f32 v[22:23], v[28:29], v[24:25] neg_lo:[0,1] neg_hi:[0,1]
	v_mov_b32_e32 v36, v32
	v_pk_add_f32 v[24:25], v[36:37], v[22:23]
	s_nop 0
	v_mov_b32_e32 v28, v25
	v_pk_add_f32 v[28:29], v[24:25], v[28:29]
	s_nop 0
	v_pk_add_f32 v[26:27], v[26:27], v[28:29]
	v_mov_b32_e32 v23, v28
	v_mov_b32_e32 v25, v26
	v_pk_add_f32 v[30:31], v[24:25], v[32:33] neg_lo:[0,1] neg_hi:[0,1]
	s_nop 0
	v_sub_f32_e32 v15, v24, v30
	v_pk_add_f32 v[22:23], v[22:23], v[30:31] neg_lo:[0,1] neg_hi:[0,1]
	v_sub_f32_e32 v15, v32, v15
	v_add_f32_e32 v15, v22, v15
	v_add_f32_e32 v15, v15, v23
	;; [unrolled: 1-line block ×3, first 2 shown]
	v_cndmask_b32_e32 v77, v15, v38, vcc
.LBB138_45:                             ;   in Loop: Header=BB138_11 Depth=1
	s_or_b64 exec, exec, s[38:39]
	s_waitcnt lgkmcnt(2)
	v_add_f32_e32 v78, s57, v20
	v_cmp_ge_f32_e32 vcc, s40, v78
	s_and_b64 s[36:37], s[72:73], vcc
	s_and_saveexec_b64 s[38:39], s[36:37]
	s_cbranch_execz .LBB138_47
; %bb.46:                               ;   in Loop: Header=BB138_11 Depth=1
	v_mul_f32_e32 v15, 0x3fb8aa3b, v78
	v_rndne_f32_e32 v20, v15
	v_sub_f32_e32 v22, v15, v20
	v_fma_f32 v15, v78, s41, -v15
	v_fmac_f32_e32 v15, 0x32a5705f, v78
	v_add_f32_e32 v15, v22, v15
	v_cvt_i32_f32_e32 v20, v20
	v_exp_f32_e32 v15, v15
	v_cmp_ngt_f32_e32 vcc, s42, v78
	v_ldexp_f32 v15, v15, v20
	s_nop 0
	v_cndmask_b32_e32 v15, 0, v15, vcc
	v_cmp_nlt_f32_e32 vcc, s43, v78
	s_nop 1
	v_cndmask_b32_e32 v36, v73, v15, vcc
	v_add_f32_e32 v15, 1.0, v36
	v_add_f32_e32 v20, -1.0, v15
	v_sub_f32_e32 v22, v20, v15
	v_add_f32_e32 v22, 1.0, v22
	v_sub_f32_e32 v20, v36, v20
	v_add_f32_e32 v20, v20, v22
	v_frexp_mant_f32_e32 v24, v15
	v_cvt_f64_f32_e32 v[22:23], v15
	v_frexp_exp_i32_f64_e32 v22, v[22:23]
	v_cmp_gt_f32_e32 vcc, s45, v24
	v_cmp_gt_f32_e64 s[36:37], s47, v36
	s_nop 0
	v_subbrev_co_u32_e32 v30, vcc, 0, v22, vcc
	v_sub_u32_e32 v22, 0, v30
	v_ldexp_f32 v15, v15, v22
	v_ldexp_f32 v20, v20, v22
	v_add_f32_e32 v22, -1.0, v15
	v_add_f32_e32 v23, 1.0, v22
	v_sub_f32_e32 v23, v15, v23
	v_add_f32_e32 v24, v20, v23
	v_add_f32_e32 v23, 1.0, v15
	v_add_f32_e32 v25, -1.0, v23
	v_sub_f32_e32 v15, v15, v25
	v_add_f32_e32 v15, v20, v15
	v_add_f32_e32 v20, v23, v15
	v_rcp_f32_e32 v31, v20
	v_sub_f32_e32 v23, v23, v20
	v_add_f32_e32 v15, v15, v23
	v_add_f32_e32 v23, v22, v24
	v_sub_f32_e32 v22, v22, v23
	v_mul_f32_e32 v33, v23, v31
	v_add_f32_e32 v32, v24, v22
	v_mul_f32_e32 v24, v20, v33
	v_fma_f32 v26, v33, v20, -v24
	v_fmac_f32_e32 v26, v33, v15
	v_add_f32_e32 v22, v24, v26
	v_sub_f32_e32 v25, v23, v22
	v_pk_add_f32 v[28:29], v[22:23], v[24:25] neg_lo:[0,1] neg_hi:[0,1]
	v_mov_b32_e32 v27, v22
	v_pk_add_f32 v[22:23], v[28:29], v[26:27] neg_lo:[0,1] neg_hi:[0,1]
	v_cmp_eq_f32_e32 vcc, s44, v36
	v_add_f32_e32 v23, v32, v23
	v_add_f32_e32 v22, v22, v23
	;; [unrolled: 1-line block ×3, first 2 shown]
	v_mul_f32_e32 v32, v31, v23
	v_mul_f32_e32 v24, v20, v32
	v_fma_f32 v26, v32, v20, -v24
	v_fmac_f32_e32 v26, v32, v15
	v_sub_f32_e32 v15, v25, v23
	v_add_f32_e32 v15, v22, v15
	v_add_f32_e32 v22, v24, v26
	v_sub_f32_e32 v25, v23, v22
	v_pk_add_f32 v[28:29], v[22:23], v[24:25] neg_lo:[0,1] neg_hi:[0,1]
	v_mov_b32_e32 v27, v22
	v_pk_add_f32 v[22:23], v[28:29], v[26:27] neg_lo:[0,1] neg_hi:[0,1]
	v_add_f32_e32 v20, v33, v32
	v_add_f32_e32 v15, v15, v23
	;; [unrolled: 1-line block ×4, first 2 shown]
	v_sub_f32_e32 v22, v20, v33
	v_mul_f32_e32 v15, v31, v15
	v_sub_f32_e32 v22, v32, v22
	v_add_f32_e32 v23, v22, v15
	v_add_f32_e32 v24, v20, v23
	v_cvt_f32_i32_e32 v22, v30
	v_mul_f32_e32 v26, v24, v24
	v_fmamk_f32 v15, v26, 0x3e9b6dac, v72
	v_sub_f32_e32 v20, v24, v20
	v_fmaak_f32 v15, v26, v15, 0x3f2aaada
	v_sub_f32_e32 v20, v23, v20
	v_mul_f32_e32 v23, v24, v26
	v_pk_mul_f32 v[26:27], v[22:23], v[14:15]
	v_ldexp_f32 v25, v24, 1
	v_fma_f32 v24, v22, s46, -v26
	v_fmac_f32_e32 v24, 0xb102e308, v22
	v_pk_add_f32 v[22:23], v[26:27], v[24:25]
	v_ldexp_f32 v20, v20, 1
	v_sub_f32_e32 v15, v23, v25
	v_sub_f32_e32 v15, v27, v15
	v_add_f32_e32 v29, v20, v15
	v_mov_b32_e32 v28, v26
	v_pk_add_f32 v[26:27], v[22:23], v[26:27] neg_lo:[0,1] neg_hi:[0,1]
	v_pk_add_f32 v[30:31], v[22:23], v[28:29]
	v_mov_b32_e32 v25, v22
	v_mov_b32_e32 v27, v31
	v_pk_add_f32 v[32:33], v[24:25], v[26:27] neg_lo:[0,1] neg_hi:[0,1]
	v_pk_add_f32 v[24:25], v[24:25], v[26:27]
	s_or_b64 vcc, s[36:37], vcc
	v_mov_b32_e32 v20, v25
	v_pk_add_f32 v[26:27], v[20:21], v[22:23] neg_lo:[0,1] neg_hi:[0,1]
	v_mov_b32_e32 v24, v31
	v_mov_b32_e32 v15, v26
	v_pk_add_f32 v[34:35], v[30:31], v[14:15] neg_lo:[0,1] neg_hi:[0,1]
	v_mov_b32_e32 v30, v23
	v_mov_b32_e32 v31, v26
	v_mov_b32_e32 v33, v25
	v_pk_add_f32 v[24:25], v[24:25], v[30:31] neg_lo:[0,1] neg_hi:[0,1]
	v_mov_b32_e32 v26, v29
	v_mov_b32_e32 v27, v22
	v_pk_add_f32 v[22:23], v[26:27], v[24:25] neg_lo:[0,1] neg_hi:[0,1]
	v_mov_b32_e32 v34, v32
	v_pk_add_f32 v[24:25], v[34:35], v[22:23]
	s_nop 0
	v_mov_b32_e32 v26, v25
	v_pk_add_f32 v[26:27], v[24:25], v[26:27]
	s_nop 0
	v_pk_add_f32 v[28:29], v[20:21], v[26:27]
	v_mov_b32_e32 v23, v26
	v_mov_b32_e32 v25, v28
	v_pk_add_f32 v[30:31], v[24:25], v[32:33] neg_lo:[0,1] neg_hi:[0,1]
	s_nop 0
	v_sub_f32_e32 v15, v24, v30
	v_pk_add_f32 v[22:23], v[22:23], v[30:31] neg_lo:[0,1] neg_hi:[0,1]
	v_sub_f32_e32 v15, v32, v15
	v_add_f32_e32 v15, v22, v15
	v_add_f32_e32 v15, v15, v23
	;; [unrolled: 1-line block ×3, first 2 shown]
	v_cndmask_b32_e32 v78, v15, v36, vcc
.LBB138_47:                             ;   in Loop: Header=BB138_11 Depth=1
	s_or_b64 exec, exec, s[38:39]
	v_add_f32_e32 v79, s57, v21
	v_cmp_ge_f32_e32 vcc, s40, v79
	s_and_b64 s[36:37], s[72:73], vcc
	s_and_saveexec_b64 s[38:39], s[36:37]
	s_cbranch_execz .LBB138_49
; %bb.48:                               ;   in Loop: Header=BB138_11 Depth=1
	v_mul_f32_e32 v15, 0x3fb8aa3b, v79
	v_rndne_f32_e32 v20, v15
	v_sub_f32_e32 v21, v15, v20
	v_fma_f32 v15, v79, s41, -v15
	v_fmac_f32_e32 v15, 0x32a5705f, v79
	v_add_f32_e32 v15, v21, v15
	v_cvt_i32_f32_e32 v20, v20
	v_exp_f32_e32 v15, v15
	v_cmp_ngt_f32_e32 vcc, s42, v79
	v_ldexp_f32 v15, v15, v20
	s_nop 0
	v_cndmask_b32_e32 v15, 0, v15, vcc
	v_cmp_nlt_f32_e32 vcc, s43, v79
	s_nop 1
	v_cndmask_b32_e32 v36, v73, v15, vcc
	v_add_f32_e32 v15, 1.0, v36
	v_add_f32_e32 v20, -1.0, v15
	v_sub_f32_e32 v21, v20, v15
	v_add_f32_e32 v21, 1.0, v21
	v_sub_f32_e32 v20, v36, v20
	v_add_f32_e32 v22, v20, v21
	v_frexp_mant_f32_e32 v23, v15
	v_cvt_f64_f32_e32 v[20:21], v15
	v_frexp_exp_i32_f64_e32 v20, v[20:21]
	v_cmp_gt_f32_e32 vcc, s45, v23
	v_cmp_gt_f32_e64 s[36:37], s47, v36
	s_nop 0
	v_subbrev_co_u32_e32 v28, vcc, 0, v20, vcc
	v_sub_u32_e32 v20, 0, v28
	v_ldexp_f32 v15, v15, v20
	v_ldexp_f32 v20, v22, v20
	v_add_f32_e32 v22, -1.0, v15
	v_add_f32_e32 v21, 1.0, v22
	v_sub_f32_e32 v21, v15, v21
	v_add_f32_e32 v23, v20, v21
	v_add_f32_e32 v21, 1.0, v15
	v_add_f32_e32 v24, -1.0, v21
	v_sub_f32_e32 v15, v15, v24
	v_add_f32_e32 v15, v20, v15
	v_add_f32_e32 v29, v21, v15
	v_rcp_f32_e32 v30, v29
	v_sub_f32_e32 v20, v21, v29
	v_add_f32_e32 v21, v22, v23
	v_add_f32_e32 v15, v15, v20
	v_mul_f32_e32 v32, v21, v30
	v_sub_f32_e32 v20, v22, v21
	v_mul_f32_e32 v22, v29, v32
	v_fma_f32 v24, v32, v29, -v22
	v_fmac_f32_e32 v24, v32, v15
	v_add_f32_e32 v31, v23, v20
	v_add_f32_e32 v20, v22, v24
	v_sub_f32_e32 v23, v21, v20
	v_pk_add_f32 v[26:27], v[20:21], v[22:23] neg_lo:[0,1] neg_hi:[0,1]
	v_mov_b32_e32 v25, v20
	v_pk_add_f32 v[20:21], v[26:27], v[24:25] neg_lo:[0,1] neg_hi:[0,1]
	v_cmp_eq_f32_e32 vcc, s44, v36
	v_add_f32_e32 v21, v31, v21
	v_add_f32_e32 v20, v20, v21
	;; [unrolled: 1-line block ×3, first 2 shown]
	v_mul_f32_e32 v31, v30, v21
	v_mul_f32_e32 v22, v29, v31
	v_fma_f32 v24, v31, v29, -v22
	v_fmac_f32_e32 v24, v31, v15
	v_sub_f32_e32 v15, v23, v21
	v_add_f32_e32 v15, v20, v15
	v_add_f32_e32 v20, v22, v24
	v_sub_f32_e32 v23, v21, v20
	v_pk_add_f32 v[26:27], v[20:21], v[22:23] neg_lo:[0,1] neg_hi:[0,1]
	v_mov_b32_e32 v25, v20
	v_pk_add_f32 v[20:21], v[26:27], v[24:25] neg_lo:[0,1] neg_hi:[0,1]
	s_or_b64 vcc, s[36:37], vcc
	v_add_f32_e32 v15, v15, v21
	v_add_f32_e32 v15, v20, v15
	;; [unrolled: 1-line block ×4, first 2 shown]
	v_sub_f32_e32 v20, v21, v32
	v_mul_f32_e32 v15, v30, v15
	v_sub_f32_e32 v20, v31, v20
	v_add_f32_e32 v22, v20, v15
	v_add_f32_e32 v24, v21, v22
	v_cvt_f32_i32_e32 v20, v28
	v_mul_f32_e32 v25, v24, v24
	v_sub_f32_e32 v21, v24, v21
	v_fmamk_f32 v15, v25, 0x3e9b6dac, v72
	v_sub_f32_e32 v21, v22, v21
	v_fmaak_f32 v15, v25, v15, 0x3f2aaada
	v_ldexp_f32 v26, v21, 1
	v_mul_f32_e32 v21, v24, v25
	v_ldexp_f32 v23, v24, 1
	v_pk_mul_f32 v[24:25], v[20:21], v[14:15]
	s_nop 0
	v_fma_f32 v22, v20, s46, -v24
	v_fmac_f32_e32 v22, 0xb102e308, v20
	v_pk_add_f32 v[20:21], v[24:25], v[22:23]
	s_nop 0
	v_sub_f32_e32 v15, v21, v23
	v_sub_f32_e32 v15, v25, v15
	v_add_f32_e32 v27, v26, v15
	v_mov_b32_e32 v26, v24
	v_pk_add_f32 v[24:25], v[20:21], v[24:25] neg_lo:[0,1] neg_hi:[0,1]
	v_pk_add_f32 v[28:29], v[20:21], v[26:27]
	v_mov_b32_e32 v23, v20
	v_mov_b32_e32 v25, v29
	v_pk_add_f32 v[30:31], v[22:23], v[24:25] neg_lo:[0,1] neg_hi:[0,1]
	v_pk_add_f32 v[22:23], v[22:23], v[24:25]
	v_mov_b32_e32 v26, v27
	v_mov_b32_e32 v24, v23
	v_pk_add_f32 v[32:33], v[24:25], v[20:21] neg_lo:[0,1] neg_hi:[0,1]
	v_mov_b32_e32 v22, v29
	v_mov_b32_e32 v15, v32
	v_pk_add_f32 v[34:35], v[28:29], v[14:15] neg_lo:[0,1] neg_hi:[0,1]
	v_mov_b32_e32 v28, v21
	v_mov_b32_e32 v29, v32
	;; [unrolled: 1-line block ×3, first 2 shown]
	v_pk_add_f32 v[22:23], v[22:23], v[28:29] neg_lo:[0,1] neg_hi:[0,1]
	v_mov_b32_e32 v27, v20
	v_pk_add_f32 v[20:21], v[26:27], v[22:23] neg_lo:[0,1] neg_hi:[0,1]
	v_mov_b32_e32 v34, v30
	v_pk_add_f32 v[22:23], v[34:35], v[20:21]
	s_nop 0
	v_mov_b32_e32 v26, v23
	v_pk_add_f32 v[26:27], v[22:23], v[26:27]
	s_nop 0
	v_pk_add_f32 v[24:25], v[24:25], v[26:27]
	v_mov_b32_e32 v21, v26
	v_mov_b32_e32 v23, v24
	v_pk_add_f32 v[28:29], v[22:23], v[30:31] neg_lo:[0,1] neg_hi:[0,1]
	s_nop 0
	v_sub_f32_e32 v15, v22, v28
	v_pk_add_f32 v[20:21], v[20:21], v[28:29] neg_lo:[0,1] neg_hi:[0,1]
	v_sub_f32_e32 v15, v30, v15
	v_add_f32_e32 v15, v20, v15
	v_add_f32_e32 v15, v15, v21
	;; [unrolled: 1-line block ×3, first 2 shown]
	v_cndmask_b32_e32 v79, v15, v36, vcc
.LBB138_49:                             ;   in Loop: Header=BB138_11 Depth=1
	s_or_b64 exec, exec, s[38:39]
	s_waitcnt lgkmcnt(1)
	v_add_f32_e32 v80, s57, v18
	v_cmp_ge_f32_e32 vcc, s40, v80
	s_and_b64 s[36:37], s[72:73], vcc
	s_and_saveexec_b64 s[38:39], s[36:37]
	s_cbranch_execz .LBB138_51
; %bb.50:                               ;   in Loop: Header=BB138_11 Depth=1
	v_mul_f32_e32 v15, 0x3fb8aa3b, v80
	v_rndne_f32_e32 v18, v15
	v_sub_f32_e32 v20, v15, v18
	v_fma_f32 v15, v80, s41, -v15
	v_fmac_f32_e32 v15, 0x32a5705f, v80
	v_add_f32_e32 v15, v20, v15
	v_cvt_i32_f32_e32 v18, v18
	v_exp_f32_e32 v15, v15
	v_cmp_ngt_f32_e32 vcc, s42, v80
	v_ldexp_f32 v15, v15, v18
	s_nop 0
	v_cndmask_b32_e32 v15, 0, v15, vcc
	v_cmp_nlt_f32_e32 vcc, s43, v80
	s_nop 1
	v_cndmask_b32_e32 v34, v73, v15, vcc
	v_add_f32_e32 v15, 1.0, v34
	v_add_f32_e32 v18, -1.0, v15
	v_sub_f32_e32 v20, v18, v15
	v_add_f32_e32 v20, 1.0, v20
	v_sub_f32_e32 v18, v34, v18
	v_add_f32_e32 v18, v18, v20
	v_frexp_mant_f32_e32 v22, v15
	v_cvt_f64_f32_e32 v[20:21], v15
	v_frexp_exp_i32_f64_e32 v20, v[20:21]
	v_cmp_gt_f32_e32 vcc, s45, v22
	v_cmp_gt_f32_e64 s[36:37], s47, v34
	s_nop 0
	v_subbrev_co_u32_e32 v28, vcc, 0, v20, vcc
	v_sub_u32_e32 v20, 0, v28
	v_ldexp_f32 v15, v15, v20
	v_ldexp_f32 v18, v18, v20
	v_add_f32_e32 v20, -1.0, v15
	v_add_f32_e32 v21, 1.0, v20
	v_sub_f32_e32 v21, v15, v21
	v_add_f32_e32 v22, v18, v21
	v_add_f32_e32 v21, 1.0, v15
	v_add_f32_e32 v23, -1.0, v21
	v_sub_f32_e32 v15, v15, v23
	v_add_f32_e32 v15, v18, v15
	v_add_f32_e32 v18, v21, v15
	v_rcp_f32_e32 v29, v18
	v_sub_f32_e32 v21, v21, v18
	v_add_f32_e32 v15, v15, v21
	v_add_f32_e32 v21, v20, v22
	v_sub_f32_e32 v20, v20, v21
	v_mul_f32_e32 v31, v21, v29
	v_add_f32_e32 v30, v22, v20
	v_mul_f32_e32 v22, v18, v31
	v_fma_f32 v24, v31, v18, -v22
	v_fmac_f32_e32 v24, v31, v15
	v_add_f32_e32 v20, v22, v24
	v_sub_f32_e32 v23, v21, v20
	v_pk_add_f32 v[26:27], v[20:21], v[22:23] neg_lo:[0,1] neg_hi:[0,1]
	v_mov_b32_e32 v25, v20
	v_pk_add_f32 v[20:21], v[26:27], v[24:25] neg_lo:[0,1] neg_hi:[0,1]
	v_cmp_eq_f32_e32 vcc, s44, v34
	v_add_f32_e32 v21, v30, v21
	v_add_f32_e32 v20, v20, v21
	;; [unrolled: 1-line block ×3, first 2 shown]
	v_mul_f32_e32 v30, v29, v21
	v_mul_f32_e32 v22, v18, v30
	v_fma_f32 v24, v30, v18, -v22
	v_fmac_f32_e32 v24, v30, v15
	v_sub_f32_e32 v15, v23, v21
	v_add_f32_e32 v15, v20, v15
	v_add_f32_e32 v20, v22, v24
	v_sub_f32_e32 v23, v21, v20
	v_pk_add_f32 v[26:27], v[20:21], v[22:23] neg_lo:[0,1] neg_hi:[0,1]
	v_mov_b32_e32 v25, v20
	v_pk_add_f32 v[20:21], v[26:27], v[24:25] neg_lo:[0,1] neg_hi:[0,1]
	v_add_f32_e32 v18, v31, v30
	v_add_f32_e32 v15, v15, v21
	;; [unrolled: 1-line block ×4, first 2 shown]
	v_sub_f32_e32 v20, v18, v31
	v_mul_f32_e32 v15, v29, v15
	v_sub_f32_e32 v20, v30, v20
	v_add_f32_e32 v21, v20, v15
	v_add_f32_e32 v22, v18, v21
	v_cvt_f32_i32_e32 v20, v28
	v_mul_f32_e32 v24, v22, v22
	v_fmamk_f32 v15, v24, 0x3e9b6dac, v72
	v_sub_f32_e32 v18, v22, v18
	v_fmaak_f32 v15, v24, v15, 0x3f2aaada
	v_sub_f32_e32 v18, v21, v18
	v_mul_f32_e32 v21, v22, v24
	v_pk_mul_f32 v[24:25], v[20:21], v[14:15]
	v_ldexp_f32 v23, v22, 1
	v_fma_f32 v22, v20, s46, -v24
	v_fmac_f32_e32 v22, 0xb102e308, v20
	v_pk_add_f32 v[20:21], v[24:25], v[22:23]
	v_ldexp_f32 v18, v18, 1
	v_sub_f32_e32 v15, v21, v23
	v_sub_f32_e32 v15, v25, v15
	v_add_f32_e32 v27, v18, v15
	v_mov_b32_e32 v26, v24
	v_pk_add_f32 v[24:25], v[20:21], v[24:25] neg_lo:[0,1] neg_hi:[0,1]
	v_pk_add_f32 v[28:29], v[20:21], v[26:27]
	v_mov_b32_e32 v23, v20
	v_mov_b32_e32 v25, v29
	v_pk_add_f32 v[30:31], v[22:23], v[24:25] neg_lo:[0,1] neg_hi:[0,1]
	v_pk_add_f32 v[22:23], v[22:23], v[24:25]
	s_or_b64 vcc, s[36:37], vcc
	v_mov_b32_e32 v18, v23
	v_pk_add_f32 v[24:25], v[18:19], v[20:21] neg_lo:[0,1] neg_hi:[0,1]
	v_mov_b32_e32 v22, v29
	v_mov_b32_e32 v15, v24
	v_pk_add_f32 v[32:33], v[28:29], v[14:15] neg_lo:[0,1] neg_hi:[0,1]
	v_mov_b32_e32 v28, v21
	v_mov_b32_e32 v29, v24
	;; [unrolled: 1-line block ×3, first 2 shown]
	v_pk_add_f32 v[22:23], v[22:23], v[28:29] neg_lo:[0,1] neg_hi:[0,1]
	v_mov_b32_e32 v24, v27
	v_mov_b32_e32 v25, v20
	v_pk_add_f32 v[20:21], v[24:25], v[22:23] neg_lo:[0,1] neg_hi:[0,1]
	v_mov_b32_e32 v32, v30
	v_pk_add_f32 v[22:23], v[32:33], v[20:21]
	s_nop 0
	v_mov_b32_e32 v24, v23
	v_pk_add_f32 v[24:25], v[22:23], v[24:25]
	s_nop 0
	v_pk_add_f32 v[26:27], v[18:19], v[24:25]
	v_mov_b32_e32 v21, v24
	v_mov_b32_e32 v23, v26
	v_pk_add_f32 v[28:29], v[22:23], v[30:31] neg_lo:[0,1] neg_hi:[0,1]
	s_nop 0
	v_sub_f32_e32 v15, v22, v28
	v_pk_add_f32 v[20:21], v[20:21], v[28:29] neg_lo:[0,1] neg_hi:[0,1]
	v_sub_f32_e32 v15, v30, v15
	v_add_f32_e32 v15, v20, v15
	v_add_f32_e32 v15, v15, v21
	;; [unrolled: 1-line block ×3, first 2 shown]
	v_cndmask_b32_e32 v80, v15, v34, vcc
.LBB138_51:                             ;   in Loop: Header=BB138_11 Depth=1
	s_or_b64 exec, exec, s[38:39]
	v_add_f32_e32 v81, s57, v19
	v_cmp_ge_f32_e32 vcc, s40, v81
	s_and_b64 s[36:37], s[72:73], vcc
	s_and_saveexec_b64 s[38:39], s[36:37]
	s_cbranch_execz .LBB138_53
; %bb.52:                               ;   in Loop: Header=BB138_11 Depth=1
	v_mul_f32_e32 v15, 0x3fb8aa3b, v81
	v_rndne_f32_e32 v18, v15
	v_sub_f32_e32 v19, v15, v18
	v_fma_f32 v15, v81, s41, -v15
	v_fmac_f32_e32 v15, 0x32a5705f, v81
	v_add_f32_e32 v15, v19, v15
	v_cvt_i32_f32_e32 v18, v18
	v_exp_f32_e32 v15, v15
	v_cmp_ngt_f32_e32 vcc, s42, v81
	v_ldexp_f32 v15, v15, v18
	s_nop 0
	v_cndmask_b32_e32 v15, 0, v15, vcc
	v_cmp_nlt_f32_e32 vcc, s43, v81
	s_nop 1
	v_cndmask_b32_e32 v34, v73, v15, vcc
	v_add_f32_e32 v15, 1.0, v34
	v_add_f32_e32 v18, -1.0, v15
	v_sub_f32_e32 v19, v18, v15
	v_add_f32_e32 v19, 1.0, v19
	v_sub_f32_e32 v18, v34, v18
	v_add_f32_e32 v20, v18, v19
	v_frexp_mant_f32_e32 v21, v15
	v_cvt_f64_f32_e32 v[18:19], v15
	v_frexp_exp_i32_f64_e32 v18, v[18:19]
	v_cmp_gt_f32_e32 vcc, s45, v21
	v_cmp_gt_f32_e64 s[36:37], s47, v34
	s_nop 0
	v_subbrev_co_u32_e32 v26, vcc, 0, v18, vcc
	v_sub_u32_e32 v18, 0, v26
	v_ldexp_f32 v15, v15, v18
	v_ldexp_f32 v18, v20, v18
	v_add_f32_e32 v20, -1.0, v15
	v_add_f32_e32 v19, 1.0, v20
	v_sub_f32_e32 v19, v15, v19
	v_add_f32_e32 v21, v18, v19
	v_add_f32_e32 v19, 1.0, v15
	v_add_f32_e32 v22, -1.0, v19
	v_sub_f32_e32 v15, v15, v22
	v_add_f32_e32 v15, v18, v15
	v_add_f32_e32 v27, v19, v15
	v_rcp_f32_e32 v28, v27
	v_sub_f32_e32 v18, v19, v27
	v_add_f32_e32 v19, v20, v21
	v_add_f32_e32 v15, v15, v18
	v_mul_f32_e32 v30, v19, v28
	v_sub_f32_e32 v18, v20, v19
	v_mul_f32_e32 v20, v27, v30
	v_fma_f32 v22, v30, v27, -v20
	v_fmac_f32_e32 v22, v30, v15
	v_add_f32_e32 v29, v21, v18
	v_add_f32_e32 v18, v20, v22
	v_sub_f32_e32 v21, v19, v18
	v_pk_add_f32 v[24:25], v[18:19], v[20:21] neg_lo:[0,1] neg_hi:[0,1]
	v_mov_b32_e32 v23, v18
	v_pk_add_f32 v[18:19], v[24:25], v[22:23] neg_lo:[0,1] neg_hi:[0,1]
	v_cmp_eq_f32_e32 vcc, s44, v34
	v_add_f32_e32 v19, v29, v19
	v_add_f32_e32 v18, v18, v19
	;; [unrolled: 1-line block ×3, first 2 shown]
	v_mul_f32_e32 v29, v28, v19
	v_mul_f32_e32 v20, v27, v29
	v_fma_f32 v22, v29, v27, -v20
	v_fmac_f32_e32 v22, v29, v15
	v_sub_f32_e32 v15, v21, v19
	v_add_f32_e32 v15, v18, v15
	v_add_f32_e32 v18, v20, v22
	v_sub_f32_e32 v21, v19, v18
	v_pk_add_f32 v[24:25], v[18:19], v[20:21] neg_lo:[0,1] neg_hi:[0,1]
	v_mov_b32_e32 v23, v18
	v_pk_add_f32 v[18:19], v[24:25], v[22:23] neg_lo:[0,1] neg_hi:[0,1]
	s_or_b64 vcc, s[36:37], vcc
	v_add_f32_e32 v15, v15, v19
	v_add_f32_e32 v15, v18, v15
	;; [unrolled: 1-line block ×4, first 2 shown]
	v_sub_f32_e32 v18, v19, v30
	v_mul_f32_e32 v15, v28, v15
	v_sub_f32_e32 v18, v29, v18
	v_add_f32_e32 v20, v18, v15
	v_add_f32_e32 v22, v19, v20
	v_cvt_f32_i32_e32 v18, v26
	v_mul_f32_e32 v23, v22, v22
	v_sub_f32_e32 v19, v22, v19
	v_fmamk_f32 v15, v23, 0x3e9b6dac, v72
	v_sub_f32_e32 v19, v20, v19
	v_fmaak_f32 v15, v23, v15, 0x3f2aaada
	v_ldexp_f32 v24, v19, 1
	v_mul_f32_e32 v19, v22, v23
	v_ldexp_f32 v21, v22, 1
	v_pk_mul_f32 v[22:23], v[18:19], v[14:15]
	s_nop 0
	v_fma_f32 v20, v18, s46, -v22
	v_fmac_f32_e32 v20, 0xb102e308, v18
	v_pk_add_f32 v[18:19], v[22:23], v[20:21]
	s_nop 0
	v_sub_f32_e32 v15, v19, v21
	v_sub_f32_e32 v15, v23, v15
	v_add_f32_e32 v25, v24, v15
	v_mov_b32_e32 v24, v22
	v_pk_add_f32 v[22:23], v[18:19], v[22:23] neg_lo:[0,1] neg_hi:[0,1]
	v_pk_add_f32 v[26:27], v[18:19], v[24:25]
	v_mov_b32_e32 v21, v18
	v_mov_b32_e32 v23, v27
	v_pk_add_f32 v[28:29], v[20:21], v[22:23] neg_lo:[0,1] neg_hi:[0,1]
	v_pk_add_f32 v[20:21], v[20:21], v[22:23]
	v_mov_b32_e32 v24, v25
	v_mov_b32_e32 v22, v21
	v_pk_add_f32 v[30:31], v[22:23], v[18:19] neg_lo:[0,1] neg_hi:[0,1]
	v_mov_b32_e32 v20, v27
	v_mov_b32_e32 v15, v30
	v_pk_add_f32 v[32:33], v[26:27], v[14:15] neg_lo:[0,1] neg_hi:[0,1]
	v_mov_b32_e32 v26, v19
	v_mov_b32_e32 v27, v30
	;; [unrolled: 1-line block ×3, first 2 shown]
	v_pk_add_f32 v[20:21], v[20:21], v[26:27] neg_lo:[0,1] neg_hi:[0,1]
	v_mov_b32_e32 v25, v18
	v_pk_add_f32 v[18:19], v[24:25], v[20:21] neg_lo:[0,1] neg_hi:[0,1]
	v_mov_b32_e32 v32, v28
	v_pk_add_f32 v[20:21], v[32:33], v[18:19]
	s_nop 0
	v_mov_b32_e32 v24, v21
	v_pk_add_f32 v[24:25], v[20:21], v[24:25]
	s_nop 0
	v_pk_add_f32 v[22:23], v[22:23], v[24:25]
	v_mov_b32_e32 v19, v24
	v_mov_b32_e32 v21, v22
	v_pk_add_f32 v[26:27], v[20:21], v[28:29] neg_lo:[0,1] neg_hi:[0,1]
	s_nop 0
	v_sub_f32_e32 v15, v20, v26
	v_pk_add_f32 v[18:19], v[18:19], v[26:27] neg_lo:[0,1] neg_hi:[0,1]
	v_sub_f32_e32 v15, v28, v15
	v_add_f32_e32 v15, v18, v15
	v_add_f32_e32 v15, v15, v19
	;; [unrolled: 1-line block ×3, first 2 shown]
	v_cndmask_b32_e32 v81, v15, v34, vcc
.LBB138_53:                             ;   in Loop: Header=BB138_11 Depth=1
	s_or_b64 exec, exec, s[38:39]
	s_waitcnt lgkmcnt(0)
	v_add_f32_e32 v82, s57, v16
	v_cmp_ge_f32_e32 vcc, s40, v82
	s_and_b64 s[36:37], s[72:73], vcc
	s_and_saveexec_b64 s[38:39], s[36:37]
	s_cbranch_execz .LBB138_55
; %bb.54:                               ;   in Loop: Header=BB138_11 Depth=1
	v_mul_f32_e32 v15, 0x3fb8aa3b, v82
	v_rndne_f32_e32 v16, v15
	v_sub_f32_e32 v18, v15, v16
	v_fma_f32 v15, v82, s41, -v15
	v_fmac_f32_e32 v15, 0x32a5705f, v82
	v_add_f32_e32 v15, v18, v15
	v_cvt_i32_f32_e32 v16, v16
	v_exp_f32_e32 v15, v15
	v_cmp_ngt_f32_e32 vcc, s42, v82
	v_ldexp_f32 v15, v15, v16
	s_nop 0
	v_cndmask_b32_e32 v15, 0, v15, vcc
	v_cmp_nlt_f32_e32 vcc, s43, v82
	s_nop 1
	v_cndmask_b32_e32 v32, v73, v15, vcc
	v_add_f32_e32 v15, 1.0, v32
	v_add_f32_e32 v16, -1.0, v15
	v_sub_f32_e32 v18, v16, v15
	v_add_f32_e32 v18, 1.0, v18
	v_sub_f32_e32 v16, v32, v16
	v_add_f32_e32 v16, v16, v18
	v_frexp_mant_f32_e32 v20, v15
	v_cvt_f64_f32_e32 v[18:19], v15
	v_frexp_exp_i32_f64_e32 v18, v[18:19]
	v_cmp_gt_f32_e32 vcc, s45, v20
	v_cmp_gt_f32_e64 s[36:37], s47, v32
	s_nop 0
	v_subbrev_co_u32_e32 v26, vcc, 0, v18, vcc
	v_sub_u32_e32 v18, 0, v26
	v_ldexp_f32 v15, v15, v18
	v_ldexp_f32 v16, v16, v18
	v_add_f32_e32 v18, -1.0, v15
	v_add_f32_e32 v19, 1.0, v18
	v_sub_f32_e32 v19, v15, v19
	v_add_f32_e32 v20, v16, v19
	v_add_f32_e32 v19, 1.0, v15
	v_add_f32_e32 v21, -1.0, v19
	v_sub_f32_e32 v15, v15, v21
	v_add_f32_e32 v15, v16, v15
	v_add_f32_e32 v16, v19, v15
	v_rcp_f32_e32 v27, v16
	v_sub_f32_e32 v19, v19, v16
	v_add_f32_e32 v15, v15, v19
	v_add_f32_e32 v19, v18, v20
	v_sub_f32_e32 v18, v18, v19
	v_mul_f32_e32 v29, v19, v27
	v_add_f32_e32 v28, v20, v18
	v_mul_f32_e32 v20, v16, v29
	v_fma_f32 v22, v29, v16, -v20
	v_fmac_f32_e32 v22, v29, v15
	v_add_f32_e32 v18, v20, v22
	v_sub_f32_e32 v21, v19, v18
	v_pk_add_f32 v[24:25], v[18:19], v[20:21] neg_lo:[0,1] neg_hi:[0,1]
	v_mov_b32_e32 v23, v18
	v_pk_add_f32 v[18:19], v[24:25], v[22:23] neg_lo:[0,1] neg_hi:[0,1]
	v_cmp_eq_f32_e32 vcc, s44, v32
	v_add_f32_e32 v19, v28, v19
	v_add_f32_e32 v18, v18, v19
	;; [unrolled: 1-line block ×3, first 2 shown]
	v_mul_f32_e32 v28, v27, v19
	v_mul_f32_e32 v20, v16, v28
	v_fma_f32 v22, v28, v16, -v20
	v_fmac_f32_e32 v22, v28, v15
	v_sub_f32_e32 v15, v21, v19
	v_add_f32_e32 v15, v18, v15
	v_add_f32_e32 v18, v20, v22
	v_sub_f32_e32 v21, v19, v18
	v_pk_add_f32 v[24:25], v[18:19], v[20:21] neg_lo:[0,1] neg_hi:[0,1]
	v_mov_b32_e32 v23, v18
	v_pk_add_f32 v[18:19], v[24:25], v[22:23] neg_lo:[0,1] neg_hi:[0,1]
	v_add_f32_e32 v16, v29, v28
	v_add_f32_e32 v15, v15, v19
	;; [unrolled: 1-line block ×4, first 2 shown]
	v_sub_f32_e32 v18, v16, v29
	v_mul_f32_e32 v15, v27, v15
	v_sub_f32_e32 v18, v28, v18
	v_add_f32_e32 v19, v18, v15
	v_add_f32_e32 v20, v16, v19
	v_cvt_f32_i32_e32 v18, v26
	v_mul_f32_e32 v22, v20, v20
	v_fmamk_f32 v15, v22, 0x3e9b6dac, v72
	v_sub_f32_e32 v16, v20, v16
	v_fmaak_f32 v15, v22, v15, 0x3f2aaada
	v_sub_f32_e32 v16, v19, v16
	v_mul_f32_e32 v19, v20, v22
	v_pk_mul_f32 v[22:23], v[18:19], v[14:15]
	v_ldexp_f32 v21, v20, 1
	v_fma_f32 v20, v18, s46, -v22
	v_fmac_f32_e32 v20, 0xb102e308, v18
	v_pk_add_f32 v[18:19], v[22:23], v[20:21]
	v_ldexp_f32 v16, v16, 1
	v_sub_f32_e32 v15, v19, v21
	v_sub_f32_e32 v15, v23, v15
	v_add_f32_e32 v25, v16, v15
	v_mov_b32_e32 v24, v22
	v_pk_add_f32 v[22:23], v[18:19], v[22:23] neg_lo:[0,1] neg_hi:[0,1]
	v_pk_add_f32 v[26:27], v[18:19], v[24:25]
	v_mov_b32_e32 v21, v18
	v_mov_b32_e32 v23, v27
	v_pk_add_f32 v[28:29], v[20:21], v[22:23] neg_lo:[0,1] neg_hi:[0,1]
	v_pk_add_f32 v[20:21], v[20:21], v[22:23]
	s_or_b64 vcc, s[36:37], vcc
	v_mov_b32_e32 v16, v21
	v_pk_add_f32 v[22:23], v[16:17], v[18:19] neg_lo:[0,1] neg_hi:[0,1]
	v_mov_b32_e32 v20, v27
	v_mov_b32_e32 v15, v22
	v_pk_add_f32 v[30:31], v[26:27], v[14:15] neg_lo:[0,1] neg_hi:[0,1]
	v_mov_b32_e32 v26, v19
	v_mov_b32_e32 v27, v22
	;; [unrolled: 1-line block ×3, first 2 shown]
	v_pk_add_f32 v[20:21], v[20:21], v[26:27] neg_lo:[0,1] neg_hi:[0,1]
	v_mov_b32_e32 v22, v25
	v_mov_b32_e32 v23, v18
	v_pk_add_f32 v[18:19], v[22:23], v[20:21] neg_lo:[0,1] neg_hi:[0,1]
	v_mov_b32_e32 v30, v28
	v_pk_add_f32 v[20:21], v[30:31], v[18:19]
	s_nop 0
	v_mov_b32_e32 v22, v21
	v_pk_add_f32 v[22:23], v[20:21], v[22:23]
	s_nop 0
	v_pk_add_f32 v[24:25], v[16:17], v[22:23]
	v_mov_b32_e32 v19, v22
	v_mov_b32_e32 v21, v24
	v_pk_add_f32 v[26:27], v[20:21], v[28:29] neg_lo:[0,1] neg_hi:[0,1]
	s_nop 0
	v_sub_f32_e32 v15, v20, v26
	v_pk_add_f32 v[18:19], v[18:19], v[26:27] neg_lo:[0,1] neg_hi:[0,1]
	v_sub_f32_e32 v15, v28, v15
	v_add_f32_e32 v15, v18, v15
	v_add_f32_e32 v15, v15, v19
	;; [unrolled: 1-line block ×3, first 2 shown]
	v_cndmask_b32_e32 v82, v15, v32, vcc
.LBB138_55:                             ;   in Loop: Header=BB138_11 Depth=1
	s_or_b64 exec, exec, s[38:39]
	v_add_f32_e32 v15, s57, v17
	v_cmp_ge_f32_e32 vcc, s40, v15
	s_and_b64 s[36:37], s[72:73], vcc
	s_and_saveexec_b64 s[38:39], s[36:37]
	s_cbranch_execz .LBB138_57
; %bb.56:                               ;   in Loop: Header=BB138_11 Depth=1
	v_mul_f32_e32 v16, 0x3fb8aa3b, v15
	v_rndne_f32_e32 v17, v16
	v_sub_f32_e32 v18, v16, v17
	v_fma_f32 v16, v15, s41, -v16
	v_fmac_f32_e32 v16, 0x32a5705f, v15
	v_add_f32_e32 v16, v18, v16
	v_cvt_i32_f32_e32 v17, v17
	v_exp_f32_e32 v16, v16
	v_cmp_ngt_f32_e32 vcc, s42, v15
	v_ldexp_f32 v16, v16, v17
	s_nop 0
	v_cndmask_b32_e32 v16, 0, v16, vcc
	v_cmp_nlt_f32_e32 vcc, s43, v15
	s_nop 1
	v_cndmask_b32_e32 v32, v73, v16, vcc
	v_add_f32_e32 v15, 1.0, v32
	v_add_f32_e32 v16, -1.0, v15
	v_sub_f32_e32 v17, v16, v15
	v_add_f32_e32 v17, 1.0, v17
	v_sub_f32_e32 v16, v32, v16
	v_add_f32_e32 v18, v16, v17
	v_frexp_mant_f32_e32 v19, v15
	v_cvt_f64_f32_e32 v[16:17], v15
	v_frexp_exp_i32_f64_e32 v16, v[16:17]
	v_cmp_gt_f32_e32 vcc, s45, v19
	v_cmp_gt_f32_e64 s[36:37], s47, v32
	s_nop 0
	v_subbrev_co_u32_e32 v24, vcc, 0, v16, vcc
	v_sub_u32_e32 v16, 0, v24
	v_ldexp_f32 v15, v15, v16
	v_ldexp_f32 v16, v18, v16
	v_add_f32_e32 v18, -1.0, v15
	v_add_f32_e32 v17, 1.0, v18
	v_sub_f32_e32 v17, v15, v17
	v_add_f32_e32 v19, v16, v17
	v_add_f32_e32 v17, 1.0, v15
	v_add_f32_e32 v20, -1.0, v17
	v_sub_f32_e32 v15, v15, v20
	v_add_f32_e32 v15, v16, v15
	v_add_f32_e32 v25, v17, v15
	v_rcp_f32_e32 v26, v25
	v_sub_f32_e32 v16, v17, v25
	v_add_f32_e32 v17, v18, v19
	v_add_f32_e32 v15, v15, v16
	v_mul_f32_e32 v28, v17, v26
	v_sub_f32_e32 v16, v18, v17
	v_mul_f32_e32 v18, v25, v28
	v_fma_f32 v20, v28, v25, -v18
	v_fmac_f32_e32 v20, v28, v15
	v_add_f32_e32 v27, v19, v16
	v_add_f32_e32 v16, v18, v20
	v_sub_f32_e32 v19, v17, v16
	v_pk_add_f32 v[22:23], v[16:17], v[18:19] neg_lo:[0,1] neg_hi:[0,1]
	v_mov_b32_e32 v21, v16
	v_pk_add_f32 v[16:17], v[22:23], v[20:21] neg_lo:[0,1] neg_hi:[0,1]
	v_cmp_eq_f32_e32 vcc, s44, v32
	v_add_f32_e32 v17, v27, v17
	v_add_f32_e32 v16, v16, v17
	;; [unrolled: 1-line block ×3, first 2 shown]
	v_mul_f32_e32 v27, v26, v17
	v_mul_f32_e32 v18, v25, v27
	v_fma_f32 v20, v27, v25, -v18
	v_fmac_f32_e32 v20, v27, v15
	v_sub_f32_e32 v15, v19, v17
	v_add_f32_e32 v15, v16, v15
	v_add_f32_e32 v16, v18, v20
	v_sub_f32_e32 v19, v17, v16
	v_pk_add_f32 v[22:23], v[16:17], v[18:19] neg_lo:[0,1] neg_hi:[0,1]
	v_mov_b32_e32 v21, v16
	v_pk_add_f32 v[16:17], v[22:23], v[20:21] neg_lo:[0,1] neg_hi:[0,1]
	s_or_b64 vcc, s[36:37], vcc
	v_add_f32_e32 v15, v15, v17
	v_add_f32_e32 v15, v16, v15
	;; [unrolled: 1-line block ×4, first 2 shown]
	v_sub_f32_e32 v16, v17, v28
	v_mul_f32_e32 v15, v26, v15
	v_sub_f32_e32 v16, v27, v16
	v_add_f32_e32 v18, v16, v15
	v_add_f32_e32 v20, v17, v18
	v_cvt_f32_i32_e32 v16, v24
	v_mul_f32_e32 v21, v20, v20
	v_sub_f32_e32 v17, v20, v17
	v_fmamk_f32 v15, v21, 0x3e9b6dac, v72
	v_sub_f32_e32 v17, v18, v17
	v_fmaak_f32 v15, v21, v15, 0x3f2aaada
	v_ldexp_f32 v22, v17, 1
	v_mul_f32_e32 v17, v20, v21
	v_ldexp_f32 v19, v20, 1
	v_pk_mul_f32 v[20:21], v[16:17], v[14:15]
	s_nop 0
	v_fma_f32 v18, v16, s46, -v20
	v_fmac_f32_e32 v18, 0xb102e308, v16
	v_pk_add_f32 v[16:17], v[20:21], v[18:19]
	s_nop 0
	v_sub_f32_e32 v15, v17, v19
	v_sub_f32_e32 v15, v21, v15
	v_add_f32_e32 v23, v22, v15
	v_mov_b32_e32 v22, v20
	v_pk_add_f32 v[20:21], v[16:17], v[20:21] neg_lo:[0,1] neg_hi:[0,1]
	v_pk_add_f32 v[24:25], v[16:17], v[22:23]
	v_mov_b32_e32 v19, v16
	v_mov_b32_e32 v21, v25
	v_pk_add_f32 v[26:27], v[18:19], v[20:21] neg_lo:[0,1] neg_hi:[0,1]
	v_pk_add_f32 v[18:19], v[18:19], v[20:21]
	v_mov_b32_e32 v22, v23
	v_mov_b32_e32 v20, v19
	v_pk_add_f32 v[28:29], v[20:21], v[16:17] neg_lo:[0,1] neg_hi:[0,1]
	v_mov_b32_e32 v18, v25
	v_mov_b32_e32 v15, v28
	v_pk_add_f32 v[30:31], v[24:25], v[14:15] neg_lo:[0,1] neg_hi:[0,1]
	v_mov_b32_e32 v24, v17
	v_mov_b32_e32 v25, v28
	;; [unrolled: 1-line block ×3, first 2 shown]
	v_pk_add_f32 v[18:19], v[18:19], v[24:25] neg_lo:[0,1] neg_hi:[0,1]
	v_mov_b32_e32 v23, v16
	v_pk_add_f32 v[16:17], v[22:23], v[18:19] neg_lo:[0,1] neg_hi:[0,1]
	v_mov_b32_e32 v30, v26
	v_pk_add_f32 v[18:19], v[30:31], v[16:17]
	s_nop 0
	v_mov_b32_e32 v22, v19
	v_pk_add_f32 v[22:23], v[18:19], v[22:23]
	s_nop 0
	v_pk_add_f32 v[20:21], v[20:21], v[22:23]
	v_mov_b32_e32 v17, v22
	v_mov_b32_e32 v19, v20
	v_pk_add_f32 v[24:25], v[18:19], v[26:27] neg_lo:[0,1] neg_hi:[0,1]
	s_nop 0
	v_sub_f32_e32 v15, v18, v24
	v_pk_add_f32 v[16:17], v[16:17], v[24:25] neg_lo:[0,1] neg_hi:[0,1]
	v_sub_f32_e32 v15, v26, v15
	v_add_f32_e32 v15, v16, v15
	v_add_f32_e32 v15, v15, v17
	;; [unrolled: 1-line block ×3, first 2 shown]
	v_cndmask_b32_e32 v15, v15, v32, vcc
.LBB138_57:                             ;   in Loop: Header=BB138_11 Depth=1
	s_or_b64 exec, exec, s[38:39]
	v_readlane_b32 s36, v95, 0
	s_waitcnt lgkmcnt(0)
	; wave barrier
	s_nop 0
	v_mul_f32_e32 v16, s36, v8
	v_mul_f32_e32 v19, s36, v7
	;; [unrolled: 1-line block ×8, first 2 shown]
	v_readlane_b32 s36, v95, 2
	v_readlane_b32 s37, v95, 3
	s_and_b64 vcc, exec, s[36:37]
	s_cbranch_vccz .LBB138_118
; %bb.58:                               ;   in Loop: Header=BB138_11 Depth=1
	s_cmp_lg_u32 s82, 0
	v_readlane_b32 s36, v95, 8
	v_readlane_b32 s62, v95, 5
	v_mul_f32_e32 v90, v2, v76
	s_cselect_b64 s[88:89], -1, 0
	s_cmp_eq_u32 s82, s36
	v_cmp_gt_u32_e32 vcc, s50, v11
	v_readlane_b32 s63, v95, 6
	v_or_b32_e32 v2, 1, v11
	s_cselect_b64 s[90:91], -1, 0
	s_or_b64 s[36:37], s[62:63], vcc
	v_cmp_gt_u32_e32 vcc, s50, v2
	v_or_b32_e32 v2, 2, v11
	s_or_b64 s[38:39], s[62:63], vcc
	v_cmp_gt_u32_e32 vcc, s50, v2
	v_or_b32_e32 v2, 3, v11
	;; [unrolled: 3-line block ×6, first 2 shown]
	s_or_b64 s[48:49], s[62:63], vcc
	v_cmp_gt_u32_e32 vcc, s50, v2
	v_mul_f32_e32 v83, v9, v15
	v_lshl_add_u64 v[24:25], s[54:55], 0, v[0:1]
	v_lshl_add_u64 v[26:27], s[58:59], 0, v[0:1]
	v_mul_f32_e32 v84, v8, v82
	v_mul_f32_e32 v85, v7, v81
	;; [unrolled: 1-line block ×6, first 2 shown]
	s_or_b64 s[50:51], s[62:63], vcc
	s_mov_b32 s78, s60
	s_mov_b32 s92, 0
	;; [unrolled: 1-line block ×4, first 2 shown]
	v_readlane_b32 s87, v95, 1
	v_readlane_b32 s83, v95, 9
	s_branch .LBB138_60
.LBB138_59:                             ;   in Loop: Header=BB138_60 Depth=2
	s_or_b64 exec, exec, s[62:63]
	v_mul_f32_e32 v28, v91, v69
	v_fma_f32 v29, v91, v70, v30
	v_cndmask_b32_e64 v30, v29, v30, s[16:17]
	v_cndmask_b32_e64 v28, v28, v91, s[16:17]
	s_waitcnt lgkmcnt(0)
	v_fmac_f32_e32 v30, v38, v28
	v_fmac_f32_e32 v31, v30, v92
	;; [unrolled: 1-line block ×8, first 2 shown]
	s_add_i32 s83, s83, 8
	s_add_i32 s87, s87, -1
	s_add_i32 s96, s96, s74
	s_add_i32 s94, s94, s52
	s_add_i32 s92, s92, s56
	s_add_i32 s78, s78, s53
	v_pk_fma_f32 v[22:23], v[8:9], v[30:31], v[22:23]
	v_pk_fma_f32 v[20:21], v[6:7], v[32:33], v[20:21]
	;; [unrolled: 1-line block ×3, first 2 shown]
	s_cmp_eq_u32 s87, 0
	v_pk_fma_f32 v[16:17], v[2:3], v[34:35], v[16:17]
	s_mov_b32 s61, s53
	s_mov_b32 s64, s56
	s_cbranch_scc1 .LBB138_117
.LBB138_60:                             ;   Parent Loop BB138_11 Depth=1
                                        ; =>  This Inner Loop Header: Depth=2
	s_lshl_b64 s[62:63], s[78:79], 2
	s_add_u32 s62, s33, s62
	s_addc_u32 s63, s75, s63
	global_load_dword v38, v1, s[62:63]
	s_mov_b32 s61, s60
	s_mov_b32 s93, s79
	;; [unrolled: 1-line block ×8, first 2 shown]
	v_mov_b64_e32 v[2:3], s[60:61]
	v_lshl_add_u64 v[28:29], s[92:93], 2, v[24:25]
	v_mov_b64_e32 v[4:5], s[62:63]
	v_mov_b64_e32 v[6:7], s[64:65]
	;; [unrolled: 1-line block ×3, first 2 shown]
	v_mov_b32_e32 v30, 0
	s_and_saveexec_b64 s[62:63], s[18:19]
	s_cbranch_execnz .LBB138_80
; %bb.61:                               ;   in Loop: Header=BB138_60 Depth=2
	s_or_b64 exec, exec, s[62:63]
	s_and_saveexec_b64 s[62:63], s[20:21]
	s_cbranch_execnz .LBB138_81
.LBB138_62:                             ;   in Loop: Header=BB138_60 Depth=2
	s_or_b64 exec, exec, s[62:63]
	s_and_saveexec_b64 s[62:63], s[22:23]
	s_cbranch_execnz .LBB138_82
.LBB138_63:                             ;   in Loop: Header=BB138_60 Depth=2
	s_or_b64 exec, exec, s[62:63]
	s_and_saveexec_b64 s[62:63], s[24:25]
	s_cbranch_execnz .LBB138_83
.LBB138_64:                             ;   in Loop: Header=BB138_60 Depth=2
	s_or_b64 exec, exec, s[62:63]
	s_and_saveexec_b64 s[62:63], s[26:27]
	s_cbranch_execnz .LBB138_84
.LBB138_65:                             ;   in Loop: Header=BB138_60 Depth=2
	s_or_b64 exec, exec, s[62:63]
	s_and_saveexec_b64 s[62:63], s[28:29]
	s_cbranch_execnz .LBB138_85
.LBB138_66:                             ;   in Loop: Header=BB138_60 Depth=2
	s_or_b64 exec, exec, s[62:63]
	s_and_saveexec_b64 s[62:63], s[30:31]
	s_cbranch_execnz .LBB138_86
.LBB138_67:                             ;   in Loop: Header=BB138_60 Depth=2
	s_or_b64 exec, exec, s[62:63]
	s_and_saveexec_b64 s[62:63], s[34:35]
	s_cbranch_execz .LBB138_69
.LBB138_68:                             ;   in Loop: Header=BB138_60 Depth=2
	global_load_dword v9, v[28:29], off offset:1792
.LBB138_69:                             ;   in Loop: Header=BB138_60 Depth=2
	s_or_b64 exec, exec, s[62:63]
	s_waitcnt vmcnt(0)
	ds_write_b32 v47, v30
	ds_write_b32 v48, v3 offset:256
	ds_write_b32 v49, v4 offset:512
	;; [unrolled: 1-line block ×7, first 2 shown]
	; wave barrier
	ds_read2_b32 v[30:31], v55 offset1:1
	ds_read2_b32 v[32:33], v55 offset0:2 offset1:3
	ds_read2_b32 v[36:37], v55 offset0:4 offset1:5
	ds_read2_b32 v[34:35], v55 offset0:6 offset1:7
	s_mov_b32 s64, s79
	s_mov_b32 s65, s79
	;; [unrolled: 1-line block ×9, first 2 shown]
	v_mov_b64_e32 v[2:3], s[64:65]
	v_lshl_add_u64 v[28:29], s[94:95], 2, v[26:27]
	v_mov_b64_e32 v[4:5], s[66:67]
	v_mov_b64_e32 v[6:7], s[68:69]
	;; [unrolled: 1-line block ×3, first 2 shown]
	v_mov_b32_e32 v39, 0
	s_and_saveexec_b64 s[62:63], s[18:19]
	s_cbranch_execnz .LBB138_87
; %bb.70:                               ;   in Loop: Header=BB138_60 Depth=2
	s_or_b64 exec, exec, s[62:63]
	s_and_saveexec_b64 s[62:63], s[20:21]
	s_cbranch_execnz .LBB138_88
.LBB138_71:                             ;   in Loop: Header=BB138_60 Depth=2
	s_or_b64 exec, exec, s[62:63]
	s_and_saveexec_b64 s[62:63], s[22:23]
	s_cbranch_execnz .LBB138_89
.LBB138_72:                             ;   in Loop: Header=BB138_60 Depth=2
	s_or_b64 exec, exec, s[62:63]
	s_and_saveexec_b64 s[62:63], s[24:25]
	s_cbranch_execnz .LBB138_90
.LBB138_73:                             ;   in Loop: Header=BB138_60 Depth=2
	s_or_b64 exec, exec, s[62:63]
	s_and_saveexec_b64 s[62:63], s[26:27]
	s_cbranch_execnz .LBB138_91
.LBB138_74:                             ;   in Loop: Header=BB138_60 Depth=2
	s_or_b64 exec, exec, s[62:63]
	s_and_saveexec_b64 s[62:63], s[28:29]
	s_cbranch_execnz .LBB138_92
.LBB138_75:                             ;   in Loop: Header=BB138_60 Depth=2
	s_or_b64 exec, exec, s[62:63]
	s_and_saveexec_b64 s[62:63], s[30:31]
	s_cbranch_execnz .LBB138_93
.LBB138_76:                             ;   in Loop: Header=BB138_60 Depth=2
	s_or_b64 exec, exec, s[62:63]
	s_and_saveexec_b64 s[62:63], s[34:35]
	s_cbranch_execz .LBB138_78
.LBB138_77:                             ;   in Loop: Header=BB138_60 Depth=2
	global_load_dword v9, v[28:29], off offset:1792
.LBB138_78:                             ;   in Loop: Header=BB138_60 Depth=2
	s_or_b64 exec, exec, s[62:63]
	v_add_u32_e32 v2, 0x840, v55
	s_waitcnt vmcnt(0)
	ds_write_b32 v47, v39 offset:2112
	ds_write_b32 v56, v3 offset:256
	;; [unrolled: 1-line block ×8, first 2 shown]
	; wave barrier
	ds_read2_b32 v[6:7], v63 offset0:2 offset1:3
	ds_read2_b32 v[4:5], v63 offset0:4 offset1:5
	ds_read2_b32 v[8:9], v2 offset1:1
	ds_read2_b32 v[2:3], v63 offset0:6 offset1:7
	s_andn2_b64 vcc, exec, s[88:89]
	s_cbranch_vccnz .LBB138_94
; %bb.79:                               ;   in Loop: Header=BB138_60 Depth=2
	v_mov_b32_e32 v28, s83
	ds_read_b64 v[28:29], v28
	s_cbranch_execz .LBB138_95
	s_branch .LBB138_98
.LBB138_80:                             ;   in Loop: Header=BB138_60 Depth=2
	global_load_dword v30, v[28:29], off
	v_mov_b32_e32 v2, v1
	v_mov_b32_e32 v3, v1
	;; [unrolled: 1-line block ×6, first 2 shown]
	v_mov_b64_e32 v[8:9], v[6:7]
	v_mov_b64_e32 v[6:7], v[4:5]
	;; [unrolled: 1-line block ×4, first 2 shown]
	s_or_b64 exec, exec, s[62:63]
	s_and_saveexec_b64 s[62:63], s[20:21]
	s_cbranch_execz .LBB138_62
.LBB138_81:                             ;   in Loop: Header=BB138_60 Depth=2
	global_load_dword v3, v[28:29], off offset:256
	s_or_b64 exec, exec, s[62:63]
	s_and_saveexec_b64 s[62:63], s[22:23]
	s_cbranch_execz .LBB138_63
.LBB138_82:                             ;   in Loop: Header=BB138_60 Depth=2
	global_load_dword v4, v[28:29], off offset:512
	s_or_b64 exec, exec, s[62:63]
	s_and_saveexec_b64 s[62:63], s[24:25]
	s_cbranch_execz .LBB138_64
.LBB138_83:                             ;   in Loop: Header=BB138_60 Depth=2
	global_load_dword v5, v[28:29], off offset:768
	s_or_b64 exec, exec, s[62:63]
	s_and_saveexec_b64 s[62:63], s[26:27]
	s_cbranch_execz .LBB138_65
.LBB138_84:                             ;   in Loop: Header=BB138_60 Depth=2
	global_load_dword v6, v[28:29], off offset:1024
	s_or_b64 exec, exec, s[62:63]
	s_and_saveexec_b64 s[62:63], s[28:29]
	s_cbranch_execz .LBB138_66
.LBB138_85:                             ;   in Loop: Header=BB138_60 Depth=2
	global_load_dword v7, v[28:29], off offset:1280
	s_or_b64 exec, exec, s[62:63]
	s_and_saveexec_b64 s[62:63], s[30:31]
	s_cbranch_execz .LBB138_67
.LBB138_86:                             ;   in Loop: Header=BB138_60 Depth=2
	global_load_dword v8, v[28:29], off offset:1536
	s_or_b64 exec, exec, s[62:63]
	s_and_saveexec_b64 s[62:63], s[34:35]
	s_cbranch_execnz .LBB138_68
	s_branch .LBB138_69
.LBB138_87:                             ;   in Loop: Header=BB138_60 Depth=2
	global_load_dword v39, v[28:29], off
	v_mov_b32_e32 v2, v1
	v_mov_b32_e32 v3, v1
	;; [unrolled: 1-line block ×6, first 2 shown]
	v_mov_b64_e32 v[8:9], v[6:7]
	v_mov_b64_e32 v[6:7], v[4:5]
	;; [unrolled: 1-line block ×4, first 2 shown]
	s_or_b64 exec, exec, s[62:63]
	s_and_saveexec_b64 s[62:63], s[20:21]
	s_cbranch_execz .LBB138_71
.LBB138_88:                             ;   in Loop: Header=BB138_60 Depth=2
	global_load_dword v3, v[28:29], off offset:256
	s_or_b64 exec, exec, s[62:63]
	s_and_saveexec_b64 s[62:63], s[22:23]
	s_cbranch_execz .LBB138_72
.LBB138_89:                             ;   in Loop: Header=BB138_60 Depth=2
	global_load_dword v4, v[28:29], off offset:512
	s_or_b64 exec, exec, s[62:63]
	s_and_saveexec_b64 s[62:63], s[24:25]
	s_cbranch_execz .LBB138_73
.LBB138_90:                             ;   in Loop: Header=BB138_60 Depth=2
	global_load_dword v5, v[28:29], off offset:768
	s_or_b64 exec, exec, s[62:63]
	s_and_saveexec_b64 s[62:63], s[26:27]
	s_cbranch_execz .LBB138_74
.LBB138_91:                             ;   in Loop: Header=BB138_60 Depth=2
	global_load_dword v6, v[28:29], off offset:1024
	s_or_b64 exec, exec, s[62:63]
	s_and_saveexec_b64 s[62:63], s[28:29]
	s_cbranch_execz .LBB138_75
.LBB138_92:                             ;   in Loop: Header=BB138_60 Depth=2
	global_load_dword v7, v[28:29], off offset:1280
	s_or_b64 exec, exec, s[62:63]
	s_and_saveexec_b64 s[62:63], s[30:31]
	s_cbranch_execz .LBB138_76
.LBB138_93:                             ;   in Loop: Header=BB138_60 Depth=2
	global_load_dword v8, v[28:29], off offset:1536
	s_or_b64 exec, exec, s[62:63]
	s_and_saveexec_b64 s[62:63], s[34:35]
	s_cbranch_execnz .LBB138_77
	s_branch .LBB138_78
.LBB138_94:                             ;   in Loop: Header=BB138_60 Depth=2
                                        ; implicit-def: $vgpr29
.LBB138_95:                             ;   in Loop: Header=BB138_60 Depth=2
	s_andn2_b64 vcc, exec, s[76:77]
	s_waitcnt lgkmcnt(0)
	v_mov_b32_e32 v29, 0
	s_cbranch_vccnz .LBB138_97
; %bb.96:                               ;   in Loop: Header=BB138_60 Depth=2
	s_mov_b32 s97, s79
	s_lshl_b64 s[62:63], s[96:97], 2
	s_add_u32 s62, s98, s62
	s_addc_u32 s63, s86, s63
	global_load_dword v29, v1, s[62:63]
.LBB138_97:                             ;   in Loop: Header=BB138_60 Depth=2
	v_mov_b32_e32 v28, 1.0
.LBB138_98:                             ;   in Loop: Header=BB138_60 Depth=2
	v_mul_f32_e32 v38, 0x3fb8aa3b, v38
	v_mul_f32_e32 v39, v38, v76
	v_cmp_gt_f32_e32 vcc, s99, v39
	s_waitcnt lgkmcnt(14)
	v_mul_f32_e32 v30, v30, v90
	v_mul_f32_e32 v31, v31, v89
	v_cndmask_b32_e32 v39, 0, v74, vcc
	v_fmac_f32_e32 v39, v38, v76
	v_exp_f32_e32 v39, v39
	v_cndmask_b32_e32 v65, 1.0, v75, vcc
	v_cndmask_b32_e64 v30, 0, v30, s[36:37]
	v_cndmask_b32_e64 v31, 0, v31, s[38:39]
	v_mul_f32_e32 v39, v39, v65
	v_mul_f32_e32 v65, v38, v77
	v_cmp_gt_f32_e32 vcc, s99, v65
	v_cndmask_b32_e64 v91, 1.0, v39, s[36:37]
	v_mul_f32_e32 v32, v32, v88
	v_cndmask_b32_e32 v65, 0, v74, vcc
	v_fmac_f32_e32 v65, v38, v77
	v_exp_f32_e32 v65, v65
	v_cndmask_b32_e32 v39, 1.0, v75, vcc
	v_cndmask_b32_e64 v32, 0, v32, s[40:41]
	v_mul_f32_e32 v33, v33, v87
	v_mul_f32_e32 v39, v65, v39
	;; [unrolled: 1-line block ×3, first 2 shown]
	v_cmp_gt_f32_e32 vcc, s99, v65
	v_cndmask_b32_e64 v92, 1.0, v39, s[38:39]
	v_cndmask_b32_e64 v33, 0, v33, s[42:43]
	v_cndmask_b32_e32 v65, 0, v74, vcc
	v_fmac_f32_e32 v65, v38, v78
	v_exp_f32_e32 v65, v65
	v_cndmask_b32_e32 v39, 1.0, v75, vcc
	s_waitcnt lgkmcnt(13)
	v_mul_f32_e32 v36, v36, v86
	v_cndmask_b32_e64 v36, 0, v36, s[44:45]
	v_mul_f32_e32 v39, v65, v39
	v_mul_f32_e32 v65, v38, v79
	v_cmp_gt_f32_e32 vcc, s99, v65
	v_cndmask_b32_e64 v93, 1.0, v39, s[40:41]
	v_mul_f32_e32 v37, v37, v85
	v_cndmask_b32_e32 v65, 0, v74, vcc
	v_fmac_f32_e32 v65, v38, v79
	v_exp_f32_e32 v65, v65
	v_cndmask_b32_e32 v39, 1.0, v75, vcc
	v_cndmask_b32_e64 v37, 0, v37, s[46:47]
	s_waitcnt lgkmcnt(12)
	v_mul_f32_e32 v34, v34, v84
	v_mul_f32_e32 v39, v65, v39
	;; [unrolled: 1-line block ×3, first 2 shown]
	v_cmp_gt_f32_e32 vcc, s99, v65
	v_cndmask_b32_e64 v94, 1.0, v39, s[42:43]
	v_cndmask_b32_e64 v34, 0, v34, s[48:49]
	v_cndmask_b32_e32 v65, 0, v74, vcc
	v_fmac_f32_e32 v65, v38, v80
	v_exp_f32_e32 v65, v65
	v_cndmask_b32_e32 v39, 1.0, v75, vcc
	v_mul_f32_e32 v35, v35, v83
	v_cndmask_b32_e64 v35, 0, v35, s[50:51]
	v_mul_f32_e32 v39, v65, v39
	v_mul_f32_e32 v65, v38, v81
	v_cmp_gt_f32_e32 vcc, s99, v65
	s_nop 1
	v_cndmask_b32_e32 v65, 0, v74, vcc
	v_fmac_f32_e32 v65, v38, v81
	v_exp_f32_e32 v66, v65
	v_cndmask_b32_e64 v65, 1.0, v39, s[44:45]
	v_cndmask_b32_e32 v39, 1.0, v75, vcc
	v_mul_f32_e32 v39, v66, v39
	v_mul_f32_e32 v66, v38, v82
	v_cmp_gt_f32_e32 vcc, s99, v66
	s_nop 1
	v_cndmask_b32_e32 v66, 0, v74, vcc
	v_fmac_f32_e32 v66, v38, v82
	v_exp_f32_e32 v67, v66
	v_cndmask_b32_e64 v66, 1.0, v39, s[46:47]
	v_cndmask_b32_e32 v39, 1.0, v75, vcc
	;; [unrolled: 9-line block ×3, first 2 shown]
	v_mul_f32_e32 v38, v38, v39
	v_cndmask_b32_e64 v68, 1.0, v38, s[50:51]
	v_mul_f32_e32 v38, v92, v91
	v_fma_f32 v39, v92, v30, v31
	v_mul_f32_e32 v38, v38, v93
	v_fma_f32 v39, v39, v93, v32
	;; [unrolled: 2-line block ×7, first 2 shown]
	s_nop 0
	v_mov_b32_dpp v70, v38 row_shr:1 row_mask:0xf bank_mask:0xf
	v_mov_b32_dpp v69, v71 row_shr:1 row_mask:0xf bank_mask:0xf
	s_and_saveexec_b64 s[62:63], s[0:1]
; %bb.99:                               ;   in Loop: Header=BB138_60 Depth=2
	v_mul_f32_e32 v70, v38, v70
	v_fmac_f32_e32 v71, v38, v69
	v_mov_b32_e32 v38, v70
; %bb.100:                              ;   in Loop: Header=BB138_60 Depth=2
	s_or_b64 exec, exec, s[62:63]
	s_nop 0
	v_mov_b32_dpp v69, v38 row_shr:2 row_mask:0xf bank_mask:0xf
	v_mov_b32_dpp v70, v71 row_shr:2 row_mask:0xf bank_mask:0xf
	s_and_saveexec_b64 s[62:63], s[2:3]
; %bb.101:                              ;   in Loop: Header=BB138_60 Depth=2
	v_fmac_f32_e32 v71, v38, v70
	v_mul_f32_e32 v38, v38, v69
; %bb.102:                              ;   in Loop: Header=BB138_60 Depth=2
	s_or_b64 exec, exec, s[62:63]
	s_nop 0
	v_mov_b32_dpp v69, v38 row_shr:4 row_mask:0xf bank_mask:0xf
	v_mov_b32_dpp v70, v71 row_shr:4 row_mask:0xf bank_mask:0xf
	s_and_saveexec_b64 s[62:63], s[4:5]
; %bb.103:                              ;   in Loop: Header=BB138_60 Depth=2
	v_fmac_f32_e32 v71, v38, v70
	v_mul_f32_e32 v38, v38, v69
	;; [unrolled: 9-line block ×3, first 2 shown]
; %bb.106:                              ;   in Loop: Header=BB138_60 Depth=2
	s_or_b64 exec, exec, s[62:63]
	s_nop 0
	v_mov_b32_dpp v69, v38 row_bcast:15 row_mask:0xf bank_mask:0xf
	v_mov_b32_dpp v70, v71 row_bcast:15 row_mask:0xf bank_mask:0xf
	s_and_saveexec_b64 s[62:63], s[8:9]
; %bb.107:                              ;   in Loop: Header=BB138_60 Depth=2
	v_fmac_f32_e32 v71, v38, v70
	v_mul_f32_e32 v38, v38, v69
; %bb.108:                              ;   in Loop: Header=BB138_60 Depth=2
	s_or_b64 exec, exec, s[62:63]
	s_nop 0
	v_mov_b32_dpp v69, v38 row_bcast:31 row_mask:0xf bank_mask:0xf
	v_mov_b32_dpp v70, v71 row_bcast:31 row_mask:0xf bank_mask:0xf
	v_mov_b32_e32 v39, v71
	v_mul_f32_e32 v69, v38, v69
	v_fmac_f32_e32 v39, v38, v70
	v_cndmask_b32_e64 v38, v38, v69, s[10:11]
	v_cndmask_b32_e64 v39, v71, v39, s[10:11]
	s_and_saveexec_b64 s[62:63], s[12:13]
	s_cbranch_execz .LBB138_110
; %bb.109:                              ;   in Loop: Header=BB138_60 Depth=2
	ds_write_b64 v1, v[38:39] offset:4224
.LBB138_110:                            ;   in Loop: Header=BB138_60 Depth=2
	s_or_b64 exec, exec, s[62:63]
	ds_bpermute_b32 v69, v64, v38
	ds_bpermute_b32 v70, v64, v39
	s_waitcnt vmcnt(0) lgkmcnt(2)
	v_mov_b32_e32 v39, v29
	s_waitcnt lgkmcnt(0)
	; wave barrier
	s_waitcnt lgkmcnt(0)
	s_and_saveexec_b64 s[62:63], s[14:15]
	s_cbranch_execz .LBB138_114
; %bb.111:                              ;   in Loop: Header=BB138_60 Depth=2
	ds_read_b64 v[38:39], v1 offset:4224
	s_and_saveexec_b64 s[64:65], s[16:17]
	s_cbranch_execz .LBB138_113
; %bb.112:                              ;   in Loop: Header=BB138_60 Depth=2
	ds_write_b64 v1, v[28:29] offset:4224
.LBB138_113:                            ;   in Loop: Header=BB138_60 Depth=2
	s_or_b64 exec, exec, s[64:65]
	s_waitcnt lgkmcnt(0)
	v_fmac_f32_e32 v39, v29, v38
	v_mul_f32_e32 v28, v28, v38
	v_mov_b32_e32 v29, v39
.LBB138_114:                            ;   in Loop: Header=BB138_60 Depth=2
	s_or_b64 exec, exec, s[62:63]
	s_waitcnt lgkmcnt(0)
	; wave barrier
	ds_read_b32 v38, v1 offset:4228
	s_and_saveexec_b64 s[62:63], s[16:17]
	s_cbranch_execz .LBB138_59
; %bb.115:                              ;   in Loop: Header=BB138_60 Depth=2
	v_mov_b32_e32 v71, s83
	s_andn2_b64 vcc, exec, s[90:91]
	ds_write_b64 v71, v[28:29]
	s_cbranch_vccnz .LBB138_59
; %bb.116:                              ;   in Loop: Header=BB138_60 Depth=2
	s_mov_b32 s97, s79
	s_lshl_b64 s[64:65], s[96:97], 2
	s_add_u32 s64, s98, s64
	s_addc_u32 s65, s86, s65
	global_store_dword v1, v39, s[64:65]
	s_branch .LBB138_59
.LBB138_117:                            ;   in Loop: Header=BB138_11 Depth=1
	s_mov_b32 s40, 0x41a00000
	s_mov_b32 s41, 0x3fb8aa3b
	s_mov_b32 s42, 0xc2ce8ed0
	s_mov_b32 s43, 0x42b17218
	s_mov_b32 s44, 0x7f800000
	s_mov_b32 s45, 0x3f2aaaab
	s_mov_b32 s46, 0x3f317218
	s_mov_b32 s47, 0x33800000
.LBB138_118:                            ;   in Loop: Header=BB138_11 Depth=1
	s_waitcnt lgkmcnt(0)
	; wave barrier
	ds_write2_b32 v55, v22, v23 offset1:1
	ds_write2_b32 v55, v20, v21 offset0:2 offset1:3
	ds_write2_b32 v55, v18, v19 offset0:4 offset1:5
	;; [unrolled: 1-line block ×3, first 2 shown]
	; wave barrier
	ds_read_b32 v15, v48 offset:256
	ds_read_b32 v9, v49 offset:512
	;; [unrolled: 1-line block ×7, first 2 shown]
	v_readlane_b32 s36, v95, 10
	v_readlane_b32 s37, v95, 11
	s_mov_b32 s37, s79
	s_nop 0
	v_lshl_add_u64 v[2:3], s[36:37], 2, v[12:13]
	s_and_saveexec_b64 s[36:37], s[18:19]
	s_cbranch_execnz .LBB138_128
; %bb.119:                              ;   in Loop: Header=BB138_11 Depth=1
	s_or_b64 exec, exec, s[36:37]
	s_and_saveexec_b64 s[18:19], s[20:21]
	s_cbranch_execnz .LBB138_129
.LBB138_120:                            ;   in Loop: Header=BB138_11 Depth=1
	s_or_b64 exec, exec, s[18:19]
	s_and_saveexec_b64 s[18:19], s[22:23]
	s_cbranch_execnz .LBB138_130
.LBB138_121:                            ;   in Loop: Header=BB138_11 Depth=1
	s_or_b64 exec, exec, s[18:19]
	s_and_saveexec_b64 s[18:19], s[24:25]
	s_cbranch_execnz .LBB138_131
.LBB138_122:                            ;   in Loop: Header=BB138_11 Depth=1
	s_or_b64 exec, exec, s[18:19]
	s_and_saveexec_b64 s[18:19], s[26:27]
	s_cbranch_execnz .LBB138_132
.LBB138_123:                            ;   in Loop: Header=BB138_11 Depth=1
	s_or_b64 exec, exec, s[18:19]
	s_and_saveexec_b64 s[18:19], s[28:29]
	s_cbranch_execnz .LBB138_133
.LBB138_124:                            ;   in Loop: Header=BB138_11 Depth=1
	s_or_b64 exec, exec, s[18:19]
	s_and_saveexec_b64 s[18:19], s[30:31]
	s_cbranch_execnz .LBB138_134
.LBB138_125:                            ;   in Loop: Header=BB138_11 Depth=1
	s_or_b64 exec, exec, s[18:19]
	s_and_saveexec_b64 s[18:19], s[34:35]
	s_cbranch_execz .LBB138_10
	s_branch .LBB138_135
.LBB138_126:                            ;   in Loop: Header=BB138_11 Depth=1
	global_load_dword v23, v[16:17], off offset:1280
	s_or_b64 exec, exec, s[36:37]
	s_and_saveexec_b64 s[36:37], s[30:31]
	s_cbranch_execz .LBB138_39
.LBB138_127:                            ;   in Loop: Header=BB138_11 Depth=1
	global_load_dword v22, v[16:17], off offset:1536
	s_or_b64 exec, exec, s[36:37]
	v_mov_b32_e32 v24, 0
	s_and_saveexec_b64 s[36:37], s[34:35]
	s_cbranch_execnz .LBB138_40
	s_branch .LBB138_41
.LBB138_128:                            ;   in Loop: Header=BB138_11 Depth=1
	ds_read_b32 v16, v47
	s_waitcnt lgkmcnt(0)
	global_store_dword v[2:3], v16, off
	s_or_b64 exec, exec, s[36:37]
	s_and_saveexec_b64 s[18:19], s[20:21]
	s_cbranch_execz .LBB138_120
.LBB138_129:                            ;   in Loop: Header=BB138_11 Depth=1
	s_waitcnt lgkmcnt(6)
	global_store_dword v[2:3], v15, off offset:256
	s_or_b64 exec, exec, s[18:19]
	s_and_saveexec_b64 s[18:19], s[22:23]
	s_cbranch_execz .LBB138_121
.LBB138_130:                            ;   in Loop: Header=BB138_11 Depth=1
	s_waitcnt lgkmcnt(5)
	global_store_dword v[2:3], v9, off offset:512
	s_or_b64 exec, exec, s[18:19]
	s_and_saveexec_b64 s[18:19], s[24:25]
	s_cbranch_execz .LBB138_122
.LBB138_131:                            ;   in Loop: Header=BB138_11 Depth=1
	s_waitcnt lgkmcnt(4)
	global_store_dword v[2:3], v8, off offset:768
	s_or_b64 exec, exec, s[18:19]
	s_and_saveexec_b64 s[18:19], s[26:27]
	s_cbranch_execz .LBB138_123
.LBB138_132:                            ;   in Loop: Header=BB138_11 Depth=1
	s_waitcnt lgkmcnt(3)
	global_store_dword v[2:3], v7, off offset:1024
	s_or_b64 exec, exec, s[18:19]
	s_and_saveexec_b64 s[18:19], s[28:29]
	s_cbranch_execz .LBB138_124
.LBB138_133:                            ;   in Loop: Header=BB138_11 Depth=1
	s_waitcnt lgkmcnt(2)
	global_store_dword v[2:3], v6, off offset:1280
	s_or_b64 exec, exec, s[18:19]
	s_and_saveexec_b64 s[18:19], s[30:31]
	s_cbranch_execz .LBB138_125
.LBB138_134:                            ;   in Loop: Header=BB138_11 Depth=1
	s_waitcnt lgkmcnt(1)
	global_store_dword v[2:3], v5, off offset:1536
	s_or_b64 exec, exec, s[18:19]
	s_and_saveexec_b64 s[18:19], s[34:35]
	s_cbranch_execz .LBB138_10
.LBB138_135:                            ;   in Loop: Header=BB138_11 Depth=1
	s_waitcnt lgkmcnt(0)
	global_store_dword v[2:3], v4, off offset:1792
	s_branch .LBB138_10
.LBB138_136:
	s_endpgm
.LBB138_137:
	s_mov_b64 s[76:77], 0
	s_load_dwordx2 s[4:5], s[0:1], 0x20
	s_cmp_eq_u64 s[6:7], 0
	s_cbranch_scc0 .LBB138_2
	s_branch .LBB138_3
	.section	.rodata,"a",@progbits
	.p2align	6, 0x0
	.amdhsa_kernel _Z25selective_scan_fwd_kernelI32Selective_Scan_fwd_kernel_traitsILi64ELi8ELi1ELb1ELb1ELb1ELb0ELb1EfffEEv13SSMParamsBase
		.amdhsa_group_segment_fixed_size 0
		.amdhsa_private_segment_fixed_size 0
		.amdhsa_kernarg_size 248
		.amdhsa_user_sgpr_count 2
		.amdhsa_user_sgpr_dispatch_ptr 0
		.amdhsa_user_sgpr_queue_ptr 0
		.amdhsa_user_sgpr_kernarg_segment_ptr 1
		.amdhsa_user_sgpr_dispatch_id 0
		.amdhsa_user_sgpr_kernarg_preload_length 0
		.amdhsa_user_sgpr_kernarg_preload_offset 0
		.amdhsa_user_sgpr_private_segment_size 0
		.amdhsa_uses_dynamic_stack 0
		.amdhsa_enable_private_segment 0
		.amdhsa_system_sgpr_workgroup_id_x 1
		.amdhsa_system_sgpr_workgroup_id_y 1
		.amdhsa_system_sgpr_workgroup_id_z 0
		.amdhsa_system_sgpr_workgroup_info 0
		.amdhsa_system_vgpr_workitem_id 0
		.amdhsa_next_free_vgpr 96
		.amdhsa_next_free_sgpr 100
		.amdhsa_accum_offset 96
		.amdhsa_reserve_vcc 1
		.amdhsa_float_round_mode_32 0
		.amdhsa_float_round_mode_16_64 0
		.amdhsa_float_denorm_mode_32 3
		.amdhsa_float_denorm_mode_16_64 3
		.amdhsa_dx10_clamp 1
		.amdhsa_ieee_mode 1
		.amdhsa_fp16_overflow 0
		.amdhsa_tg_split 0
		.amdhsa_exception_fp_ieee_invalid_op 0
		.amdhsa_exception_fp_denorm_src 0
		.amdhsa_exception_fp_ieee_div_zero 0
		.amdhsa_exception_fp_ieee_overflow 0
		.amdhsa_exception_fp_ieee_underflow 0
		.amdhsa_exception_fp_ieee_inexact 0
		.amdhsa_exception_int_div_zero 0
	.end_amdhsa_kernel
	.section	.text._Z25selective_scan_fwd_kernelI32Selective_Scan_fwd_kernel_traitsILi64ELi8ELi1ELb1ELb1ELb1ELb0ELb1EfffEEv13SSMParamsBase,"axG",@progbits,_Z25selective_scan_fwd_kernelI32Selective_Scan_fwd_kernel_traitsILi64ELi8ELi1ELb1ELb1ELb1ELb0ELb1EfffEEv13SSMParamsBase,comdat
.Lfunc_end138:
	.size	_Z25selective_scan_fwd_kernelI32Selective_Scan_fwd_kernel_traitsILi64ELi8ELi1ELb1ELb1ELb1ELb0ELb1EfffEEv13SSMParamsBase, .Lfunc_end138-_Z25selective_scan_fwd_kernelI32Selective_Scan_fwd_kernel_traitsILi64ELi8ELi1ELb1ELb1ELb1ELb0ELb1EfffEEv13SSMParamsBase
                                        ; -- End function
	.section	.AMDGPU.csdata,"",@progbits
; Kernel info:
; codeLenInByte = 10556
; NumSgprs: 106
; NumVgprs: 96
; NumAgprs: 0
; TotalNumVgprs: 96
; ScratchSize: 0
; MemoryBound: 0
; FloatMode: 240
; IeeeMode: 1
; LDSByteSize: 0 bytes/workgroup (compile time only)
; SGPRBlocks: 13
; VGPRBlocks: 11
; NumSGPRsForWavesPerEU: 106
; NumVGPRsForWavesPerEU: 96
; AccumOffset: 96
; Occupancy: 5
; WaveLimiterHint : 1
; COMPUTE_PGM_RSRC2:SCRATCH_EN: 0
; COMPUTE_PGM_RSRC2:USER_SGPR: 2
; COMPUTE_PGM_RSRC2:TRAP_HANDLER: 0
; COMPUTE_PGM_RSRC2:TGID_X_EN: 1
; COMPUTE_PGM_RSRC2:TGID_Y_EN: 1
; COMPUTE_PGM_RSRC2:TGID_Z_EN: 0
; COMPUTE_PGM_RSRC2:TIDIG_COMP_CNT: 0
; COMPUTE_PGM_RSRC3_GFX90A:ACCUM_OFFSET: 23
; COMPUTE_PGM_RSRC3_GFX90A:TG_SPLIT: 0
	.section	.text._Z25selective_scan_fwd_kernelI32Selective_Scan_fwd_kernel_traitsILi64ELi8ELi1ELb1ELb1ELb1ELb0ELb0EfffEEv13SSMParamsBase,"axG",@progbits,_Z25selective_scan_fwd_kernelI32Selective_Scan_fwd_kernel_traitsILi64ELi8ELi1ELb1ELb1ELb1ELb0ELb0EfffEEv13SSMParamsBase,comdat
	.protected	_Z25selective_scan_fwd_kernelI32Selective_Scan_fwd_kernel_traitsILi64ELi8ELi1ELb1ELb1ELb1ELb0ELb0EfffEEv13SSMParamsBase ; -- Begin function _Z25selective_scan_fwd_kernelI32Selective_Scan_fwd_kernel_traitsILi64ELi8ELi1ELb1ELb1ELb1ELb0ELb0EfffEEv13SSMParamsBase
	.globl	_Z25selective_scan_fwd_kernelI32Selective_Scan_fwd_kernel_traitsILi64ELi8ELi1ELb1ELb1ELb1ELb0ELb0EfffEEv13SSMParamsBase
	.p2align	8
	.type	_Z25selective_scan_fwd_kernelI32Selective_Scan_fwd_kernel_traitsILi64ELi8ELi1ELb1ELb1ELb1ELb0ELb0EfffEEv13SSMParamsBase,@function
_Z25selective_scan_fwd_kernelI32Selective_Scan_fwd_kernel_traitsILi64ELi8ELi1ELb1ELb1ELb1ELb0ELb0EfffEEv13SSMParamsBase: ; @_Z25selective_scan_fwd_kernelI32Selective_Scan_fwd_kernel_traitsILi64ELi8ELi1ELb1ELb1ELb1ELb0ELb0EfffEEv13SSMParamsBase
; %bb.0:
	s_load_dword s27, s[0:1], 0x18
	s_load_dwordx4 s[4:7], s[0:1], 0xe8
	s_mov_b32 s22, s3
	s_waitcnt lgkmcnt(0)
	s_abs_i32 s26, s27
	v_cvt_f32_u32_e32 v1, s26
	s_cmp_eq_u64 s[6:7], 0
	v_rcp_iflag_f32_e32 v1, v1
	s_nop 0
	v_mul_f32_e32 v1, 0x4f7ffffe, v1
	v_cvt_u32_f32_e32 v1, v1
	s_nop 0
	v_readfirstlane_b32 s24, v1
	s_cbranch_scc1 .LBB139_3
; %bb.1:
	s_ashr_i32 s3, s2, 31
	s_add_u32 s6, s6, s2
	s_addc_u32 s7, s7, s3
	v_mov_b32_e32 v1, 0
	global_load_ubyte v1, v1, s[6:7]
	s_waitcnt vmcnt(0)
	v_and_b32_e32 v1, 1, v1
	v_cmp_eq_u32_e64 s[56:57], 1, v1
	s_load_dwordx2 s[6:7], s[0:1], 0x20
	s_cmp_eq_u64 s[4:5], 0
	s_cbranch_scc1 .LBB139_4
.LBB139_2:
	s_ashr_i32 s3, s2, 31
	s_lshl_b64 s[8:9], s[2:3], 2
	s_add_u32 s4, s4, s8
	s_addc_u32 s5, s5, s9
	s_load_dword s20, s[4:5], 0x0
	s_waitcnt lgkmcnt(0)
	s_ashr_i32 s21, s20, 31
	s_cmp_eq_u64 s[6:7], s[20:21]
	s_cbranch_scc0 .LBB139_5
	s_branch .LBB139_64
.LBB139_3:
	s_mov_b64 s[56:57], 0
	s_load_dwordx2 s[6:7], s[0:1], 0x20
	s_cmp_eq_u64 s[4:5], 0
	s_cbranch_scc0 .LBB139_2
.LBB139_4:
	s_mov_b32 s20, s2
	s_ashr_i32 s21, s20, 31
	s_waitcnt lgkmcnt(0)
	s_cmp_eq_u64 s[6:7], s[20:21]
	s_cbranch_scc1 .LBB139_64
.LBB139_5:
	s_load_dwordx16 s[4:19], s[0:1], 0x88
	s_load_dwordx2 s[58:59], s[0:1], 0x8
	s_mov_b32 s33, 0
	s_mov_b32 s84, 0
	s_waitcnt lgkmcnt(0)
	s_cmp_eq_u64 s[10:11], 0
	s_cbranch_scc1 .LBB139_7
; %bb.6:
	s_ashr_i32 s23, s22, 31
	s_lshl_b64 s[28:29], s[22:23], 2
	s_add_u32 s10, s10, s28
	s_addc_u32 s11, s11, s29
	s_load_dword s84, s[10:11], 0x0
.LBB139_7:
	s_cmp_eq_u64 s[16:17], 0
	s_cbranch_scc1 .LBB139_9
; %bb.8:
	s_ashr_i32 s23, s22, 31
	s_lshl_b64 s[10:11], s[22:23], 2
	s_add_u32 s10, s16, s10
	s_addc_u32 s11, s17, s11
	s_load_dword s33, s[10:11], 0x0
.LBB139_9:
	s_cmp_lt_i32 s58, 1
	s_cbranch_scc1 .LBB139_64
; %bb.10:
	s_sub_i32 s3, 0, s26
	s_mul_i32 s3, s3, s24
	s_mul_hi_u32 s3, s24, s3
	s_abs_i32 s21, s22
	s_add_i32 s3, s24, s3
	s_load_dwordx8 s[44:51], s[0:1], 0x2c
	s_load_dwordx2 s[10:11], s[0:1], 0x5c
	s_load_dwordx4 s[52:55], s[0:1], 0x4c
	s_load_dwordx4 s[40:43], s[0:1], 0x7c
	s_load_dwordx2 s[24:25], s[0:1], 0x6c
	s_load_dwordx2 s[16:17], s[0:1], 0xc8
	s_mul_hi_u32 s3, s21, s3
	s_load_dword s23, s[0:1], 0x28
	s_ashr_i32 s0, s22, 31
	s_ashr_i32 s1, s27, 31
	s_xor_b32 s0, s0, s1
	s_mul_i32 s1, s3, s26
	s_sub_i32 s1, s21, s1
	s_add_i32 s21, s3, 1
	s_sub_i32 s27, s1, s26
	s_cmp_ge_u32 s1, s26
	s_cselect_b32 s3, s21, s3
	s_cselect_b32 s1, s27, s1
	s_add_i32 s21, s3, 1
	s_cmp_ge_u32 s1, s26
	s_cselect_b32 s1, s21, s3
	s_xor_b32 s1, s1, s0
	s_waitcnt lgkmcnt(0)
	s_mul_i32 s60, s54, s2
	s_mov_b32 s61, 0
	s_sub_i32 s3, s1, s0
	s_lshl_b64 s[0:1], s[60:61], 2
	s_add_u32 s12, s12, s0
	s_mul_i32 s60, s55, s22
	s_addc_u32 s13, s13, s1
	s_lshl_b64 s[0:1], s[60:61], 2
	s_add_u32 s54, s12, s0
	s_mul_i32 s60, s10, s2
	s_addc_u32 s55, s13, s1
	;; [unrolled: 4-line block ×10, first 2 shown]
	s_lshl_b64 s[0:1], s[60:61], 2
	s_add_u32 s49, s3, s0
	v_mbcnt_lo_u32_b32 v1, -1, 0
	s_addc_u32 s53, s4, s1
	s_add_i32 s0, s58, 0x7ff
	v_mbcnt_hi_u32_b32 v2, -1, v1
	s_lshr_b32 s85, s0, 11
	v_lshrrev_b32_e32 v3, 5, v2
	s_movk_i32 s3, 0x80
	v_add_u32_e32 v1, 64, v2
	v_add_u32_e32 v3, v3, v2
	s_bitcmp1_b32 s23, 0
	v_cmp_gt_u32_e64 s[40:41], s3, v1
	v_lshl_add_u32 v54, v3, 4, 0
	v_lshrrev_b32_e32 v1, 5, v1
	v_lshlrev_b32_e32 v3, 1, v2
	v_bfe_u32 v4, v2, 4, 27
	s_cselect_b64 s[64:65], -1, 0
	s_cmp_gt_i32 s59, 0
	v_cmp_gt_u32_e64 s[0:1], s3, v2
	v_add_lshl_u32 v1, v1, v2, 4
	v_add_lshl_u32 v3, v4, v3, 4
	s_cselect_b64 s[66:67], -1, 0
	s_add_i32 s3, 0, 0x840
	v_add_u32_e32 v57, s3, v1
	v_add_u32_e32 v58, s3, v3
	s_and_b32 s3, s58, 0x1ff
	s_cmp_eq_u32 s3, 0
	s_mul_i32 s60, s24, s2
	v_add_u32_e32 v55, 0, v1
	s_cselect_b64 s[68:69], -1, 0
	v_and_b32_e32 v1, 15, v2
	s_add_i32 s86, s85, -1
	s_lshl_b64 s[2:3], s[60:61], 2
	v_cmp_ne_u32_e64 s[4:5], 0, v1
	v_cmp_lt_u32_e64 s[6:7], 1, v1
	v_cmp_lt_u32_e64 s[8:9], 3, v1
	;; [unrolled: 1-line block ×3, first 2 shown]
	v_and_b32_e32 v1, 16, v2
	s_add_u32 s23, s18, s2
	s_mul_i32 s60, s25, s22
	v_add_u32_e32 v56, 0, v3
	s_addc_u32 s24, s19, s3
	v_cmp_ne_u32_e64 s[12:13], 0, v1
	v_add_u32_e32 v1, -1, v2
	v_and_b32_e32 v3, 64, v2
	s_lshl_b64 s[2:3], s[60:61], 2
	v_cmp_lt_i32_e32 vcc, v1, v3
	s_add_u32 s2, s23, s2
	v_mov_b32_e32 v41, 0
	v_lshlrev_b32_e32 v59, 3, v0
	v_cndmask_b32_e32 v1, v1, v2, vcc
	s_addc_u32 s3, s24, s3
	v_lshlrev_b32_e32 v40, 4, v2
	v_cmp_lt_u32_e64 s[14:15], 31, v2
	v_cmp_eq_u32_e64 s[16:17], 63, v0
	v_lshlrev_b32_e32 v60, 2, v1
	v_cmp_gt_u32_e64 s[18:19], 64, v0
	v_cmp_eq_u32_e64 s[20:21], 0, v0
	v_lshl_add_u64 v[42:43], s[2:3], 0, v[40:41]
	v_or_b32_e32 v63, 3, v59
	v_or_b32_e32 v64, 4, v59
	;; [unrolled: 1-line block ×5, first 2 shown]
	v_lshlrev_b32_e32 v40, 4, v2
	s_mov_b32 s87, 0x41a00000
	s_mov_b32 s88, 0x3fb8aa3b
	;; [unrolled: 1-line block ×6, first 2 shown]
	v_mov_b32_e32 v68, 0x3ecc95a3
                                        ; implicit-def: $vgpr0
	s_mov_b32 s93, 0x3f317218
	s_mov_b32 s94, 0x33800000
	s_add_i32 s95, 0, 0x1088
	s_mov_b32 s96, 0xc2fc0000
	v_mov_b32_e32 v69, 0x7f800000
	v_mov_b32_e32 v44, 0x3f317218
	;; [unrolled: 1-line block ×4, first 2 shown]
	s_mov_b32 s97, 0
                                        ; implicit-def: $vgpr8_vgpr9
                                        ; implicit-def: $vgpr0_vgpr1
                                        ; implicit-def: $vgpr12_vgpr13
                                        ; implicit-def: $vgpr4_vgpr5
	s_branch .LBB139_12
.LBB139_11:                             ;   in Loop: Header=BB139_12 Depth=1
	s_add_u32 s62, s62, 0x800
	s_addc_u32 s63, s63, 0
	s_waitcnt lgkmcnt(0)
	; wave barrier
	ds_write_b128 v56, v[20:23]
	ds_write_b128 v56, v[16:19] offset:16
	; wave barrier
	ds_read_b128 v[16:19], v54
	ds_read_b128 v[20:23], v55 offset:1024
	s_add_u32 s54, s54, 0x800
	s_addc_u32 s55, s55, 0
	s_add_u32 s46, s46, 0x800
	s_addc_u32 s47, s47, 0
	s_waitcnt lgkmcnt(1)
	v_mov_b32_e32 v24, v17
	s_add_u32 s50, s50, 0x800
	s_mov_b32 s3, s61
	v_mov_b32_e32 v25, v18
	v_mov_b32_e32 v26, v19
	;; [unrolled: 1-line block ×3, first 2 shown]
	s_addc_u32 s51, s51, 0
	s_add_i32 s97, s97, 1
	v_lshl_add_u64 v[28:29], s[2:3], 2, v[42:43]
	v_mov_b32_e32 v18, v25
	v_mov_b32_e32 v19, v26
	s_cmp_eq_u32 s97, s85
	global_store_dwordx4 v[28:29], v[16:19], off
	s_waitcnt lgkmcnt(0)
	global_store_dwordx4 v[28:29], v[20:23], off offset:1024
	s_cbranch_scc1 .LBB139_64
.LBB139_12:                             ; =>This Loop Header: Depth=1
                                        ;     Child Loop BB139_39 Depth 2
	v_lshl_add_u64 v[16:17], s[54:55], 0, v[40:41]
	s_waitcnt lgkmcnt(0)
	; wave barrier
	s_and_saveexec_b64 s[2:3], s[0:1]
	s_cbranch_execz .LBB139_14
; %bb.13:                               ;   in Loop: Header=BB139_12 Depth=1
	global_load_dwordx4 v[12:15], v[16:17], off
.LBB139_14:                             ;   in Loop: Header=BB139_12 Depth=1
	s_or_b64 exec, exec, s[2:3]
	s_and_saveexec_b64 s[2:3], s[40:41]
	s_cbranch_execz .LBB139_16
; %bb.15:                               ;   in Loop: Header=BB139_12 Depth=1
	global_load_dwordx4 v[4:7], v[16:17], off offset:1024
.LBB139_16:                             ;   in Loop: Header=BB139_12 Depth=1
	s_or_b64 exec, exec, s[2:3]
	s_waitcnt vmcnt(0)
	ds_write_b128 v54, v[12:15]
	ds_write_b128 v55, v[4:7] offset:1024
	; wave barrier
	ds_read_b128 v[12:15], v56
	ds_read_b128 v[4:7], v56 offset:16
	v_lshl_add_u64 v[16:17], s[62:63], 0, v[40:41]
	s_waitcnt lgkmcnt(0)
	; wave barrier
	s_waitcnt lgkmcnt(0)
	s_and_saveexec_b64 s[2:3], s[0:1]
	s_cbranch_execz .LBB139_18
; %bb.17:                               ;   in Loop: Header=BB139_12 Depth=1
	global_load_dwordx4 v[8:11], v[16:17], off
.LBB139_18:                             ;   in Loop: Header=BB139_12 Depth=1
	s_or_b64 exec, exec, s[2:3]
	s_and_saveexec_b64 s[2:3], s[40:41]
	s_cbranch_execz .LBB139_20
; %bb.19:                               ;   in Loop: Header=BB139_12 Depth=1
	global_load_dwordx4 v[0:3], v[16:17], off offset:1024
.LBB139_20:                             ;   in Loop: Header=BB139_12 Depth=1
	s_or_b64 exec, exec, s[2:3]
	s_waitcnt vmcnt(0)
	ds_write_b128 v54, v[8:11]
	ds_write_b128 v55, v[0:3] offset:1024
	; wave barrier
	ds_read_b128 v[8:11], v56
	ds_read_b128 v[0:3], v56 offset:16
	s_waitcnt lgkmcnt(1)
	v_add_f32_e32 v72, s33, v8
	v_cmp_ge_f32_e32 vcc, s87, v72
	s_and_b64 s[2:3], s[64:65], vcc
	s_and_saveexec_b64 s[22:23], s[2:3]
	s_cbranch_execz .LBB139_22
; %bb.21:                               ;   in Loop: Header=BB139_12 Depth=1
	v_mul_f32_e32 v16, 0x3fb8aa3b, v72
	v_rndne_f32_e32 v17, v16
	v_sub_f32_e32 v18, v16, v17
	v_fma_f32 v16, v72, s88, -v16
	v_fmac_f32_e32 v16, 0x32a5705f, v72
	v_add_f32_e32 v16, v18, v16
	v_cvt_i32_f32_e32 v17, v17
	v_exp_f32_e32 v16, v16
	v_cmp_ngt_f32_e32 vcc, s89, v72
	v_ldexp_f32 v16, v16, v17
	s_nop 0
	v_cndmask_b32_e32 v16, 0, v16, vcc
	v_cmp_nlt_f32_e32 vcc, s90, v72
	s_nop 1
	v_cndmask_b32_e32 v32, v69, v16, vcc
	v_add_f32_e32 v18, 1.0, v32
	v_add_f32_e32 v16, -1.0, v18
	v_sub_f32_e32 v17, v16, v18
	v_add_f32_e32 v17, 1.0, v17
	v_sub_f32_e32 v16, v32, v16
	v_add_f32_e32 v19, v16, v17
	v_frexp_mant_f32_e32 v20, v18
	v_cvt_f64_f32_e32 v[16:17], v18
	v_frexp_exp_i32_f64_e32 v16, v[16:17]
	v_cmp_gt_f32_e32 vcc, s92, v20
	v_cmp_gt_f32_e64 s[2:3], s94, v32
	s_nop 0
	v_subbrev_co_u32_e32 v24, vcc, 0, v16, vcc
	v_sub_u32_e32 v16, 0, v24
	v_ldexp_f32 v17, v18, v16
	v_add_f32_e32 v18, -1.0, v17
	v_add_f32_e32 v20, 1.0, v17
	v_ldexp_f32 v16, v19, v16
	v_add_f32_e32 v19, 1.0, v18
	v_add_f32_e32 v21, -1.0, v20
	v_sub_f32_e32 v19, v17, v19
	v_sub_f32_e32 v17, v17, v21
	v_add_f32_e32 v19, v16, v19
	v_add_f32_e32 v16, v16, v17
	;; [unrolled: 1-line block ×3, first 2 shown]
	v_rcp_f32_e32 v27, v25
	v_sub_f32_e32 v17, v20, v25
	v_add_f32_e32 v26, v16, v17
	v_add_f32_e32 v17, v18, v19
	v_mul_f32_e32 v29, v17, v27
	v_sub_f32_e32 v16, v18, v17
	v_mul_f32_e32 v18, v25, v29
	v_fma_f32 v20, v29, v25, -v18
	v_fmac_f32_e32 v20, v29, v26
	v_add_f32_e32 v28, v19, v16
	v_add_f32_e32 v16, v18, v20
	v_sub_f32_e32 v19, v17, v16
	v_pk_add_f32 v[22:23], v[16:17], v[18:19] neg_lo:[0,1] neg_hi:[0,1]
	v_mov_b32_e32 v21, v16
	v_pk_add_f32 v[16:17], v[22:23], v[20:21] neg_lo:[0,1] neg_hi:[0,1]
	v_cmp_eq_f32_e32 vcc, s91, v32
	v_add_f32_e32 v17, v28, v17
	v_add_f32_e32 v16, v16, v17
	;; [unrolled: 1-line block ×3, first 2 shown]
	v_mul_f32_e32 v28, v27, v17
	v_mul_f32_e32 v18, v25, v28
	v_fma_f32 v20, v28, v25, -v18
	v_fmac_f32_e32 v20, v28, v26
	v_sub_f32_e32 v19, v19, v17
	v_add_f32_e32 v25, v16, v19
	v_add_f32_e32 v16, v18, v20
	v_sub_f32_e32 v19, v17, v16
	v_pk_add_f32 v[22:23], v[16:17], v[18:19] neg_lo:[0,1] neg_hi:[0,1]
	v_mov_b32_e32 v21, v16
	v_pk_add_f32 v[16:17], v[22:23], v[20:21] neg_lo:[0,1] neg_hi:[0,1]
	s_or_b64 vcc, s[2:3], vcc
	v_add_f32_e32 v17, v25, v17
	v_add_f32_e32 v16, v16, v17
	;; [unrolled: 1-line block ×4, first 2 shown]
	v_sub_f32_e32 v18, v17, v29
	v_mul_f32_e32 v16, v27, v16
	v_sub_f32_e32 v18, v28, v18
	v_add_f32_e32 v18, v18, v16
	v_add_f32_e32 v20, v17, v18
	v_mul_f32_e32 v21, v20, v20
	v_fmamk_f32 v16, v21, 0x3e9b6dac, v68
	v_fmaak_f32 v45, v21, v16, 0x3f2aaada
	v_cvt_f32_i32_e32 v16, v24
	v_sub_f32_e32 v17, v20, v17
	v_sub_f32_e32 v17, v18, v17
	v_ldexp_f32 v22, v17, 1
	v_mul_f32_e32 v17, v20, v21
	v_ldexp_f32 v19, v20, 1
	v_pk_mul_f32 v[20:21], v[16:17], v[44:45]
	s_nop 0
	v_fma_f32 v18, v16, s93, -v20
	v_fmac_f32_e32 v18, 0xb102e308, v16
	v_pk_add_f32 v[16:17], v[20:21], v[18:19]
	s_nop 0
	v_sub_f32_e32 v19, v17, v19
	v_sub_f32_e32 v19, v21, v19
	v_add_f32_e32 v23, v22, v19
	v_mov_b32_e32 v22, v20
	v_pk_add_f32 v[20:21], v[16:17], v[20:21] neg_lo:[0,1] neg_hi:[0,1]
	v_pk_add_f32 v[24:25], v[16:17], v[22:23]
	v_mov_b32_e32 v19, v16
	v_mov_b32_e32 v21, v25
	v_pk_add_f32 v[26:27], v[18:19], v[20:21] neg_lo:[0,1] neg_hi:[0,1]
	v_pk_add_f32 v[18:19], v[18:19], v[20:21]
	v_mov_b32_e32 v22, v23
	v_mov_b32_e32 v20, v19
	v_pk_add_f32 v[28:29], v[20:21], v[16:17] neg_lo:[0,1] neg_hi:[0,1]
	v_mov_b32_e32 v18, v25
	v_mov_b32_e32 v21, v28
	v_pk_add_f32 v[30:31], v[24:25], v[20:21] neg_lo:[0,1] neg_hi:[0,1]
	v_mov_b32_e32 v24, v17
	v_mov_b32_e32 v25, v28
	;; [unrolled: 1-line block ×3, first 2 shown]
	v_pk_add_f32 v[18:19], v[18:19], v[24:25] neg_lo:[0,1] neg_hi:[0,1]
	v_mov_b32_e32 v23, v16
	v_pk_add_f32 v[16:17], v[22:23], v[18:19] neg_lo:[0,1] neg_hi:[0,1]
	v_mov_b32_e32 v30, v26
	v_pk_add_f32 v[18:19], v[30:31], v[16:17]
	s_nop 0
	v_mov_b32_e32 v22, v19
	v_pk_add_f32 v[22:23], v[18:19], v[22:23]
	s_nop 0
	v_pk_add_f32 v[20:21], v[20:21], v[22:23]
	v_mov_b32_e32 v17, v22
	v_mov_b32_e32 v19, v20
	v_pk_add_f32 v[24:25], v[18:19], v[26:27] neg_lo:[0,1] neg_hi:[0,1]
	s_nop 0
	v_sub_f32_e32 v18, v18, v24
	v_pk_add_f32 v[16:17], v[16:17], v[24:25] neg_lo:[0,1] neg_hi:[0,1]
	v_sub_f32_e32 v18, v26, v18
	v_add_f32_e32 v16, v16, v18
	v_add_f32_e32 v16, v16, v17
	v_add_f32_e32 v16, v20, v16
	v_cndmask_b32_e32 v72, v16, v32, vcc
.LBB139_22:                             ;   in Loop: Header=BB139_12 Depth=1
	s_or_b64 exec, exec, s[22:23]
	v_add_f32_e32 v73, s33, v9
	v_cmp_ge_f32_e32 vcc, s87, v73
	s_and_b64 s[2:3], s[64:65], vcc
	s_and_saveexec_b64 s[22:23], s[2:3]
	s_cbranch_execz .LBB139_24
; %bb.23:                               ;   in Loop: Header=BB139_12 Depth=1
	v_mul_f32_e32 v16, 0x3fb8aa3b, v73
	v_rndne_f32_e32 v17, v16
	v_sub_f32_e32 v18, v16, v17
	v_fma_f32 v16, v73, s88, -v16
	v_fmac_f32_e32 v16, 0x32a5705f, v73
	v_add_f32_e32 v16, v18, v16
	v_cvt_i32_f32_e32 v17, v17
	v_exp_f32_e32 v16, v16
	v_cmp_ngt_f32_e32 vcc, s89, v73
	v_ldexp_f32 v16, v16, v17
	s_nop 0
	v_cndmask_b32_e32 v16, 0, v16, vcc
	v_cmp_nlt_f32_e32 vcc, s90, v73
	s_nop 1
	v_cndmask_b32_e32 v32, v69, v16, vcc
	v_add_f32_e32 v18, 1.0, v32
	v_add_f32_e32 v16, -1.0, v18
	v_sub_f32_e32 v17, v16, v18
	v_add_f32_e32 v17, 1.0, v17
	v_sub_f32_e32 v16, v32, v16
	v_add_f32_e32 v19, v16, v17
	v_frexp_mant_f32_e32 v20, v18
	v_cvt_f64_f32_e32 v[16:17], v18
	v_frexp_exp_i32_f64_e32 v16, v[16:17]
	v_cmp_gt_f32_e32 vcc, s92, v20
	v_cmp_gt_f32_e64 s[2:3], s94, v32
	s_nop 0
	v_subbrev_co_u32_e32 v24, vcc, 0, v16, vcc
	v_sub_u32_e32 v16, 0, v24
	v_ldexp_f32 v17, v18, v16
	v_add_f32_e32 v18, -1.0, v17
	v_add_f32_e32 v20, 1.0, v17
	v_ldexp_f32 v16, v19, v16
	v_add_f32_e32 v19, 1.0, v18
	v_add_f32_e32 v21, -1.0, v20
	v_sub_f32_e32 v19, v17, v19
	v_sub_f32_e32 v17, v17, v21
	v_add_f32_e32 v19, v16, v19
	v_add_f32_e32 v16, v16, v17
	;; [unrolled: 1-line block ×3, first 2 shown]
	v_rcp_f32_e32 v27, v25
	v_sub_f32_e32 v17, v20, v25
	v_add_f32_e32 v26, v16, v17
	v_add_f32_e32 v17, v18, v19
	v_mul_f32_e32 v29, v17, v27
	v_sub_f32_e32 v16, v18, v17
	v_mul_f32_e32 v18, v25, v29
	v_fma_f32 v20, v29, v25, -v18
	v_fmac_f32_e32 v20, v29, v26
	v_add_f32_e32 v28, v19, v16
	v_add_f32_e32 v16, v18, v20
	v_sub_f32_e32 v19, v17, v16
	v_pk_add_f32 v[22:23], v[16:17], v[18:19] neg_lo:[0,1] neg_hi:[0,1]
	v_mov_b32_e32 v21, v16
	v_pk_add_f32 v[16:17], v[22:23], v[20:21] neg_lo:[0,1] neg_hi:[0,1]
	v_cmp_eq_f32_e32 vcc, s91, v32
	v_add_f32_e32 v17, v28, v17
	v_add_f32_e32 v16, v16, v17
	;; [unrolled: 1-line block ×3, first 2 shown]
	v_mul_f32_e32 v28, v27, v17
	v_mul_f32_e32 v18, v25, v28
	v_fma_f32 v20, v28, v25, -v18
	v_fmac_f32_e32 v20, v28, v26
	v_sub_f32_e32 v19, v19, v17
	v_add_f32_e32 v25, v16, v19
	v_add_f32_e32 v16, v18, v20
	v_sub_f32_e32 v19, v17, v16
	v_pk_add_f32 v[22:23], v[16:17], v[18:19] neg_lo:[0,1] neg_hi:[0,1]
	v_mov_b32_e32 v21, v16
	v_pk_add_f32 v[16:17], v[22:23], v[20:21] neg_lo:[0,1] neg_hi:[0,1]
	s_or_b64 vcc, s[2:3], vcc
	v_add_f32_e32 v17, v25, v17
	v_add_f32_e32 v16, v16, v17
	;; [unrolled: 1-line block ×4, first 2 shown]
	v_sub_f32_e32 v18, v17, v29
	v_mul_f32_e32 v16, v27, v16
	v_sub_f32_e32 v18, v28, v18
	v_add_f32_e32 v18, v18, v16
	v_add_f32_e32 v20, v17, v18
	v_mul_f32_e32 v21, v20, v20
	v_fmamk_f32 v16, v21, 0x3e9b6dac, v68
	v_fmaak_f32 v45, v21, v16, 0x3f2aaada
	v_cvt_f32_i32_e32 v16, v24
	v_sub_f32_e32 v17, v20, v17
	v_sub_f32_e32 v17, v18, v17
	v_ldexp_f32 v22, v17, 1
	v_mul_f32_e32 v17, v20, v21
	v_ldexp_f32 v19, v20, 1
	v_pk_mul_f32 v[20:21], v[16:17], v[44:45]
	s_nop 0
	v_fma_f32 v18, v16, s93, -v20
	v_fmac_f32_e32 v18, 0xb102e308, v16
	v_pk_add_f32 v[16:17], v[20:21], v[18:19]
	s_nop 0
	v_sub_f32_e32 v19, v17, v19
	v_sub_f32_e32 v19, v21, v19
	v_add_f32_e32 v23, v22, v19
	v_mov_b32_e32 v22, v20
	v_pk_add_f32 v[20:21], v[16:17], v[20:21] neg_lo:[0,1] neg_hi:[0,1]
	v_pk_add_f32 v[24:25], v[16:17], v[22:23]
	v_mov_b32_e32 v19, v16
	v_mov_b32_e32 v21, v25
	v_pk_add_f32 v[26:27], v[18:19], v[20:21] neg_lo:[0,1] neg_hi:[0,1]
	v_pk_add_f32 v[18:19], v[18:19], v[20:21]
	v_mov_b32_e32 v22, v23
	v_mov_b32_e32 v20, v19
	v_pk_add_f32 v[28:29], v[20:21], v[16:17] neg_lo:[0,1] neg_hi:[0,1]
	v_mov_b32_e32 v18, v25
	v_mov_b32_e32 v21, v28
	v_pk_add_f32 v[30:31], v[24:25], v[20:21] neg_lo:[0,1] neg_hi:[0,1]
	v_mov_b32_e32 v24, v17
	v_mov_b32_e32 v25, v28
	;; [unrolled: 1-line block ×3, first 2 shown]
	v_pk_add_f32 v[18:19], v[18:19], v[24:25] neg_lo:[0,1] neg_hi:[0,1]
	v_mov_b32_e32 v23, v16
	v_pk_add_f32 v[16:17], v[22:23], v[18:19] neg_lo:[0,1] neg_hi:[0,1]
	v_mov_b32_e32 v30, v26
	v_pk_add_f32 v[18:19], v[30:31], v[16:17]
	s_nop 0
	v_mov_b32_e32 v22, v19
	v_pk_add_f32 v[22:23], v[18:19], v[22:23]
	s_nop 0
	v_pk_add_f32 v[20:21], v[20:21], v[22:23]
	v_mov_b32_e32 v17, v22
	v_mov_b32_e32 v19, v20
	v_pk_add_f32 v[24:25], v[18:19], v[26:27] neg_lo:[0,1] neg_hi:[0,1]
	s_nop 0
	v_sub_f32_e32 v18, v18, v24
	v_pk_add_f32 v[16:17], v[16:17], v[24:25] neg_lo:[0,1] neg_hi:[0,1]
	v_sub_f32_e32 v18, v26, v18
	v_add_f32_e32 v16, v16, v18
	v_add_f32_e32 v16, v16, v17
	;; [unrolled: 1-line block ×3, first 2 shown]
	v_cndmask_b32_e32 v73, v16, v32, vcc
.LBB139_24:                             ;   in Loop: Header=BB139_12 Depth=1
	s_or_b64 exec, exec, s[22:23]
	v_add_f32_e32 v74, s33, v10
	v_cmp_ge_f32_e32 vcc, s87, v74
	s_and_b64 s[2:3], s[64:65], vcc
	s_and_saveexec_b64 s[22:23], s[2:3]
	s_cbranch_execz .LBB139_26
; %bb.25:                               ;   in Loop: Header=BB139_12 Depth=1
	v_mul_f32_e32 v16, 0x3fb8aa3b, v74
	v_rndne_f32_e32 v17, v16
	v_sub_f32_e32 v18, v16, v17
	v_fma_f32 v16, v74, s88, -v16
	v_fmac_f32_e32 v16, 0x32a5705f, v74
	v_add_f32_e32 v16, v18, v16
	v_cvt_i32_f32_e32 v17, v17
	v_exp_f32_e32 v16, v16
	v_cmp_ngt_f32_e32 vcc, s89, v74
	v_ldexp_f32 v16, v16, v17
	s_nop 0
	v_cndmask_b32_e32 v16, 0, v16, vcc
	v_cmp_nlt_f32_e32 vcc, s90, v74
	s_nop 1
	v_cndmask_b32_e32 v32, v69, v16, vcc
	v_add_f32_e32 v18, 1.0, v32
	v_add_f32_e32 v16, -1.0, v18
	v_sub_f32_e32 v17, v16, v18
	v_add_f32_e32 v17, 1.0, v17
	v_sub_f32_e32 v16, v32, v16
	v_add_f32_e32 v19, v16, v17
	v_frexp_mant_f32_e32 v20, v18
	v_cvt_f64_f32_e32 v[16:17], v18
	v_frexp_exp_i32_f64_e32 v16, v[16:17]
	v_cmp_gt_f32_e32 vcc, s92, v20
	v_cmp_gt_f32_e64 s[2:3], s94, v32
	s_nop 0
	v_subbrev_co_u32_e32 v24, vcc, 0, v16, vcc
	v_sub_u32_e32 v16, 0, v24
	v_ldexp_f32 v17, v18, v16
	v_add_f32_e32 v18, -1.0, v17
	v_add_f32_e32 v20, 1.0, v17
	v_ldexp_f32 v16, v19, v16
	v_add_f32_e32 v19, 1.0, v18
	v_add_f32_e32 v21, -1.0, v20
	v_sub_f32_e32 v19, v17, v19
	v_sub_f32_e32 v17, v17, v21
	v_add_f32_e32 v19, v16, v19
	v_add_f32_e32 v16, v16, v17
	;; [unrolled: 1-line block ×3, first 2 shown]
	v_rcp_f32_e32 v27, v25
	v_sub_f32_e32 v17, v20, v25
	v_add_f32_e32 v26, v16, v17
	v_add_f32_e32 v17, v18, v19
	v_mul_f32_e32 v29, v17, v27
	v_sub_f32_e32 v16, v18, v17
	v_mul_f32_e32 v18, v25, v29
	v_fma_f32 v20, v29, v25, -v18
	v_fmac_f32_e32 v20, v29, v26
	v_add_f32_e32 v28, v19, v16
	v_add_f32_e32 v16, v18, v20
	v_sub_f32_e32 v19, v17, v16
	v_pk_add_f32 v[22:23], v[16:17], v[18:19] neg_lo:[0,1] neg_hi:[0,1]
	v_mov_b32_e32 v21, v16
	v_pk_add_f32 v[16:17], v[22:23], v[20:21] neg_lo:[0,1] neg_hi:[0,1]
	v_cmp_eq_f32_e32 vcc, s91, v32
	v_add_f32_e32 v17, v28, v17
	v_add_f32_e32 v16, v16, v17
	;; [unrolled: 1-line block ×3, first 2 shown]
	v_mul_f32_e32 v28, v27, v17
	v_mul_f32_e32 v18, v25, v28
	v_fma_f32 v20, v28, v25, -v18
	v_fmac_f32_e32 v20, v28, v26
	v_sub_f32_e32 v19, v19, v17
	v_add_f32_e32 v25, v16, v19
	v_add_f32_e32 v16, v18, v20
	v_sub_f32_e32 v19, v17, v16
	v_pk_add_f32 v[22:23], v[16:17], v[18:19] neg_lo:[0,1] neg_hi:[0,1]
	v_mov_b32_e32 v21, v16
	v_pk_add_f32 v[16:17], v[22:23], v[20:21] neg_lo:[0,1] neg_hi:[0,1]
	s_or_b64 vcc, s[2:3], vcc
	v_add_f32_e32 v17, v25, v17
	v_add_f32_e32 v16, v16, v17
	;; [unrolled: 1-line block ×4, first 2 shown]
	v_sub_f32_e32 v18, v17, v29
	v_mul_f32_e32 v16, v27, v16
	v_sub_f32_e32 v18, v28, v18
	v_add_f32_e32 v18, v18, v16
	v_add_f32_e32 v20, v17, v18
	v_mul_f32_e32 v21, v20, v20
	v_fmamk_f32 v16, v21, 0x3e9b6dac, v68
	v_fmaak_f32 v45, v21, v16, 0x3f2aaada
	v_cvt_f32_i32_e32 v16, v24
	v_sub_f32_e32 v17, v20, v17
	v_sub_f32_e32 v17, v18, v17
	v_ldexp_f32 v22, v17, 1
	v_mul_f32_e32 v17, v20, v21
	v_ldexp_f32 v19, v20, 1
	v_pk_mul_f32 v[20:21], v[16:17], v[44:45]
	s_nop 0
	v_fma_f32 v18, v16, s93, -v20
	v_fmac_f32_e32 v18, 0xb102e308, v16
	v_pk_add_f32 v[16:17], v[20:21], v[18:19]
	s_nop 0
	v_sub_f32_e32 v19, v17, v19
	v_sub_f32_e32 v19, v21, v19
	v_add_f32_e32 v23, v22, v19
	v_mov_b32_e32 v22, v20
	v_pk_add_f32 v[20:21], v[16:17], v[20:21] neg_lo:[0,1] neg_hi:[0,1]
	v_pk_add_f32 v[24:25], v[16:17], v[22:23]
	v_mov_b32_e32 v19, v16
	v_mov_b32_e32 v21, v25
	v_pk_add_f32 v[26:27], v[18:19], v[20:21] neg_lo:[0,1] neg_hi:[0,1]
	v_pk_add_f32 v[18:19], v[18:19], v[20:21]
	v_mov_b32_e32 v22, v23
	v_mov_b32_e32 v20, v19
	v_pk_add_f32 v[28:29], v[20:21], v[16:17] neg_lo:[0,1] neg_hi:[0,1]
	v_mov_b32_e32 v18, v25
	v_mov_b32_e32 v21, v28
	v_pk_add_f32 v[30:31], v[24:25], v[20:21] neg_lo:[0,1] neg_hi:[0,1]
	v_mov_b32_e32 v24, v17
	v_mov_b32_e32 v25, v28
	;; [unrolled: 1-line block ×3, first 2 shown]
	v_pk_add_f32 v[18:19], v[18:19], v[24:25] neg_lo:[0,1] neg_hi:[0,1]
	v_mov_b32_e32 v23, v16
	v_pk_add_f32 v[16:17], v[22:23], v[18:19] neg_lo:[0,1] neg_hi:[0,1]
	v_mov_b32_e32 v30, v26
	v_pk_add_f32 v[18:19], v[30:31], v[16:17]
	s_nop 0
	v_mov_b32_e32 v22, v19
	v_pk_add_f32 v[22:23], v[18:19], v[22:23]
	s_nop 0
	v_pk_add_f32 v[20:21], v[20:21], v[22:23]
	v_mov_b32_e32 v17, v22
	v_mov_b32_e32 v19, v20
	v_pk_add_f32 v[24:25], v[18:19], v[26:27] neg_lo:[0,1] neg_hi:[0,1]
	s_nop 0
	v_sub_f32_e32 v18, v18, v24
	v_pk_add_f32 v[16:17], v[16:17], v[24:25] neg_lo:[0,1] neg_hi:[0,1]
	v_sub_f32_e32 v18, v26, v18
	v_add_f32_e32 v16, v16, v18
	v_add_f32_e32 v16, v16, v17
	v_add_f32_e32 v16, v20, v16
	v_cndmask_b32_e32 v74, v16, v32, vcc
.LBB139_26:                             ;   in Loop: Header=BB139_12 Depth=1
	s_or_b64 exec, exec, s[22:23]
	v_add_f32_e32 v75, s33, v11
	v_cmp_ge_f32_e32 vcc, s87, v75
	s_and_b64 s[2:3], s[64:65], vcc
	s_and_saveexec_b64 s[22:23], s[2:3]
	s_cbranch_execz .LBB139_28
; %bb.27:                               ;   in Loop: Header=BB139_12 Depth=1
	v_mul_f32_e32 v16, 0x3fb8aa3b, v75
	v_rndne_f32_e32 v17, v16
	v_sub_f32_e32 v18, v16, v17
	v_fma_f32 v16, v75, s88, -v16
	v_fmac_f32_e32 v16, 0x32a5705f, v75
	v_add_f32_e32 v16, v18, v16
	v_cvt_i32_f32_e32 v17, v17
	v_exp_f32_e32 v16, v16
	v_cmp_ngt_f32_e32 vcc, s89, v75
	v_ldexp_f32 v16, v16, v17
	s_nop 0
	v_cndmask_b32_e32 v16, 0, v16, vcc
	v_cmp_nlt_f32_e32 vcc, s90, v75
	s_nop 1
	v_cndmask_b32_e32 v32, v69, v16, vcc
	v_add_f32_e32 v18, 1.0, v32
	v_add_f32_e32 v16, -1.0, v18
	v_sub_f32_e32 v17, v16, v18
	v_add_f32_e32 v17, 1.0, v17
	v_sub_f32_e32 v16, v32, v16
	v_add_f32_e32 v19, v16, v17
	v_frexp_mant_f32_e32 v20, v18
	v_cvt_f64_f32_e32 v[16:17], v18
	v_frexp_exp_i32_f64_e32 v16, v[16:17]
	v_cmp_gt_f32_e32 vcc, s92, v20
	v_cmp_gt_f32_e64 s[2:3], s94, v32
	s_nop 0
	v_subbrev_co_u32_e32 v24, vcc, 0, v16, vcc
	v_sub_u32_e32 v16, 0, v24
	v_ldexp_f32 v17, v18, v16
	v_add_f32_e32 v18, -1.0, v17
	v_add_f32_e32 v20, 1.0, v17
	v_ldexp_f32 v16, v19, v16
	v_add_f32_e32 v19, 1.0, v18
	v_add_f32_e32 v21, -1.0, v20
	v_sub_f32_e32 v19, v17, v19
	v_sub_f32_e32 v17, v17, v21
	v_add_f32_e32 v19, v16, v19
	v_add_f32_e32 v16, v16, v17
	;; [unrolled: 1-line block ×3, first 2 shown]
	v_rcp_f32_e32 v27, v25
	v_sub_f32_e32 v17, v20, v25
	v_add_f32_e32 v26, v16, v17
	v_add_f32_e32 v17, v18, v19
	v_mul_f32_e32 v29, v17, v27
	v_sub_f32_e32 v16, v18, v17
	v_mul_f32_e32 v18, v25, v29
	v_fma_f32 v20, v29, v25, -v18
	v_fmac_f32_e32 v20, v29, v26
	v_add_f32_e32 v28, v19, v16
	v_add_f32_e32 v16, v18, v20
	v_sub_f32_e32 v19, v17, v16
	v_pk_add_f32 v[22:23], v[16:17], v[18:19] neg_lo:[0,1] neg_hi:[0,1]
	v_mov_b32_e32 v21, v16
	v_pk_add_f32 v[16:17], v[22:23], v[20:21] neg_lo:[0,1] neg_hi:[0,1]
	v_cmp_eq_f32_e32 vcc, s91, v32
	v_add_f32_e32 v17, v28, v17
	v_add_f32_e32 v16, v16, v17
	;; [unrolled: 1-line block ×3, first 2 shown]
	v_mul_f32_e32 v28, v27, v17
	v_mul_f32_e32 v18, v25, v28
	v_fma_f32 v20, v28, v25, -v18
	v_fmac_f32_e32 v20, v28, v26
	v_sub_f32_e32 v19, v19, v17
	v_add_f32_e32 v25, v16, v19
	v_add_f32_e32 v16, v18, v20
	v_sub_f32_e32 v19, v17, v16
	v_pk_add_f32 v[22:23], v[16:17], v[18:19] neg_lo:[0,1] neg_hi:[0,1]
	v_mov_b32_e32 v21, v16
	v_pk_add_f32 v[16:17], v[22:23], v[20:21] neg_lo:[0,1] neg_hi:[0,1]
	s_or_b64 vcc, s[2:3], vcc
	v_add_f32_e32 v17, v25, v17
	v_add_f32_e32 v16, v16, v17
	;; [unrolled: 1-line block ×4, first 2 shown]
	v_sub_f32_e32 v18, v17, v29
	v_mul_f32_e32 v16, v27, v16
	v_sub_f32_e32 v18, v28, v18
	v_add_f32_e32 v18, v18, v16
	v_add_f32_e32 v20, v17, v18
	v_mul_f32_e32 v21, v20, v20
	v_fmamk_f32 v16, v21, 0x3e9b6dac, v68
	v_fmaak_f32 v45, v21, v16, 0x3f2aaada
	v_cvt_f32_i32_e32 v16, v24
	v_sub_f32_e32 v17, v20, v17
	v_sub_f32_e32 v17, v18, v17
	v_ldexp_f32 v22, v17, 1
	v_mul_f32_e32 v17, v20, v21
	v_ldexp_f32 v19, v20, 1
	v_pk_mul_f32 v[20:21], v[16:17], v[44:45]
	s_nop 0
	v_fma_f32 v18, v16, s93, -v20
	v_fmac_f32_e32 v18, 0xb102e308, v16
	v_pk_add_f32 v[16:17], v[20:21], v[18:19]
	s_nop 0
	v_sub_f32_e32 v19, v17, v19
	v_sub_f32_e32 v19, v21, v19
	v_add_f32_e32 v23, v22, v19
	v_mov_b32_e32 v22, v20
	v_pk_add_f32 v[20:21], v[16:17], v[20:21] neg_lo:[0,1] neg_hi:[0,1]
	v_pk_add_f32 v[24:25], v[16:17], v[22:23]
	v_mov_b32_e32 v19, v16
	v_mov_b32_e32 v21, v25
	v_pk_add_f32 v[26:27], v[18:19], v[20:21] neg_lo:[0,1] neg_hi:[0,1]
	v_pk_add_f32 v[18:19], v[18:19], v[20:21]
	v_mov_b32_e32 v22, v23
	v_mov_b32_e32 v20, v19
	v_pk_add_f32 v[28:29], v[20:21], v[16:17] neg_lo:[0,1] neg_hi:[0,1]
	v_mov_b32_e32 v18, v25
	v_mov_b32_e32 v21, v28
	v_pk_add_f32 v[30:31], v[24:25], v[20:21] neg_lo:[0,1] neg_hi:[0,1]
	v_mov_b32_e32 v24, v17
	v_mov_b32_e32 v25, v28
	v_mov_b32_e32 v27, v19
	v_pk_add_f32 v[18:19], v[18:19], v[24:25] neg_lo:[0,1] neg_hi:[0,1]
	v_mov_b32_e32 v23, v16
	v_pk_add_f32 v[16:17], v[22:23], v[18:19] neg_lo:[0,1] neg_hi:[0,1]
	v_mov_b32_e32 v30, v26
	v_pk_add_f32 v[18:19], v[30:31], v[16:17]
	s_nop 0
	v_mov_b32_e32 v22, v19
	v_pk_add_f32 v[22:23], v[18:19], v[22:23]
	s_nop 0
	v_pk_add_f32 v[20:21], v[20:21], v[22:23]
	v_mov_b32_e32 v17, v22
	v_mov_b32_e32 v19, v20
	v_pk_add_f32 v[24:25], v[18:19], v[26:27] neg_lo:[0,1] neg_hi:[0,1]
	s_nop 0
	v_sub_f32_e32 v18, v18, v24
	v_pk_add_f32 v[16:17], v[16:17], v[24:25] neg_lo:[0,1] neg_hi:[0,1]
	v_sub_f32_e32 v18, v26, v18
	v_add_f32_e32 v16, v16, v18
	v_add_f32_e32 v16, v16, v17
	v_add_f32_e32 v16, v20, v16
	v_cndmask_b32_e32 v75, v16, v32, vcc
.LBB139_28:                             ;   in Loop: Header=BB139_12 Depth=1
	s_or_b64 exec, exec, s[22:23]
	s_waitcnt lgkmcnt(0)
	v_add_f32_e32 v76, s33, v0
	v_cmp_ge_f32_e32 vcc, s87, v76
	s_and_b64 s[2:3], s[64:65], vcc
	s_and_saveexec_b64 s[22:23], s[2:3]
	s_cbranch_execz .LBB139_30
; %bb.29:                               ;   in Loop: Header=BB139_12 Depth=1
	v_mul_f32_e32 v16, 0x3fb8aa3b, v76
	v_rndne_f32_e32 v17, v16
	v_sub_f32_e32 v18, v16, v17
	v_fma_f32 v16, v76, s88, -v16
	v_fmac_f32_e32 v16, 0x32a5705f, v76
	v_add_f32_e32 v16, v18, v16
	v_cvt_i32_f32_e32 v17, v17
	v_exp_f32_e32 v16, v16
	v_cmp_ngt_f32_e32 vcc, s89, v76
	v_ldexp_f32 v16, v16, v17
	s_nop 0
	v_cndmask_b32_e32 v16, 0, v16, vcc
	v_cmp_nlt_f32_e32 vcc, s90, v76
	s_nop 1
	v_cndmask_b32_e32 v32, v69, v16, vcc
	v_add_f32_e32 v18, 1.0, v32
	v_add_f32_e32 v16, -1.0, v18
	v_sub_f32_e32 v17, v16, v18
	v_add_f32_e32 v17, 1.0, v17
	v_sub_f32_e32 v16, v32, v16
	v_add_f32_e32 v19, v16, v17
	v_frexp_mant_f32_e32 v20, v18
	v_cvt_f64_f32_e32 v[16:17], v18
	v_frexp_exp_i32_f64_e32 v16, v[16:17]
	v_cmp_gt_f32_e32 vcc, s92, v20
	v_cmp_gt_f32_e64 s[2:3], s94, v32
	s_nop 0
	v_subbrev_co_u32_e32 v24, vcc, 0, v16, vcc
	v_sub_u32_e32 v16, 0, v24
	v_ldexp_f32 v17, v18, v16
	v_add_f32_e32 v18, -1.0, v17
	v_add_f32_e32 v20, 1.0, v17
	v_ldexp_f32 v16, v19, v16
	v_add_f32_e32 v19, 1.0, v18
	v_add_f32_e32 v21, -1.0, v20
	v_sub_f32_e32 v19, v17, v19
	v_sub_f32_e32 v17, v17, v21
	v_add_f32_e32 v19, v16, v19
	v_add_f32_e32 v16, v16, v17
	v_add_f32_e32 v25, v20, v16
	v_rcp_f32_e32 v27, v25
	v_sub_f32_e32 v17, v20, v25
	v_add_f32_e32 v26, v16, v17
	v_add_f32_e32 v17, v18, v19
	v_mul_f32_e32 v29, v17, v27
	v_sub_f32_e32 v16, v18, v17
	v_mul_f32_e32 v18, v25, v29
	v_fma_f32 v20, v29, v25, -v18
	v_fmac_f32_e32 v20, v29, v26
	v_add_f32_e32 v28, v19, v16
	v_add_f32_e32 v16, v18, v20
	v_sub_f32_e32 v19, v17, v16
	v_pk_add_f32 v[22:23], v[16:17], v[18:19] neg_lo:[0,1] neg_hi:[0,1]
	v_mov_b32_e32 v21, v16
	v_pk_add_f32 v[16:17], v[22:23], v[20:21] neg_lo:[0,1] neg_hi:[0,1]
	v_cmp_eq_f32_e32 vcc, s91, v32
	v_add_f32_e32 v17, v28, v17
	v_add_f32_e32 v16, v16, v17
	v_add_f32_e32 v17, v19, v16
	v_mul_f32_e32 v28, v27, v17
	v_mul_f32_e32 v18, v25, v28
	v_fma_f32 v20, v28, v25, -v18
	v_fmac_f32_e32 v20, v28, v26
	v_sub_f32_e32 v19, v19, v17
	v_add_f32_e32 v25, v16, v19
	v_add_f32_e32 v16, v18, v20
	v_sub_f32_e32 v19, v17, v16
	v_pk_add_f32 v[22:23], v[16:17], v[18:19] neg_lo:[0,1] neg_hi:[0,1]
	v_mov_b32_e32 v21, v16
	v_pk_add_f32 v[16:17], v[22:23], v[20:21] neg_lo:[0,1] neg_hi:[0,1]
	s_or_b64 vcc, s[2:3], vcc
	v_add_f32_e32 v17, v25, v17
	v_add_f32_e32 v16, v16, v17
	;; [unrolled: 1-line block ×4, first 2 shown]
	v_sub_f32_e32 v18, v17, v29
	v_mul_f32_e32 v16, v27, v16
	v_sub_f32_e32 v18, v28, v18
	v_add_f32_e32 v18, v18, v16
	v_add_f32_e32 v20, v17, v18
	v_mul_f32_e32 v21, v20, v20
	v_fmamk_f32 v16, v21, 0x3e9b6dac, v68
	v_fmaak_f32 v45, v21, v16, 0x3f2aaada
	v_cvt_f32_i32_e32 v16, v24
	v_sub_f32_e32 v17, v20, v17
	v_sub_f32_e32 v17, v18, v17
	v_ldexp_f32 v22, v17, 1
	v_mul_f32_e32 v17, v20, v21
	v_ldexp_f32 v19, v20, 1
	v_pk_mul_f32 v[20:21], v[16:17], v[44:45]
	s_nop 0
	v_fma_f32 v18, v16, s93, -v20
	v_fmac_f32_e32 v18, 0xb102e308, v16
	v_pk_add_f32 v[16:17], v[20:21], v[18:19]
	s_nop 0
	v_sub_f32_e32 v19, v17, v19
	v_sub_f32_e32 v19, v21, v19
	v_add_f32_e32 v23, v22, v19
	v_mov_b32_e32 v22, v20
	v_pk_add_f32 v[20:21], v[16:17], v[20:21] neg_lo:[0,1] neg_hi:[0,1]
	v_pk_add_f32 v[24:25], v[16:17], v[22:23]
	v_mov_b32_e32 v19, v16
	v_mov_b32_e32 v21, v25
	v_pk_add_f32 v[26:27], v[18:19], v[20:21] neg_lo:[0,1] neg_hi:[0,1]
	v_pk_add_f32 v[18:19], v[18:19], v[20:21]
	v_mov_b32_e32 v22, v23
	v_mov_b32_e32 v20, v19
	v_pk_add_f32 v[28:29], v[20:21], v[16:17] neg_lo:[0,1] neg_hi:[0,1]
	v_mov_b32_e32 v18, v25
	v_mov_b32_e32 v21, v28
	v_pk_add_f32 v[30:31], v[24:25], v[20:21] neg_lo:[0,1] neg_hi:[0,1]
	v_mov_b32_e32 v24, v17
	v_mov_b32_e32 v25, v28
	;; [unrolled: 1-line block ×3, first 2 shown]
	v_pk_add_f32 v[18:19], v[18:19], v[24:25] neg_lo:[0,1] neg_hi:[0,1]
	v_mov_b32_e32 v23, v16
	v_pk_add_f32 v[16:17], v[22:23], v[18:19] neg_lo:[0,1] neg_hi:[0,1]
	v_mov_b32_e32 v30, v26
	v_pk_add_f32 v[18:19], v[30:31], v[16:17]
	s_nop 0
	v_mov_b32_e32 v22, v19
	v_pk_add_f32 v[22:23], v[18:19], v[22:23]
	s_nop 0
	v_pk_add_f32 v[20:21], v[20:21], v[22:23]
	v_mov_b32_e32 v17, v22
	v_mov_b32_e32 v19, v20
	v_pk_add_f32 v[24:25], v[18:19], v[26:27] neg_lo:[0,1] neg_hi:[0,1]
	s_nop 0
	v_sub_f32_e32 v18, v18, v24
	v_pk_add_f32 v[16:17], v[16:17], v[24:25] neg_lo:[0,1] neg_hi:[0,1]
	v_sub_f32_e32 v18, v26, v18
	v_add_f32_e32 v16, v16, v18
	v_add_f32_e32 v16, v16, v17
	;; [unrolled: 1-line block ×3, first 2 shown]
	v_cndmask_b32_e32 v76, v16, v32, vcc
.LBB139_30:                             ;   in Loop: Header=BB139_12 Depth=1
	s_or_b64 exec, exec, s[22:23]
	v_add_f32_e32 v77, s33, v1
	v_cmp_ge_f32_e32 vcc, s87, v77
	s_and_b64 s[2:3], s[64:65], vcc
	s_and_saveexec_b64 s[22:23], s[2:3]
	s_cbranch_execz .LBB139_32
; %bb.31:                               ;   in Loop: Header=BB139_12 Depth=1
	v_mul_f32_e32 v16, 0x3fb8aa3b, v77
	v_rndne_f32_e32 v17, v16
	v_sub_f32_e32 v18, v16, v17
	v_fma_f32 v16, v77, s88, -v16
	v_fmac_f32_e32 v16, 0x32a5705f, v77
	v_add_f32_e32 v16, v18, v16
	v_cvt_i32_f32_e32 v17, v17
	v_exp_f32_e32 v16, v16
	v_cmp_ngt_f32_e32 vcc, s89, v77
	v_ldexp_f32 v16, v16, v17
	s_nop 0
	v_cndmask_b32_e32 v16, 0, v16, vcc
	v_cmp_nlt_f32_e32 vcc, s90, v77
	s_nop 1
	v_cndmask_b32_e32 v32, v69, v16, vcc
	v_add_f32_e32 v18, 1.0, v32
	v_add_f32_e32 v16, -1.0, v18
	v_sub_f32_e32 v17, v16, v18
	v_add_f32_e32 v17, 1.0, v17
	v_sub_f32_e32 v16, v32, v16
	v_add_f32_e32 v19, v16, v17
	v_frexp_mant_f32_e32 v20, v18
	v_cvt_f64_f32_e32 v[16:17], v18
	v_frexp_exp_i32_f64_e32 v16, v[16:17]
	v_cmp_gt_f32_e32 vcc, s92, v20
	v_cmp_gt_f32_e64 s[2:3], s94, v32
	s_nop 0
	v_subbrev_co_u32_e32 v24, vcc, 0, v16, vcc
	v_sub_u32_e32 v16, 0, v24
	v_ldexp_f32 v17, v18, v16
	v_add_f32_e32 v18, -1.0, v17
	v_add_f32_e32 v20, 1.0, v17
	v_ldexp_f32 v16, v19, v16
	v_add_f32_e32 v19, 1.0, v18
	v_add_f32_e32 v21, -1.0, v20
	v_sub_f32_e32 v19, v17, v19
	v_sub_f32_e32 v17, v17, v21
	v_add_f32_e32 v19, v16, v19
	v_add_f32_e32 v16, v16, v17
	v_add_f32_e32 v25, v20, v16
	v_rcp_f32_e32 v27, v25
	v_sub_f32_e32 v17, v20, v25
	v_add_f32_e32 v26, v16, v17
	v_add_f32_e32 v17, v18, v19
	v_mul_f32_e32 v29, v17, v27
	v_sub_f32_e32 v16, v18, v17
	v_mul_f32_e32 v18, v25, v29
	v_fma_f32 v20, v29, v25, -v18
	v_fmac_f32_e32 v20, v29, v26
	v_add_f32_e32 v28, v19, v16
	v_add_f32_e32 v16, v18, v20
	v_sub_f32_e32 v19, v17, v16
	v_pk_add_f32 v[22:23], v[16:17], v[18:19] neg_lo:[0,1] neg_hi:[0,1]
	v_mov_b32_e32 v21, v16
	v_pk_add_f32 v[16:17], v[22:23], v[20:21] neg_lo:[0,1] neg_hi:[0,1]
	v_cmp_eq_f32_e32 vcc, s91, v32
	v_add_f32_e32 v17, v28, v17
	v_add_f32_e32 v16, v16, v17
	;; [unrolled: 1-line block ×3, first 2 shown]
	v_mul_f32_e32 v28, v27, v17
	v_mul_f32_e32 v18, v25, v28
	v_fma_f32 v20, v28, v25, -v18
	v_fmac_f32_e32 v20, v28, v26
	v_sub_f32_e32 v19, v19, v17
	v_add_f32_e32 v25, v16, v19
	v_add_f32_e32 v16, v18, v20
	v_sub_f32_e32 v19, v17, v16
	v_pk_add_f32 v[22:23], v[16:17], v[18:19] neg_lo:[0,1] neg_hi:[0,1]
	v_mov_b32_e32 v21, v16
	v_pk_add_f32 v[16:17], v[22:23], v[20:21] neg_lo:[0,1] neg_hi:[0,1]
	s_or_b64 vcc, s[2:3], vcc
	v_add_f32_e32 v17, v25, v17
	v_add_f32_e32 v16, v16, v17
	;; [unrolled: 1-line block ×4, first 2 shown]
	v_sub_f32_e32 v18, v17, v29
	v_mul_f32_e32 v16, v27, v16
	v_sub_f32_e32 v18, v28, v18
	v_add_f32_e32 v18, v18, v16
	v_add_f32_e32 v20, v17, v18
	v_mul_f32_e32 v21, v20, v20
	v_fmamk_f32 v16, v21, 0x3e9b6dac, v68
	v_fmaak_f32 v45, v21, v16, 0x3f2aaada
	v_cvt_f32_i32_e32 v16, v24
	v_sub_f32_e32 v17, v20, v17
	v_sub_f32_e32 v17, v18, v17
	v_ldexp_f32 v22, v17, 1
	v_mul_f32_e32 v17, v20, v21
	v_ldexp_f32 v19, v20, 1
	v_pk_mul_f32 v[20:21], v[16:17], v[44:45]
	s_nop 0
	v_fma_f32 v18, v16, s93, -v20
	v_fmac_f32_e32 v18, 0xb102e308, v16
	v_pk_add_f32 v[16:17], v[20:21], v[18:19]
	s_nop 0
	v_sub_f32_e32 v19, v17, v19
	v_sub_f32_e32 v19, v21, v19
	v_add_f32_e32 v23, v22, v19
	v_mov_b32_e32 v22, v20
	v_pk_add_f32 v[20:21], v[16:17], v[20:21] neg_lo:[0,1] neg_hi:[0,1]
	v_pk_add_f32 v[24:25], v[16:17], v[22:23]
	v_mov_b32_e32 v19, v16
	v_mov_b32_e32 v21, v25
	v_pk_add_f32 v[26:27], v[18:19], v[20:21] neg_lo:[0,1] neg_hi:[0,1]
	v_pk_add_f32 v[18:19], v[18:19], v[20:21]
	v_mov_b32_e32 v22, v23
	v_mov_b32_e32 v20, v19
	v_pk_add_f32 v[28:29], v[20:21], v[16:17] neg_lo:[0,1] neg_hi:[0,1]
	v_mov_b32_e32 v18, v25
	v_mov_b32_e32 v21, v28
	v_pk_add_f32 v[30:31], v[24:25], v[20:21] neg_lo:[0,1] neg_hi:[0,1]
	v_mov_b32_e32 v24, v17
	v_mov_b32_e32 v25, v28
	;; [unrolled: 1-line block ×3, first 2 shown]
	v_pk_add_f32 v[18:19], v[18:19], v[24:25] neg_lo:[0,1] neg_hi:[0,1]
	v_mov_b32_e32 v23, v16
	v_pk_add_f32 v[16:17], v[22:23], v[18:19] neg_lo:[0,1] neg_hi:[0,1]
	v_mov_b32_e32 v30, v26
	v_pk_add_f32 v[18:19], v[30:31], v[16:17]
	s_nop 0
	v_mov_b32_e32 v22, v19
	v_pk_add_f32 v[22:23], v[18:19], v[22:23]
	s_nop 0
	v_pk_add_f32 v[20:21], v[20:21], v[22:23]
	v_mov_b32_e32 v17, v22
	v_mov_b32_e32 v19, v20
	v_pk_add_f32 v[24:25], v[18:19], v[26:27] neg_lo:[0,1] neg_hi:[0,1]
	s_nop 0
	v_sub_f32_e32 v18, v18, v24
	v_pk_add_f32 v[16:17], v[16:17], v[24:25] neg_lo:[0,1] neg_hi:[0,1]
	v_sub_f32_e32 v18, v26, v18
	v_add_f32_e32 v16, v16, v18
	v_add_f32_e32 v16, v16, v17
	;; [unrolled: 1-line block ×3, first 2 shown]
	v_cndmask_b32_e32 v77, v16, v32, vcc
.LBB139_32:                             ;   in Loop: Header=BB139_12 Depth=1
	s_or_b64 exec, exec, s[22:23]
	v_add_f32_e32 v78, s33, v2
	v_cmp_ge_f32_e32 vcc, s87, v78
	s_and_b64 s[2:3], s[64:65], vcc
	s_and_saveexec_b64 s[22:23], s[2:3]
	s_cbranch_execz .LBB139_34
; %bb.33:                               ;   in Loop: Header=BB139_12 Depth=1
	v_mul_f32_e32 v16, 0x3fb8aa3b, v78
	v_rndne_f32_e32 v17, v16
	v_sub_f32_e32 v18, v16, v17
	v_fma_f32 v16, v78, s88, -v16
	v_fmac_f32_e32 v16, 0x32a5705f, v78
	v_add_f32_e32 v16, v18, v16
	v_cvt_i32_f32_e32 v17, v17
	v_exp_f32_e32 v16, v16
	v_cmp_ngt_f32_e32 vcc, s89, v78
	v_ldexp_f32 v16, v16, v17
	s_nop 0
	v_cndmask_b32_e32 v16, 0, v16, vcc
	v_cmp_nlt_f32_e32 vcc, s90, v78
	s_nop 1
	v_cndmask_b32_e32 v32, v69, v16, vcc
	v_add_f32_e32 v18, 1.0, v32
	v_add_f32_e32 v16, -1.0, v18
	v_sub_f32_e32 v17, v16, v18
	v_add_f32_e32 v17, 1.0, v17
	v_sub_f32_e32 v16, v32, v16
	v_add_f32_e32 v19, v16, v17
	v_frexp_mant_f32_e32 v20, v18
	v_cvt_f64_f32_e32 v[16:17], v18
	v_frexp_exp_i32_f64_e32 v16, v[16:17]
	v_cmp_gt_f32_e32 vcc, s92, v20
	v_cmp_gt_f32_e64 s[2:3], s94, v32
	s_nop 0
	v_subbrev_co_u32_e32 v24, vcc, 0, v16, vcc
	v_sub_u32_e32 v16, 0, v24
	v_ldexp_f32 v17, v18, v16
	v_add_f32_e32 v18, -1.0, v17
	v_add_f32_e32 v20, 1.0, v17
	v_ldexp_f32 v16, v19, v16
	v_add_f32_e32 v19, 1.0, v18
	v_add_f32_e32 v21, -1.0, v20
	v_sub_f32_e32 v19, v17, v19
	v_sub_f32_e32 v17, v17, v21
	v_add_f32_e32 v19, v16, v19
	v_add_f32_e32 v16, v16, v17
	;; [unrolled: 1-line block ×3, first 2 shown]
	v_rcp_f32_e32 v27, v25
	v_sub_f32_e32 v17, v20, v25
	v_add_f32_e32 v26, v16, v17
	v_add_f32_e32 v17, v18, v19
	v_mul_f32_e32 v29, v17, v27
	v_sub_f32_e32 v16, v18, v17
	v_mul_f32_e32 v18, v25, v29
	v_fma_f32 v20, v29, v25, -v18
	v_fmac_f32_e32 v20, v29, v26
	v_add_f32_e32 v28, v19, v16
	v_add_f32_e32 v16, v18, v20
	v_sub_f32_e32 v19, v17, v16
	v_pk_add_f32 v[22:23], v[16:17], v[18:19] neg_lo:[0,1] neg_hi:[0,1]
	v_mov_b32_e32 v21, v16
	v_pk_add_f32 v[16:17], v[22:23], v[20:21] neg_lo:[0,1] neg_hi:[0,1]
	v_cmp_eq_f32_e32 vcc, s91, v32
	v_add_f32_e32 v17, v28, v17
	v_add_f32_e32 v16, v16, v17
	;; [unrolled: 1-line block ×3, first 2 shown]
	v_mul_f32_e32 v28, v27, v17
	v_mul_f32_e32 v18, v25, v28
	v_fma_f32 v20, v28, v25, -v18
	v_fmac_f32_e32 v20, v28, v26
	v_sub_f32_e32 v19, v19, v17
	v_add_f32_e32 v25, v16, v19
	v_add_f32_e32 v16, v18, v20
	v_sub_f32_e32 v19, v17, v16
	v_pk_add_f32 v[22:23], v[16:17], v[18:19] neg_lo:[0,1] neg_hi:[0,1]
	v_mov_b32_e32 v21, v16
	v_pk_add_f32 v[16:17], v[22:23], v[20:21] neg_lo:[0,1] neg_hi:[0,1]
	s_or_b64 vcc, s[2:3], vcc
	v_add_f32_e32 v17, v25, v17
	v_add_f32_e32 v16, v16, v17
	;; [unrolled: 1-line block ×4, first 2 shown]
	v_sub_f32_e32 v18, v17, v29
	v_mul_f32_e32 v16, v27, v16
	v_sub_f32_e32 v18, v28, v18
	v_add_f32_e32 v18, v18, v16
	v_add_f32_e32 v20, v17, v18
	v_mul_f32_e32 v21, v20, v20
	v_fmamk_f32 v16, v21, 0x3e9b6dac, v68
	v_fmaak_f32 v45, v21, v16, 0x3f2aaada
	v_cvt_f32_i32_e32 v16, v24
	v_sub_f32_e32 v17, v20, v17
	v_sub_f32_e32 v17, v18, v17
	v_ldexp_f32 v22, v17, 1
	v_mul_f32_e32 v17, v20, v21
	v_ldexp_f32 v19, v20, 1
	v_pk_mul_f32 v[20:21], v[16:17], v[44:45]
	s_nop 0
	v_fma_f32 v18, v16, s93, -v20
	v_fmac_f32_e32 v18, 0xb102e308, v16
	v_pk_add_f32 v[16:17], v[20:21], v[18:19]
	s_nop 0
	v_sub_f32_e32 v19, v17, v19
	v_sub_f32_e32 v19, v21, v19
	v_add_f32_e32 v23, v22, v19
	v_mov_b32_e32 v22, v20
	v_pk_add_f32 v[20:21], v[16:17], v[20:21] neg_lo:[0,1] neg_hi:[0,1]
	v_pk_add_f32 v[24:25], v[16:17], v[22:23]
	v_mov_b32_e32 v19, v16
	v_mov_b32_e32 v21, v25
	v_pk_add_f32 v[26:27], v[18:19], v[20:21] neg_lo:[0,1] neg_hi:[0,1]
	v_pk_add_f32 v[18:19], v[18:19], v[20:21]
	v_mov_b32_e32 v22, v23
	v_mov_b32_e32 v20, v19
	v_pk_add_f32 v[28:29], v[20:21], v[16:17] neg_lo:[0,1] neg_hi:[0,1]
	v_mov_b32_e32 v18, v25
	v_mov_b32_e32 v21, v28
	v_pk_add_f32 v[30:31], v[24:25], v[20:21] neg_lo:[0,1] neg_hi:[0,1]
	v_mov_b32_e32 v24, v17
	v_mov_b32_e32 v25, v28
	v_mov_b32_e32 v27, v19
	v_pk_add_f32 v[18:19], v[18:19], v[24:25] neg_lo:[0,1] neg_hi:[0,1]
	v_mov_b32_e32 v23, v16
	v_pk_add_f32 v[16:17], v[22:23], v[18:19] neg_lo:[0,1] neg_hi:[0,1]
	v_mov_b32_e32 v30, v26
	v_pk_add_f32 v[18:19], v[30:31], v[16:17]
	s_nop 0
	v_mov_b32_e32 v22, v19
	v_pk_add_f32 v[22:23], v[18:19], v[22:23]
	s_nop 0
	v_pk_add_f32 v[20:21], v[20:21], v[22:23]
	v_mov_b32_e32 v17, v22
	v_mov_b32_e32 v19, v20
	v_pk_add_f32 v[24:25], v[18:19], v[26:27] neg_lo:[0,1] neg_hi:[0,1]
	s_nop 0
	v_sub_f32_e32 v18, v18, v24
	v_pk_add_f32 v[16:17], v[16:17], v[24:25] neg_lo:[0,1] neg_hi:[0,1]
	v_sub_f32_e32 v18, v26, v18
	v_add_f32_e32 v16, v16, v18
	v_add_f32_e32 v16, v16, v17
	;; [unrolled: 1-line block ×3, first 2 shown]
	v_cndmask_b32_e32 v78, v16, v32, vcc
.LBB139_34:                             ;   in Loop: Header=BB139_12 Depth=1
	s_or_b64 exec, exec, s[22:23]
	v_add_f32_e32 v45, s33, v3
	v_cmp_ge_f32_e32 vcc, s87, v45
	s_and_b64 s[2:3], s[64:65], vcc
	s_and_saveexec_b64 s[22:23], s[2:3]
	s_cbranch_execz .LBB139_36
; %bb.35:                               ;   in Loop: Header=BB139_12 Depth=1
	v_mul_f32_e32 v16, 0x3fb8aa3b, v45
	v_rndne_f32_e32 v17, v16
	v_sub_f32_e32 v18, v16, v17
	v_fma_f32 v16, v45, s88, -v16
	v_fmac_f32_e32 v16, 0x32a5705f, v45
	v_add_f32_e32 v16, v18, v16
	v_cvt_i32_f32_e32 v17, v17
	v_exp_f32_e32 v16, v16
	v_cmp_ngt_f32_e32 vcc, s89, v45
	v_ldexp_f32 v16, v16, v17
	s_nop 0
	v_cndmask_b32_e32 v16, 0, v16, vcc
	v_cmp_nlt_f32_e32 vcc, s90, v45
	s_nop 1
	v_cndmask_b32_e32 v32, v69, v16, vcc
	v_add_f32_e32 v18, 1.0, v32
	v_add_f32_e32 v16, -1.0, v18
	v_sub_f32_e32 v17, v16, v18
	v_add_f32_e32 v17, 1.0, v17
	v_sub_f32_e32 v16, v32, v16
	v_add_f32_e32 v19, v16, v17
	v_frexp_mant_f32_e32 v20, v18
	v_cvt_f64_f32_e32 v[16:17], v18
	v_frexp_exp_i32_f64_e32 v16, v[16:17]
	v_cmp_gt_f32_e32 vcc, s92, v20
	v_cmp_gt_f32_e64 s[2:3], s94, v32
	s_nop 0
	v_subbrev_co_u32_e32 v24, vcc, 0, v16, vcc
	v_sub_u32_e32 v16, 0, v24
	v_ldexp_f32 v17, v18, v16
	v_add_f32_e32 v18, -1.0, v17
	v_add_f32_e32 v20, 1.0, v17
	v_ldexp_f32 v16, v19, v16
	v_add_f32_e32 v19, 1.0, v18
	v_add_f32_e32 v21, -1.0, v20
	v_sub_f32_e32 v19, v17, v19
	v_sub_f32_e32 v17, v17, v21
	v_add_f32_e32 v19, v16, v19
	v_add_f32_e32 v16, v16, v17
	;; [unrolled: 1-line block ×3, first 2 shown]
	v_rcp_f32_e32 v27, v25
	v_sub_f32_e32 v17, v20, v25
	v_add_f32_e32 v26, v16, v17
	v_add_f32_e32 v17, v18, v19
	v_mul_f32_e32 v29, v17, v27
	v_sub_f32_e32 v16, v18, v17
	v_mul_f32_e32 v18, v25, v29
	v_fma_f32 v20, v29, v25, -v18
	v_fmac_f32_e32 v20, v29, v26
	v_add_f32_e32 v28, v19, v16
	v_add_f32_e32 v16, v18, v20
	v_sub_f32_e32 v19, v17, v16
	v_pk_add_f32 v[22:23], v[16:17], v[18:19] neg_lo:[0,1] neg_hi:[0,1]
	v_mov_b32_e32 v21, v16
	v_pk_add_f32 v[16:17], v[22:23], v[20:21] neg_lo:[0,1] neg_hi:[0,1]
	v_cmp_eq_f32_e32 vcc, s91, v32
	v_add_f32_e32 v17, v28, v17
	v_add_f32_e32 v16, v16, v17
	;; [unrolled: 1-line block ×3, first 2 shown]
	v_mul_f32_e32 v28, v27, v17
	v_mul_f32_e32 v18, v25, v28
	v_fma_f32 v20, v28, v25, -v18
	v_fmac_f32_e32 v20, v28, v26
	v_sub_f32_e32 v19, v19, v17
	v_add_f32_e32 v25, v16, v19
	v_add_f32_e32 v16, v18, v20
	v_sub_f32_e32 v19, v17, v16
	v_pk_add_f32 v[22:23], v[16:17], v[18:19] neg_lo:[0,1] neg_hi:[0,1]
	v_mov_b32_e32 v21, v16
	v_pk_add_f32 v[16:17], v[22:23], v[20:21] neg_lo:[0,1] neg_hi:[0,1]
	s_or_b64 vcc, s[2:3], vcc
	v_add_f32_e32 v17, v25, v17
	v_add_f32_e32 v16, v16, v17
	;; [unrolled: 1-line block ×4, first 2 shown]
	v_sub_f32_e32 v18, v17, v29
	v_mul_f32_e32 v16, v27, v16
	v_sub_f32_e32 v18, v28, v18
	v_add_f32_e32 v18, v18, v16
	v_add_f32_e32 v20, v17, v18
	v_mul_f32_e32 v21, v20, v20
	v_fmamk_f32 v16, v21, 0x3e9b6dac, v68
	v_fmaak_f32 v45, v21, v16, 0x3f2aaada
	v_cvt_f32_i32_e32 v16, v24
	v_sub_f32_e32 v17, v20, v17
	v_sub_f32_e32 v17, v18, v17
	v_ldexp_f32 v22, v17, 1
	v_mul_f32_e32 v17, v20, v21
	v_ldexp_f32 v19, v20, 1
	v_pk_mul_f32 v[20:21], v[16:17], v[44:45]
	s_nop 0
	v_fma_f32 v18, v16, s93, -v20
	v_fmac_f32_e32 v18, 0xb102e308, v16
	v_pk_add_f32 v[16:17], v[20:21], v[18:19]
	s_nop 0
	v_sub_f32_e32 v19, v17, v19
	v_sub_f32_e32 v19, v21, v19
	v_add_f32_e32 v23, v22, v19
	v_mov_b32_e32 v22, v20
	v_pk_add_f32 v[20:21], v[16:17], v[20:21] neg_lo:[0,1] neg_hi:[0,1]
	v_pk_add_f32 v[24:25], v[16:17], v[22:23]
	v_mov_b32_e32 v19, v16
	v_mov_b32_e32 v21, v25
	v_pk_add_f32 v[26:27], v[18:19], v[20:21] neg_lo:[0,1] neg_hi:[0,1]
	v_pk_add_f32 v[18:19], v[18:19], v[20:21]
	v_mov_b32_e32 v22, v23
	v_mov_b32_e32 v20, v19
	v_pk_add_f32 v[28:29], v[20:21], v[16:17] neg_lo:[0,1] neg_hi:[0,1]
	v_mov_b32_e32 v18, v25
	v_mov_b32_e32 v21, v28
	v_pk_add_f32 v[30:31], v[24:25], v[20:21] neg_lo:[0,1] neg_hi:[0,1]
	v_mov_b32_e32 v24, v17
	v_mov_b32_e32 v25, v28
	;; [unrolled: 1-line block ×3, first 2 shown]
	v_pk_add_f32 v[18:19], v[18:19], v[24:25] neg_lo:[0,1] neg_hi:[0,1]
	v_mov_b32_e32 v23, v16
	v_pk_add_f32 v[16:17], v[22:23], v[18:19] neg_lo:[0,1] neg_hi:[0,1]
	v_mov_b32_e32 v30, v26
	v_pk_add_f32 v[18:19], v[30:31], v[16:17]
	s_nop 0
	v_mov_b32_e32 v22, v19
	v_pk_add_f32 v[22:23], v[18:19], v[22:23]
	s_nop 0
	v_pk_add_f32 v[20:21], v[20:21], v[22:23]
	v_mov_b32_e32 v17, v22
	v_mov_b32_e32 v19, v20
	v_pk_add_f32 v[24:25], v[18:19], v[26:27] neg_lo:[0,1] neg_hi:[0,1]
	s_nop 0
	v_sub_f32_e32 v18, v18, v24
	v_pk_add_f32 v[16:17], v[16:17], v[24:25] neg_lo:[0,1] neg_hi:[0,1]
	v_sub_f32_e32 v18, v26, v18
	v_add_f32_e32 v16, v16, v18
	v_add_f32_e32 v16, v16, v17
	;; [unrolled: 1-line block ×3, first 2 shown]
	v_cndmask_b32_e32 v45, v16, v32, vcc
.LBB139_36:                             ;   in Loop: Header=BB139_12 Depth=1
	s_or_b64 exec, exec, s[22:23]
	v_mul_f32_e32 v18, s84, v6
	v_mul_f32_e32 v17, s84, v5
	;; [unrolled: 1-line block ×7, first 2 shown]
	s_lshl_b32 s2, s97, 9
	v_mul_f32_e32 v19, s84, v7
	s_and_b64 vcc, exec, s[66:67]
	s_waitcnt lgkmcnt(0)
	; wave barrier
	s_cbranch_vccz .LBB139_11
; %bb.37:                               ;   in Loop: Header=BB139_12 Depth=1
	s_sub_i32 s3, s58, s2
	s_cmp_lg_u32 s97, 0
	s_cselect_b64 s[70:71], -1, 0
	s_cmp_eq_u32 s97, s86
	v_cmp_gt_u32_e32 vcc, s3, v59
	v_or_b32_e32 v24, 1, v59
	s_cselect_b64 s[72:73], -1, 0
	s_or_b64 s[22:23], s[68:69], vcc
	v_cmp_gt_u32_e32 vcc, s3, v24
	v_or_b32_e32 v24, 2, v59
	s_or_b64 s[24:25], s[68:69], vcc
	v_cmp_gt_u32_e32 vcc, s3, v24
	s_or_b64 s[26:27], s[68:69], vcc
	v_cmp_gt_u32_e32 vcc, s3, v63
	;; [unrolled: 2-line block ×5, first 2 shown]
	s_mov_b32 s60, 0
	s_or_b64 s[36:37], s[68:69], vcc
	v_cmp_gt_u32_e32 vcc, s3, v67
	v_mul_f32_e32 v79, v7, v45
	v_lshl_add_u64 v[46:47], s[46:47], 0, v[40:41]
	v_lshl_add_u64 v[48:49], s[50:51], 0, v[40:41]
	v_mul_f32_e32 v80, v6, v78
	v_mul_f32_e32 v81, v5, v77
	;; [unrolled: 1-line block ×7, first 2 shown]
	s_or_b64 s[38:39], s[68:69], vcc
	s_mov_b32 s74, s60
	s_mov_b32 s76, s60
	;; [unrolled: 1-line block ×5, first 2 shown]
	s_branch .LBB139_39
.LBB139_38:                             ;   in Loop: Header=BB139_39 Depth=2
	s_or_b64 exec, exec, s[80:81]
	v_mul_f32_e32 v50, v87, v95
	v_fma_f32 v51, v87, v61, v36
	v_cndmask_b32_e64 v36, v51, v36, s[20:21]
	v_cndmask_b32_e64 v50, v50, v87, s[20:21]
	s_waitcnt lgkmcnt(0)
	v_fmac_f32_e32 v36, v52, v50
	v_fmac_f32_e32 v37, v36, v88
	;; [unrolled: 1-line block ×8, first 2 shown]
	s_add_i32 s98, s98, 8
	s_add_i32 s3, s3, -1
	s_add_i32 s78, s78, s42
	s_add_i32 s76, s76, s52
	;; [unrolled: 1-line block ×4, first 2 shown]
	v_pk_fma_f32 v[20:21], v[28:29], v[36:37], v[20:21]
	v_pk_fma_f32 v[22:23], v[30:31], v[38:39], v[22:23]
	;; [unrolled: 1-line block ×3, first 2 shown]
	s_cmp_eq_u32 s3, 0
	v_pk_fma_f32 v[18:19], v[26:27], v[34:35], v[18:19]
	s_cbranch_scc1 .LBB139_11
.LBB139_39:                             ;   Parent Loop BB139_12 Depth=1
                                        ; =>  This Inner Loop Header: Depth=2
	s_mov_b32 s75, s61
	v_lshl_add_u64 v[28:29], s[74:75], 2, v[46:47]
	global_load_dwordx4 v[24:27], v[28:29], off
	s_nop 0
	global_load_dwordx4 v[28:31], v[28:29], off offset:1024
	s_lshl_b64 s[80:81], s[60:61], 2
	s_mov_b32 s77, s61
	s_add_u32 s80, s43, s80
	v_lshl_add_u64 v[32:33], s[76:77], 2, v[48:49]
	s_addc_u32 s81, s44, s81
	global_load_dword v52, v41, s[80:81]
	s_andn2_b64 vcc, exec, s[70:71]
	s_waitcnt vmcnt(2)
	ds_write_b128 v54, v[24:27]
	s_waitcnt vmcnt(1)
	ds_write_b128 v55, v[28:31] offset:1024
	; wave barrier
	global_load_dwordx4 v[24:27], v[32:33], off
	global_load_dwordx4 v[28:31], v[32:33], off offset:1024
	ds_read_b128 v[36:39], v56
	ds_read_b128 v[32:35], v56 offset:16
	s_waitcnt vmcnt(1)
	ds_write_b128 v54, v[24:27] offset:2112
	s_waitcnt vmcnt(0)
	ds_write_b128 v57, v[28:31] offset:1024
	; wave barrier
	ds_read_b128 v[28:31], v56 offset:2112
	ds_read_b128 v[24:27], v58 offset:16
	s_cbranch_vccnz .LBB139_41
; %bb.40:                               ;   in Loop: Header=BB139_39 Depth=2
	v_mov_b32_e32 v50, s98
	ds_read_b64 v[50:51], v50
	s_cbranch_execz .LBB139_42
	s_branch .LBB139_45
.LBB139_41:                             ;   in Loop: Header=BB139_39 Depth=2
                                        ; implicit-def: $vgpr51
.LBB139_42:                             ;   in Loop: Header=BB139_39 Depth=2
	s_andn2_b64 vcc, exec, s[56:57]
	s_waitcnt lgkmcnt(0)
	v_mov_b32_e32 v51, 0
	s_cbranch_vccnz .LBB139_44
; %bb.43:                               ;   in Loop: Header=BB139_39 Depth=2
	s_mov_b32 s79, s61
	s_lshl_b64 s[80:81], s[78:79], 2
	s_add_u32 s80, s49, s80
	s_addc_u32 s81, s53, s81
	global_load_dword v51, v41, s[80:81]
.LBB139_44:                             ;   in Loop: Header=BB139_39 Depth=2
	v_mov_b32_e32 v50, 1.0
.LBB139_45:                             ;   in Loop: Header=BB139_39 Depth=2
	v_mul_f32_e32 v52, 0x3fb8aa3b, v52
	v_mul_f32_e32 v53, v52, v72
	v_cmp_gt_f32_e32 vcc, s96, v53
	s_waitcnt lgkmcnt(5)
	v_mul_f32_e32 v36, v36, v86
	v_mul_f32_e32 v37, v37, v85
	v_cndmask_b32_e32 v53, 0, v70, vcc
	v_fmac_f32_e32 v53, v52, v72
	v_exp_f32_e32 v53, v53
	v_cndmask_b32_e32 v61, 1.0, v71, vcc
	v_cndmask_b32_e64 v36, 0, v36, s[22:23]
	v_cndmask_b32_e64 v37, 0, v37, s[24:25]
	v_mul_f32_e32 v53, v53, v61
	v_mul_f32_e32 v61, v52, v73
	v_cmp_gt_f32_e32 vcc, s96, v61
	v_cndmask_b32_e64 v87, 1.0, v53, s[22:23]
	v_mul_f32_e32 v38, v38, v84
	v_cndmask_b32_e32 v61, 0, v70, vcc
	v_fmac_f32_e32 v61, v52, v73
	v_exp_f32_e32 v61, v61
	v_cndmask_b32_e32 v53, 1.0, v71, vcc
	v_cndmask_b32_e64 v38, 0, v38, s[26:27]
	v_mul_f32_e32 v39, v39, v83
	v_mul_f32_e32 v53, v61, v53
	;; [unrolled: 1-line block ×3, first 2 shown]
	v_cmp_gt_f32_e32 vcc, s96, v61
	v_cndmask_b32_e64 v88, 1.0, v53, s[24:25]
	v_cndmask_b32_e64 v39, 0, v39, s[28:29]
	v_cndmask_b32_e32 v61, 0, v70, vcc
	v_fmac_f32_e32 v61, v52, v74
	v_exp_f32_e32 v61, v61
	v_cndmask_b32_e32 v53, 1.0, v71, vcc
	s_waitcnt lgkmcnt(4)
	v_mul_f32_e32 v32, v32, v82
	v_cndmask_b32_e64 v32, 0, v32, s[30:31]
	v_mul_f32_e32 v53, v61, v53
	v_mul_f32_e32 v61, v52, v75
	v_cmp_gt_f32_e32 vcc, s96, v61
	v_cndmask_b32_e64 v89, 1.0, v53, s[26:27]
	v_mul_f32_e32 v33, v33, v81
	v_cndmask_b32_e32 v61, 0, v70, vcc
	v_fmac_f32_e32 v61, v52, v75
	v_exp_f32_e32 v61, v61
	v_cndmask_b32_e32 v53, 1.0, v71, vcc
	v_cndmask_b32_e64 v33, 0, v33, s[34:35]
	v_mul_f32_e32 v34, v34, v80
	v_mul_f32_e32 v53, v61, v53
	;; [unrolled: 1-line block ×3, first 2 shown]
	v_cmp_gt_f32_e32 vcc, s96, v61
	v_cndmask_b32_e64 v90, 1.0, v53, s[28:29]
	v_cndmask_b32_e64 v34, 0, v34, s[36:37]
	v_cndmask_b32_e32 v61, 0, v70, vcc
	v_fmac_f32_e32 v61, v52, v76
	v_exp_f32_e32 v61, v61
	v_cndmask_b32_e32 v53, 1.0, v71, vcc
	v_mul_f32_e32 v35, v35, v79
	v_cndmask_b32_e64 v35, 0, v35, s[38:39]
	v_mul_f32_e32 v53, v61, v53
	v_mul_f32_e32 v61, v52, v77
	v_cmp_gt_f32_e32 vcc, s96, v61
	v_cndmask_b32_e64 v91, 1.0, v53, s[30:31]
	s_nop 0
	v_cndmask_b32_e32 v61, 0, v70, vcc
	v_fmac_f32_e32 v61, v52, v77
	v_exp_f32_e32 v61, v61
	v_cndmask_b32_e32 v53, 1.0, v71, vcc
	v_mul_f32_e32 v53, v61, v53
	v_mul_f32_e32 v61, v52, v78
	v_cmp_gt_f32_e32 vcc, s96, v61
	v_cndmask_b32_e64 v92, 1.0, v53, s[34:35]
	s_nop 0
	v_cndmask_b32_e32 v61, 0, v70, vcc
	v_fmac_f32_e32 v61, v52, v78
	v_exp_f32_e32 v61, v61
	v_cndmask_b32_e32 v53, 1.0, v71, vcc
	;; [unrolled: 9-line block ×3, first 2 shown]
	v_mul_f32_e32 v52, v52, v53
	v_cndmask_b32_e64 v94, 1.0, v52, s[38:39]
	v_mul_f32_e32 v52, v88, v87
	v_fma_f32 v53, v88, v36, v37
	v_mul_f32_e32 v52, v52, v89
	v_fma_f32 v53, v53, v89, v38
	;; [unrolled: 2-line block ×7, first 2 shown]
	s_nop 0
	v_mov_b32_dpp v95, v52 row_shr:1 row_mask:0xf bank_mask:0xf
	v_mov_b32_dpp v61, v62 row_shr:1 row_mask:0xf bank_mask:0xf
	s_and_saveexec_b64 s[80:81], s[4:5]
; %bb.46:                               ;   in Loop: Header=BB139_39 Depth=2
	v_mul_f32_e32 v95, v52, v95
	v_fmac_f32_e32 v62, v52, v61
	v_mov_b32_e32 v52, v95
; %bb.47:                               ;   in Loop: Header=BB139_39 Depth=2
	s_or_b64 exec, exec, s[80:81]
	s_nop 0
	v_mov_b32_dpp v61, v52 row_shr:2 row_mask:0xf bank_mask:0xf
	v_mov_b32_dpp v95, v62 row_shr:2 row_mask:0xf bank_mask:0xf
	s_and_saveexec_b64 s[80:81], s[6:7]
; %bb.48:                               ;   in Loop: Header=BB139_39 Depth=2
	v_fmac_f32_e32 v62, v52, v95
	v_mul_f32_e32 v52, v52, v61
; %bb.49:                               ;   in Loop: Header=BB139_39 Depth=2
	s_or_b64 exec, exec, s[80:81]
	s_nop 0
	v_mov_b32_dpp v61, v52 row_shr:4 row_mask:0xf bank_mask:0xf
	v_mov_b32_dpp v95, v62 row_shr:4 row_mask:0xf bank_mask:0xf
	s_and_saveexec_b64 s[80:81], s[8:9]
; %bb.50:                               ;   in Loop: Header=BB139_39 Depth=2
	v_fmac_f32_e32 v62, v52, v95
	v_mul_f32_e32 v52, v52, v61
	;; [unrolled: 9-line block ×3, first 2 shown]
; %bb.53:                               ;   in Loop: Header=BB139_39 Depth=2
	s_or_b64 exec, exec, s[80:81]
	s_nop 0
	v_mov_b32_dpp v61, v52 row_bcast:15 row_mask:0xf bank_mask:0xf
	v_mov_b32_dpp v95, v62 row_bcast:15 row_mask:0xf bank_mask:0xf
	s_and_saveexec_b64 s[80:81], s[12:13]
; %bb.54:                               ;   in Loop: Header=BB139_39 Depth=2
	v_fmac_f32_e32 v62, v52, v95
	v_mul_f32_e32 v52, v52, v61
; %bb.55:                               ;   in Loop: Header=BB139_39 Depth=2
	s_or_b64 exec, exec, s[80:81]
	s_nop 0
	v_mov_b32_dpp v61, v52 row_bcast:31 row_mask:0xf bank_mask:0xf
	v_mov_b32_dpp v95, v62 row_bcast:31 row_mask:0xf bank_mask:0xf
	v_mov_b32_e32 v53, v62
	v_mul_f32_e32 v61, v52, v61
	v_fmac_f32_e32 v53, v52, v95
	v_cndmask_b32_e64 v52, v52, v61, s[14:15]
	v_cndmask_b32_e64 v53, v62, v53, s[14:15]
	s_and_saveexec_b64 s[80:81], s[16:17]
	s_cbranch_execz .LBB139_57
; %bb.56:                               ;   in Loop: Header=BB139_39 Depth=2
	ds_write_b64 v41, v[52:53] offset:4224
.LBB139_57:                             ;   in Loop: Header=BB139_39 Depth=2
	s_or_b64 exec, exec, s[80:81]
	ds_bpermute_b32 v95, v60, v52
	ds_bpermute_b32 v61, v60, v53
	s_waitcnt vmcnt(0) lgkmcnt(2)
	v_mov_b32_e32 v53, v51
	s_waitcnt lgkmcnt(0)
	; wave barrier
	s_waitcnt lgkmcnt(0)
	s_and_saveexec_b64 s[80:81], s[18:19]
	s_cbranch_execz .LBB139_61
; %bb.58:                               ;   in Loop: Header=BB139_39 Depth=2
	ds_read_b64 v[52:53], v41 offset:4224
	s_and_saveexec_b64 s[82:83], s[20:21]
	s_cbranch_execz .LBB139_60
; %bb.59:                               ;   in Loop: Header=BB139_39 Depth=2
	ds_write_b64 v41, v[50:51] offset:4224
.LBB139_60:                             ;   in Loop: Header=BB139_39 Depth=2
	s_or_b64 exec, exec, s[82:83]
	s_waitcnt lgkmcnt(0)
	v_fmac_f32_e32 v53, v51, v52
	v_mul_f32_e32 v50, v50, v52
	v_mov_b32_e32 v51, v53
.LBB139_61:                             ;   in Loop: Header=BB139_39 Depth=2
	s_or_b64 exec, exec, s[80:81]
	s_waitcnt lgkmcnt(0)
	; wave barrier
	ds_read_b32 v52, v41 offset:4228
	s_and_saveexec_b64 s[80:81], s[20:21]
	s_cbranch_execz .LBB139_38
; %bb.62:                               ;   in Loop: Header=BB139_39 Depth=2
	v_mov_b32_e32 v62, s98
	s_andn2_b64 vcc, exec, s[72:73]
	ds_write_b64 v62, v[50:51]
	s_cbranch_vccnz .LBB139_38
; %bb.63:                               ;   in Loop: Header=BB139_39 Depth=2
	s_mov_b32 s79, s61
	s_lshl_b64 s[82:83], s[78:79], 2
	s_add_u32 s82, s49, s82
	s_addc_u32 s83, s53, s83
	global_store_dword v41, v53, s[82:83]
	s_branch .LBB139_38
.LBB139_64:
	s_endpgm
	.section	.rodata,"a",@progbits
	.p2align	6, 0x0
	.amdhsa_kernel _Z25selective_scan_fwd_kernelI32Selective_Scan_fwd_kernel_traitsILi64ELi8ELi1ELb1ELb1ELb1ELb0ELb0EfffEEv13SSMParamsBase
		.amdhsa_group_segment_fixed_size 0
		.amdhsa_private_segment_fixed_size 0
		.amdhsa_kernarg_size 248
		.amdhsa_user_sgpr_count 2
		.amdhsa_user_sgpr_dispatch_ptr 0
		.amdhsa_user_sgpr_queue_ptr 0
		.amdhsa_user_sgpr_kernarg_segment_ptr 1
		.amdhsa_user_sgpr_dispatch_id 0
		.amdhsa_user_sgpr_kernarg_preload_length 0
		.amdhsa_user_sgpr_kernarg_preload_offset 0
		.amdhsa_user_sgpr_private_segment_size 0
		.amdhsa_uses_dynamic_stack 0
		.amdhsa_enable_private_segment 0
		.amdhsa_system_sgpr_workgroup_id_x 1
		.amdhsa_system_sgpr_workgroup_id_y 1
		.amdhsa_system_sgpr_workgroup_id_z 0
		.amdhsa_system_sgpr_workgroup_info 0
		.amdhsa_system_vgpr_workitem_id 0
		.amdhsa_next_free_vgpr 96
		.amdhsa_next_free_sgpr 99
		.amdhsa_accum_offset 96
		.amdhsa_reserve_vcc 1
		.amdhsa_float_round_mode_32 0
		.amdhsa_float_round_mode_16_64 0
		.amdhsa_float_denorm_mode_32 3
		.amdhsa_float_denorm_mode_16_64 3
		.amdhsa_dx10_clamp 1
		.amdhsa_ieee_mode 1
		.amdhsa_fp16_overflow 0
		.amdhsa_tg_split 0
		.amdhsa_exception_fp_ieee_invalid_op 0
		.amdhsa_exception_fp_denorm_src 0
		.amdhsa_exception_fp_ieee_div_zero 0
		.amdhsa_exception_fp_ieee_overflow 0
		.amdhsa_exception_fp_ieee_underflow 0
		.amdhsa_exception_fp_ieee_inexact 0
		.amdhsa_exception_int_div_zero 0
	.end_amdhsa_kernel
	.section	.text._Z25selective_scan_fwd_kernelI32Selective_Scan_fwd_kernel_traitsILi64ELi8ELi1ELb1ELb1ELb1ELb0ELb0EfffEEv13SSMParamsBase,"axG",@progbits,_Z25selective_scan_fwd_kernelI32Selective_Scan_fwd_kernel_traitsILi64ELi8ELi1ELb1ELb1ELb1ELb0ELb0EfffEEv13SSMParamsBase,comdat
.Lfunc_end139:
	.size	_Z25selective_scan_fwd_kernelI32Selective_Scan_fwd_kernel_traitsILi64ELi8ELi1ELb1ELb1ELb1ELb0ELb0EfffEEv13SSMParamsBase, .Lfunc_end139-_Z25selective_scan_fwd_kernelI32Selective_Scan_fwd_kernel_traitsILi64ELi8ELi1ELb1ELb1ELb1ELb0ELb0EfffEEv13SSMParamsBase
                                        ; -- End function
	.section	.AMDGPU.csdata,"",@progbits
; Kernel info:
; codeLenInByte = 8528
; NumSgprs: 105
; NumVgprs: 96
; NumAgprs: 0
; TotalNumVgprs: 96
; ScratchSize: 0
; MemoryBound: 1
; FloatMode: 240
; IeeeMode: 1
; LDSByteSize: 0 bytes/workgroup (compile time only)
; SGPRBlocks: 13
; VGPRBlocks: 11
; NumSGPRsForWavesPerEU: 105
; NumVGPRsForWavesPerEU: 96
; AccumOffset: 96
; Occupancy: 5
; WaveLimiterHint : 1
; COMPUTE_PGM_RSRC2:SCRATCH_EN: 0
; COMPUTE_PGM_RSRC2:USER_SGPR: 2
; COMPUTE_PGM_RSRC2:TRAP_HANDLER: 0
; COMPUTE_PGM_RSRC2:TGID_X_EN: 1
; COMPUTE_PGM_RSRC2:TGID_Y_EN: 1
; COMPUTE_PGM_RSRC2:TGID_Z_EN: 0
; COMPUTE_PGM_RSRC2:TIDIG_COMP_CNT: 0
; COMPUTE_PGM_RSRC3_GFX90A:ACCUM_OFFSET: 23
; COMPUTE_PGM_RSRC3_GFX90A:TG_SPLIT: 0
	.section	.text._Z25selective_scan_fwd_kernelI32Selective_Scan_fwd_kernel_traitsILi64ELi8ELi1ELb0ELb1ELb1ELb1ELb1EfffEEv13SSMParamsBase,"axG",@progbits,_Z25selective_scan_fwd_kernelI32Selective_Scan_fwd_kernel_traitsILi64ELi8ELi1ELb0ELb1ELb1ELb1ELb1EfffEEv13SSMParamsBase,comdat
	.protected	_Z25selective_scan_fwd_kernelI32Selective_Scan_fwd_kernel_traitsILi64ELi8ELi1ELb0ELb1ELb1ELb1ELb1EfffEEv13SSMParamsBase ; -- Begin function _Z25selective_scan_fwd_kernelI32Selective_Scan_fwd_kernel_traitsILi64ELi8ELi1ELb0ELb1ELb1ELb1ELb1EfffEEv13SSMParamsBase
	.globl	_Z25selective_scan_fwd_kernelI32Selective_Scan_fwd_kernel_traitsILi64ELi8ELi1ELb0ELb1ELb1ELb1ELb1EfffEEv13SSMParamsBase
	.p2align	8
	.type	_Z25selective_scan_fwd_kernelI32Selective_Scan_fwd_kernel_traitsILi64ELi8ELi1ELb0ELb1ELb1ELb1ELb1EfffEEv13SSMParamsBase,@function
_Z25selective_scan_fwd_kernelI32Selective_Scan_fwd_kernel_traitsILi64ELi8ELi1ELb0ELb1ELb1ELb1ELb1EfffEEv13SSMParamsBase: ; @_Z25selective_scan_fwd_kernelI32Selective_Scan_fwd_kernel_traitsILi64ELi8ELi1ELb0ELb1ELb1ELb1ELb1EfffEEv13SSMParamsBase
; %bb.0:
	s_load_dword s37, s[0:1], 0x18
	s_load_dwordx4 s[4:7], s[0:1], 0xe8
	s_load_dwordx8 s[20:27], s[0:1], 0xc8
	s_mov_b32 s34, s3
	s_ashr_i32 s3, s2, 31
	s_lshl_b64 s[8:9], s[2:3], 2
	s_waitcnt lgkmcnt(0)
	s_abs_i32 s36, s37
	v_cvt_f32_u32_e32 v1, s36
	s_add_u32 s28, s26, s8
	s_addc_u32 s29, s27, s9
	s_cmp_eq_u64 s[6:7], 0
	v_rcp_iflag_f32_e32 v1, v1
                                        ; implicit-def: $vgpr95 : SGPR spill to VGPR lane
	s_nop 0
	v_mul_f32_e32 v1, 0x4f7ffffe, v1
	v_cvt_u32_f32_e32 v1, v1
	s_nop 0
	v_readfirstlane_b32 s38, v1
	s_cbranch_scc1 .LBB140_2
; %bb.1:
	s_add_u32 s6, s6, s2
	s_addc_u32 s7, s7, s3
	v_mov_b32_e32 v1, 0
	global_load_ubyte v1, v1, s[6:7]
	s_waitcnt vmcnt(0)
	v_and_b32_e32 v1, 1, v1
	v_cmp_eq_u32_e64 s[6:7], 1, v1
	s_branch .LBB140_3
.LBB140_2:
	s_mov_b64 s[6:7], 0
.LBB140_3:
	s_nop 0
	v_writelane_b32 v95, s6, 0
	s_cmp_eq_u64 s[4:5], 0
	s_nop 0
	v_writelane_b32 v95, s7, 1
	s_load_dwordx2 s[6:7], s[0:1], 0x20
	s_cbranch_scc1 .LBB140_5
; %bb.4:
	s_add_u32 s2, s4, s8
	s_addc_u32 s3, s5, s9
	s_load_dword s2, s[2:3], 0x0
	s_waitcnt lgkmcnt(0)
	s_ashr_i32 s3, s2, 31
.LBB140_5:
	s_waitcnt lgkmcnt(0)
	s_cmp_eq_u64 s[6:7], s[2:3]
	s_cbranch_scc1 .LBB140_170
; %bb.6:
	s_load_dwordx16 s[4:19], s[0:1], 0x88
	s_load_dwordx2 s[26:27], s[28:29], 0x0
	s_mov_b32 s3, 0
	s_mov_b32 s40, 0
	v_writelane_b32 v95, s3, 2
	s_waitcnt lgkmcnt(0)
	s_cmp_eq_u64 s[10:11], 0
	s_cbranch_scc1 .LBB140_8
; %bb.7:
	s_ashr_i32 s35, s34, 31
	s_lshl_b64 s[28:29], s[34:35], 2
	s_add_u32 s10, s10, s28
	s_addc_u32 s11, s11, s29
	s_load_dword s3, s[10:11], 0x0
	s_waitcnt lgkmcnt(0)
	v_writelane_b32 v95, s3, 2
.LBB140_8:
	s_cmp_eq_u64 s[16:17], 0
	s_cbranch_scc1 .LBB140_10
; %bb.9:
	s_ashr_i32 s35, s34, 31
	s_lshl_b64 s[10:11], s[34:35], 2
	s_add_u32 s10, s16, s10
	s_addc_u32 s11, s17, s11
	s_load_dword s40, s[10:11], 0x0
.LBB140_10:
	s_sub_i32 s41, s27, s26
	s_cmp_lt_i32 s41, 1
	s_cbranch_scc1 .LBB140_170
; %bb.11:
	s_sub_i32 s3, 0, s36
	s_mul_i32 s3, s3, s38
	s_mul_hi_u32 s3, s38, s3
	s_abs_i32 s16, s34
	s_add_i32 s38, s38, s3
	s_mul_hi_u32 s3, s16, s38
	s_ashr_i32 s17, s34, 31
	s_ashr_i32 s27, s37, 31
	s_xor_b32 s17, s17, s27
	s_mul_i32 s27, s3, s36
	s_sub_i32 s16, s16, s27
	s_add_i32 s27, s3, 1
	s_sub_i32 s33, s16, s36
	s_load_dwordx8 s[52:59], s[0:1], 0x2c
	s_load_dwordx2 s[10:11], s[0:1], 0x7c
	s_load_dwordx4 s[28:31], s[0:1], 0x6c
	s_load_dwordx8 s[44:51], s[0:1], 0x4c
	s_cmp_ge_u32 s16, s36
	s_cselect_b32 s3, s27, s3
	s_cselect_b32 s16, s33, s16
	s_add_i32 s27, s3, 1
	s_cmp_ge_u32 s16, s36
	s_cselect_b32 s3, s27, s3
	s_xor_b32 s3, s3, s17
	s_waitcnt lgkmcnt(0)
	s_mul_i32 s80, s26, s46
	s_mov_b32 s81, 0
	s_sub_i32 s3, s3, s17
	s_lshl_b64 s[16:17], s[80:81], 2
	s_add_u32 s16, s12, s16
	s_mul_i32 s80, s47, s34
	s_addc_u32 s17, s13, s17
	s_lshl_b64 s[12:13], s[80:81], 2
	s_add_u32 s62, s16, s12
	s_mul_i32 s80, s26, s48
	s_addc_u32 s63, s17, s13
	;; [unrolled: 4-line block ×9, first 2 shown]
	s_lshl_b64 s[2:3], s[80:81], 2
	s_load_dword s7, s[0:1], 0xc
	s_load_dword s4, s[0:1], 0x28
	s_add_u32 s5, s20, s2
	s_mul_i32 s80, s11, s34
	s_addc_u32 s6, s21, s3
	s_lshl_b64 s[2:3], s[80:81], 2
	s_add_u32 s33, s5, s2
	s_addc_u32 s99, s6, s3
	s_add_i32 s2, s41, 0x7ff
	s_lshr_b32 s3, s2, 11
	s_waitcnt lgkmcnt(0)
	s_bitcmp1_b32 s4, 0
	s_cselect_b64 s[4:5], -1, 0
	v_writelane_b32 v95, s4, 3
	s_cmp_gt_i32 s7, 0
	s_mul_i32 s80, s26, s28
	v_writelane_b32 v95, s5, 4
	v_writelane_b32 v95, s7, 5
	s_cselect_b64 s[4:5], -1, 0
	v_writelane_b32 v95, s4, 6
	s_and_b32 s2, s41, 0x1ff
	v_mbcnt_lo_u32_b32 v1, -1, 0
	v_writelane_b32 v95, s5, 7
	s_add_i32 s4, 0, 0x840
	s_cmp_eq_u32 s2, 0
	s_cselect_b64 s[6:7], -1, 0
	v_writelane_b32 v95, s6, 8
	s_add_i32 s2, s3, -1
	v_mbcnt_hi_u32_b32 v12, -1, v1
	v_writelane_b32 v95, s7, 9
	v_writelane_b32 v95, s3, 10
	;; [unrolled: 1-line block ×3, first 2 shown]
	s_lshl_b64 s[2:3], s[80:81], 2
	s_add_u32 s2, s18, s2
	v_lshrrev_b32_e32 v1, 5, v12
	s_mul_i32 s80, s29, s34
	s_addc_u32 s3, s19, s3
	s_load_dword s96, s[0:1], 0x84
	v_add_u32_e32 v2, 64, v12
	v_or_b32_e32 v4, 0x80, v12
	v_add_u32_e32 v5, 0xc0, v12
	v_or_b32_e32 v47, 0x100, v12
	;; [unrolled: 2-line block ×3, first 2 shown]
	v_add_u32_e32 v50, 0x1c0, v12
	v_add_u32_e32 v1, v1, v12
	s_lshl_b64 s[0:1], s[80:81], 2
	v_lshl_add_u32 v51, v1, 2, 0
	v_lshrrev_b32_e32 v1, 5, v2
	v_lshrrev_b32_e32 v2, 5, v4
	v_lshrrev_b32_e32 v4, 5, v5
	v_lshrrev_b32_e32 v5, 5, v47
	v_lshrrev_b32_e32 v6, 5, v48
	v_lshrrev_b32_e32 v7, 5, v49
	v_lshrrev_b32_e32 v8, 5, v50
	v_lshlrev_b32_e32 v9, 3, v12
	v_bfe_u32 v10, v12, 2, 27
	s_add_u32 s0, s2, s0
	s_mul_i32 s80, s26, s50
	v_add_lshl_u32 v1, v1, v12, 2
	v_add_lshl_u32 v2, v2, v12, 2
	;; [unrolled: 1-line block ×8, first 2 shown]
	s_addc_u32 s1, s3, s1
	s_lshl_b64 s[2:3], s[80:81], 2
	v_add_u32_e32 v52, 0, v1
	v_add_u32_e32 v60, s4, v1
	;; [unrolled: 1-line block ×9, first 2 shown]
	v_and_b32_e32 v1, 15, v12
	s_add_u32 s4, s22, s2
	v_writelane_b32 v95, s44, 12
	s_mul_i32 s80, s51, s34
	v_cmp_ne_u32_e64 s[78:79], 0, v1
	v_cmp_lt_u32_e64 s[60:61], 1, v1
	v_cmp_lt_u32_e64 s[54:55], 3, v1
	s_addc_u32 s5, s23, s3
	s_lshl_b64 s[2:3], s[80:81], 2
	v_cmp_lt_u32_e64 s[58:59], 7, v1
	v_and_b32_e32 v1, 16, v12
	v_add_u32_e32 v53, 0, v2
	v_writelane_b32 v95, s45, 13
	s_add_u32 s2, s4, s2
	s_mul_i32 s80, s26, s30
	v_cmp_ne_u32_e64 s[8:9], 0, v1
	v_add_u32_e32 v1, -1, v12
	v_and_b32_e32 v2, 64, v12
	v_writelane_b32 v95, s46, 14
	s_addc_u32 s3, s5, s3
	s_lshl_b64 s[4:5], s[80:81], 2
	v_cmp_lt_i32_e32 vcc, v1, v2
	v_mov_b32_e32 v3, 0
	v_lshlrev_b32_e32 v11, 3, v0
	v_writelane_b32 v95, s47, 15
	s_add_u32 s4, s24, s4
	v_cndmask_b32_e32 v1, v1, v12, vcc
	v_lshlrev_b32_e32 v2, 2, v12
	s_mul_i32 s80, s31, s34
	v_writelane_b32 v95, s48, 16
	s_addc_u32 s5, s25, s5
	v_lshlrev_b32_e32 v68, 2, v1
	v_lshl_add_u64 v[14:15], s[0:1], 0, v[2:3]
	s_lshl_b64 s[0:1], s[80:81], 2
	v_or_b32_e32 v1, 1, v11
	v_writelane_b32 v95, s49, 17
	s_add_u32 s0, s4, s0
	scratch_store_dword off, v1, off offset:4 ; 4-byte Folded Spill
	v_or_b32_e32 v1, 2, v11
	v_writelane_b32 v95, s50, 18
	s_addc_u32 s1, s5, s1
	scratch_store_dword off, v1, off offset:8 ; 4-byte Folded Spill
	v_or_b32_e32 v1, 3, v11
	v_writelane_b32 v95, s51, 19
	v_lshl_add_u64 v[18:19], s[0:1], 0, v[2:3]
	scratch_store_dword off, v1, off offset:12 ; 4-byte Folded Spill
	v_or_b32_e32 v1, 4, v11
	s_add_i32 s0, 0, 0x1088
	scratch_store_dword off, v1, off offset:16 ; 4-byte Folded Spill
	v_or_b32_e32 v1, 5, v11
	v_writelane_b32 v95, s0, 20
	scratch_store_dword off, v1, off offset:20 ; 4-byte Folded Spill
	v_or_b32_e32 v1, 6, v11
	v_writelane_b32 v95, s41, 21
	v_add_u32_e32 v54, 0, v4
	v_add_u32_e32 v55, 0, v5
	;; [unrolled: 1-line block ×6, first 2 shown]
	v_cmp_lt_u32_e64 s[10:11], 31, v12
	v_cmp_eq_u32_e64 s[12:13], 63, v0
	v_cmp_gt_u32_e64 s[14:15], 64, v0
	v_lshl_add_u64 v[16:17], s[2:3], 0, v[2:3]
	scratch_store_dword off, v1, off offset:24 ; 4-byte Folded Spill
	scratch_store_dword off, v11, off       ; 4-byte Folded Spill
	v_or_b32_e32 v1, 7, v11
	v_lshlrev_b32_e32 v2, 2, v12
	v_mov_b32_e32 v76, 0x3ecc95a3
	s_mov_b32 s97, 0xc2fc0000
	v_mov_b32_e32 v77, 0x7f800000
	v_mov_b32_e32 v20, 0x3f317218
	;; [unrolled: 1-line block ×4, first 2 shown]
	s_mov_b32 s66, 0
	v_cmp_eq_u32_e64 s[16:17], 0, v0
	v_writelane_b32 v95, s40, 22
	scratch_store_dword off, v1, off offset:28 ; 4-byte Folded Spill
                                        ; implicit-def: $vgpr1
	s_branch .LBB140_13
.LBB140_12:                             ;   in Loop: Header=BB140_13 Depth=1
	s_or_b64 exec, exec, s[18:19]
	s_add_u32 s64, s64, 0x800
	s_addc_u32 s65, s65, 0
	s_add_u32 s62, s62, 0x800
	s_addc_u32 s63, s63, 0
	;; [unrolled: 2-line block ×4, first 2 shown]
	s_add_i32 s66, s66, 1
	v_readlane_b32 s0, v95, 10
	s_cmp_lg_u32 s66, s0
	s_cbranch_scc0 .LBB140_170
.LBB140_13:                             ; =>This Loop Header: Depth=1
                                        ;     Child Loop BB140_62 Depth 2
	s_lshl_b32 s2, s66, 9
	s_mov_b32 s0, s2
	v_writelane_b32 v95, s0, 23
	s_sub_i32 s50, s41, s2
	v_lshl_add_u64 v[0:1], s[62:63], 0, v[2:3]
	v_writelane_b32 v95, s1, 24
	v_cmp_gt_u32_e64 s[18:19], s50, v12
	s_waitcnt lgkmcnt(0)
	v_mov_b32_e32 v4, v3
	s_waitcnt lgkmcnt(0)
	; wave barrier
	s_waitcnt lgkmcnt(0)
	s_and_saveexec_b64 s[20:21], s[18:19]
	s_cbranch_execz .LBB140_15
; %bb.14:                               ;   in Loop: Header=BB140_13 Depth=1
	global_load_dword v4, v[0:1], off
.LBB140_15:                             ;   in Loop: Header=BB140_13 Depth=1
	s_or_b64 exec, exec, s[20:21]
	v_add_u32_e32 v5, 64, v12
	v_cmp_gt_u32_e64 s[20:21], s50, v5
	v_mov_b32_e32 v5, 0
	v_mov_b32_e32 v6, 0
	s_and_saveexec_b64 s[22:23], s[20:21]
	s_cbranch_execz .LBB140_17
; %bb.16:                               ;   in Loop: Header=BB140_13 Depth=1
	global_load_dword v6, v[0:1], off offset:256
.LBB140_17:                             ;   in Loop: Header=BB140_13 Depth=1
	s_or_b64 exec, exec, s[22:23]
	v_or_b32_e32 v7, 0x80, v12
	v_cmp_gt_u32_e64 s[22:23], s50, v7
	s_and_saveexec_b64 s[24:25], s[22:23]
	s_cbranch_execz .LBB140_19
; %bb.18:                               ;   in Loop: Header=BB140_13 Depth=1
	global_load_dword v5, v[0:1], off offset:512
.LBB140_19:                             ;   in Loop: Header=BB140_13 Depth=1
	s_or_b64 exec, exec, s[24:25]
	v_add_u32_e32 v7, 0xc0, v12
	v_cmp_gt_u32_e64 s[24:25], s50, v7
	v_mov_b32_e32 v7, 0
	v_mov_b32_e32 v8, 0
	s_and_saveexec_b64 s[26:27], s[24:25]
	s_cbranch_execz .LBB140_21
; %bb.20:                               ;   in Loop: Header=BB140_13 Depth=1
	global_load_dword v8, v[0:1], off offset:768
.LBB140_21:                             ;   in Loop: Header=BB140_13 Depth=1
	s_or_b64 exec, exec, s[26:27]
	v_cmp_gt_u32_e64 s[26:27], s50, v47
	s_and_saveexec_b64 s[28:29], s[26:27]
	s_cbranch_execz .LBB140_23
; %bb.22:                               ;   in Loop: Header=BB140_13 Depth=1
	global_load_dword v7, v[0:1], off offset:1024
.LBB140_23:                             ;   in Loop: Header=BB140_13 Depth=1
	s_or_b64 exec, exec, s[28:29]
	v_cmp_gt_u32_e64 s[28:29], s50, v48
	v_mov_b32_e32 v9, 0
	v_mov_b32_e32 v10, 0
	s_and_saveexec_b64 s[30:31], s[28:29]
	s_cbranch_execz .LBB140_25
; %bb.24:                               ;   in Loop: Header=BB140_13 Depth=1
	global_load_dword v10, v[0:1], off offset:1280
.LBB140_25:                             ;   in Loop: Header=BB140_13 Depth=1
	s_or_b64 exec, exec, s[30:31]
	v_cmp_gt_u32_e64 s[30:31], s50, v49
	s_and_saveexec_b64 s[34:35], s[30:31]
	s_cbranch_execz .LBB140_27
; %bb.26:                               ;   in Loop: Header=BB140_13 Depth=1
	global_load_dword v9, v[0:1], off offset:1536
.LBB140_27:                             ;   in Loop: Header=BB140_13 Depth=1
	s_or_b64 exec, exec, s[34:35]
	v_cmp_gt_u32_e64 s[34:35], s50, v50
	v_mov_b32_e32 v13, 0
	v_mov_b32_e32 v11, 0
	s_and_saveexec_b64 s[36:37], s[34:35]
	s_cbranch_execz .LBB140_29
; %bb.28:                               ;   in Loop: Header=BB140_13 Depth=1
	global_load_dword v11, v[0:1], off offset:1792
.LBB140_29:                             ;   in Loop: Header=BB140_13 Depth=1
	s_or_b64 exec, exec, s[36:37]
	s_waitcnt vmcnt(0)
	ds_write_b32 v51, v4
	ds_write_b32 v52, v6 offset:256
	ds_write_b32 v53, v5 offset:512
	;; [unrolled: 1-line block ×7, first 2 shown]
	; wave barrier
	ds_read2_b32 v[0:1], v59 offset1:1
	ds_read2_b32 v[4:5], v59 offset0:2 offset1:3
	ds_read2_b32 v[6:7], v59 offset0:4 offset1:5
	;; [unrolled: 1-line block ×3, first 2 shown]
	v_lshl_add_u64 v[10:11], s[64:65], 0, v[2:3]
	s_waitcnt lgkmcnt(0)
	; wave barrier
	s_waitcnt lgkmcnt(0)
	s_and_saveexec_b64 s[36:37], s[18:19]
	s_cbranch_execz .LBB140_31
; %bb.30:                               ;   in Loop: Header=BB140_13 Depth=1
	global_load_dword v13, v[10:11], off
.LBB140_31:                             ;   in Loop: Header=BB140_13 Depth=1
	s_or_b64 exec, exec, s[36:37]
	v_mov_b32_e32 v21, 0
	v_mov_b32_e32 v22, 0
	s_and_saveexec_b64 s[36:37], s[20:21]
	s_cbranch_execz .LBB140_33
; %bb.32:                               ;   in Loop: Header=BB140_13 Depth=1
	global_load_dword v22, v[10:11], off offset:256
.LBB140_33:                             ;   in Loop: Header=BB140_13 Depth=1
	s_or_b64 exec, exec, s[36:37]
	s_and_saveexec_b64 s[36:37], s[22:23]
	s_cbranch_execz .LBB140_35
; %bb.34:                               ;   in Loop: Header=BB140_13 Depth=1
	global_load_dword v21, v[10:11], off offset:512
.LBB140_35:                             ;   in Loop: Header=BB140_13 Depth=1
	s_or_b64 exec, exec, s[36:37]
	v_mov_b32_e32 v23, 0
	v_mov_b32_e32 v24, 0
	s_and_saveexec_b64 s[36:37], s[24:25]
	s_cbranch_execz .LBB140_37
; %bb.36:                               ;   in Loop: Header=BB140_13 Depth=1
	global_load_dword v24, v[10:11], off offset:768
.LBB140_37:                             ;   in Loop: Header=BB140_13 Depth=1
	s_or_b64 exec, exec, s[36:37]
	s_and_saveexec_b64 s[36:37], s[26:27]
	s_cbranch_execz .LBB140_39
; %bb.38:                               ;   in Loop: Header=BB140_13 Depth=1
	global_load_dword v23, v[10:11], off offset:1024
.LBB140_39:                             ;   in Loop: Header=BB140_13 Depth=1
	s_or_b64 exec, exec, s[36:37]
	v_mov_b32_e32 v25, 0
	v_mov_b32_e32 v26, 0
	s_and_saveexec_b64 s[36:37], s[28:29]
	s_cbranch_execnz .LBB140_146
; %bb.40:                               ;   in Loop: Header=BB140_13 Depth=1
	s_or_b64 exec, exec, s[36:37]
	s_and_saveexec_b64 s[36:37], s[30:31]
	s_cbranch_execnz .LBB140_147
.LBB140_41:                             ;   in Loop: Header=BB140_13 Depth=1
	s_or_b64 exec, exec, s[36:37]
	v_mov_b32_e32 v27, 0
	s_and_saveexec_b64 s[36:37], s[34:35]
	s_cbranch_execz .LBB140_43
.LBB140_42:                             ;   in Loop: Header=BB140_13 Depth=1
	global_load_dword v27, v[10:11], off offset:1792
.LBB140_43:                             ;   in Loop: Header=BB140_13 Depth=1
	s_or_b64 exec, exec, s[36:37]
	s_waitcnt vmcnt(0)
	ds_write_b32 v51, v13
	ds_write_b32 v52, v22 offset:256
	ds_write_b32 v53, v21 offset:512
	;; [unrolled: 1-line block ×7, first 2 shown]
	; wave barrier
	ds_read2_b32 v[26:27], v59 offset1:1
	ds_read2_b32 v[24:25], v59 offset0:2 offset1:3
	ds_read2_b32 v[22:23], v59 offset0:4 offset1:5
	;; [unrolled: 1-line block ×3, first 2 shown]
	s_mov_b32 s0, 0x41a00000
	s_waitcnt lgkmcnt(3)
	v_add_f32_e32 v80, s40, v26
	v_cmp_ge_f32_e32 vcc, s0, v80
	v_readlane_b32 s0, v95, 3
	v_readlane_b32 s1, v95, 4
	s_and_b64 s[0:1], s[0:1], vcc
	s_and_saveexec_b64 s[38:39], s[0:1]
	s_cbranch_execz .LBB140_45
; %bb.44:                               ;   in Loop: Header=BB140_13 Depth=1
	v_mul_f32_e32 v13, 0x3fb8aa3b, v80
	v_rndne_f32_e32 v21, v13
	s_mov_b32 s0, 0x3fb8aa3b
	v_sub_f32_e32 v26, v13, v21
	v_fma_f32 v13, v80, s0, -v13
	v_fmac_f32_e32 v13, 0x32a5705f, v80
	v_add_f32_e32 v13, v26, v13
	v_cvt_i32_f32_e32 v21, v21
	v_exp_f32_e32 v13, v13
	s_mov_b32 s0, 0xc2ce8ed0
	v_cmp_ngt_f32_e32 vcc, s0, v80
	s_mov_b32 s0, 0x42b17218
	v_ldexp_f32 v13, v13, v21
	v_cndmask_b32_e32 v13, 0, v13, vcc
	v_cmp_nlt_f32_e32 vcc, s0, v80
	s_mov_b32 s0, 0x3f2aaaab
	s_nop 0
	v_cndmask_b32_e32 v42, v77, v13, vcc
	v_add_f32_e32 v13, 1.0, v42
	v_add_f32_e32 v21, -1.0, v13
	v_sub_f32_e32 v26, v21, v13
	v_add_f32_e32 v26, 1.0, v26
	v_sub_f32_e32 v21, v42, v21
	v_add_f32_e32 v21, v21, v26
	v_frexp_mant_f32_e32 v26, v13
	v_cvt_f64_f32_e32 v[28:29], v13
	v_frexp_exp_i32_f64_e32 v28, v[28:29]
	v_cmp_gt_f32_e32 vcc, s0, v26
	s_mov_b32 s0, 0x3f317218
	s_nop 0
	v_subbrev_co_u32_e32 v26, vcc, 0, v28, vcc
	v_sub_u32_e32 v28, 0, v26
	v_ldexp_f32 v13, v13, v28
	v_ldexp_f32 v21, v21, v28
	v_add_f32_e32 v28, -1.0, v13
	v_add_f32_e32 v29, 1.0, v28
	v_sub_f32_e32 v29, v13, v29
	v_add_f32_e32 v30, v21, v29
	v_add_f32_e32 v29, 1.0, v13
	v_add_f32_e32 v31, -1.0, v29
	v_sub_f32_e32 v13, v13, v31
	v_add_f32_e32 v13, v21, v13
	v_add_f32_e32 v21, v29, v13
	v_rcp_f32_e32 v36, v21
	v_sub_f32_e32 v29, v29, v21
	v_add_f32_e32 v13, v13, v29
	v_add_f32_e32 v29, v28, v30
	v_sub_f32_e32 v28, v28, v29
	v_mul_f32_e32 v38, v29, v36
	v_add_f32_e32 v37, v30, v28
	v_mul_f32_e32 v30, v21, v38
	v_fma_f32 v32, v38, v21, -v30
	v_fmac_f32_e32 v32, v38, v13
	v_add_f32_e32 v28, v30, v32
	v_sub_f32_e32 v31, v29, v28
	v_pk_add_f32 v[34:35], v[28:29], v[30:31] neg_lo:[0,1] neg_hi:[0,1]
	v_mov_b32_e32 v33, v28
	v_pk_add_f32 v[28:29], v[34:35], v[32:33] neg_lo:[0,1] neg_hi:[0,1]
	s_nop 0
	v_add_f32_e32 v29, v37, v29
	v_add_f32_e32 v28, v28, v29
	;; [unrolled: 1-line block ×3, first 2 shown]
	v_mul_f32_e32 v37, v36, v29
	v_mul_f32_e32 v30, v21, v37
	v_fma_f32 v32, v37, v21, -v30
	v_fmac_f32_e32 v32, v37, v13
	v_sub_f32_e32 v13, v31, v29
	v_add_f32_e32 v13, v28, v13
	v_add_f32_e32 v28, v30, v32
	v_sub_f32_e32 v31, v29, v28
	v_pk_add_f32 v[34:35], v[28:29], v[30:31] neg_lo:[0,1] neg_hi:[0,1]
	v_mov_b32_e32 v33, v28
	v_pk_add_f32 v[28:29], v[34:35], v[32:33] neg_lo:[0,1] neg_hi:[0,1]
	s_nop 0
	v_add_f32_e32 v13, v13, v29
	v_add_f32_e32 v13, v28, v13
	;; [unrolled: 1-line block ×4, first 2 shown]
	v_sub_f32_e32 v21, v29, v38
	v_mul_f32_e32 v13, v36, v13
	v_sub_f32_e32 v21, v37, v21
	v_add_f32_e32 v13, v21, v13
	v_add_f32_e32 v30, v29, v13
	v_cvt_f32_i32_e32 v28, v26
	v_mul_f32_e32 v32, v30, v30
	v_fmamk_f32 v21, v32, 0x3e9b6dac, v76
	v_fmaak_f32 v21, v32, v21, 0x3f2aaada
	v_sub_f32_e32 v26, v30, v29
	v_mul_f32_e32 v29, v30, v32
	v_pk_mul_f32 v[32:33], v[28:29], v[20:21]
	v_ldexp_f32 v31, v30, 1
	v_fma_f32 v30, v28, s0, -v32
	v_fmac_f32_e32 v30, 0xb102e308, v28
	v_pk_add_f32 v[28:29], v[32:33], v[30:31]
	v_sub_f32_e32 v13, v13, v26
	v_sub_f32_e32 v21, v29, v31
	v_ldexp_f32 v13, v13, 1
	v_sub_f32_e32 v21, v33, v21
	v_add_f32_e32 v35, v13, v21
	v_mov_b32_e32 v34, v32
	v_pk_add_f32 v[32:33], v[28:29], v[32:33] neg_lo:[0,1] neg_hi:[0,1]
	v_pk_add_f32 v[36:37], v[28:29], v[34:35]
	v_mov_b32_e32 v31, v28
	v_mov_b32_e32 v33, v37
	v_pk_add_f32 v[38:39], v[30:31], v[32:33] neg_lo:[0,1] neg_hi:[0,1]
	v_pk_add_f32 v[30:31], v[30:31], v[32:33]
	s_mov_b32 s0, 0x7f800000
	v_mov_b32_e32 v26, v31
	v_pk_add_f32 v[32:33], v[26:27], v[28:29] neg_lo:[0,1] neg_hi:[0,1]
	v_mov_b32_e32 v30, v37
	v_mov_b32_e32 v13, v32
	v_pk_add_f32 v[40:41], v[36:37], v[12:13] neg_lo:[0,1] neg_hi:[0,1]
	v_mov_b32_e32 v36, v29
	v_mov_b32_e32 v37, v32
	v_mov_b32_e32 v39, v31
	v_pk_add_f32 v[30:31], v[30:31], v[36:37] neg_lo:[0,1] neg_hi:[0,1]
	v_mov_b32_e32 v32, v35
	v_mov_b32_e32 v33, v28
	v_pk_add_f32 v[28:29], v[32:33], v[30:31] neg_lo:[0,1] neg_hi:[0,1]
	v_mov_b32_e32 v40, v38
	v_pk_add_f32 v[30:31], v[40:41], v[28:29]
	v_cmp_eq_f32_e32 vcc, s0, v42
	v_mov_b32_e32 v32, v31
	v_pk_add_f32 v[32:33], v[30:31], v[32:33]
	s_mov_b32 s0, 0x33800000
	v_pk_add_f32 v[34:35], v[26:27], v[32:33]
	v_mov_b32_e32 v29, v32
	v_mov_b32_e32 v31, v34
	v_pk_add_f32 v[36:37], v[30:31], v[38:39] neg_lo:[0,1] neg_hi:[0,1]
	v_cmp_gt_f32_e64 s[36:37], s0, v42
	v_sub_f32_e32 v13, v30, v36
	v_pk_add_f32 v[28:29], v[28:29], v[36:37] neg_lo:[0,1] neg_hi:[0,1]
	v_sub_f32_e32 v13, v38, v13
	v_add_f32_e32 v13, v28, v13
	v_add_f32_e32 v13, v13, v29
	;; [unrolled: 1-line block ×3, first 2 shown]
	s_or_b64 vcc, s[36:37], vcc
	v_cndmask_b32_e32 v80, v13, v42, vcc
.LBB140_45:                             ;   in Loop: Header=BB140_13 Depth=1
	s_or_b64 exec, exec, s[38:39]
	v_add_f32_e32 v81, s40, v27
	s_mov_b32 s0, 0x41a00000
	v_cmp_ge_f32_e32 vcc, s0, v81
	v_readlane_b32 s0, v95, 3
	v_readlane_b32 s1, v95, 4
	s_and_b64 s[0:1], s[0:1], vcc
	s_and_saveexec_b64 s[38:39], s[0:1]
	s_cbranch_execz .LBB140_47
; %bb.46:                               ;   in Loop: Header=BB140_13 Depth=1
	v_mul_f32_e32 v13, 0x3fb8aa3b, v81
	v_rndne_f32_e32 v21, v13
	s_mov_b32 s0, 0x3fb8aa3b
	v_sub_f32_e32 v26, v13, v21
	v_fma_f32 v13, v81, s0, -v13
	v_fmac_f32_e32 v13, 0x32a5705f, v81
	v_add_f32_e32 v13, v26, v13
	v_cvt_i32_f32_e32 v21, v21
	v_exp_f32_e32 v13, v13
	s_mov_b32 s0, 0xc2ce8ed0
	v_cmp_ngt_f32_e32 vcc, s0, v81
	s_mov_b32 s0, 0x42b17218
	v_ldexp_f32 v13, v13, v21
	v_cndmask_b32_e32 v13, 0, v13, vcc
	v_cmp_nlt_f32_e32 vcc, s0, v81
	s_mov_b32 s0, 0x3f2aaaab
	s_nop 0
	v_cndmask_b32_e32 v42, v77, v13, vcc
	v_add_f32_e32 v13, 1.0, v42
	v_add_f32_e32 v21, -1.0, v13
	v_sub_f32_e32 v26, v21, v13
	v_add_f32_e32 v26, 1.0, v26
	v_sub_f32_e32 v21, v42, v21
	v_add_f32_e32 v21, v21, v26
	v_frexp_mant_f32_e32 v28, v13
	v_cvt_f64_f32_e32 v[26:27], v13
	v_frexp_exp_i32_f64_e32 v26, v[26:27]
	v_cmp_gt_f32_e32 vcc, s0, v28
	s_mov_b32 s0, 0x3f317218
	s_nop 0
	v_subbrev_co_u32_e32 v34, vcc, 0, v26, vcc
	v_sub_u32_e32 v26, 0, v34
	v_ldexp_f32 v13, v13, v26
	v_ldexp_f32 v21, v21, v26
	v_add_f32_e32 v26, -1.0, v13
	v_add_f32_e32 v27, 1.0, v26
	v_sub_f32_e32 v27, v13, v27
	v_add_f32_e32 v28, v21, v27
	v_add_f32_e32 v27, 1.0, v13
	v_add_f32_e32 v29, -1.0, v27
	v_sub_f32_e32 v13, v13, v29
	v_add_f32_e32 v13, v21, v13
	v_add_f32_e32 v21, v27, v13
	v_rcp_f32_e32 v35, v21
	v_sub_f32_e32 v27, v27, v21
	v_add_f32_e32 v13, v13, v27
	v_add_f32_e32 v27, v26, v28
	v_sub_f32_e32 v26, v26, v27
	v_mul_f32_e32 v37, v27, v35
	v_add_f32_e32 v36, v28, v26
	v_mul_f32_e32 v28, v21, v37
	v_fma_f32 v30, v37, v21, -v28
	v_fmac_f32_e32 v30, v37, v13
	v_add_f32_e32 v26, v28, v30
	v_sub_f32_e32 v29, v27, v26
	v_pk_add_f32 v[32:33], v[26:27], v[28:29] neg_lo:[0,1] neg_hi:[0,1]
	v_mov_b32_e32 v31, v26
	v_pk_add_f32 v[26:27], v[32:33], v[30:31] neg_lo:[0,1] neg_hi:[0,1]
	s_nop 0
	v_add_f32_e32 v27, v36, v27
	v_add_f32_e32 v26, v26, v27
	;; [unrolled: 1-line block ×3, first 2 shown]
	v_mul_f32_e32 v36, v35, v27
	v_mul_f32_e32 v28, v21, v36
	v_fma_f32 v30, v36, v21, -v28
	v_fmac_f32_e32 v30, v36, v13
	v_sub_f32_e32 v13, v29, v27
	v_add_f32_e32 v13, v26, v13
	v_add_f32_e32 v26, v28, v30
	v_sub_f32_e32 v29, v27, v26
	v_pk_add_f32 v[32:33], v[26:27], v[28:29] neg_lo:[0,1] neg_hi:[0,1]
	v_mov_b32_e32 v31, v26
	v_pk_add_f32 v[26:27], v[32:33], v[30:31] neg_lo:[0,1] neg_hi:[0,1]
	s_nop 0
	v_add_f32_e32 v13, v13, v27
	v_add_f32_e32 v13, v26, v13
	;; [unrolled: 1-line block ×4, first 2 shown]
	v_sub_f32_e32 v21, v27, v37
	v_mul_f32_e32 v13, v35, v13
	v_sub_f32_e32 v21, v36, v21
	v_add_f32_e32 v13, v21, v13
	v_add_f32_e32 v28, v27, v13
	v_cvt_f32_i32_e32 v26, v34
	v_mul_f32_e32 v30, v28, v28
	v_fmamk_f32 v21, v30, 0x3e9b6dac, v76
	v_sub_f32_e32 v27, v28, v27
	v_fmaak_f32 v21, v30, v21, 0x3f2aaada
	v_sub_f32_e32 v13, v13, v27
	v_mul_f32_e32 v27, v28, v30
	v_pk_mul_f32 v[30:31], v[26:27], v[20:21]
	v_ldexp_f32 v29, v28, 1
	v_fma_f32 v28, v26, s0, -v30
	v_fmac_f32_e32 v28, 0xb102e308, v26
	v_pk_add_f32 v[26:27], v[30:31], v[28:29]
	v_ldexp_f32 v13, v13, 1
	v_sub_f32_e32 v21, v27, v29
	v_sub_f32_e32 v21, v31, v21
	v_add_f32_e32 v33, v13, v21
	v_mov_b32_e32 v32, v30
	v_pk_add_f32 v[30:31], v[26:27], v[30:31] neg_lo:[0,1] neg_hi:[0,1]
	v_pk_add_f32 v[34:35], v[26:27], v[32:33]
	v_mov_b32_e32 v29, v26
	v_mov_b32_e32 v31, v35
	v_pk_add_f32 v[36:37], v[28:29], v[30:31] neg_lo:[0,1] neg_hi:[0,1]
	v_pk_add_f32 v[28:29], v[28:29], v[30:31]
	v_mov_b32_e32 v32, v33
	v_mov_b32_e32 v30, v29
	v_pk_add_f32 v[38:39], v[30:31], v[26:27] neg_lo:[0,1] neg_hi:[0,1]
	v_mov_b32_e32 v28, v35
	v_mov_b32_e32 v13, v38
	v_pk_add_f32 v[40:41], v[34:35], v[12:13] neg_lo:[0,1] neg_hi:[0,1]
	v_mov_b32_e32 v34, v27
	v_mov_b32_e32 v35, v38
	;; [unrolled: 1-line block ×3, first 2 shown]
	v_pk_add_f32 v[28:29], v[28:29], v[34:35] neg_lo:[0,1] neg_hi:[0,1]
	v_mov_b32_e32 v33, v26
	v_pk_add_f32 v[26:27], v[32:33], v[28:29] neg_lo:[0,1] neg_hi:[0,1]
	v_mov_b32_e32 v40, v36
	v_pk_add_f32 v[28:29], v[40:41], v[26:27]
	s_mov_b32 s0, 0x7f800000
	v_mov_b32_e32 v32, v29
	v_pk_add_f32 v[32:33], v[28:29], v[32:33]
	v_cmp_eq_f32_e32 vcc, s0, v42
	v_pk_add_f32 v[30:31], v[30:31], v[32:33]
	v_mov_b32_e32 v27, v32
	v_mov_b32_e32 v29, v30
	v_pk_add_f32 v[34:35], v[28:29], v[36:37] neg_lo:[0,1] neg_hi:[0,1]
	s_mov_b32 s0, 0x33800000
	v_sub_f32_e32 v13, v28, v34
	v_pk_add_f32 v[26:27], v[26:27], v[34:35] neg_lo:[0,1] neg_hi:[0,1]
	v_sub_f32_e32 v13, v36, v13
	v_add_f32_e32 v13, v26, v13
	v_add_f32_e32 v13, v13, v27
	v_cmp_gt_f32_e64 s[36:37], s0, v42
	v_add_f32_e32 v13, v30, v13
	s_or_b64 vcc, s[36:37], vcc
	v_cndmask_b32_e32 v81, v13, v42, vcc
.LBB140_47:                             ;   in Loop: Header=BB140_13 Depth=1
	s_or_b64 exec, exec, s[38:39]
	s_waitcnt lgkmcnt(2)
	v_add_f32_e32 v82, s40, v24
	s_mov_b32 s0, 0x41a00000
	v_cmp_ge_f32_e32 vcc, s0, v82
	v_readlane_b32 s0, v95, 3
	v_readlane_b32 s1, v95, 4
	s_and_b64 s[0:1], s[0:1], vcc
	s_and_saveexec_b64 s[38:39], s[0:1]
	s_cbranch_execz .LBB140_49
; %bb.48:                               ;   in Loop: Header=BB140_13 Depth=1
	v_mul_f32_e32 v13, 0x3fb8aa3b, v82
	v_rndne_f32_e32 v21, v13
	s_mov_b32 s0, 0x3fb8aa3b
	v_sub_f32_e32 v24, v13, v21
	v_fma_f32 v13, v82, s0, -v13
	v_fmac_f32_e32 v13, 0x32a5705f, v82
	v_add_f32_e32 v13, v24, v13
	v_cvt_i32_f32_e32 v21, v21
	v_exp_f32_e32 v13, v13
	s_mov_b32 s0, 0xc2ce8ed0
	v_cmp_ngt_f32_e32 vcc, s0, v82
	s_mov_b32 s0, 0x42b17218
	v_ldexp_f32 v13, v13, v21
	v_cndmask_b32_e32 v13, 0, v13, vcc
	v_cmp_nlt_f32_e32 vcc, s0, v82
	s_mov_b32 s0, 0x3f2aaaab
	s_nop 0
	v_cndmask_b32_e32 v40, v77, v13, vcc
	v_add_f32_e32 v13, 1.0, v40
	v_add_f32_e32 v21, -1.0, v13
	v_sub_f32_e32 v24, v21, v13
	v_add_f32_e32 v24, 1.0, v24
	v_sub_f32_e32 v21, v40, v21
	v_add_f32_e32 v21, v21, v24
	v_frexp_mant_f32_e32 v24, v13
	v_cvt_f64_f32_e32 v[26:27], v13
	v_frexp_exp_i32_f64_e32 v26, v[26:27]
	v_cmp_gt_f32_e32 vcc, s0, v24
	s_mov_b32 s0, 0x3f317218
	s_nop 0
	v_subbrev_co_u32_e32 v24, vcc, 0, v26, vcc
	v_sub_u32_e32 v26, 0, v24
	v_ldexp_f32 v13, v13, v26
	v_ldexp_f32 v21, v21, v26
	v_add_f32_e32 v26, -1.0, v13
	v_add_f32_e32 v27, 1.0, v26
	v_sub_f32_e32 v27, v13, v27
	v_add_f32_e32 v28, v21, v27
	v_add_f32_e32 v27, 1.0, v13
	v_add_f32_e32 v29, -1.0, v27
	v_sub_f32_e32 v13, v13, v29
	v_add_f32_e32 v13, v21, v13
	v_add_f32_e32 v21, v27, v13
	v_rcp_f32_e32 v34, v21
	v_sub_f32_e32 v27, v27, v21
	v_add_f32_e32 v13, v13, v27
	v_add_f32_e32 v27, v26, v28
	v_sub_f32_e32 v26, v26, v27
	v_mul_f32_e32 v36, v27, v34
	v_add_f32_e32 v35, v28, v26
	v_mul_f32_e32 v28, v21, v36
	v_fma_f32 v30, v36, v21, -v28
	v_fmac_f32_e32 v30, v36, v13
	v_add_f32_e32 v26, v28, v30
	v_sub_f32_e32 v29, v27, v26
	v_pk_add_f32 v[32:33], v[26:27], v[28:29] neg_lo:[0,1] neg_hi:[0,1]
	v_mov_b32_e32 v31, v26
	v_pk_add_f32 v[26:27], v[32:33], v[30:31] neg_lo:[0,1] neg_hi:[0,1]
	s_nop 0
	v_add_f32_e32 v27, v35, v27
	v_add_f32_e32 v26, v26, v27
	;; [unrolled: 1-line block ×3, first 2 shown]
	v_mul_f32_e32 v35, v34, v27
	v_mul_f32_e32 v28, v21, v35
	v_fma_f32 v30, v35, v21, -v28
	v_fmac_f32_e32 v30, v35, v13
	v_sub_f32_e32 v13, v29, v27
	v_add_f32_e32 v13, v26, v13
	v_add_f32_e32 v26, v28, v30
	v_sub_f32_e32 v29, v27, v26
	v_pk_add_f32 v[32:33], v[26:27], v[28:29] neg_lo:[0,1] neg_hi:[0,1]
	v_mov_b32_e32 v31, v26
	v_pk_add_f32 v[26:27], v[32:33], v[30:31] neg_lo:[0,1] neg_hi:[0,1]
	s_nop 0
	v_add_f32_e32 v13, v13, v27
	v_add_f32_e32 v13, v26, v13
	;; [unrolled: 1-line block ×4, first 2 shown]
	v_sub_f32_e32 v21, v27, v36
	v_mul_f32_e32 v13, v34, v13
	v_sub_f32_e32 v21, v35, v21
	v_add_f32_e32 v13, v21, v13
	v_add_f32_e32 v28, v27, v13
	v_cvt_f32_i32_e32 v26, v24
	v_mul_f32_e32 v30, v28, v28
	v_fmamk_f32 v21, v30, 0x3e9b6dac, v76
	v_fmaak_f32 v21, v30, v21, 0x3f2aaada
	v_sub_f32_e32 v24, v28, v27
	v_mul_f32_e32 v27, v28, v30
	v_pk_mul_f32 v[30:31], v[26:27], v[20:21]
	v_ldexp_f32 v29, v28, 1
	v_fma_f32 v28, v26, s0, -v30
	v_fmac_f32_e32 v28, 0xb102e308, v26
	v_pk_add_f32 v[26:27], v[30:31], v[28:29]
	v_sub_f32_e32 v13, v13, v24
	v_sub_f32_e32 v21, v27, v29
	v_ldexp_f32 v13, v13, 1
	v_sub_f32_e32 v21, v31, v21
	v_add_f32_e32 v33, v13, v21
	v_mov_b32_e32 v32, v30
	v_pk_add_f32 v[30:31], v[26:27], v[30:31] neg_lo:[0,1] neg_hi:[0,1]
	v_pk_add_f32 v[34:35], v[26:27], v[32:33]
	v_mov_b32_e32 v29, v26
	v_mov_b32_e32 v31, v35
	v_pk_add_f32 v[36:37], v[28:29], v[30:31] neg_lo:[0,1] neg_hi:[0,1]
	v_pk_add_f32 v[28:29], v[28:29], v[30:31]
	s_mov_b32 s0, 0x7f800000
	v_mov_b32_e32 v24, v29
	v_pk_add_f32 v[30:31], v[24:25], v[26:27] neg_lo:[0,1] neg_hi:[0,1]
	v_mov_b32_e32 v28, v35
	v_mov_b32_e32 v13, v30
	v_pk_add_f32 v[38:39], v[34:35], v[12:13] neg_lo:[0,1] neg_hi:[0,1]
	v_mov_b32_e32 v34, v27
	v_mov_b32_e32 v35, v30
	;; [unrolled: 1-line block ×3, first 2 shown]
	v_pk_add_f32 v[28:29], v[28:29], v[34:35] neg_lo:[0,1] neg_hi:[0,1]
	v_mov_b32_e32 v30, v33
	v_mov_b32_e32 v31, v26
	v_pk_add_f32 v[26:27], v[30:31], v[28:29] neg_lo:[0,1] neg_hi:[0,1]
	v_mov_b32_e32 v38, v36
	v_pk_add_f32 v[28:29], v[38:39], v[26:27]
	v_cmp_eq_f32_e32 vcc, s0, v40
	v_mov_b32_e32 v30, v29
	v_pk_add_f32 v[30:31], v[28:29], v[30:31]
	s_mov_b32 s0, 0x33800000
	v_pk_add_f32 v[32:33], v[24:25], v[30:31]
	v_mov_b32_e32 v27, v30
	v_mov_b32_e32 v29, v32
	v_pk_add_f32 v[34:35], v[28:29], v[36:37] neg_lo:[0,1] neg_hi:[0,1]
	v_cmp_gt_f32_e64 s[36:37], s0, v40
	v_sub_f32_e32 v13, v28, v34
	v_pk_add_f32 v[26:27], v[26:27], v[34:35] neg_lo:[0,1] neg_hi:[0,1]
	v_sub_f32_e32 v13, v36, v13
	v_add_f32_e32 v13, v26, v13
	v_add_f32_e32 v13, v13, v27
	;; [unrolled: 1-line block ×3, first 2 shown]
	s_or_b64 vcc, s[36:37], vcc
	v_cndmask_b32_e32 v82, v13, v40, vcc
.LBB140_49:                             ;   in Loop: Header=BB140_13 Depth=1
	s_or_b64 exec, exec, s[38:39]
	v_add_f32_e32 v83, s40, v25
	s_mov_b32 s0, 0x41a00000
	v_cmp_ge_f32_e32 vcc, s0, v83
	v_readlane_b32 s0, v95, 3
	v_readlane_b32 s1, v95, 4
	s_and_b64 s[0:1], s[0:1], vcc
	s_and_saveexec_b64 s[38:39], s[0:1]
	s_cbranch_execz .LBB140_51
; %bb.50:                               ;   in Loop: Header=BB140_13 Depth=1
	v_mul_f32_e32 v13, 0x3fb8aa3b, v83
	v_rndne_f32_e32 v21, v13
	s_mov_b32 s0, 0x3fb8aa3b
	v_sub_f32_e32 v24, v13, v21
	v_fma_f32 v13, v83, s0, -v13
	v_fmac_f32_e32 v13, 0x32a5705f, v83
	v_add_f32_e32 v13, v24, v13
	v_cvt_i32_f32_e32 v21, v21
	v_exp_f32_e32 v13, v13
	s_mov_b32 s0, 0xc2ce8ed0
	v_cmp_ngt_f32_e32 vcc, s0, v83
	s_mov_b32 s0, 0x42b17218
	v_ldexp_f32 v13, v13, v21
	v_cndmask_b32_e32 v13, 0, v13, vcc
	v_cmp_nlt_f32_e32 vcc, s0, v83
	s_mov_b32 s0, 0x3f2aaaab
	s_nop 0
	v_cndmask_b32_e32 v40, v77, v13, vcc
	v_add_f32_e32 v13, 1.0, v40
	v_add_f32_e32 v21, -1.0, v13
	v_sub_f32_e32 v24, v21, v13
	v_add_f32_e32 v24, 1.0, v24
	v_sub_f32_e32 v21, v40, v21
	v_add_f32_e32 v21, v21, v24
	v_frexp_mant_f32_e32 v26, v13
	v_cvt_f64_f32_e32 v[24:25], v13
	v_frexp_exp_i32_f64_e32 v24, v[24:25]
	v_cmp_gt_f32_e32 vcc, s0, v26
	s_mov_b32 s0, 0x3f317218
	s_nop 0
	v_subbrev_co_u32_e32 v32, vcc, 0, v24, vcc
	v_sub_u32_e32 v24, 0, v32
	v_ldexp_f32 v13, v13, v24
	v_ldexp_f32 v21, v21, v24
	v_add_f32_e32 v24, -1.0, v13
	v_add_f32_e32 v25, 1.0, v24
	v_sub_f32_e32 v25, v13, v25
	v_add_f32_e32 v26, v21, v25
	v_add_f32_e32 v25, 1.0, v13
	v_add_f32_e32 v27, -1.0, v25
	v_sub_f32_e32 v13, v13, v27
	v_add_f32_e32 v13, v21, v13
	v_add_f32_e32 v21, v25, v13
	v_rcp_f32_e32 v33, v21
	v_sub_f32_e32 v25, v25, v21
	v_add_f32_e32 v13, v13, v25
	v_add_f32_e32 v25, v24, v26
	v_sub_f32_e32 v24, v24, v25
	v_mul_f32_e32 v35, v25, v33
	v_add_f32_e32 v34, v26, v24
	v_mul_f32_e32 v26, v21, v35
	v_fma_f32 v28, v35, v21, -v26
	v_fmac_f32_e32 v28, v35, v13
	v_add_f32_e32 v24, v26, v28
	v_sub_f32_e32 v27, v25, v24
	v_pk_add_f32 v[30:31], v[24:25], v[26:27] neg_lo:[0,1] neg_hi:[0,1]
	v_mov_b32_e32 v29, v24
	v_pk_add_f32 v[24:25], v[30:31], v[28:29] neg_lo:[0,1] neg_hi:[0,1]
	s_nop 0
	v_add_f32_e32 v25, v34, v25
	v_add_f32_e32 v24, v24, v25
	;; [unrolled: 1-line block ×3, first 2 shown]
	v_mul_f32_e32 v34, v33, v25
	v_mul_f32_e32 v26, v21, v34
	v_fma_f32 v28, v34, v21, -v26
	v_fmac_f32_e32 v28, v34, v13
	v_sub_f32_e32 v13, v27, v25
	v_add_f32_e32 v13, v24, v13
	v_add_f32_e32 v24, v26, v28
	v_sub_f32_e32 v27, v25, v24
	v_pk_add_f32 v[30:31], v[24:25], v[26:27] neg_lo:[0,1] neg_hi:[0,1]
	v_mov_b32_e32 v29, v24
	v_pk_add_f32 v[24:25], v[30:31], v[28:29] neg_lo:[0,1] neg_hi:[0,1]
	s_nop 0
	v_add_f32_e32 v13, v13, v25
	v_add_f32_e32 v13, v24, v13
	;; [unrolled: 1-line block ×4, first 2 shown]
	v_sub_f32_e32 v21, v25, v35
	v_mul_f32_e32 v13, v33, v13
	v_sub_f32_e32 v21, v34, v21
	v_add_f32_e32 v13, v21, v13
	v_add_f32_e32 v26, v25, v13
	v_cvt_f32_i32_e32 v24, v32
	v_mul_f32_e32 v28, v26, v26
	v_fmamk_f32 v21, v28, 0x3e9b6dac, v76
	v_sub_f32_e32 v25, v26, v25
	v_fmaak_f32 v21, v28, v21, 0x3f2aaada
	v_sub_f32_e32 v13, v13, v25
	v_mul_f32_e32 v25, v26, v28
	v_pk_mul_f32 v[28:29], v[24:25], v[20:21]
	v_ldexp_f32 v27, v26, 1
	v_fma_f32 v26, v24, s0, -v28
	v_fmac_f32_e32 v26, 0xb102e308, v24
	v_pk_add_f32 v[24:25], v[28:29], v[26:27]
	v_ldexp_f32 v13, v13, 1
	v_sub_f32_e32 v21, v25, v27
	v_sub_f32_e32 v21, v29, v21
	v_add_f32_e32 v31, v13, v21
	v_mov_b32_e32 v30, v28
	v_pk_add_f32 v[28:29], v[24:25], v[28:29] neg_lo:[0,1] neg_hi:[0,1]
	v_pk_add_f32 v[32:33], v[24:25], v[30:31]
	v_mov_b32_e32 v27, v24
	v_mov_b32_e32 v29, v33
	v_pk_add_f32 v[34:35], v[26:27], v[28:29] neg_lo:[0,1] neg_hi:[0,1]
	v_pk_add_f32 v[26:27], v[26:27], v[28:29]
	v_mov_b32_e32 v30, v31
	v_mov_b32_e32 v28, v27
	v_pk_add_f32 v[36:37], v[28:29], v[24:25] neg_lo:[0,1] neg_hi:[0,1]
	v_mov_b32_e32 v26, v33
	v_mov_b32_e32 v13, v36
	v_pk_add_f32 v[38:39], v[32:33], v[12:13] neg_lo:[0,1] neg_hi:[0,1]
	v_mov_b32_e32 v32, v25
	v_mov_b32_e32 v33, v36
	;; [unrolled: 1-line block ×3, first 2 shown]
	v_pk_add_f32 v[26:27], v[26:27], v[32:33] neg_lo:[0,1] neg_hi:[0,1]
	v_mov_b32_e32 v31, v24
	v_pk_add_f32 v[24:25], v[30:31], v[26:27] neg_lo:[0,1] neg_hi:[0,1]
	v_mov_b32_e32 v38, v34
	v_pk_add_f32 v[26:27], v[38:39], v[24:25]
	s_mov_b32 s0, 0x7f800000
	v_mov_b32_e32 v30, v27
	v_pk_add_f32 v[30:31], v[26:27], v[30:31]
	v_cmp_eq_f32_e32 vcc, s0, v40
	v_pk_add_f32 v[28:29], v[28:29], v[30:31]
	v_mov_b32_e32 v25, v30
	v_mov_b32_e32 v27, v28
	v_pk_add_f32 v[32:33], v[26:27], v[34:35] neg_lo:[0,1] neg_hi:[0,1]
	s_mov_b32 s0, 0x33800000
	v_sub_f32_e32 v13, v26, v32
	v_pk_add_f32 v[24:25], v[24:25], v[32:33] neg_lo:[0,1] neg_hi:[0,1]
	v_sub_f32_e32 v13, v34, v13
	v_add_f32_e32 v13, v24, v13
	v_add_f32_e32 v13, v13, v25
	v_cmp_gt_f32_e64 s[36:37], s0, v40
	v_add_f32_e32 v13, v28, v13
	s_or_b64 vcc, s[36:37], vcc
	v_cndmask_b32_e32 v83, v13, v40, vcc
.LBB140_51:                             ;   in Loop: Header=BB140_13 Depth=1
	s_or_b64 exec, exec, s[38:39]
	s_waitcnt lgkmcnt(1)
	v_add_f32_e32 v84, s40, v22
	s_mov_b32 s0, 0x41a00000
	v_cmp_ge_f32_e32 vcc, s0, v84
	v_readlane_b32 s0, v95, 3
	v_readlane_b32 s1, v95, 4
	s_and_b64 s[0:1], s[0:1], vcc
	s_and_saveexec_b64 s[38:39], s[0:1]
	s_cbranch_execz .LBB140_53
; %bb.52:                               ;   in Loop: Header=BB140_13 Depth=1
	v_mul_f32_e32 v13, 0x3fb8aa3b, v84
	v_rndne_f32_e32 v21, v13
	s_mov_b32 s0, 0x3fb8aa3b
	v_sub_f32_e32 v22, v13, v21
	v_fma_f32 v13, v84, s0, -v13
	v_fmac_f32_e32 v13, 0x32a5705f, v84
	v_add_f32_e32 v13, v22, v13
	v_cvt_i32_f32_e32 v21, v21
	v_exp_f32_e32 v13, v13
	s_mov_b32 s0, 0xc2ce8ed0
	v_cmp_ngt_f32_e32 vcc, s0, v84
	s_mov_b32 s0, 0x42b17218
	v_ldexp_f32 v13, v13, v21
	v_cndmask_b32_e32 v13, 0, v13, vcc
	v_cmp_nlt_f32_e32 vcc, s0, v84
	s_mov_b32 s0, 0x3f2aaaab
	s_nop 0
	v_cndmask_b32_e32 v38, v77, v13, vcc
	v_add_f32_e32 v13, 1.0, v38
	v_add_f32_e32 v21, -1.0, v13
	v_sub_f32_e32 v22, v21, v13
	v_add_f32_e32 v22, 1.0, v22
	v_sub_f32_e32 v21, v38, v21
	v_add_f32_e32 v21, v21, v22
	v_frexp_mant_f32_e32 v22, v13
	v_cvt_f64_f32_e32 v[24:25], v13
	v_frexp_exp_i32_f64_e32 v24, v[24:25]
	v_cmp_gt_f32_e32 vcc, s0, v22
	s_mov_b32 s0, 0x3f317218
	s_nop 0
	v_subbrev_co_u32_e32 v22, vcc, 0, v24, vcc
	v_sub_u32_e32 v24, 0, v22
	v_ldexp_f32 v13, v13, v24
	v_ldexp_f32 v21, v21, v24
	v_add_f32_e32 v24, -1.0, v13
	v_add_f32_e32 v25, 1.0, v24
	v_sub_f32_e32 v25, v13, v25
	v_add_f32_e32 v26, v21, v25
	v_add_f32_e32 v25, 1.0, v13
	v_add_f32_e32 v27, -1.0, v25
	v_sub_f32_e32 v13, v13, v27
	v_add_f32_e32 v13, v21, v13
	v_add_f32_e32 v21, v25, v13
	v_rcp_f32_e32 v32, v21
	v_sub_f32_e32 v25, v25, v21
	v_add_f32_e32 v13, v13, v25
	v_add_f32_e32 v25, v24, v26
	v_sub_f32_e32 v24, v24, v25
	v_mul_f32_e32 v34, v25, v32
	v_add_f32_e32 v33, v26, v24
	v_mul_f32_e32 v26, v21, v34
	v_fma_f32 v28, v34, v21, -v26
	v_fmac_f32_e32 v28, v34, v13
	v_add_f32_e32 v24, v26, v28
	v_sub_f32_e32 v27, v25, v24
	v_pk_add_f32 v[30:31], v[24:25], v[26:27] neg_lo:[0,1] neg_hi:[0,1]
	v_mov_b32_e32 v29, v24
	v_pk_add_f32 v[24:25], v[30:31], v[28:29] neg_lo:[0,1] neg_hi:[0,1]
	s_nop 0
	v_add_f32_e32 v25, v33, v25
	v_add_f32_e32 v24, v24, v25
	;; [unrolled: 1-line block ×3, first 2 shown]
	v_mul_f32_e32 v33, v32, v25
	v_mul_f32_e32 v26, v21, v33
	v_fma_f32 v28, v33, v21, -v26
	v_fmac_f32_e32 v28, v33, v13
	v_sub_f32_e32 v13, v27, v25
	v_add_f32_e32 v13, v24, v13
	v_add_f32_e32 v24, v26, v28
	v_sub_f32_e32 v27, v25, v24
	v_pk_add_f32 v[30:31], v[24:25], v[26:27] neg_lo:[0,1] neg_hi:[0,1]
	v_mov_b32_e32 v29, v24
	v_pk_add_f32 v[24:25], v[30:31], v[28:29] neg_lo:[0,1] neg_hi:[0,1]
	s_nop 0
	v_add_f32_e32 v13, v13, v25
	v_add_f32_e32 v13, v24, v13
	;; [unrolled: 1-line block ×4, first 2 shown]
	v_sub_f32_e32 v21, v25, v34
	v_mul_f32_e32 v13, v32, v13
	v_sub_f32_e32 v21, v33, v21
	v_add_f32_e32 v13, v21, v13
	v_add_f32_e32 v26, v25, v13
	v_cvt_f32_i32_e32 v24, v22
	v_mul_f32_e32 v28, v26, v26
	v_fmamk_f32 v21, v28, 0x3e9b6dac, v76
	v_fmaak_f32 v21, v28, v21, 0x3f2aaada
	v_sub_f32_e32 v22, v26, v25
	v_mul_f32_e32 v25, v26, v28
	v_pk_mul_f32 v[28:29], v[24:25], v[20:21]
	v_ldexp_f32 v27, v26, 1
	v_fma_f32 v26, v24, s0, -v28
	v_fmac_f32_e32 v26, 0xb102e308, v24
	v_pk_add_f32 v[24:25], v[28:29], v[26:27]
	v_sub_f32_e32 v13, v13, v22
	v_sub_f32_e32 v21, v25, v27
	v_ldexp_f32 v13, v13, 1
	v_sub_f32_e32 v21, v29, v21
	v_add_f32_e32 v31, v13, v21
	v_mov_b32_e32 v30, v28
	v_pk_add_f32 v[28:29], v[24:25], v[28:29] neg_lo:[0,1] neg_hi:[0,1]
	v_pk_add_f32 v[32:33], v[24:25], v[30:31]
	v_mov_b32_e32 v27, v24
	v_mov_b32_e32 v29, v33
	v_pk_add_f32 v[34:35], v[26:27], v[28:29] neg_lo:[0,1] neg_hi:[0,1]
	v_pk_add_f32 v[26:27], v[26:27], v[28:29]
	s_mov_b32 s0, 0x7f800000
	v_mov_b32_e32 v22, v27
	v_pk_add_f32 v[28:29], v[22:23], v[24:25] neg_lo:[0,1] neg_hi:[0,1]
	v_mov_b32_e32 v26, v33
	v_mov_b32_e32 v13, v28
	v_pk_add_f32 v[36:37], v[32:33], v[12:13] neg_lo:[0,1] neg_hi:[0,1]
	v_mov_b32_e32 v32, v25
	v_mov_b32_e32 v33, v28
	;; [unrolled: 1-line block ×3, first 2 shown]
	v_pk_add_f32 v[26:27], v[26:27], v[32:33] neg_lo:[0,1] neg_hi:[0,1]
	v_mov_b32_e32 v28, v31
	v_mov_b32_e32 v29, v24
	v_pk_add_f32 v[24:25], v[28:29], v[26:27] neg_lo:[0,1] neg_hi:[0,1]
	v_mov_b32_e32 v36, v34
	v_pk_add_f32 v[26:27], v[36:37], v[24:25]
	v_cmp_eq_f32_e32 vcc, s0, v38
	v_mov_b32_e32 v28, v27
	v_pk_add_f32 v[28:29], v[26:27], v[28:29]
	s_mov_b32 s0, 0x33800000
	v_pk_add_f32 v[30:31], v[22:23], v[28:29]
	v_mov_b32_e32 v25, v28
	v_mov_b32_e32 v27, v30
	v_pk_add_f32 v[32:33], v[26:27], v[34:35] neg_lo:[0,1] neg_hi:[0,1]
	v_cmp_gt_f32_e64 s[36:37], s0, v38
	v_sub_f32_e32 v13, v26, v32
	v_pk_add_f32 v[24:25], v[24:25], v[32:33] neg_lo:[0,1] neg_hi:[0,1]
	v_sub_f32_e32 v13, v34, v13
	v_add_f32_e32 v13, v24, v13
	v_add_f32_e32 v13, v13, v25
	;; [unrolled: 1-line block ×3, first 2 shown]
	s_or_b64 vcc, s[36:37], vcc
	v_cndmask_b32_e32 v84, v13, v38, vcc
.LBB140_53:                             ;   in Loop: Header=BB140_13 Depth=1
	s_or_b64 exec, exec, s[38:39]
	v_add_f32_e32 v85, s40, v23
	s_mov_b32 s0, 0x41a00000
	v_cmp_ge_f32_e32 vcc, s0, v85
	v_readlane_b32 s0, v95, 3
	v_readlane_b32 s1, v95, 4
	s_and_b64 s[0:1], s[0:1], vcc
	s_and_saveexec_b64 s[38:39], s[0:1]
	s_cbranch_execz .LBB140_55
; %bb.54:                               ;   in Loop: Header=BB140_13 Depth=1
	v_mul_f32_e32 v13, 0x3fb8aa3b, v85
	v_rndne_f32_e32 v21, v13
	s_mov_b32 s0, 0x3fb8aa3b
	v_sub_f32_e32 v22, v13, v21
	v_fma_f32 v13, v85, s0, -v13
	v_fmac_f32_e32 v13, 0x32a5705f, v85
	v_add_f32_e32 v13, v22, v13
	v_cvt_i32_f32_e32 v21, v21
	v_exp_f32_e32 v13, v13
	s_mov_b32 s0, 0xc2ce8ed0
	v_cmp_ngt_f32_e32 vcc, s0, v85
	s_mov_b32 s0, 0x42b17218
	v_ldexp_f32 v13, v13, v21
	v_cndmask_b32_e32 v13, 0, v13, vcc
	v_cmp_nlt_f32_e32 vcc, s0, v85
	s_mov_b32 s0, 0x3f2aaaab
	s_nop 0
	v_cndmask_b32_e32 v38, v77, v13, vcc
	v_add_f32_e32 v13, 1.0, v38
	v_add_f32_e32 v21, -1.0, v13
	v_sub_f32_e32 v22, v21, v13
	v_add_f32_e32 v22, 1.0, v22
	v_sub_f32_e32 v21, v38, v21
	v_add_f32_e32 v21, v21, v22
	v_frexp_mant_f32_e32 v24, v13
	v_cvt_f64_f32_e32 v[22:23], v13
	v_frexp_exp_i32_f64_e32 v22, v[22:23]
	v_cmp_gt_f32_e32 vcc, s0, v24
	s_mov_b32 s0, 0x3f317218
	s_nop 0
	v_subbrev_co_u32_e32 v30, vcc, 0, v22, vcc
	v_sub_u32_e32 v22, 0, v30
	v_ldexp_f32 v13, v13, v22
	v_ldexp_f32 v21, v21, v22
	v_add_f32_e32 v22, -1.0, v13
	v_add_f32_e32 v23, 1.0, v22
	v_sub_f32_e32 v23, v13, v23
	v_add_f32_e32 v24, v21, v23
	v_add_f32_e32 v23, 1.0, v13
	v_add_f32_e32 v25, -1.0, v23
	v_sub_f32_e32 v13, v13, v25
	v_add_f32_e32 v13, v21, v13
	v_add_f32_e32 v21, v23, v13
	v_rcp_f32_e32 v31, v21
	v_sub_f32_e32 v23, v23, v21
	v_add_f32_e32 v13, v13, v23
	v_add_f32_e32 v23, v22, v24
	v_sub_f32_e32 v22, v22, v23
	v_mul_f32_e32 v33, v23, v31
	v_add_f32_e32 v32, v24, v22
	v_mul_f32_e32 v24, v21, v33
	v_fma_f32 v26, v33, v21, -v24
	v_fmac_f32_e32 v26, v33, v13
	v_add_f32_e32 v22, v24, v26
	v_sub_f32_e32 v25, v23, v22
	v_pk_add_f32 v[28:29], v[22:23], v[24:25] neg_lo:[0,1] neg_hi:[0,1]
	v_mov_b32_e32 v27, v22
	v_pk_add_f32 v[22:23], v[28:29], v[26:27] neg_lo:[0,1] neg_hi:[0,1]
	s_nop 0
	v_add_f32_e32 v23, v32, v23
	v_add_f32_e32 v22, v22, v23
	;; [unrolled: 1-line block ×3, first 2 shown]
	v_mul_f32_e32 v32, v31, v23
	v_mul_f32_e32 v24, v21, v32
	v_fma_f32 v26, v32, v21, -v24
	v_fmac_f32_e32 v26, v32, v13
	v_sub_f32_e32 v13, v25, v23
	v_add_f32_e32 v13, v22, v13
	v_add_f32_e32 v22, v24, v26
	v_sub_f32_e32 v25, v23, v22
	v_pk_add_f32 v[28:29], v[22:23], v[24:25] neg_lo:[0,1] neg_hi:[0,1]
	v_mov_b32_e32 v27, v22
	v_pk_add_f32 v[22:23], v[28:29], v[26:27] neg_lo:[0,1] neg_hi:[0,1]
	s_nop 0
	v_add_f32_e32 v13, v13, v23
	v_add_f32_e32 v13, v22, v13
	;; [unrolled: 1-line block ×4, first 2 shown]
	v_sub_f32_e32 v21, v23, v33
	v_mul_f32_e32 v13, v31, v13
	v_sub_f32_e32 v21, v32, v21
	v_add_f32_e32 v13, v21, v13
	v_add_f32_e32 v24, v23, v13
	v_cvt_f32_i32_e32 v22, v30
	v_mul_f32_e32 v26, v24, v24
	v_fmamk_f32 v21, v26, 0x3e9b6dac, v76
	v_sub_f32_e32 v23, v24, v23
	v_fmaak_f32 v21, v26, v21, 0x3f2aaada
	v_sub_f32_e32 v13, v13, v23
	v_mul_f32_e32 v23, v24, v26
	v_pk_mul_f32 v[26:27], v[22:23], v[20:21]
	v_ldexp_f32 v25, v24, 1
	v_fma_f32 v24, v22, s0, -v26
	v_fmac_f32_e32 v24, 0xb102e308, v22
	v_pk_add_f32 v[22:23], v[26:27], v[24:25]
	v_ldexp_f32 v13, v13, 1
	v_sub_f32_e32 v21, v23, v25
	v_sub_f32_e32 v21, v27, v21
	v_add_f32_e32 v29, v13, v21
	v_mov_b32_e32 v28, v26
	v_pk_add_f32 v[26:27], v[22:23], v[26:27] neg_lo:[0,1] neg_hi:[0,1]
	v_pk_add_f32 v[30:31], v[22:23], v[28:29]
	v_mov_b32_e32 v25, v22
	v_mov_b32_e32 v27, v31
	v_pk_add_f32 v[32:33], v[24:25], v[26:27] neg_lo:[0,1] neg_hi:[0,1]
	v_pk_add_f32 v[24:25], v[24:25], v[26:27]
	v_mov_b32_e32 v28, v29
	v_mov_b32_e32 v26, v25
	v_pk_add_f32 v[34:35], v[26:27], v[22:23] neg_lo:[0,1] neg_hi:[0,1]
	v_mov_b32_e32 v24, v31
	v_mov_b32_e32 v13, v34
	v_pk_add_f32 v[36:37], v[30:31], v[12:13] neg_lo:[0,1] neg_hi:[0,1]
	v_mov_b32_e32 v30, v23
	v_mov_b32_e32 v31, v34
	;; [unrolled: 1-line block ×3, first 2 shown]
	v_pk_add_f32 v[24:25], v[24:25], v[30:31] neg_lo:[0,1] neg_hi:[0,1]
	v_mov_b32_e32 v29, v22
	v_pk_add_f32 v[22:23], v[28:29], v[24:25] neg_lo:[0,1] neg_hi:[0,1]
	v_mov_b32_e32 v36, v32
	v_pk_add_f32 v[24:25], v[36:37], v[22:23]
	s_mov_b32 s0, 0x7f800000
	v_mov_b32_e32 v28, v25
	v_pk_add_f32 v[28:29], v[24:25], v[28:29]
	v_cmp_eq_f32_e32 vcc, s0, v38
	v_pk_add_f32 v[26:27], v[26:27], v[28:29]
	v_mov_b32_e32 v23, v28
	v_mov_b32_e32 v25, v26
	v_pk_add_f32 v[30:31], v[24:25], v[32:33] neg_lo:[0,1] neg_hi:[0,1]
	s_mov_b32 s0, 0x33800000
	v_sub_f32_e32 v13, v24, v30
	v_pk_add_f32 v[22:23], v[22:23], v[30:31] neg_lo:[0,1] neg_hi:[0,1]
	v_sub_f32_e32 v13, v32, v13
	v_add_f32_e32 v13, v22, v13
	v_add_f32_e32 v13, v13, v23
	v_cmp_gt_f32_e64 s[36:37], s0, v38
	v_add_f32_e32 v13, v26, v13
	s_or_b64 vcc, s[36:37], vcc
	v_cndmask_b32_e32 v85, v13, v38, vcc
.LBB140_55:                             ;   in Loop: Header=BB140_13 Depth=1
	s_or_b64 exec, exec, s[38:39]
	s_waitcnt lgkmcnt(0)
	v_add_f32_e32 v86, s40, v10
	s_mov_b32 s0, 0x41a00000
	v_cmp_ge_f32_e32 vcc, s0, v86
	v_readlane_b32 s0, v95, 3
	v_readlane_b32 s1, v95, 4
	s_and_b64 s[0:1], s[0:1], vcc
	s_and_saveexec_b64 s[38:39], s[0:1]
	s_cbranch_execz .LBB140_57
; %bb.56:                               ;   in Loop: Header=BB140_13 Depth=1
	v_mul_f32_e32 v10, 0x3fb8aa3b, v86
	v_rndne_f32_e32 v13, v10
	s_mov_b32 s0, 0x3fb8aa3b
	v_sub_f32_e32 v21, v10, v13
	v_fma_f32 v10, v86, s0, -v10
	v_fmac_f32_e32 v10, 0x32a5705f, v86
	v_add_f32_e32 v10, v21, v10
	v_cvt_i32_f32_e32 v13, v13
	v_exp_f32_e32 v10, v10
	s_mov_b32 s0, 0xc2ce8ed0
	v_cmp_ngt_f32_e32 vcc, s0, v86
	s_mov_b32 s0, 0x42b17218
	v_ldexp_f32 v10, v10, v13
	v_cndmask_b32_e32 v10, 0, v10, vcc
	v_cmp_nlt_f32_e32 vcc, s0, v86
	s_mov_b32 s0, 0x3f2aaaab
	s_nop 0
	v_cndmask_b32_e32 v36, v77, v10, vcc
	v_add_f32_e32 v10, 1.0, v36
	v_add_f32_e32 v13, -1.0, v10
	v_sub_f32_e32 v21, v13, v10
	v_add_f32_e32 v21, 1.0, v21
	v_sub_f32_e32 v13, v36, v13
	v_add_f32_e32 v13, v13, v21
	v_frexp_mant_f32_e32 v21, v10
	v_cvt_f64_f32_e32 v[22:23], v10
	v_frexp_exp_i32_f64_e32 v22, v[22:23]
	v_cmp_gt_f32_e32 vcc, s0, v21
	s_mov_b32 s0, 0x3f317218
	s_nop 0
	v_subbrev_co_u32_e32 v30, vcc, 0, v22, vcc
	v_sub_u32_e32 v21, 0, v30
	v_ldexp_f32 v10, v10, v21
	v_ldexp_f32 v13, v13, v21
	v_add_f32_e32 v21, -1.0, v10
	v_add_f32_e32 v23, 1.0, v10
	v_add_f32_e32 v22, 1.0, v21
	v_add_f32_e32 v24, -1.0, v23
	v_sub_f32_e32 v22, v10, v22
	v_sub_f32_e32 v10, v10, v24
	v_add_f32_e32 v10, v13, v10
	v_add_f32_e32 v22, v13, v22
	;; [unrolled: 1-line block ×3, first 2 shown]
	v_rcp_f32_e32 v31, v13
	v_sub_f32_e32 v23, v23, v13
	v_add_f32_e32 v10, v10, v23
	v_add_f32_e32 v23, v21, v22
	v_mul_f32_e32 v32, v23, v31
	v_mul_f32_e32 v24, v13, v32
	v_fma_f32 v26, v32, v13, -v24
	v_sub_f32_e32 v21, v21, v23
	v_fmac_f32_e32 v26, v32, v10
	v_add_f32_e32 v21, v22, v21
	v_add_f32_e32 v22, v24, v26
	v_sub_f32_e32 v25, v23, v22
	v_pk_add_f32 v[28:29], v[22:23], v[24:25] neg_lo:[0,1] neg_hi:[0,1]
	v_mov_b32_e32 v27, v22
	v_pk_add_f32 v[22:23], v[28:29], v[26:27] neg_lo:[0,1] neg_hi:[0,1]
	s_nop 0
	v_add_f32_e32 v21, v21, v23
	v_add_f32_e32 v21, v22, v21
	;; [unrolled: 1-line block ×3, first 2 shown]
	v_mul_f32_e32 v33, v31, v23
	v_mul_f32_e32 v24, v13, v33
	v_fma_f32 v26, v33, v13, -v24
	v_fmac_f32_e32 v26, v33, v10
	v_add_f32_e32 v22, v24, v26
	v_sub_f32_e32 v10, v25, v23
	v_sub_f32_e32 v25, v23, v22
	v_pk_add_f32 v[28:29], v[22:23], v[24:25] neg_lo:[0,1] neg_hi:[0,1]
	v_mov_b32_e32 v27, v22
	v_add_f32_e32 v10, v21, v10
	v_pk_add_f32 v[22:23], v[28:29], v[26:27] neg_lo:[0,1] neg_hi:[0,1]
	v_add_f32_e32 v13, v32, v33
	v_add_f32_e32 v10, v10, v23
	;; [unrolled: 1-line block ×4, first 2 shown]
	v_sub_f32_e32 v21, v13, v32
	v_mul_f32_e32 v10, v31, v10
	v_sub_f32_e32 v21, v33, v21
	v_add_f32_e32 v10, v21, v10
	v_add_f32_e32 v23, v13, v10
	v_cvt_f32_i32_e32 v22, v30
	v_mul_f32_e32 v24, v23, v23
	v_fmamk_f32 v21, v24, 0x3e9b6dac, v76
	v_fmaak_f32 v21, v24, v21, 0x3f2aaada
	v_sub_f32_e32 v13, v23, v13
	v_ldexp_f32 v25, v23, 1
	v_mul_f32_e32 v23, v23, v24
	v_pk_mul_f32 v[26:27], v[22:23], v[20:21]
	v_sub_f32_e32 v10, v10, v13
	v_fma_f32 v24, v22, s0, -v26
	v_fmac_f32_e32 v24, 0xb102e308, v22
	v_pk_add_f32 v[22:23], v[26:27], v[24:25]
	v_ldexp_f32 v10, v10, 1
	v_sub_f32_e32 v13, v23, v25
	v_sub_f32_e32 v13, v27, v13
	v_add_f32_e32 v29, v10, v13
	v_mov_b32_e32 v28, v26
	v_pk_add_f32 v[26:27], v[22:23], v[26:27] neg_lo:[0,1] neg_hi:[0,1]
	v_pk_add_f32 v[30:31], v[22:23], v[28:29]
	v_mov_b32_e32 v25, v22
	v_mov_b32_e32 v27, v31
	v_pk_add_f32 v[32:33], v[24:25], v[26:27] neg_lo:[0,1] neg_hi:[0,1]
	v_pk_add_f32 v[24:25], v[24:25], v[26:27]
	s_mov_b32 s0, 0x7f800000
	v_mov_b32_e32 v10, v25
	v_pk_add_f32 v[26:27], v[10:11], v[22:23] neg_lo:[0,1] neg_hi:[0,1]
	v_mov_b32_e32 v24, v31
	v_mov_b32_e32 v13, v26
	v_pk_add_f32 v[34:35], v[30:31], v[12:13] neg_lo:[0,1] neg_hi:[0,1]
	v_mov_b32_e32 v30, v23
	v_mov_b32_e32 v31, v26
	;; [unrolled: 1-line block ×3, first 2 shown]
	v_pk_add_f32 v[24:25], v[24:25], v[30:31] neg_lo:[0,1] neg_hi:[0,1]
	v_mov_b32_e32 v26, v29
	v_mov_b32_e32 v27, v22
	v_pk_add_f32 v[22:23], v[26:27], v[24:25] neg_lo:[0,1] neg_hi:[0,1]
	v_mov_b32_e32 v34, v32
	v_pk_add_f32 v[24:25], v[34:35], v[22:23]
	v_cmp_eq_f32_e32 vcc, s0, v36
	v_mov_b32_e32 v26, v25
	v_pk_add_f32 v[26:27], v[24:25], v[26:27]
	s_mov_b32 s0, 0x33800000
	v_pk_add_f32 v[28:29], v[10:11], v[26:27]
	v_mov_b32_e32 v23, v26
	v_mov_b32_e32 v25, v28
	v_pk_add_f32 v[30:31], v[24:25], v[32:33] neg_lo:[0,1] neg_hi:[0,1]
	v_cmp_gt_f32_e64 s[36:37], s0, v36
	v_sub_f32_e32 v10, v24, v30
	v_pk_add_f32 v[22:23], v[22:23], v[30:31] neg_lo:[0,1] neg_hi:[0,1]
	v_sub_f32_e32 v10, v32, v10
	v_add_f32_e32 v10, v22, v10
	v_add_f32_e32 v10, v10, v23
	;; [unrolled: 1-line block ×3, first 2 shown]
	s_or_b64 vcc, s[36:37], vcc
	v_cndmask_b32_e32 v86, v10, v36, vcc
.LBB140_57:                             ;   in Loop: Header=BB140_13 Depth=1
	s_or_b64 exec, exec, s[38:39]
	v_add_f32_e32 v21, s40, v11
	s_mov_b32 s0, 0x41a00000
	v_cmp_ge_f32_e32 vcc, s0, v21
	v_readlane_b32 s0, v95, 3
	v_readlane_b32 s1, v95, 4
	s_and_b64 s[0:1], s[0:1], vcc
	s_and_saveexec_b64 s[38:39], s[0:1]
	s_cbranch_execz .LBB140_59
; %bb.58:                               ;   in Loop: Header=BB140_13 Depth=1
	v_mul_f32_e32 v10, 0x3fb8aa3b, v21
	v_rndne_f32_e32 v11, v10
	s_mov_b32 s0, 0x3fb8aa3b
	v_sub_f32_e32 v13, v10, v11
	v_fma_f32 v10, v21, s0, -v10
	v_fmac_f32_e32 v10, 0x32a5705f, v21
	v_add_f32_e32 v10, v13, v10
	v_cvt_i32_f32_e32 v11, v11
	v_exp_f32_e32 v10, v10
	s_mov_b32 s0, 0xc2ce8ed0
	v_cmp_ngt_f32_e32 vcc, s0, v21
	s_mov_b32 s0, 0x42b17218
	v_ldexp_f32 v10, v10, v11
	v_cndmask_b32_e32 v10, 0, v10, vcc
	v_cmp_nlt_f32_e32 vcc, s0, v21
	s_mov_b32 s0, 0x3f2aaaab
	s_nop 0
	v_cndmask_b32_e32 v36, v77, v10, vcc
	v_add_f32_e32 v13, 1.0, v36
	v_add_f32_e32 v10, -1.0, v13
	v_sub_f32_e32 v11, v10, v13
	v_add_f32_e32 v11, 1.0, v11
	v_sub_f32_e32 v10, v36, v10
	v_add_f32_e32 v21, v10, v11
	v_frexp_mant_f32_e32 v22, v13
	v_cvt_f64_f32_e32 v[10:11], v13
	v_frexp_exp_i32_f64_e32 v10, v[10:11]
	v_cmp_gt_f32_e32 vcc, s0, v22
	s_mov_b32 s0, 0x3f317218
	s_nop 0
	v_subbrev_co_u32_e32 v28, vcc, 0, v10, vcc
	v_sub_u32_e32 v10, 0, v28
	v_ldexp_f32 v11, v13, v10
	v_add_f32_e32 v13, -1.0, v11
	v_add_f32_e32 v22, 1.0, v11
	v_ldexp_f32 v10, v21, v10
	v_add_f32_e32 v21, 1.0, v13
	v_add_f32_e32 v23, -1.0, v22
	v_sub_f32_e32 v21, v11, v21
	v_sub_f32_e32 v11, v11, v23
	v_add_f32_e32 v21, v10, v21
	v_add_f32_e32 v10, v10, v11
	v_add_f32_e32 v29, v22, v10
	v_rcp_f32_e32 v31, v29
	v_sub_f32_e32 v11, v22, v29
	v_add_f32_e32 v30, v10, v11
	v_add_f32_e32 v11, v13, v21
	v_sub_f32_e32 v10, v13, v11
	v_add_f32_e32 v13, v21, v10
	v_mul_f32_e32 v21, v11, v31
	v_mul_f32_e32 v22, v29, v21
	v_fma_f32 v24, v21, v29, -v22
	v_fmac_f32_e32 v24, v21, v30
	v_add_f32_e32 v10, v22, v24
	v_sub_f32_e32 v23, v11, v10
	v_pk_add_f32 v[26:27], v[10:11], v[22:23] neg_lo:[0,1] neg_hi:[0,1]
	v_mov_b32_e32 v25, v10
	v_pk_add_f32 v[10:11], v[26:27], v[24:25] neg_lo:[0,1] neg_hi:[0,1]
	s_nop 0
	v_add_f32_e32 v11, v13, v11
	v_add_f32_e32 v10, v10, v11
	v_add_f32_e32 v11, v23, v10
	v_mul_f32_e32 v13, v31, v11
	v_mul_f32_e32 v22, v29, v13
	v_fma_f32 v24, v13, v29, -v22
	v_fmac_f32_e32 v24, v13, v30
	v_sub_f32_e32 v23, v23, v11
	v_add_f32_e32 v29, v10, v23
	v_add_f32_e32 v10, v22, v24
	v_sub_f32_e32 v23, v11, v10
	v_pk_add_f32 v[26:27], v[10:11], v[22:23] neg_lo:[0,1] neg_hi:[0,1]
	v_mov_b32_e32 v25, v10
	v_pk_add_f32 v[10:11], v[26:27], v[24:25] neg_lo:[0,1] neg_hi:[0,1]
	s_nop 0
	v_add_f32_e32 v11, v29, v11
	v_add_f32_e32 v10, v10, v11
	;; [unrolled: 1-line block ×4, first 2 shown]
	v_sub_f32_e32 v21, v11, v21
	v_mul_f32_e32 v10, v31, v10
	v_sub_f32_e32 v13, v13, v21
	v_add_f32_e32 v13, v13, v10
	v_add_f32_e32 v22, v11, v13
	v_mul_f32_e32 v24, v22, v22
	v_fmamk_f32 v10, v24, 0x3e9b6dac, v76
	v_fmaak_f32 v21, v24, v10, 0x3f2aaada
	v_cvt_f32_i32_e32 v10, v28
	v_sub_f32_e32 v11, v22, v11
	v_sub_f32_e32 v11, v13, v11
	v_ldexp_f32 v13, v11, 1
	v_mul_f32_e32 v11, v22, v24
	v_pk_mul_f32 v[24:25], v[10:11], v[20:21]
	v_ldexp_f32 v23, v22, 1
	v_fma_f32 v22, v10, s0, -v24
	v_fmac_f32_e32 v22, 0xb102e308, v10
	v_pk_add_f32 v[10:11], v[24:25], v[22:23]
	v_mov_b32_e32 v26, v24
	v_sub_f32_e32 v21, v11, v23
	v_sub_f32_e32 v21, v25, v21
	v_add_f32_e32 v27, v13, v21
	v_pk_add_f32 v[24:25], v[10:11], v[24:25] neg_lo:[0,1] neg_hi:[0,1]
	v_pk_add_f32 v[28:29], v[10:11], v[26:27]
	v_mov_b32_e32 v23, v10
	v_mov_b32_e32 v25, v29
	v_pk_add_f32 v[30:31], v[22:23], v[24:25] neg_lo:[0,1] neg_hi:[0,1]
	v_pk_add_f32 v[22:23], v[22:23], v[24:25]
	v_mov_b32_e32 v26, v27
	v_mov_b32_e32 v24, v23
	v_pk_add_f32 v[32:33], v[24:25], v[10:11] neg_lo:[0,1] neg_hi:[0,1]
	v_mov_b32_e32 v22, v29
	v_mov_b32_e32 v13, v32
	v_pk_add_f32 v[34:35], v[28:29], v[12:13] neg_lo:[0,1] neg_hi:[0,1]
	v_mov_b32_e32 v28, v11
	v_mov_b32_e32 v29, v32
	;; [unrolled: 1-line block ×3, first 2 shown]
	v_pk_add_f32 v[22:23], v[22:23], v[28:29] neg_lo:[0,1] neg_hi:[0,1]
	v_mov_b32_e32 v27, v10
	v_pk_add_f32 v[10:11], v[26:27], v[22:23] neg_lo:[0,1] neg_hi:[0,1]
	v_mov_b32_e32 v34, v30
	v_pk_add_f32 v[22:23], v[34:35], v[10:11]
	s_mov_b32 s0, 0x7f800000
	v_mov_b32_e32 v26, v23
	v_pk_add_f32 v[26:27], v[22:23], v[26:27]
	v_cmp_eq_f32_e32 vcc, s0, v36
	v_pk_add_f32 v[24:25], v[24:25], v[26:27]
	v_mov_b32_e32 v11, v26
	v_mov_b32_e32 v23, v24
	v_pk_add_f32 v[28:29], v[22:23], v[30:31] neg_lo:[0,1] neg_hi:[0,1]
	s_mov_b32 s0, 0x33800000
	v_sub_f32_e32 v13, v22, v28
	v_pk_add_f32 v[10:11], v[10:11], v[28:29] neg_lo:[0,1] neg_hi:[0,1]
	v_sub_f32_e32 v13, v30, v13
	v_add_f32_e32 v10, v10, v13
	v_add_f32_e32 v10, v10, v11
	v_cmp_gt_f32_e64 s[36:37], s0, v36
	v_add_f32_e32 v10, v24, v10
	s_or_b64 vcc, s[36:37], vcc
	v_cndmask_b32_e32 v21, v10, v36, vcc
.LBB140_59:                             ;   in Loop: Header=BB140_13 Depth=1
	s_or_b64 exec, exec, s[38:39]
	v_readlane_b32 s0, v95, 2
	s_waitcnt lgkmcnt(0)
	; wave barrier
	s_nop 0
	v_mul_f32_e32 v22, s0, v8
	v_mul_f32_e32 v25, s0, v7
	;; [unrolled: 1-line block ×8, first 2 shown]
	v_readlane_b32 s0, v95, 6
	v_readlane_b32 s1, v95, 7
	s_and_b64 vcc, exec, s[0:1]
	s_cbranch_vccz .LBB140_120
; %bb.60:                               ;   in Loop: Header=BB140_13 Depth=1
	v_mul_f32_e32 v94, v0, v80
	scratch_load_dword v0, off, off         ; 4-byte Folded Reload
	s_cmp_lg_u32 s66, 0
	v_readlane_b32 s1, v95, 11
	v_readlane_b32 s2, v95, 8
	s_cselect_b64 s[82:83], -1, 0
	s_cmp_eq_u32 s66, s1
	v_readlane_b32 s3, v95, 9
	s_cselect_b64 s[88:89], -1, 0
	s_mov_b64 s[86:87], s[42:43]
	v_lshl_add_u64 v[30:31], s[42:43], 0, v[2:3]
	s_mov_b64 s[84:85], s[46:47]
	v_lshl_add_u64 v[32:33], s[46:47], 0, v[2:3]
	s_mov_b32 s0, 0
	v_mul_f32_e32 v87, v9, v21
	v_mul_f32_e32 v88, v8, v86
	;; [unrolled: 1-line block ×7, first 2 shown]
	s_mov_b32 s80, s0
	s_mov_b32 s90, 0
	;; [unrolled: 1-line block ×4, first 2 shown]
	v_readlane_b32 s67, v95, 5
	v_readlane_b32 s57, v95, 20
	s_waitcnt vmcnt(0)
	v_cmp_gt_u32_e32 vcc, s50, v0
	scratch_load_dword v0, off, off offset:4 ; 4-byte Folded Reload
	s_or_b64 s[36:37], s[2:3], vcc
	s_waitcnt vmcnt(0)
	v_cmp_gt_u32_e32 vcc, s50, v0
	scratch_load_dword v0, off, off offset:8 ; 4-byte Folded Reload
	s_or_b64 s[38:39], s[2:3], vcc
	;; [unrolled: 4-line block ×7, first 2 shown]
	s_waitcnt vmcnt(0)
	v_cmp_gt_u32_e32 vcc, s50, v0
	s_or_b64 s[50:51], s[2:3], vcc
	s_branch .LBB140_62
.LBB140_61:                             ;   in Loop: Header=BB140_62 Depth=2
	s_or_b64 exec, exec, s[74:75]
	v_mul_f32_e32 v10, v69, v44
	v_fma_f32 v11, v69, v45, v34
	v_cndmask_b32_e64 v34, v11, v34, s[16:17]
	v_cndmask_b32_e64 v10, v10, v69, s[16:17]
	s_waitcnt lgkmcnt(0)
	v_fmac_f32_e32 v34, v42, v10
	v_fmac_f32_e32 v35, v34, v70
	;; [unrolled: 1-line block ×7, first 2 shown]
	v_readlane_b32 s68, v95, 12
	v_fmac_f32_e32 v39, v38, v13
	s_add_i32 s57, s57, 8
	s_add_i32 s67, s67, -1
	s_add_i32 s94, s94, s96
	s_add_i32 s92, s92, s68
	s_add_i32 s90, s90, s56
	s_add_i32 s80, s80, s53
	v_pk_fma_f32 v[28:29], v[8:9], v[34:35], v[28:29]
	v_pk_fma_f32 v[26:27], v[6:7], v[36:37], v[26:27]
	;; [unrolled: 1-line block ×3, first 2 shown]
	s_cmp_eq_u32 s67, 0
	v_pk_fma_f32 v[22:23], v[0:1], v[38:39], v[22:23]
	v_readlane_b32 s69, v95, 13
	v_readlane_b32 s70, v95, 14
	;; [unrolled: 1-line block ×7, first 2 shown]
	s_cbranch_scc1 .LBB140_119
.LBB140_62:                             ;   Parent Loop BB140_13 Depth=1
                                        ; =>  This Inner Loop Header: Depth=2
	s_lshl_b64 s[2:3], s[80:81], 2
	s_add_u32 s2, s52, s2
	s_addc_u32 s3, s98, s3
	global_load_dword v42, v3, s[2:3]
	s_mov_b32 s6, s0
	s_mov_b32 s7, s0
	;; [unrolled: 1-line block ×8, first 2 shown]
	v_mov_b64_e32 v[10:11], s[6:7]
	v_lshl_add_u64 v[0:1], s[90:91], 2, v[30:31]
	v_mov_b64_e32 v[8:9], s[4:5]
	v_mov_b64_e32 v[6:7], s[2:3]
	v_mov_b64_e32 v[4:5], s[0:1]
	v_mov_b32_e32 v13, 0
	s_and_saveexec_b64 s[74:75], s[18:19]
	s_cbranch_execnz .LBB140_82
; %bb.63:                               ;   in Loop: Header=BB140_62 Depth=2
	s_or_b64 exec, exec, s[74:75]
	s_and_saveexec_b64 s[74:75], s[20:21]
	s_cbranch_execnz .LBB140_83
.LBB140_64:                             ;   in Loop: Header=BB140_62 Depth=2
	s_or_b64 exec, exec, s[74:75]
	s_and_saveexec_b64 s[74:75], s[22:23]
	s_cbranch_execnz .LBB140_84
.LBB140_65:                             ;   in Loop: Header=BB140_62 Depth=2
	s_or_b64 exec, exec, s[74:75]
	s_and_saveexec_b64 s[74:75], s[24:25]
	s_cbranch_execnz .LBB140_85
.LBB140_66:                             ;   in Loop: Header=BB140_62 Depth=2
	s_or_b64 exec, exec, s[74:75]
	s_and_saveexec_b64 s[74:75], s[26:27]
	s_cbranch_execnz .LBB140_86
.LBB140_67:                             ;   in Loop: Header=BB140_62 Depth=2
	s_or_b64 exec, exec, s[74:75]
	s_and_saveexec_b64 s[74:75], s[28:29]
	s_cbranch_execnz .LBB140_87
.LBB140_68:                             ;   in Loop: Header=BB140_62 Depth=2
	s_or_b64 exec, exec, s[74:75]
	s_and_saveexec_b64 s[74:75], s[30:31]
	s_cbranch_execnz .LBB140_88
.LBB140_69:                             ;   in Loop: Header=BB140_62 Depth=2
	s_or_b64 exec, exec, s[74:75]
	s_and_saveexec_b64 s[74:75], s[34:35]
	s_cbranch_execz .LBB140_71
.LBB140_70:                             ;   in Loop: Header=BB140_62 Depth=2
	global_load_dword v11, v[0:1], off offset:1792
.LBB140_71:                             ;   in Loop: Header=BB140_62 Depth=2
	s_or_b64 exec, exec, s[74:75]
	s_waitcnt vmcnt(0)
	ds_write_b32 v51, v13
	ds_write_b32 v52, v5 offset:256
	ds_write_b32 v53, v6 offset:512
	;; [unrolled: 1-line block ×7, first 2 shown]
	; wave barrier
	ds_read2_b32 v[34:35], v59 offset1:1
	ds_read2_b32 v[36:37], v59 offset0:2 offset1:3
	ds_read2_b32 v[40:41], v59 offset0:4 offset1:5
	;; [unrolled: 1-line block ×3, first 2 shown]
	s_mov_b32 s68, s81
	s_mov_b32 s69, s81
	;; [unrolled: 1-line block ×9, first 2 shown]
	v_mov_b64_e32 v[4:5], s[68:69]
	v_lshl_add_u64 v[0:1], s[92:93], 2, v[32:33]
	v_mov_b64_e32 v[6:7], s[70:71]
	v_mov_b64_e32 v[8:9], s[72:73]
	;; [unrolled: 1-line block ×3, first 2 shown]
	v_mov_b32_e32 v13, 0
	s_and_saveexec_b64 s[74:75], s[18:19]
	s_cbranch_execnz .LBB140_89
; %bb.72:                               ;   in Loop: Header=BB140_62 Depth=2
	s_or_b64 exec, exec, s[74:75]
	s_and_saveexec_b64 s[74:75], s[20:21]
	s_cbranch_execnz .LBB140_90
.LBB140_73:                             ;   in Loop: Header=BB140_62 Depth=2
	s_or_b64 exec, exec, s[74:75]
	s_and_saveexec_b64 s[74:75], s[22:23]
	s_cbranch_execnz .LBB140_91
.LBB140_74:                             ;   in Loop: Header=BB140_62 Depth=2
	s_or_b64 exec, exec, s[74:75]
	s_and_saveexec_b64 s[74:75], s[24:25]
	s_cbranch_execnz .LBB140_92
.LBB140_75:                             ;   in Loop: Header=BB140_62 Depth=2
	s_or_b64 exec, exec, s[74:75]
	s_and_saveexec_b64 s[74:75], s[26:27]
	s_cbranch_execnz .LBB140_93
.LBB140_76:                             ;   in Loop: Header=BB140_62 Depth=2
	s_or_b64 exec, exec, s[74:75]
	s_and_saveexec_b64 s[74:75], s[28:29]
	s_cbranch_execnz .LBB140_94
.LBB140_77:                             ;   in Loop: Header=BB140_62 Depth=2
	s_or_b64 exec, exec, s[74:75]
	s_and_saveexec_b64 s[74:75], s[30:31]
	s_cbranch_execnz .LBB140_95
.LBB140_78:                             ;   in Loop: Header=BB140_62 Depth=2
	s_or_b64 exec, exec, s[74:75]
	s_and_saveexec_b64 s[74:75], s[34:35]
	s_cbranch_execz .LBB140_80
.LBB140_79:                             ;   in Loop: Header=BB140_62 Depth=2
	global_load_dword v11, v[0:1], off offset:1792
.LBB140_80:                             ;   in Loop: Header=BB140_62 Depth=2
	s_or_b64 exec, exec, s[74:75]
	v_add_u32_e32 v0, 0x840, v59
	s_waitcnt vmcnt(0)
	ds_write_b32 v51, v13 offset:2112
	ds_write_b32 v60, v5 offset:256
	;; [unrolled: 1-line block ×8, first 2 shown]
	; wave barrier
	ds_read2_b32 v[6:7], v67 offset0:2 offset1:3
	ds_read2_b32 v[4:5], v67 offset0:4 offset1:5
	ds_read2_b32 v[8:9], v0 offset1:1
	ds_read2_b32 v[0:1], v67 offset0:6 offset1:7
	s_andn2_b64 vcc, exec, s[82:83]
	s_cbranch_vccnz .LBB140_96
; %bb.81:                               ;   in Loop: Header=BB140_62 Depth=2
	v_mov_b32_e32 v10, s57
	ds_read_b64 v[10:11], v10
	s_cbranch_execz .LBB140_97
	s_branch .LBB140_100
.LBB140_82:                             ;   in Loop: Header=BB140_62 Depth=2
	global_load_dword v13, v[0:1], off
	v_mov_b32_e32 v4, v3
	v_mov_b32_e32 v5, v3
	v_mov_b32_e32 v6, v3
	v_mov_b32_e32 v7, v3
	v_mov_b32_e32 v8, v3
	v_mov_b32_e32 v9, v3
	v_mov_b64_e32 v[10:11], v[8:9]
	v_mov_b64_e32 v[8:9], v[6:7]
	;; [unrolled: 1-line block ×4, first 2 shown]
	s_or_b64 exec, exec, s[74:75]
	s_and_saveexec_b64 s[74:75], s[20:21]
	s_cbranch_execz .LBB140_64
.LBB140_83:                             ;   in Loop: Header=BB140_62 Depth=2
	global_load_dword v5, v[0:1], off offset:256
	s_or_b64 exec, exec, s[74:75]
	s_and_saveexec_b64 s[74:75], s[22:23]
	s_cbranch_execz .LBB140_65
.LBB140_84:                             ;   in Loop: Header=BB140_62 Depth=2
	global_load_dword v6, v[0:1], off offset:512
	s_or_b64 exec, exec, s[74:75]
	s_and_saveexec_b64 s[74:75], s[24:25]
	s_cbranch_execz .LBB140_66
.LBB140_85:                             ;   in Loop: Header=BB140_62 Depth=2
	global_load_dword v7, v[0:1], off offset:768
	s_or_b64 exec, exec, s[74:75]
	s_and_saveexec_b64 s[74:75], s[26:27]
	s_cbranch_execz .LBB140_67
.LBB140_86:                             ;   in Loop: Header=BB140_62 Depth=2
	global_load_dword v8, v[0:1], off offset:1024
	s_or_b64 exec, exec, s[74:75]
	s_and_saveexec_b64 s[74:75], s[28:29]
	s_cbranch_execz .LBB140_68
.LBB140_87:                             ;   in Loop: Header=BB140_62 Depth=2
	global_load_dword v9, v[0:1], off offset:1280
	s_or_b64 exec, exec, s[74:75]
	s_and_saveexec_b64 s[74:75], s[30:31]
	s_cbranch_execz .LBB140_69
.LBB140_88:                             ;   in Loop: Header=BB140_62 Depth=2
	global_load_dword v10, v[0:1], off offset:1536
	s_or_b64 exec, exec, s[74:75]
	s_and_saveexec_b64 s[74:75], s[34:35]
	s_cbranch_execnz .LBB140_70
	s_branch .LBB140_71
.LBB140_89:                             ;   in Loop: Header=BB140_62 Depth=2
	global_load_dword v13, v[0:1], off
	v_mov_b32_e32 v4, v3
	v_mov_b32_e32 v5, v3
	v_mov_b32_e32 v6, v3
	v_mov_b32_e32 v7, v3
	v_mov_b32_e32 v8, v3
	v_mov_b32_e32 v9, v3
	v_mov_b64_e32 v[10:11], v[8:9]
	v_mov_b64_e32 v[8:9], v[6:7]
	;; [unrolled: 1-line block ×4, first 2 shown]
	s_or_b64 exec, exec, s[74:75]
	s_and_saveexec_b64 s[74:75], s[20:21]
	s_cbranch_execz .LBB140_73
.LBB140_90:                             ;   in Loop: Header=BB140_62 Depth=2
	global_load_dword v5, v[0:1], off offset:256
	s_or_b64 exec, exec, s[74:75]
	s_and_saveexec_b64 s[74:75], s[22:23]
	s_cbranch_execz .LBB140_74
.LBB140_91:                             ;   in Loop: Header=BB140_62 Depth=2
	global_load_dword v6, v[0:1], off offset:512
	s_or_b64 exec, exec, s[74:75]
	s_and_saveexec_b64 s[74:75], s[24:25]
	s_cbranch_execz .LBB140_75
.LBB140_92:                             ;   in Loop: Header=BB140_62 Depth=2
	global_load_dword v7, v[0:1], off offset:768
	s_or_b64 exec, exec, s[74:75]
	s_and_saveexec_b64 s[74:75], s[26:27]
	s_cbranch_execz .LBB140_76
.LBB140_93:                             ;   in Loop: Header=BB140_62 Depth=2
	global_load_dword v8, v[0:1], off offset:1024
	s_or_b64 exec, exec, s[74:75]
	s_and_saveexec_b64 s[74:75], s[28:29]
	s_cbranch_execz .LBB140_77
.LBB140_94:                             ;   in Loop: Header=BB140_62 Depth=2
	global_load_dword v9, v[0:1], off offset:1280
	s_or_b64 exec, exec, s[74:75]
	s_and_saveexec_b64 s[74:75], s[30:31]
	s_cbranch_execz .LBB140_78
.LBB140_95:                             ;   in Loop: Header=BB140_62 Depth=2
	global_load_dword v10, v[0:1], off offset:1536
	s_or_b64 exec, exec, s[74:75]
	s_and_saveexec_b64 s[74:75], s[34:35]
	s_cbranch_execnz .LBB140_79
	s_branch .LBB140_80
.LBB140_96:                             ;   in Loop: Header=BB140_62 Depth=2
                                        ; implicit-def: $vgpr11
.LBB140_97:                             ;   in Loop: Header=BB140_62 Depth=2
	v_readlane_b32 s2, v95, 0
	v_readlane_b32 s3, v95, 1
	s_andn2_b64 vcc, exec, s[2:3]
	s_waitcnt lgkmcnt(0)
	v_mov_b32_e32 v11, 0
	s_cbranch_vccnz .LBB140_99
; %bb.98:                               ;   in Loop: Header=BB140_62 Depth=2
	s_mov_b32 s95, s81
	s_lshl_b64 s[2:3], s[94:95], 2
	s_add_u32 s2, s33, s2
	s_addc_u32 s3, s99, s3
	global_load_dword v11, v3, s[2:3]
.LBB140_99:                             ;   in Loop: Header=BB140_62 Depth=2
	v_mov_b32_e32 v10, 1.0
.LBB140_100:                            ;   in Loop: Header=BB140_62 Depth=2
	v_mul_f32_e32 v13, 0x3fb8aa3b, v42
	v_mul_f32_e32 v42, v13, v80
	v_cmp_gt_f32_e32 vcc, s97, v42
	s_waitcnt lgkmcnt(14)
	v_mul_f32_e32 v34, v34, v94
	v_mul_f32_e32 v35, v35, v93
	v_cndmask_b32_e32 v42, 0, v78, vcc
	v_fmac_f32_e32 v42, v13, v80
	v_exp_f32_e32 v42, v42
	v_cndmask_b32_e32 v43, 1.0, v79, vcc
	v_cndmask_b32_e64 v34, 0, v34, s[36:37]
	v_cndmask_b32_e64 v35, 0, v35, s[38:39]
	v_mul_f32_e32 v42, v42, v43
	v_mul_f32_e32 v43, v13, v81
	v_cmp_gt_f32_e32 vcc, s97, v43
	v_cndmask_b32_e64 v69, 1.0, v42, s[36:37]
	v_mul_f32_e32 v36, v36, v92
	v_cndmask_b32_e32 v43, 0, v78, vcc
	v_fmac_f32_e32 v43, v13, v81
	v_exp_f32_e32 v43, v43
	v_cndmask_b32_e32 v42, 1.0, v79, vcc
	v_cndmask_b32_e64 v36, 0, v36, s[40:41]
	v_mul_f32_e32 v37, v37, v91
	v_mul_f32_e32 v42, v43, v42
	;; [unrolled: 1-line block ×3, first 2 shown]
	v_cmp_gt_f32_e32 vcc, s97, v43
	v_cndmask_b32_e64 v70, 1.0, v42, s[38:39]
	v_cndmask_b32_e64 v37, 0, v37, s[42:43]
	v_cndmask_b32_e32 v43, 0, v78, vcc
	v_fmac_f32_e32 v43, v13, v82
	v_exp_f32_e32 v43, v43
	v_cndmask_b32_e32 v42, 1.0, v79, vcc
	s_waitcnt lgkmcnt(13)
	v_mul_f32_e32 v40, v40, v90
	v_cndmask_b32_e64 v40, 0, v40, s[44:45]
	v_mul_f32_e32 v42, v43, v42
	v_mul_f32_e32 v43, v13, v83
	v_cmp_gt_f32_e32 vcc, s97, v43
	v_cndmask_b32_e64 v71, 1.0, v42, s[40:41]
	v_mul_f32_e32 v41, v41, v89
	v_cndmask_b32_e32 v43, 0, v78, vcc
	v_fmac_f32_e32 v43, v13, v83
	v_exp_f32_e32 v43, v43
	v_cndmask_b32_e32 v42, 1.0, v79, vcc
	v_cndmask_b32_e64 v41, 0, v41, s[46:47]
	s_waitcnt lgkmcnt(12)
	v_mul_f32_e32 v38, v38, v88
	v_mul_f32_e32 v42, v43, v42
	;; [unrolled: 1-line block ×3, first 2 shown]
	v_cmp_gt_f32_e32 vcc, s97, v43
	v_cndmask_b32_e64 v72, 1.0, v42, s[42:43]
	v_cndmask_b32_e64 v38, 0, v38, s[48:49]
	v_cndmask_b32_e32 v43, 0, v78, vcc
	v_fmac_f32_e32 v43, v13, v84
	v_exp_f32_e32 v43, v43
	v_cndmask_b32_e32 v42, 1.0, v79, vcc
	v_mul_f32_e32 v39, v39, v87
	v_cndmask_b32_e64 v39, 0, v39, s[50:51]
	v_mul_f32_e32 v42, v43, v42
	v_mul_f32_e32 v43, v13, v85
	v_cmp_gt_f32_e32 vcc, s97, v43
	v_cndmask_b32_e64 v73, 1.0, v42, s[44:45]
	s_nop 0
	v_cndmask_b32_e32 v43, 0, v78, vcc
	v_fmac_f32_e32 v43, v13, v85
	v_exp_f32_e32 v43, v43
	v_cndmask_b32_e32 v42, 1.0, v79, vcc
	v_mul_f32_e32 v42, v43, v42
	v_mul_f32_e32 v43, v13, v86
	v_cmp_gt_f32_e32 vcc, s97, v43
	v_cndmask_b32_e64 v74, 1.0, v42, s[46:47]
	s_nop 0
	v_cndmask_b32_e32 v43, 0, v78, vcc
	v_fmac_f32_e32 v43, v13, v86
	v_exp_f32_e32 v43, v43
	v_cndmask_b32_e32 v42, 1.0, v79, vcc
	v_mul_f32_e32 v42, v43, v42
	v_mul_f32_e32 v43, v13, v21
	v_cmp_gt_f32_e32 vcc, s97, v43
	v_cndmask_b32_e64 v75, 1.0, v42, s[48:49]
	s_nop 0
	v_cndmask_b32_e32 v43, 0, v78, vcc
	v_fmac_f32_e32 v43, v13, v21
	v_exp_f32_e32 v13, v43
	v_cndmask_b32_e32 v42, 1.0, v79, vcc
	v_fma_f32 v43, v70, v34, v35
	v_fma_f32 v43, v43, v71, v36
	v_mul_f32_e32 v13, v13, v42
	v_mul_f32_e32 v42, v70, v69
	;; [unrolled: 1-line block ×4, first 2 shown]
	v_fma_f32 v43, v43, v72, v37
	v_mul_f32_e32 v42, v42, v73
	v_fma_f32 v43, v43, v73, v40
	v_mul_f32_e32 v42, v42, v74
	v_fma_f32 v43, v43, v74, v41
	v_cndmask_b32_e64 v13, 1.0, v13, s[50:51]
	v_mul_f32_e32 v42, v42, v75
	v_fma_f32 v43, v43, v75, v38
	v_mul_f32_e32 v42, v42, v13
	v_fma_f32 v46, v43, v13, v39
	s_nop 0
	v_mov_b32_dpp v45, v42 row_shr:1 row_mask:0xf bank_mask:0xf
	v_mov_b32_dpp v44, v46 row_shr:1 row_mask:0xf bank_mask:0xf
	s_and_saveexec_b64 s[74:75], s[78:79]
; %bb.101:                              ;   in Loop: Header=BB140_62 Depth=2
	v_mul_f32_e32 v45, v42, v45
	v_fmac_f32_e32 v46, v42, v44
	v_mov_b32_e32 v42, v45
; %bb.102:                              ;   in Loop: Header=BB140_62 Depth=2
	s_or_b64 exec, exec, s[74:75]
	s_nop 0
	v_mov_b32_dpp v44, v42 row_shr:2 row_mask:0xf bank_mask:0xf
	v_mov_b32_dpp v45, v46 row_shr:2 row_mask:0xf bank_mask:0xf
	s_and_saveexec_b64 s[74:75], s[60:61]
; %bb.103:                              ;   in Loop: Header=BB140_62 Depth=2
	v_fmac_f32_e32 v46, v42, v45
	v_mul_f32_e32 v42, v42, v44
; %bb.104:                              ;   in Loop: Header=BB140_62 Depth=2
	s_or_b64 exec, exec, s[74:75]
	s_nop 0
	v_mov_b32_dpp v44, v42 row_shr:4 row_mask:0xf bank_mask:0xf
	v_mov_b32_dpp v45, v46 row_shr:4 row_mask:0xf bank_mask:0xf
	s_and_saveexec_b64 s[74:75], s[54:55]
; %bb.105:                              ;   in Loop: Header=BB140_62 Depth=2
	v_fmac_f32_e32 v46, v42, v45
	v_mul_f32_e32 v42, v42, v44
; %bb.106:                              ;   in Loop: Header=BB140_62 Depth=2
	s_or_b64 exec, exec, s[74:75]
	s_nop 0
	v_mov_b32_dpp v44, v42 row_shr:8 row_mask:0xf bank_mask:0xf
	v_mov_b32_dpp v45, v46 row_shr:8 row_mask:0xf bank_mask:0xf
	s_and_saveexec_b64 s[74:75], s[58:59]
; %bb.107:                              ;   in Loop: Header=BB140_62 Depth=2
	v_fmac_f32_e32 v46, v42, v45
	v_mul_f32_e32 v42, v42, v44
; %bb.108:                              ;   in Loop: Header=BB140_62 Depth=2
	s_or_b64 exec, exec, s[74:75]
	s_nop 0
	v_mov_b32_dpp v44, v42 row_bcast:15 row_mask:0xf bank_mask:0xf
	v_mov_b32_dpp v45, v46 row_bcast:15 row_mask:0xf bank_mask:0xf
	s_and_saveexec_b64 s[74:75], s[8:9]
; %bb.109:                              ;   in Loop: Header=BB140_62 Depth=2
	v_fmac_f32_e32 v46, v42, v45
	v_mul_f32_e32 v42, v42, v44
; %bb.110:                              ;   in Loop: Header=BB140_62 Depth=2
	s_or_b64 exec, exec, s[74:75]
	s_nop 0
	v_mov_b32_dpp v44, v42 row_bcast:31 row_mask:0xf bank_mask:0xf
	v_mov_b32_dpp v45, v46 row_bcast:31 row_mask:0xf bank_mask:0xf
	v_mov_b32_e32 v43, v46
	v_mul_f32_e32 v44, v42, v44
	v_fmac_f32_e32 v43, v42, v45
	v_cndmask_b32_e64 v42, v42, v44, s[10:11]
	v_cndmask_b32_e64 v43, v46, v43, s[10:11]
	s_and_saveexec_b64 s[74:75], s[12:13]
	s_cbranch_execz .LBB140_112
; %bb.111:                              ;   in Loop: Header=BB140_62 Depth=2
	ds_write_b64 v3, v[42:43] offset:4224
.LBB140_112:                            ;   in Loop: Header=BB140_62 Depth=2
	s_or_b64 exec, exec, s[74:75]
	ds_bpermute_b32 v44, v68, v42
	ds_bpermute_b32 v45, v68, v43
	s_waitcnt vmcnt(0) lgkmcnt(2)
	v_mov_b32_e32 v43, v11
	s_waitcnt lgkmcnt(0)
	; wave barrier
	s_waitcnt lgkmcnt(0)
	s_and_saveexec_b64 s[74:75], s[14:15]
	s_cbranch_execz .LBB140_116
; %bb.113:                              ;   in Loop: Header=BB140_62 Depth=2
	ds_read_b64 v[42:43], v3 offset:4224
	s_and_saveexec_b64 s[76:77], s[16:17]
	s_cbranch_execz .LBB140_115
; %bb.114:                              ;   in Loop: Header=BB140_62 Depth=2
	ds_write_b64 v3, v[10:11] offset:4224
.LBB140_115:                            ;   in Loop: Header=BB140_62 Depth=2
	s_or_b64 exec, exec, s[76:77]
	s_waitcnt lgkmcnt(0)
	v_fmac_f32_e32 v43, v11, v42
	v_mul_f32_e32 v10, v10, v42
	v_mov_b32_e32 v11, v43
.LBB140_116:                            ;   in Loop: Header=BB140_62 Depth=2
	s_or_b64 exec, exec, s[74:75]
	s_waitcnt lgkmcnt(0)
	; wave barrier
	ds_read_b32 v42, v3 offset:4228
	s_and_saveexec_b64 s[74:75], s[16:17]
	s_cbranch_execz .LBB140_61
; %bb.117:                              ;   in Loop: Header=BB140_62 Depth=2
	v_mov_b32_e32 v46, s57
	s_andn2_b64 vcc, exec, s[88:89]
	ds_write_b64 v46, v[10:11]
	s_cbranch_vccnz .LBB140_61
; %bb.118:                              ;   in Loop: Header=BB140_62 Depth=2
	s_mov_b32 s95, s81
	s_lshl_b64 s[2:3], s[94:95], 2
	s_add_u32 s2, s33, s2
	s_addc_u32 s3, s99, s3
	global_store_dword v3, v43, s[2:3]
	s_branch .LBB140_61
.LBB140_119:                            ;   in Loop: Header=BB140_13 Depth=1
	v_readlane_b32 s40, v95, 22
	v_readlane_b32 s41, v95, 21
	s_mov_b64 s[42:43], s[86:87]
	s_mov_b64 s[46:47], s[84:85]
.LBB140_120:                            ;   in Loop: Header=BB140_13 Depth=1
	s_waitcnt lgkmcnt(0)
	; wave barrier
	ds_write2_b32 v59, v28, v29 offset1:1
	ds_write2_b32 v59, v26, v27 offset0:2 offset1:3
	ds_write2_b32 v59, v24, v25 offset0:4 offset1:5
	;; [unrolled: 1-line block ×3, first 2 shown]
	; wave barrier
	ds_read_b32 v10, v52 offset:256
	ds_read_b32 v9, v53 offset:512
	;; [unrolled: 1-line block ×7, first 2 shown]
	v_readlane_b32 s0, v95, 23
	v_readlane_b32 s1, v95, 24
	s_mov_b32 s1, s81
	s_mov_b64 s[6:7], s[0:1]
	v_lshl_add_u64 v[0:1], s[0:1], 2, v[14:15]
	s_and_saveexec_b64 s[36:37], s[18:19]
	s_cbranch_execnz .LBB140_148
; %bb.121:                              ;   in Loop: Header=BB140_13 Depth=1
	s_or_b64 exec, exec, s[36:37]
	s_and_saveexec_b64 s[36:37], s[20:21]
	s_cbranch_execnz .LBB140_149
.LBB140_122:                            ;   in Loop: Header=BB140_13 Depth=1
	s_or_b64 exec, exec, s[36:37]
	s_and_saveexec_b64 s[36:37], s[22:23]
	s_cbranch_execnz .LBB140_150
.LBB140_123:                            ;   in Loop: Header=BB140_13 Depth=1
	s_or_b64 exec, exec, s[36:37]
	s_and_saveexec_b64 s[36:37], s[24:25]
	s_cbranch_execnz .LBB140_151
.LBB140_124:                            ;   in Loop: Header=BB140_13 Depth=1
	s_or_b64 exec, exec, s[36:37]
	s_and_saveexec_b64 s[36:37], s[26:27]
	s_cbranch_execnz .LBB140_152
.LBB140_125:                            ;   in Loop: Header=BB140_13 Depth=1
	s_or_b64 exec, exec, s[36:37]
	s_and_saveexec_b64 s[36:37], s[28:29]
	s_cbranch_execnz .LBB140_153
.LBB140_126:                            ;   in Loop: Header=BB140_13 Depth=1
	s_or_b64 exec, exec, s[36:37]
	s_and_saveexec_b64 s[36:37], s[30:31]
	s_cbranch_execnz .LBB140_154
.LBB140_127:                            ;   in Loop: Header=BB140_13 Depth=1
	s_or_b64 exec, exec, s[36:37]
	s_and_saveexec_b64 s[36:37], s[34:35]
	s_cbranch_execz .LBB140_129
.LBB140_128:                            ;   in Loop: Header=BB140_13 Depth=1
	s_waitcnt lgkmcnt(0)
	global_store_dword v[0:1], v4, off offset:1792
.LBB140_129:                            ;   in Loop: Header=BB140_13 Depth=1
	s_or_b64 exec, exec, s[36:37]
	s_mov_b32 s80, s81
	s_mov_b32 s82, s81
	;; [unrolled: 1-line block ×7, first 2 shown]
	s_waitcnt lgkmcnt(0)
	v_mov_b64_e32 v[4:5], s[80:81]
	v_lshl_add_u64 v[0:1], s[6:7], 2, v[16:17]
	v_mov_b64_e32 v[6:7], s[82:83]
	v_mov_b64_e32 v[8:9], s[84:85]
	;; [unrolled: 1-line block ×3, first 2 shown]
	v_mov_b32_e32 v13, 0
	s_waitcnt lgkmcnt(0)
	; wave barrier
	s_and_saveexec_b64 s[36:37], s[18:19]
	s_cbranch_execnz .LBB140_155
; %bb.130:                              ;   in Loop: Header=BB140_13 Depth=1
	s_or_b64 exec, exec, s[36:37]
	s_and_saveexec_b64 s[36:37], s[20:21]
	s_cbranch_execnz .LBB140_156
.LBB140_131:                            ;   in Loop: Header=BB140_13 Depth=1
	s_or_b64 exec, exec, s[36:37]
	s_and_saveexec_b64 s[36:37], s[22:23]
	s_cbranch_execnz .LBB140_157
.LBB140_132:                            ;   in Loop: Header=BB140_13 Depth=1
	s_or_b64 exec, exec, s[36:37]
	s_and_saveexec_b64 s[36:37], s[24:25]
	s_cbranch_execnz .LBB140_158
.LBB140_133:                            ;   in Loop: Header=BB140_13 Depth=1
	s_or_b64 exec, exec, s[36:37]
	s_and_saveexec_b64 s[36:37], s[26:27]
	s_cbranch_execnz .LBB140_159
.LBB140_134:                            ;   in Loop: Header=BB140_13 Depth=1
	s_or_b64 exec, exec, s[36:37]
	s_and_saveexec_b64 s[36:37], s[28:29]
	s_cbranch_execnz .LBB140_160
.LBB140_135:                            ;   in Loop: Header=BB140_13 Depth=1
	s_or_b64 exec, exec, s[36:37]
	s_and_saveexec_b64 s[36:37], s[30:31]
	s_cbranch_execnz .LBB140_161
.LBB140_136:                            ;   in Loop: Header=BB140_13 Depth=1
	s_or_b64 exec, exec, s[36:37]
	s_and_saveexec_b64 s[36:37], s[34:35]
	s_cbranch_execz .LBB140_138
.LBB140_137:                            ;   in Loop: Header=BB140_13 Depth=1
	global_load_dword v11, v[0:1], off offset:1792
.LBB140_138:                            ;   in Loop: Header=BB140_13 Depth=1
	s_or_b64 exec, exec, s[36:37]
	s_waitcnt vmcnt(0)
	ds_write_b32 v51, v13
	ds_write_b32 v52, v5 offset:256
	ds_write_b32 v53, v6 offset:512
	ds_write_b32 v54, v7 offset:768
	ds_write_b32 v55, v8 offset:1024
	ds_write_b32 v56, v9 offset:1280
	ds_write_b32 v57, v10 offset:1536
	ds_write_b32 v58, v11 offset:1792
	; wave barrier
	ds_read2_b32 v[0:1], v59 offset1:1
	ds_read2_b32 v[4:5], v59 offset0:2 offset1:3
	ds_read2_b32 v[6:7], v59 offset0:4 offset1:5
	;; [unrolled: 1-line block ×3, first 2 shown]
	s_mov_b32 s2, 0xbfb8aa3b
	s_waitcnt lgkmcnt(3)
	v_mul_f32_e32 v10, 0xbfb8aa3b, v1
	v_rndne_f32_e32 v11, v10
	v_sub_f32_e32 v13, v10, v11
	v_fma_f32 v10, v1, s2, -v10
	v_fmac_f32_e32 v10, 0xb2a5705f, v1
	v_add_f32_e32 v10, v13, v10
	v_exp_f32_e32 v10, v10
	v_cvt_i32_f32_e32 v11, v11
	s_mov_b32 s3, 0x42ce8ed0
	v_cmp_nlt_f32_e32 vcc, s3, v1
	s_mov_b32 s4, 0xc2b17218
	v_ldexp_f32 v10, v10, v11
	v_mul_f32_e32 v11, 0xbfb8aa3b, v0
	v_rndne_f32_e32 v13, v11
	v_sub_f32_e32 v21, v11, v13
	v_fma_f32 v11, v0, s2, -v11
	v_fmac_f32_e32 v11, 0xb2a5705f, v0
	v_add_f32_e32 v11, v21, v11
	v_exp_f32_e32 v21, v11
	v_cvt_i32_f32_e32 v13, v13
	v_cndmask_b32_e32 v10, 0, v10, vcc
	v_cmp_ngt_f32_e32 vcc, s4, v1
	s_waitcnt lgkmcnt(2)
	v_cmp_nlt_f32_e64 s[36:37], s3, v5
	s_waitcnt lgkmcnt(0)
	v_cndmask_b32_e32 v11, v77, v10, vcc
	v_ldexp_f32 v10, v21, v13
	v_cmp_nlt_f32_e32 vcc, s3, v0
	; wave barrier
	s_nop 1
	v_cndmask_b32_e32 v10, 0, v10, vcc
	v_cmp_ngt_f32_e32 vcc, s4, v0
	s_nop 1
	v_cndmask_b32_e32 v10, v77, v10, vcc
	v_pk_add_f32 v[10:11], v[10:11], 1.0 op_sel_hi:[1,0]
	s_nop 0
	v_div_scale_f32 v13, s[0:1], v11, v11, v1
	v_rcp_f32_e32 v21, v13
	s_nop 0
	v_fma_f32 v30, -v13, v21, 1.0
	v_fmac_f32_e32 v21, v30, v21
	v_div_scale_f32 v30, vcc, v1, v11, v1
	v_mul_f32_e32 v31, v30, v21
	v_fma_f32 v32, -v13, v31, v30
	v_fmac_f32_e32 v31, v32, v21
	v_fma_f32 v13, -v13, v31, v30
	v_div_scale_f32 v30, s[0:1], v10, v10, v0
	v_rcp_f32_e32 v32, v30
	v_div_fmas_f32 v13, v13, v21, v31
	v_mul_f32_e32 v21, 0xbfb8aa3b, v5
	v_rndne_f32_e32 v31, v21
	v_sub_f32_e32 v33, v21, v31
	v_fma_f32 v21, v5, s2, -v21
	v_div_fixup_f32 v1, v13, v11, v1
	v_fma_f32 v11, -v30, v32, 1.0
	v_fmac_f32_e32 v21, 0xb2a5705f, v5
	v_fmac_f32_e32 v32, v11, v32
	v_div_scale_f32 v11, vcc, v0, v10, v0
	v_add_f32_e32 v21, v33, v21
	v_mul_f32_e32 v13, v11, v32
	v_exp_f32_e32 v21, v21
	v_cvt_i32_f32_e32 v31, v31
	v_fma_f32 v33, -v30, v13, v11
	v_fmac_f32_e32 v13, v33, v32
	v_fma_f32 v11, -v30, v13, v11
	v_mul_f32_e32 v30, 0xbfb8aa3b, v4
	v_ldexp_f32 v21, v21, v31
	v_rndne_f32_e32 v31, v30
	v_sub_f32_e32 v33, v30, v31
	v_fma_f32 v30, v4, s2, -v30
	v_fmac_f32_e32 v30, 0xb2a5705f, v4
	v_add_f32_e32 v30, v33, v30
	v_exp_f32_e32 v30, v30
	v_cvt_i32_f32_e32 v33, v31
	v_cndmask_b32_e64 v21, 0, v21, s[36:37]
	v_cmp_ngt_f32_e64 s[36:37], s4, v5
	v_div_fmas_f32 v11, v11, v32, v13
	v_div_fixup_f32 v0, v11, v10, v0
	v_cndmask_b32_e64 v31, v77, v21, s[36:37]
	v_ldexp_f32 v21, v30, v33
	v_cmp_nlt_f32_e64 s[36:37], s3, v4
	v_pk_mul_f32 v[0:1], v[0:1], v[28:29]
	s_nop 0
	v_cndmask_b32_e64 v21, 0, v21, s[36:37]
	v_cmp_ngt_f32_e64 s[36:37], s4, v4
	s_nop 1
	v_cndmask_b32_e64 v30, v77, v21, s[36:37]
	v_pk_add_f32 v[30:31], v[30:31], 1.0 op_sel_hi:[1,0]
	v_cmp_nlt_f32_e64 s[36:37], s3, v7
	v_div_scale_f32 v21, s[0:1], v31, v31, v5
	v_rcp_f32_e32 v33, v21
	s_nop 0
	v_fma_f32 v10, -v21, v33, 1.0
	v_fmac_f32_e32 v33, v10, v33
	v_div_scale_f32 v10, vcc, v5, v31, v5
	v_mul_f32_e32 v11, v10, v33
	v_fma_f32 v13, -v21, v11, v10
	v_fmac_f32_e32 v11, v13, v33
	v_fma_f32 v10, -v21, v11, v10
	v_div_scale_f32 v13, s[0:1], v30, v30, v4
	v_rcp_f32_e32 v21, v13
	v_div_fmas_f32 v10, v10, v33, v11
	v_mul_f32_e32 v11, 0xbfb8aa3b, v7
	v_rndne_f32_e32 v29, v11
	v_div_fixup_f32 v5, v10, v31, v5
	v_sub_f32_e32 v31, v11, v29
	v_fma_f32 v11, v7, s2, -v11
	v_fmac_f32_e32 v11, 0xb2a5705f, v7
	v_fma_f32 v10, -v13, v21, 1.0
	v_add_f32_e32 v11, v31, v11
	v_fmac_f32_e32 v21, v10, v21
	v_div_scale_f32 v10, vcc, v4, v30, v4
	v_exp_f32_e32 v11, v11
	v_cvt_i32_f32_e32 v29, v29
	v_mul_f32_e32 v28, v10, v21
	v_fma_f32 v31, -v13, v28, v10
	v_fmac_f32_e32 v28, v31, v21
	v_fma_f32 v13, -v13, v28, v10
	v_ldexp_f32 v10, v11, v29
	v_mul_f32_e32 v11, 0xbfb8aa3b, v6
	v_rndne_f32_e32 v29, v11
	v_sub_f32_e32 v31, v11, v29
	v_fma_f32 v11, v6, s2, -v11
	v_fmac_f32_e32 v11, 0xb2a5705f, v6
	v_add_f32_e32 v11, v31, v11
	v_exp_f32_e32 v31, v11
	v_cvt_i32_f32_e32 v29, v29
	v_cndmask_b32_e64 v10, 0, v10, s[36:37]
	v_cmp_ngt_f32_e64 s[36:37], s4, v7
	v_div_fmas_f32 v13, v13, v21, v28
	v_div_fixup_f32 v4, v13, v30, v4
	v_cndmask_b32_e64 v11, v77, v10, s[36:37]
	v_ldexp_f32 v10, v31, v29
	v_cmp_nlt_f32_e64 s[36:37], s3, v6
	v_pk_mul_f32 v[4:5], v[4:5], v[26:27]
	s_nop 0
	v_cndmask_b32_e64 v10, 0, v10, s[36:37]
	v_cmp_ngt_f32_e64 s[36:37], s4, v6
	s_nop 1
	v_cndmask_b32_e64 v10, v77, v10, s[36:37]
	v_pk_add_f32 v[10:11], v[10:11], 1.0 op_sel_hi:[1,0]
	v_cmp_nlt_f32_e64 s[36:37], s3, v9
	v_div_scale_f32 v29, s[0:1], v11, v11, v7
	v_rcp_f32_e32 v31, v29
	s_nop 0
	v_fma_f32 v13, -v29, v31, 1.0
	v_fmac_f32_e32 v31, v13, v31
	v_div_scale_f32 v13, vcc, v7, v11, v7
	v_mul_f32_e32 v21, v13, v31
	v_fma_f32 v26, -v29, v21, v13
	v_fmac_f32_e32 v21, v26, v31
	v_div_scale_f32 v26, s[0:1], v10, v10, v6
	v_fma_f32 v13, -v29, v21, v13
	v_rcp_f32_e32 v28, v26
	v_div_fmas_f32 v13, v13, v31, v21
	v_mul_f32_e32 v21, 0xbfb8aa3b, v9
	v_rndne_f32_e32 v27, v21
	v_sub_f32_e32 v29, v21, v27
	v_fma_f32 v21, v9, s2, -v21
	v_div_fixup_f32 v7, v13, v11, v7
	v_fma_f32 v11, -v26, v28, 1.0
	v_fmac_f32_e32 v21, 0xb2a5705f, v9
	v_fmac_f32_e32 v28, v11, v28
	v_div_scale_f32 v11, vcc, v6, v10, v6
	v_add_f32_e32 v21, v29, v21
	v_mul_f32_e32 v13, v11, v28
	v_exp_f32_e32 v21, v21
	v_cvt_i32_f32_e32 v27, v27
	v_fma_f32 v29, -v26, v13, v11
	v_fmac_f32_e32 v13, v29, v28
	v_fma_f32 v11, -v26, v13, v11
	v_mul_f32_e32 v26, 0xbfb8aa3b, v8
	v_ldexp_f32 v21, v21, v27
	v_rndne_f32_e32 v27, v26
	v_sub_f32_e32 v29, v26, v27
	v_fma_f32 v26, v8, s2, -v26
	v_fmac_f32_e32 v26, 0xb2a5705f, v8
	v_add_f32_e32 v26, v29, v26
	v_exp_f32_e32 v26, v26
	v_cvt_i32_f32_e32 v29, v27
	v_cndmask_b32_e64 v21, 0, v21, s[36:37]
	v_cmp_ngt_f32_e64 s[36:37], s4, v9
	v_div_fmas_f32 v11, v11, v28, v13
	v_div_fixup_f32 v6, v11, v10, v6
	v_cndmask_b32_e64 v27, v77, v21, s[36:37]
	v_ldexp_f32 v21, v26, v29
	v_cmp_nlt_f32_e64 s[36:37], s3, v8
	v_pk_mul_f32 v[6:7], v[6:7], v[24:25]
	s_nop 0
	v_cndmask_b32_e64 v21, 0, v21, s[36:37]
	v_cmp_ngt_f32_e64 s[36:37], s4, v8
	s_nop 1
	v_cndmask_b32_e64 v26, v77, v21, s[36:37]
	v_pk_add_f32 v[26:27], v[26:27], 1.0 op_sel_hi:[1,0]
	s_nop 0
	v_div_scale_f32 v21, s[0:1], v27, v27, v9
	v_rcp_f32_e32 v29, v21
	s_nop 0
	v_fma_f32 v10, -v21, v29, 1.0
	v_fmac_f32_e32 v29, v10, v29
	v_div_scale_f32 v10, vcc, v9, v27, v9
	v_mul_f32_e32 v11, v10, v29
	v_fma_f32 v13, -v21, v11, v10
	v_fmac_f32_e32 v11, v13, v29
	v_div_scale_f32 v13, s[0:1], v26, v26, v8
	v_fma_f32 v10, -v21, v11, v10
	v_rcp_f32_e32 v21, v13
	v_div_fmas_f32 v10, v10, v29, v11
	v_div_fixup_f32 v9, v10, v27, v9
	v_fma_f32 v10, -v13, v21, 1.0
	v_fmac_f32_e32 v21, v10, v21
	v_div_scale_f32 v10, vcc, v8, v26, v8
	v_mul_f32_e32 v11, v10, v21
	v_fma_f32 v24, -v13, v11, v10
	v_fmac_f32_e32 v11, v24, v21
	v_fma_f32 v10, -v13, v11, v10
	v_div_fmas_f32 v10, v10, v21, v11
	v_div_fixup_f32 v8, v10, v26, v8
	v_pk_mul_f32 v[8:9], v[8:9], v[22:23]
	ds_write2_b32 v59, v0, v1 offset1:1
	ds_write2_b32 v59, v4, v5 offset0:2 offset1:3
	ds_write2_b32 v59, v6, v7 offset0:4 offset1:5
	ds_write2_b32 v59, v8, v9 offset0:6 offset1:7
	; wave barrier
	ds_read_b32 v10, v52 offset:256
	ds_read_b32 v9, v53 offset:512
	;; [unrolled: 1-line block ×7, first 2 shown]
	v_lshl_add_u64 v[0:1], s[6:7], 2, v[18:19]
	s_and_saveexec_b64 s[36:37], s[18:19]
	s_cbranch_execnz .LBB140_162
; %bb.139:                              ;   in Loop: Header=BB140_13 Depth=1
	s_or_b64 exec, exec, s[36:37]
	s_and_saveexec_b64 s[18:19], s[20:21]
	s_cbranch_execnz .LBB140_163
.LBB140_140:                            ;   in Loop: Header=BB140_13 Depth=1
	s_or_b64 exec, exec, s[18:19]
	s_and_saveexec_b64 s[18:19], s[22:23]
	s_cbranch_execnz .LBB140_164
.LBB140_141:                            ;   in Loop: Header=BB140_13 Depth=1
	s_or_b64 exec, exec, s[18:19]
	s_and_saveexec_b64 s[18:19], s[24:25]
	s_cbranch_execnz .LBB140_165
.LBB140_142:                            ;   in Loop: Header=BB140_13 Depth=1
	s_or_b64 exec, exec, s[18:19]
	s_and_saveexec_b64 s[18:19], s[26:27]
	s_cbranch_execnz .LBB140_166
.LBB140_143:                            ;   in Loop: Header=BB140_13 Depth=1
	s_or_b64 exec, exec, s[18:19]
	s_and_saveexec_b64 s[18:19], s[28:29]
	s_cbranch_execnz .LBB140_167
.LBB140_144:                            ;   in Loop: Header=BB140_13 Depth=1
	s_or_b64 exec, exec, s[18:19]
	s_and_saveexec_b64 s[18:19], s[30:31]
	s_cbranch_execnz .LBB140_168
.LBB140_145:                            ;   in Loop: Header=BB140_13 Depth=1
	s_or_b64 exec, exec, s[18:19]
	s_and_saveexec_b64 s[18:19], s[34:35]
	s_cbranch_execz .LBB140_12
	s_branch .LBB140_169
.LBB140_146:                            ;   in Loop: Header=BB140_13 Depth=1
	global_load_dword v26, v[10:11], off offset:1280
	s_or_b64 exec, exec, s[36:37]
	s_and_saveexec_b64 s[36:37], s[30:31]
	s_cbranch_execz .LBB140_41
.LBB140_147:                            ;   in Loop: Header=BB140_13 Depth=1
	global_load_dword v25, v[10:11], off offset:1536
	s_or_b64 exec, exec, s[36:37]
	v_mov_b32_e32 v27, 0
	s_and_saveexec_b64 s[36:37], s[34:35]
	s_cbranch_execnz .LBB140_42
	s_branch .LBB140_43
.LBB140_148:                            ;   in Loop: Header=BB140_13 Depth=1
	ds_read_b32 v11, v51
	s_waitcnt lgkmcnt(0)
	global_store_dword v[0:1], v11, off
	s_or_b64 exec, exec, s[36:37]
	s_and_saveexec_b64 s[36:37], s[20:21]
	s_cbranch_execz .LBB140_122
.LBB140_149:                            ;   in Loop: Header=BB140_13 Depth=1
	s_waitcnt lgkmcnt(6)
	global_store_dword v[0:1], v10, off offset:256
	s_or_b64 exec, exec, s[36:37]
	s_and_saveexec_b64 s[36:37], s[22:23]
	s_cbranch_execz .LBB140_123
.LBB140_150:                            ;   in Loop: Header=BB140_13 Depth=1
	s_waitcnt lgkmcnt(5)
	global_store_dword v[0:1], v9, off offset:512
	s_or_b64 exec, exec, s[36:37]
	s_and_saveexec_b64 s[36:37], s[24:25]
	s_cbranch_execz .LBB140_124
.LBB140_151:                            ;   in Loop: Header=BB140_13 Depth=1
	s_waitcnt lgkmcnt(4)
	global_store_dword v[0:1], v8, off offset:768
	s_or_b64 exec, exec, s[36:37]
	s_and_saveexec_b64 s[36:37], s[26:27]
	s_cbranch_execz .LBB140_125
.LBB140_152:                            ;   in Loop: Header=BB140_13 Depth=1
	s_waitcnt lgkmcnt(3)
	global_store_dword v[0:1], v7, off offset:1024
	s_or_b64 exec, exec, s[36:37]
	s_and_saveexec_b64 s[36:37], s[28:29]
	s_cbranch_execz .LBB140_126
.LBB140_153:                            ;   in Loop: Header=BB140_13 Depth=1
	s_waitcnt lgkmcnt(2)
	global_store_dword v[0:1], v6, off offset:1280
	s_or_b64 exec, exec, s[36:37]
	s_and_saveexec_b64 s[36:37], s[30:31]
	s_cbranch_execz .LBB140_127
.LBB140_154:                            ;   in Loop: Header=BB140_13 Depth=1
	s_waitcnt lgkmcnt(1)
	global_store_dword v[0:1], v5, off offset:1536
	s_or_b64 exec, exec, s[36:37]
	s_and_saveexec_b64 s[36:37], s[34:35]
	s_cbranch_execnz .LBB140_128
	s_branch .LBB140_129
.LBB140_155:                            ;   in Loop: Header=BB140_13 Depth=1
	global_load_dword v13, v[0:1], off
	v_mov_b32_e32 v4, v3
	v_mov_b32_e32 v5, v3
	;; [unrolled: 1-line block ×6, first 2 shown]
	v_mov_b64_e32 v[10:11], v[8:9]
	v_mov_b64_e32 v[8:9], v[6:7]
	;; [unrolled: 1-line block ×4, first 2 shown]
	s_or_b64 exec, exec, s[36:37]
	s_and_saveexec_b64 s[36:37], s[20:21]
	s_cbranch_execz .LBB140_131
.LBB140_156:                            ;   in Loop: Header=BB140_13 Depth=1
	global_load_dword v5, v[0:1], off offset:256
	s_or_b64 exec, exec, s[36:37]
	s_and_saveexec_b64 s[36:37], s[22:23]
	s_cbranch_execz .LBB140_132
.LBB140_157:                            ;   in Loop: Header=BB140_13 Depth=1
	global_load_dword v6, v[0:1], off offset:512
	s_or_b64 exec, exec, s[36:37]
	s_and_saveexec_b64 s[36:37], s[24:25]
	s_cbranch_execz .LBB140_133
.LBB140_158:                            ;   in Loop: Header=BB140_13 Depth=1
	global_load_dword v7, v[0:1], off offset:768
	s_or_b64 exec, exec, s[36:37]
	s_and_saveexec_b64 s[36:37], s[26:27]
	s_cbranch_execz .LBB140_134
.LBB140_159:                            ;   in Loop: Header=BB140_13 Depth=1
	global_load_dword v8, v[0:1], off offset:1024
	s_or_b64 exec, exec, s[36:37]
	s_and_saveexec_b64 s[36:37], s[28:29]
	s_cbranch_execz .LBB140_135
.LBB140_160:                            ;   in Loop: Header=BB140_13 Depth=1
	global_load_dword v9, v[0:1], off offset:1280
	s_or_b64 exec, exec, s[36:37]
	s_and_saveexec_b64 s[36:37], s[30:31]
	s_cbranch_execz .LBB140_136
.LBB140_161:                            ;   in Loop: Header=BB140_13 Depth=1
	global_load_dword v10, v[0:1], off offset:1536
	s_or_b64 exec, exec, s[36:37]
	s_and_saveexec_b64 s[36:37], s[34:35]
	s_cbranch_execnz .LBB140_137
	s_branch .LBB140_138
.LBB140_162:                            ;   in Loop: Header=BB140_13 Depth=1
	ds_read_b32 v11, v51
	s_waitcnt lgkmcnt(0)
	global_store_dword v[0:1], v11, off
	s_or_b64 exec, exec, s[36:37]
	s_and_saveexec_b64 s[18:19], s[20:21]
	s_cbranch_execz .LBB140_140
.LBB140_163:                            ;   in Loop: Header=BB140_13 Depth=1
	s_waitcnt lgkmcnt(6)
	global_store_dword v[0:1], v10, off offset:256
	s_or_b64 exec, exec, s[18:19]
	s_and_saveexec_b64 s[18:19], s[22:23]
	s_cbranch_execz .LBB140_141
.LBB140_164:                            ;   in Loop: Header=BB140_13 Depth=1
	s_waitcnt lgkmcnt(5)
	global_store_dword v[0:1], v9, off offset:512
	s_or_b64 exec, exec, s[18:19]
	s_and_saveexec_b64 s[18:19], s[24:25]
	s_cbranch_execz .LBB140_142
.LBB140_165:                            ;   in Loop: Header=BB140_13 Depth=1
	s_waitcnt lgkmcnt(4)
	global_store_dword v[0:1], v8, off offset:768
	s_or_b64 exec, exec, s[18:19]
	s_and_saveexec_b64 s[18:19], s[26:27]
	s_cbranch_execz .LBB140_143
.LBB140_166:                            ;   in Loop: Header=BB140_13 Depth=1
	s_waitcnt lgkmcnt(3)
	global_store_dword v[0:1], v7, off offset:1024
	s_or_b64 exec, exec, s[18:19]
	s_and_saveexec_b64 s[18:19], s[28:29]
	s_cbranch_execz .LBB140_144
.LBB140_167:                            ;   in Loop: Header=BB140_13 Depth=1
	s_waitcnt lgkmcnt(2)
	global_store_dword v[0:1], v6, off offset:1280
	s_or_b64 exec, exec, s[18:19]
	s_and_saveexec_b64 s[18:19], s[30:31]
	s_cbranch_execz .LBB140_145
.LBB140_168:                            ;   in Loop: Header=BB140_13 Depth=1
	s_waitcnt lgkmcnt(1)
	global_store_dword v[0:1], v5, off offset:1536
	s_or_b64 exec, exec, s[18:19]
	s_and_saveexec_b64 s[18:19], s[34:35]
	s_cbranch_execz .LBB140_12
.LBB140_169:                            ;   in Loop: Header=BB140_13 Depth=1
	s_waitcnt lgkmcnt(0)
	global_store_dword v[0:1], v4, off offset:1792
	s_branch .LBB140_12
.LBB140_170:
	s_endpgm
	.section	.rodata,"a",@progbits
	.p2align	6, 0x0
	.amdhsa_kernel _Z25selective_scan_fwd_kernelI32Selective_Scan_fwd_kernel_traitsILi64ELi8ELi1ELb0ELb1ELb1ELb1ELb1EfffEEv13SSMParamsBase
		.amdhsa_group_segment_fixed_size 0
		.amdhsa_private_segment_fixed_size 36
		.amdhsa_kernarg_size 248
		.amdhsa_user_sgpr_count 2
		.amdhsa_user_sgpr_dispatch_ptr 0
		.amdhsa_user_sgpr_queue_ptr 0
		.amdhsa_user_sgpr_kernarg_segment_ptr 1
		.amdhsa_user_sgpr_dispatch_id 0
		.amdhsa_user_sgpr_kernarg_preload_length 0
		.amdhsa_user_sgpr_kernarg_preload_offset 0
		.amdhsa_user_sgpr_private_segment_size 0
		.amdhsa_uses_dynamic_stack 0
		.amdhsa_enable_private_segment 1
		.amdhsa_system_sgpr_workgroup_id_x 1
		.amdhsa_system_sgpr_workgroup_id_y 1
		.amdhsa_system_sgpr_workgroup_id_z 0
		.amdhsa_system_sgpr_workgroup_info 0
		.amdhsa_system_vgpr_workitem_id 0
		.amdhsa_next_free_vgpr 96
		.amdhsa_next_free_sgpr 100
		.amdhsa_accum_offset 96
		.amdhsa_reserve_vcc 1
		.amdhsa_float_round_mode_32 0
		.amdhsa_float_round_mode_16_64 0
		.amdhsa_float_denorm_mode_32 3
		.amdhsa_float_denorm_mode_16_64 3
		.amdhsa_dx10_clamp 1
		.amdhsa_ieee_mode 1
		.amdhsa_fp16_overflow 0
		.amdhsa_tg_split 0
		.amdhsa_exception_fp_ieee_invalid_op 0
		.amdhsa_exception_fp_denorm_src 0
		.amdhsa_exception_fp_ieee_div_zero 0
		.amdhsa_exception_fp_ieee_overflow 0
		.amdhsa_exception_fp_ieee_underflow 0
		.amdhsa_exception_fp_ieee_inexact 0
		.amdhsa_exception_int_div_zero 0
	.end_amdhsa_kernel
	.section	.text._Z25selective_scan_fwd_kernelI32Selective_Scan_fwd_kernel_traitsILi64ELi8ELi1ELb0ELb1ELb1ELb1ELb1EfffEEv13SSMParamsBase,"axG",@progbits,_Z25selective_scan_fwd_kernelI32Selective_Scan_fwd_kernel_traitsILi64ELi8ELi1ELb0ELb1ELb1ELb1ELb1EfffEEv13SSMParamsBase,comdat
.Lfunc_end140:
	.size	_Z25selective_scan_fwd_kernelI32Selective_Scan_fwd_kernel_traitsILi64ELi8ELi1ELb0ELb1ELb1ELb1ELb1EfffEEv13SSMParamsBase, .Lfunc_end140-_Z25selective_scan_fwd_kernelI32Selective_Scan_fwd_kernel_traitsILi64ELi8ELi1ELb0ELb1ELb1ELb1ELb1EfffEEv13SSMParamsBase
                                        ; -- End function
	.section	.AMDGPU.csdata,"",@progbits
; Kernel info:
; codeLenInByte = 13620
; NumSgprs: 106
; NumVgprs: 96
; NumAgprs: 0
; TotalNumVgprs: 96
; ScratchSize: 36
; MemoryBound: 0
; FloatMode: 240
; IeeeMode: 1
; LDSByteSize: 0 bytes/workgroup (compile time only)
; SGPRBlocks: 13
; VGPRBlocks: 11
; NumSGPRsForWavesPerEU: 106
; NumVGPRsForWavesPerEU: 96
; AccumOffset: 96
; Occupancy: 5
; WaveLimiterHint : 1
; COMPUTE_PGM_RSRC2:SCRATCH_EN: 1
; COMPUTE_PGM_RSRC2:USER_SGPR: 2
; COMPUTE_PGM_RSRC2:TRAP_HANDLER: 0
; COMPUTE_PGM_RSRC2:TGID_X_EN: 1
; COMPUTE_PGM_RSRC2:TGID_Y_EN: 1
; COMPUTE_PGM_RSRC2:TGID_Z_EN: 0
; COMPUTE_PGM_RSRC2:TIDIG_COMP_CNT: 0
; COMPUTE_PGM_RSRC3_GFX90A:ACCUM_OFFSET: 23
; COMPUTE_PGM_RSRC3_GFX90A:TG_SPLIT: 0
	.section	.text._Z25selective_scan_fwd_kernelI32Selective_Scan_fwd_kernel_traitsILi64ELi8ELi1ELb0ELb1ELb1ELb1ELb0EfffEEv13SSMParamsBase,"axG",@progbits,_Z25selective_scan_fwd_kernelI32Selective_Scan_fwd_kernel_traitsILi64ELi8ELi1ELb0ELb1ELb1ELb1ELb0EfffEEv13SSMParamsBase,comdat
	.protected	_Z25selective_scan_fwd_kernelI32Selective_Scan_fwd_kernel_traitsILi64ELi8ELi1ELb0ELb1ELb1ELb1ELb0EfffEEv13SSMParamsBase ; -- Begin function _Z25selective_scan_fwd_kernelI32Selective_Scan_fwd_kernel_traitsILi64ELi8ELi1ELb0ELb1ELb1ELb1ELb0EfffEEv13SSMParamsBase
	.globl	_Z25selective_scan_fwd_kernelI32Selective_Scan_fwd_kernel_traitsILi64ELi8ELi1ELb0ELb1ELb1ELb1ELb0EfffEEv13SSMParamsBase
	.p2align	8
	.type	_Z25selective_scan_fwd_kernelI32Selective_Scan_fwd_kernel_traitsILi64ELi8ELi1ELb0ELb1ELb1ELb1ELb0EfffEEv13SSMParamsBase,@function
_Z25selective_scan_fwd_kernelI32Selective_Scan_fwd_kernel_traitsILi64ELi8ELi1ELb0ELb1ELb1ELb1ELb0EfffEEv13SSMParamsBase: ; @_Z25selective_scan_fwd_kernelI32Selective_Scan_fwd_kernel_traitsILi64ELi8ELi1ELb0ELb1ELb1ELb1ELb0EfffEEv13SSMParamsBase
; %bb.0:
	s_load_dword s35, s[0:1], 0x18
	s_load_dwordx4 s[4:7], s[0:1], 0xe8
	s_mov_b32 s28, s3
	s_waitcnt lgkmcnt(0)
	s_abs_i32 s34, s35
	v_cvt_f32_u32_e32 v1, s34
	s_cmp_eq_u64 s[6:7], 0
	v_rcp_iflag_f32_e32 v1, v1
	s_nop 0
	v_mul_f32_e32 v1, 0x4f7ffffe, v1
	v_cvt_u32_f32_e32 v1, v1
	s_nop 0
	v_readfirstlane_b32 s24, v1
	s_cbranch_scc1 .LBB141_3
; %bb.1:
	s_ashr_i32 s3, s2, 31
	s_add_u32 s6, s6, s2
	s_addc_u32 s7, s7, s3
	v_mov_b32_e32 v1, 0
	global_load_ubyte v1, v1, s[6:7]
	s_waitcnt vmcnt(0)
	v_and_b32_e32 v1, 1, v1
	v_cmp_eq_u32_e64 s[90:91], 1, v1
	s_load_dwordx2 s[6:7], s[0:1], 0x20
	s_cmp_eq_u64 s[4:5], 0
	s_cbranch_scc1 .LBB141_4
.LBB141_2:
	s_ashr_i32 s3, s2, 31
	s_lshl_b64 s[8:9], s[2:3], 2
	s_add_u32 s4, s4, s8
	s_addc_u32 s5, s5, s9
	s_load_dword s30, s[4:5], 0x0
	s_waitcnt lgkmcnt(0)
	s_ashr_i32 s31, s30, 31
	s_cmp_eq_u64 s[6:7], s[30:31]
	s_cbranch_scc0 .LBB141_5
	s_branch .LBB141_169
.LBB141_3:
	s_mov_b64 s[90:91], 0
	s_load_dwordx2 s[6:7], s[0:1], 0x20
	s_cmp_eq_u64 s[4:5], 0
	s_cbranch_scc0 .LBB141_2
.LBB141_4:
	s_mov_b32 s30, s2
	s_ashr_i32 s31, s30, 31
	s_waitcnt lgkmcnt(0)
	s_cmp_eq_u64 s[6:7], s[30:31]
	s_cbranch_scc1 .LBB141_169
.LBB141_5:
	s_load_dwordx16 s[4:19], s[0:1], 0x88
	s_load_dwordx2 s[38:39], s[0:1], 0x8
	s_mov_b32 s40, 0
	s_mov_b32 s33, 0
	s_waitcnt lgkmcnt(0)
	s_cmp_eq_u64 s[10:11], 0
	s_cbranch_scc1 .LBB141_7
; %bb.6:
	s_ashr_i32 s29, s28, 31
	s_lshl_b64 s[20:21], s[28:29], 2
	s_add_u32 s10, s10, s20
	s_addc_u32 s11, s11, s21
	s_load_dword s33, s[10:11], 0x0
.LBB141_7:
	s_cmp_eq_u64 s[16:17], 0
	s_cbranch_scc1 .LBB141_9
; %bb.8:
	s_ashr_i32 s29, s28, 31
	s_lshl_b64 s[10:11], s[28:29], 2
	s_add_u32 s10, s16, s10
	s_addc_u32 s11, s17, s11
	s_load_dword s40, s[10:11], 0x0
.LBB141_9:
	s_cmp_lt_i32 s38, 1
	s_cbranch_scc1 .LBB141_169
; %bb.10:
	s_sub_i32 s3, 0, s34
	s_mul_i32 s3, s3, s24
	s_mul_hi_u32 s3, s24, s3
	s_abs_i32 s16, s28
	s_add_i32 s3, s24, s3
	s_mul_hi_u32 s3, s16, s3
	s_ashr_i32 s17, s28, 31
	s_ashr_i32 s31, s35, 31
	s_xor_b32 s17, s17, s31
	s_mul_i32 s31, s3, s34
	s_sub_i32 s16, s16, s31
	s_add_i32 s31, s3, 1
	s_sub_i32 s35, s16, s34
	s_load_dwordx8 s[44:51], s[0:1], 0x2c
	s_load_dwordx2 s[10:11], s[0:1], 0x7c
	s_load_dwordx4 s[20:23], s[0:1], 0x6c
	s_load_dwordx8 s[52:59], s[0:1], 0x4c
	s_cmp_ge_u32 s16, s34
	s_cselect_b32 s3, s31, s3
	s_cselect_b32 s16, s35, s16
	s_add_i32 s31, s3, 1
	s_cmp_ge_u32 s16, s34
	s_cselect_b32 s3, s31, s3
	s_xor_b32 s3, s3, s17
	s_waitcnt lgkmcnt(0)
	s_mul_i32 s60, s54, s2
	s_mov_b32 s61, 0
	s_sub_i32 s3, s3, s17
	s_lshl_b64 s[16:17], s[60:61], 2
	s_add_u32 s16, s12, s16
	s_mul_i32 s60, s55, s28
	s_addc_u32 s17, s13, s17
	s_lshl_b64 s[12:13], s[60:61], 2
	s_add_u32 s86, s16, s12
	s_mul_i32 s60, s56, s2
	s_addc_u32 s87, s17, s13
	;; [unrolled: 4-line block ×6, first 2 shown]
	s_lshl_b64 s[4:5], s[60:61], 2
                                        ; implicit-def: $vgpr95 : SGPR spill to VGPR lane
	s_add_u32 s98, s6, s4
	v_writelane_b32 v95, s44, 0
	s_mul_i32 s60, s50, s2
	s_addc_u32 s99, s7, s5
	s_lshl_b64 s[4:5], s[60:61], 2
	s_load_dwordx4 s[24:27], s[0:1], 0xc8
	s_load_dword s70, s[0:1], 0x84
	v_writelane_b32 v95, s45, 1
	s_add_u32 s6, s8, s4
	s_mul_i32 s60, s3, s53
	v_writelane_b32 v95, s46, 2
	s_addc_u32 s7, s9, s5
	s_lshl_b64 s[4:5], s[60:61], 2
	v_writelane_b32 v95, s47, 3
	s_add_u32 s42, s6, s4
	s_mul_i32 s60, s30, s10
	v_writelane_b32 v95, s48, 4
	s_addc_u32 s43, s7, s5
	s_lshl_b64 s[4:5], s[60:61], 2
	v_writelane_b32 v95, s49, 5
	s_waitcnt lgkmcnt(0)
	s_add_u32 s3, s24, s4
	s_mul_i32 s60, s11, s28
	s_load_dword s29, s[0:1], 0x28
	s_load_dwordx2 s[16:17], s[0:1], 0xd8
	v_writelane_b32 v95, s50, 6
	s_addc_u32 s6, s25, s5
	s_lshl_b64 s[4:5], s[60:61], 2
	v_writelane_b32 v95, s51, 7
	s_add_u32 s3, s3, s4
	v_writelane_b32 v95, s3, 8
	s_addc_u32 s3, s6, s5
	v_writelane_b32 v95, s3, 9
	s_add_i32 s3, s38, 0x7ff
	s_lshr_b32 s5, s3, 11
	s_waitcnt lgkmcnt(0)
	s_bitcmp1_b32 s29, 0
	s_cselect_b64 s[6:7], -1, 0
	v_writelane_b32 v95, s6, 10
	s_cmp_gt_i32 s39, 0
	v_mbcnt_lo_u32_b32 v1, -1, 0
	v_writelane_b32 v95, s7, 11
	s_cselect_b64 s[6:7], -1, 0
	s_add_i32 s3, 0, 0x840
	s_and_b32 s4, s38, 0x1ff
	v_writelane_b32 v95, s6, 12
	s_cmp_eq_u32 s4, 0
	v_mbcnt_hi_u32_b32 v12, -1, v1
	v_writelane_b32 v95, s7, 13
	s_cselect_b64 s[6:7], -1, 0
	v_writelane_b32 v95, s6, 14
	v_lshrrev_b32_e32 v1, 5, v12
	s_mul_i32 s60, s20, s2
	v_writelane_b32 v95, s7, 15
	v_writelane_b32 v95, s5, 16
	s_add_i32 s4, s5, -1
	v_add_u32_e32 v2, 64, v12
	v_add_u32_e32 v1, v1, v12
	v_writelane_b32 v95, s4, 17
	s_lshl_b64 s[4:5], s[60:61], 2
	v_lshl_add_u32 v51, v1, 2, 0
	v_lshrrev_b32_e32 v1, 5, v2
	s_add_u32 s12, s18, s4
	v_or_b32_e32 v4, 0x80, v12
	v_add_lshl_u32 v1, v1, v12, 2
	s_mul_i32 s60, s21, s28
	s_addc_u32 s13, s19, s5
	v_add_u32_e32 v5, 0xc0, v12
	v_or_b32_e32 v47, 0x100, v12
	v_add_u32_e32 v48, 0x140, v12
	v_or_b32_e32 v49, 0x180, v12
	v_add_u32_e32 v50, 0x1c0, v12
	v_add_u32_e32 v52, 0, v1
	v_lshrrev_b32_e32 v2, 5, v4
	v_add_u32_e32 v60, s3, v1
	v_and_b32_e32 v1, 15, v12
	s_lshl_b64 s[10:11], s[60:61], 2
	v_add_lshl_u32 v2, v2, v12, 2
	v_lshrrev_b32_e32 v4, 5, v5
	v_lshrrev_b32_e32 v5, 5, v47
	;; [unrolled: 1-line block ×5, first 2 shown]
	v_lshlrev_b32_e32 v9, 3, v12
	v_bfe_u32 v10, v12, 2, 27
	v_cmp_ne_u32_e64 s[0:1], 0, v1
	v_cmp_lt_u32_e64 s[82:83], 1, v1
	v_cmp_lt_u32_e64 s[4:5], 3, v1
	;; [unrolled: 1-line block ×3, first 2 shown]
	v_and_b32_e32 v1, 16, v12
	s_add_u32 s14, s12, s10
	s_mul_i32 s60, s58, s2
	v_add_u32_e32 v53, 0, v2
	v_add_lshl_u32 v4, v4, v12, 2
	v_add_lshl_u32 v5, v5, v12, 2
	;; [unrolled: 1-line block ×6, first 2 shown]
	v_add_u32_e32 v61, s3, v2
	v_cmp_ne_u32_e64 s[8:9], 0, v1
	s_addc_u32 s15, s13, s11
	s_lshl_b64 s[10:11], s[60:61], 2
	v_add_u32_e32 v1, -1, v12
	v_and_b32_e32 v2, 64, v12
	v_mov_b32_e32 v3, 0
	v_add_u32_e32 v62, s3, v4
	v_add_u32_e32 v63, s3, v5
	;; [unrolled: 1-line block ×6, first 2 shown]
	s_add_u32 s3, s26, s10
	v_cmp_lt_i32_e32 vcc, v1, v2
	v_lshlrev_b32_e32 v2, 2, v12
	v_writelane_b32 v95, s52, 18
	s_mul_i32 s60, s59, s28
	s_addc_u32 s19, s27, s11
	v_lshl_add_u64 v[14:15], s[14:15], 0, v[2:3]
	s_lshl_b64 s[14:15], s[60:61], 2
	v_writelane_b32 v95, s53, 19
	s_add_u32 s18, s3, s14
	s_mul_i32 s60, s22, s2
	v_lshlrev_b32_e32 v11, 3, v0
	v_cndmask_b32_e32 v1, v1, v12, vcc
	v_writelane_b32 v95, s54, 20
	s_addc_u32 s19, s19, s15
	s_lshl_b64 s[2:3], s[60:61], 2
	v_lshlrev_b32_e32 v68, 2, v1
	v_writelane_b32 v95, s55, 21
	s_add_u32 s16, s16, s2
	s_mul_i32 s60, s23, s28
	v_or_b32_e32 v1, 1, v11
	v_writelane_b32 v95, s56, 22
	s_addc_u32 s17, s17, s3
	s_lshl_b64 s[2:3], s[60:61], 2
	scratch_store_dword off, v1, off offset:4 ; 4-byte Folded Spill
	v_or_b32_e32 v1, 2, v11
	v_writelane_b32 v95, s57, 23
	s_add_u32 s2, s16, s2
	scratch_store_dword off, v1, off offset:8 ; 4-byte Folded Spill
	v_or_b32_e32 v1, 3, v11
	v_writelane_b32 v95, s58, 24
	s_addc_u32 s3, s17, s3
	scratch_store_dword off, v1, off offset:12 ; 4-byte Folded Spill
	v_or_b32_e32 v1, 4, v11
	v_writelane_b32 v95, s59, 25
	v_lshl_add_u64 v[18:19], s[2:3], 0, v[2:3]
	scratch_store_dword off, v1, off offset:16 ; 4-byte Folded Spill
	v_or_b32_e32 v1, 5, v11
	s_add_i32 s2, 0, 0x1088
	scratch_store_dword off, v1, off offset:20 ; 4-byte Folded Spill
	v_or_b32_e32 v1, 6, v11
	v_writelane_b32 v95, s2, 26
	v_add_u32_e32 v54, 0, v4
	v_add_u32_e32 v55, 0, v5
	;; [unrolled: 1-line block ×6, first 2 shown]
	v_cmp_lt_u32_e64 s[10:11], 31, v12
	v_cmp_eq_u32_e64 s[12:13], 63, v0
	v_cmp_gt_u32_e64 s[14:15], 64, v0
	v_lshl_add_u64 v[16:17], s[18:19], 0, v[2:3]
	scratch_store_dword off, v1, off offset:24 ; 4-byte Folded Spill
	scratch_store_dword off, v11, off       ; 4-byte Folded Spill
	v_or_b32_e32 v1, 7, v11
	v_lshlrev_b32_e32 v2, 2, v12
	v_mov_b32_e32 v76, 0x3ecc95a3
	s_mov_b32 s85, 0xc2fc0000
	v_mov_b32_e32 v77, 0x7f800000
	v_mov_b32_e32 v20, 0x3f317218
	;; [unrolled: 1-line block ×4, first 2 shown]
	s_mov_b32 s44, 0
	v_cmp_eq_u32_e64 s[16:17], 0, v0
	v_writelane_b32 v95, s40, 27
	s_mov_b32 s52, 0
	scratch_store_dword off, v1, off offset:28 ; 4-byte Folded Spill
                                        ; implicit-def: $vgpr1
	s_branch .LBB141_12
.LBB141_11:                             ;   in Loop: Header=BB141_12 Depth=1
	s_or_b64 exec, exec, s[2:3]
	s_add_u32 s68, s68, 0x800
	s_addc_u32 s69, s69, 0
	s_add_u32 s86, s86, 0x800
	s_addc_u32 s87, s87, 0
	;; [unrolled: 2-line block ×4, first 2 shown]
	s_add_i32 s44, s44, 1
	v_readlane_b32 s2, v95, 16
	s_cmp_lg_u32 s44, s2
	s_cbranch_scc0 .LBB141_169
.LBB141_12:                             ; =>This Loop Header: Depth=1
                                        ;     Child Loop BB141_61 Depth 2
	s_lshl_b32 s18, s44, 9
	s_mov_b32 s2, s18
	v_writelane_b32 v95, s2, 28
	s_sub_i32 s50, s38, s18
	v_lshl_add_u64 v[0:1], s[86:87], 0, v[2:3]
	v_writelane_b32 v95, s3, 29
	v_cmp_gt_u32_e64 s[18:19], s50, v12
	s_waitcnt lgkmcnt(0)
	v_mov_b32_e32 v4, v3
	s_waitcnt lgkmcnt(0)
	; wave barrier
	s_and_saveexec_b64 s[2:3], s[18:19]
	s_cbranch_execz .LBB141_14
; %bb.13:                               ;   in Loop: Header=BB141_12 Depth=1
	global_load_dword v4, v[0:1], off
.LBB141_14:                             ;   in Loop: Header=BB141_12 Depth=1
	s_or_b64 exec, exec, s[2:3]
	v_add_u32_e32 v5, 64, v12
	v_cmp_gt_u32_e64 s[20:21], s50, v5
	v_mov_b32_e32 v5, 0
	v_mov_b32_e32 v6, 0
	s_and_saveexec_b64 s[2:3], s[20:21]
	s_cbranch_execz .LBB141_16
; %bb.15:                               ;   in Loop: Header=BB141_12 Depth=1
	global_load_dword v6, v[0:1], off offset:256
.LBB141_16:                             ;   in Loop: Header=BB141_12 Depth=1
	s_or_b64 exec, exec, s[2:3]
	v_or_b32_e32 v7, 0x80, v12
	v_cmp_gt_u32_e64 s[22:23], s50, v7
	s_and_saveexec_b64 s[2:3], s[22:23]
	s_cbranch_execz .LBB141_18
; %bb.17:                               ;   in Loop: Header=BB141_12 Depth=1
	global_load_dword v5, v[0:1], off offset:512
.LBB141_18:                             ;   in Loop: Header=BB141_12 Depth=1
	s_or_b64 exec, exec, s[2:3]
	v_add_u32_e32 v7, 0xc0, v12
	v_cmp_gt_u32_e64 s[24:25], s50, v7
	v_mov_b32_e32 v7, 0
	v_mov_b32_e32 v8, 0
	s_and_saveexec_b64 s[2:3], s[24:25]
	s_cbranch_execz .LBB141_20
; %bb.19:                               ;   in Loop: Header=BB141_12 Depth=1
	global_load_dword v8, v[0:1], off offset:768
.LBB141_20:                             ;   in Loop: Header=BB141_12 Depth=1
	s_or_b64 exec, exec, s[2:3]
	v_cmp_gt_u32_e64 s[26:27], s50, v47
	s_and_saveexec_b64 s[2:3], s[26:27]
	s_cbranch_execz .LBB141_22
; %bb.21:                               ;   in Loop: Header=BB141_12 Depth=1
	global_load_dword v7, v[0:1], off offset:1024
.LBB141_22:                             ;   in Loop: Header=BB141_12 Depth=1
	s_or_b64 exec, exec, s[2:3]
	v_cmp_gt_u32_e64 s[28:29], s50, v48
	v_mov_b32_e32 v9, 0
	v_mov_b32_e32 v10, 0
	s_and_saveexec_b64 s[2:3], s[28:29]
	s_cbranch_execz .LBB141_24
; %bb.23:                               ;   in Loop: Header=BB141_12 Depth=1
	global_load_dword v10, v[0:1], off offset:1280
.LBB141_24:                             ;   in Loop: Header=BB141_12 Depth=1
	s_or_b64 exec, exec, s[2:3]
	v_cmp_gt_u32_e64 s[30:31], s50, v49
	s_and_saveexec_b64 s[2:3], s[30:31]
	s_cbranch_execz .LBB141_26
; %bb.25:                               ;   in Loop: Header=BB141_12 Depth=1
	global_load_dword v9, v[0:1], off offset:1536
.LBB141_26:                             ;   in Loop: Header=BB141_12 Depth=1
	s_or_b64 exec, exec, s[2:3]
	v_cmp_gt_u32_e64 s[34:35], s50, v50
	v_mov_b32_e32 v13, 0
	v_mov_b32_e32 v11, 0
	s_and_saveexec_b64 s[2:3], s[34:35]
	s_cbranch_execz .LBB141_28
; %bb.27:                               ;   in Loop: Header=BB141_12 Depth=1
	global_load_dword v11, v[0:1], off offset:1792
.LBB141_28:                             ;   in Loop: Header=BB141_12 Depth=1
	s_or_b64 exec, exec, s[2:3]
	s_waitcnt vmcnt(0)
	ds_write_b32 v51, v4
	ds_write_b32 v52, v6 offset:256
	ds_write_b32 v53, v5 offset:512
	;; [unrolled: 1-line block ×7, first 2 shown]
	; wave barrier
	ds_read2_b32 v[0:1], v59 offset1:1
	ds_read2_b32 v[4:5], v59 offset0:2 offset1:3
	ds_read2_b32 v[6:7], v59 offset0:4 offset1:5
	ds_read2_b32 v[8:9], v59 offset0:6 offset1:7
	v_lshl_add_u64 v[10:11], s[68:69], 0, v[2:3]
	s_waitcnt lgkmcnt(0)
	; wave barrier
	s_waitcnt lgkmcnt(0)
	s_and_saveexec_b64 s[2:3], s[18:19]
	s_cbranch_execz .LBB141_30
; %bb.29:                               ;   in Loop: Header=BB141_12 Depth=1
	global_load_dword v13, v[10:11], off
.LBB141_30:                             ;   in Loop: Header=BB141_12 Depth=1
	s_or_b64 exec, exec, s[2:3]
	v_mov_b32_e32 v21, 0
	v_mov_b32_e32 v22, 0
	s_and_saveexec_b64 s[2:3], s[20:21]
	s_cbranch_execz .LBB141_32
; %bb.31:                               ;   in Loop: Header=BB141_12 Depth=1
	global_load_dword v22, v[10:11], off offset:256
.LBB141_32:                             ;   in Loop: Header=BB141_12 Depth=1
	s_or_b64 exec, exec, s[2:3]
	s_and_saveexec_b64 s[2:3], s[22:23]
	s_cbranch_execz .LBB141_34
; %bb.33:                               ;   in Loop: Header=BB141_12 Depth=1
	global_load_dword v21, v[10:11], off offset:512
.LBB141_34:                             ;   in Loop: Header=BB141_12 Depth=1
	s_or_b64 exec, exec, s[2:3]
	v_mov_b32_e32 v23, 0
	v_mov_b32_e32 v24, 0
	s_and_saveexec_b64 s[2:3], s[24:25]
	s_cbranch_execz .LBB141_36
; %bb.35:                               ;   in Loop: Header=BB141_12 Depth=1
	global_load_dword v24, v[10:11], off offset:768
.LBB141_36:                             ;   in Loop: Header=BB141_12 Depth=1
	s_or_b64 exec, exec, s[2:3]
	s_and_saveexec_b64 s[2:3], s[26:27]
	s_cbranch_execz .LBB141_38
; %bb.37:                               ;   in Loop: Header=BB141_12 Depth=1
	global_load_dword v23, v[10:11], off offset:1024
.LBB141_38:                             ;   in Loop: Header=BB141_12 Depth=1
	s_or_b64 exec, exec, s[2:3]
	v_mov_b32_e32 v25, 0
	v_mov_b32_e32 v26, 0
	s_and_saveexec_b64 s[2:3], s[28:29]
	s_cbranch_execnz .LBB141_145
; %bb.39:                               ;   in Loop: Header=BB141_12 Depth=1
	s_or_b64 exec, exec, s[2:3]
	s_and_saveexec_b64 s[2:3], s[30:31]
	s_cbranch_execnz .LBB141_146
.LBB141_40:                             ;   in Loop: Header=BB141_12 Depth=1
	s_or_b64 exec, exec, s[2:3]
	v_mov_b32_e32 v27, 0
	s_and_saveexec_b64 s[2:3], s[34:35]
	s_cbranch_execz .LBB141_42
.LBB141_41:                             ;   in Loop: Header=BB141_12 Depth=1
	global_load_dword v27, v[10:11], off offset:1792
.LBB141_42:                             ;   in Loop: Header=BB141_12 Depth=1
	s_or_b64 exec, exec, s[2:3]
	s_waitcnt vmcnt(0)
	ds_write_b32 v51, v13
	ds_write_b32 v52, v22 offset:256
	ds_write_b32 v53, v21 offset:512
	;; [unrolled: 1-line block ×7, first 2 shown]
	; wave barrier
	ds_read2_b32 v[26:27], v59 offset1:1
	ds_read2_b32 v[24:25], v59 offset0:2 offset1:3
	ds_read2_b32 v[22:23], v59 offset0:4 offset1:5
	;; [unrolled: 1-line block ×3, first 2 shown]
	s_mov_b32 s2, 0x41a00000
	s_waitcnt lgkmcnt(3)
	v_add_f32_e32 v80, s40, v26
	v_cmp_ge_f32_e32 vcc, s2, v80
	v_readlane_b32 s2, v95, 10
	v_readlane_b32 s3, v95, 11
	s_and_b64 s[2:3], s[2:3], vcc
	s_and_saveexec_b64 s[36:37], s[2:3]
	s_cbranch_execz .LBB141_44
; %bb.43:                               ;   in Loop: Header=BB141_12 Depth=1
	v_mul_f32_e32 v13, 0x3fb8aa3b, v80
	v_rndne_f32_e32 v21, v13
	s_mov_b32 s2, 0x3fb8aa3b
	v_sub_f32_e32 v26, v13, v21
	v_fma_f32 v13, v80, s2, -v13
	v_fmac_f32_e32 v13, 0x32a5705f, v80
	v_add_f32_e32 v13, v26, v13
	v_cvt_i32_f32_e32 v21, v21
	v_exp_f32_e32 v13, v13
	s_mov_b32 s2, 0xc2ce8ed0
	v_cmp_ngt_f32_e32 vcc, s2, v80
	s_mov_b32 s2, 0x42b17218
	v_ldexp_f32 v13, v13, v21
	v_cndmask_b32_e32 v13, 0, v13, vcc
	v_cmp_nlt_f32_e32 vcc, s2, v80
	s_mov_b32 s2, 0x3f2aaaab
	s_nop 0
	v_cndmask_b32_e32 v42, v77, v13, vcc
	v_add_f32_e32 v13, 1.0, v42
	v_add_f32_e32 v21, -1.0, v13
	v_sub_f32_e32 v26, v21, v13
	v_add_f32_e32 v26, 1.0, v26
	v_sub_f32_e32 v21, v42, v21
	v_add_f32_e32 v21, v21, v26
	v_frexp_mant_f32_e32 v26, v13
	v_cvt_f64_f32_e32 v[28:29], v13
	v_frexp_exp_i32_f64_e32 v28, v[28:29]
	v_cmp_gt_f32_e32 vcc, s2, v26
	s_mov_b32 s2, 0x3f317218
	s_nop 0
	v_subbrev_co_u32_e32 v26, vcc, 0, v28, vcc
	v_sub_u32_e32 v28, 0, v26
	v_ldexp_f32 v13, v13, v28
	v_ldexp_f32 v21, v21, v28
	v_add_f32_e32 v28, -1.0, v13
	v_add_f32_e32 v29, 1.0, v28
	v_sub_f32_e32 v29, v13, v29
	v_add_f32_e32 v30, v21, v29
	v_add_f32_e32 v29, 1.0, v13
	v_add_f32_e32 v31, -1.0, v29
	v_sub_f32_e32 v13, v13, v31
	v_add_f32_e32 v13, v21, v13
	v_add_f32_e32 v21, v29, v13
	v_rcp_f32_e32 v36, v21
	v_sub_f32_e32 v29, v29, v21
	v_add_f32_e32 v13, v13, v29
	v_add_f32_e32 v29, v28, v30
	v_sub_f32_e32 v28, v28, v29
	v_mul_f32_e32 v38, v29, v36
	v_add_f32_e32 v37, v30, v28
	v_mul_f32_e32 v30, v21, v38
	v_fma_f32 v32, v38, v21, -v30
	v_fmac_f32_e32 v32, v38, v13
	v_add_f32_e32 v28, v30, v32
	v_sub_f32_e32 v31, v29, v28
	v_pk_add_f32 v[34:35], v[28:29], v[30:31] neg_lo:[0,1] neg_hi:[0,1]
	v_mov_b32_e32 v33, v28
	v_pk_add_f32 v[28:29], v[34:35], v[32:33] neg_lo:[0,1] neg_hi:[0,1]
	s_nop 0
	v_add_f32_e32 v29, v37, v29
	v_add_f32_e32 v28, v28, v29
	;; [unrolled: 1-line block ×3, first 2 shown]
	v_mul_f32_e32 v37, v36, v29
	v_mul_f32_e32 v30, v21, v37
	v_fma_f32 v32, v37, v21, -v30
	v_fmac_f32_e32 v32, v37, v13
	v_sub_f32_e32 v13, v31, v29
	v_add_f32_e32 v13, v28, v13
	v_add_f32_e32 v28, v30, v32
	v_sub_f32_e32 v31, v29, v28
	v_pk_add_f32 v[34:35], v[28:29], v[30:31] neg_lo:[0,1] neg_hi:[0,1]
	v_mov_b32_e32 v33, v28
	v_pk_add_f32 v[28:29], v[34:35], v[32:33] neg_lo:[0,1] neg_hi:[0,1]
	s_nop 0
	v_add_f32_e32 v13, v13, v29
	v_add_f32_e32 v13, v28, v13
	;; [unrolled: 1-line block ×4, first 2 shown]
	v_sub_f32_e32 v21, v29, v38
	v_mul_f32_e32 v13, v36, v13
	v_sub_f32_e32 v21, v37, v21
	v_add_f32_e32 v13, v21, v13
	v_add_f32_e32 v30, v29, v13
	v_cvt_f32_i32_e32 v28, v26
	v_mul_f32_e32 v32, v30, v30
	v_fmamk_f32 v21, v32, 0x3e9b6dac, v76
	v_fmaak_f32 v21, v32, v21, 0x3f2aaada
	v_sub_f32_e32 v26, v30, v29
	v_mul_f32_e32 v29, v30, v32
	v_pk_mul_f32 v[32:33], v[28:29], v[20:21]
	v_ldexp_f32 v31, v30, 1
	v_fma_f32 v30, v28, s2, -v32
	v_fmac_f32_e32 v30, 0xb102e308, v28
	v_pk_add_f32 v[28:29], v[32:33], v[30:31]
	v_sub_f32_e32 v13, v13, v26
	v_sub_f32_e32 v21, v29, v31
	v_ldexp_f32 v13, v13, 1
	v_sub_f32_e32 v21, v33, v21
	v_add_f32_e32 v35, v13, v21
	v_mov_b32_e32 v34, v32
	v_pk_add_f32 v[32:33], v[28:29], v[32:33] neg_lo:[0,1] neg_hi:[0,1]
	v_pk_add_f32 v[36:37], v[28:29], v[34:35]
	v_mov_b32_e32 v31, v28
	v_mov_b32_e32 v33, v37
	v_pk_add_f32 v[38:39], v[30:31], v[32:33] neg_lo:[0,1] neg_hi:[0,1]
	v_pk_add_f32 v[30:31], v[30:31], v[32:33]
	s_mov_b32 s2, 0x7f800000
	v_mov_b32_e32 v26, v31
	v_pk_add_f32 v[32:33], v[26:27], v[28:29] neg_lo:[0,1] neg_hi:[0,1]
	v_mov_b32_e32 v30, v37
	v_mov_b32_e32 v13, v32
	v_pk_add_f32 v[40:41], v[36:37], v[12:13] neg_lo:[0,1] neg_hi:[0,1]
	v_mov_b32_e32 v36, v29
	v_mov_b32_e32 v37, v32
	;; [unrolled: 1-line block ×3, first 2 shown]
	v_pk_add_f32 v[30:31], v[30:31], v[36:37] neg_lo:[0,1] neg_hi:[0,1]
	v_mov_b32_e32 v32, v35
	v_mov_b32_e32 v33, v28
	v_pk_add_f32 v[28:29], v[32:33], v[30:31] neg_lo:[0,1] neg_hi:[0,1]
	v_mov_b32_e32 v40, v38
	v_pk_add_f32 v[30:31], v[40:41], v[28:29]
	v_cmp_eq_f32_e32 vcc, s2, v42
	v_mov_b32_e32 v32, v31
	v_pk_add_f32 v[32:33], v[30:31], v[32:33]
	s_mov_b32 s2, 0x33800000
	v_pk_add_f32 v[34:35], v[26:27], v[32:33]
	v_mov_b32_e32 v29, v32
	v_mov_b32_e32 v31, v34
	v_pk_add_f32 v[36:37], v[30:31], v[38:39] neg_lo:[0,1] neg_hi:[0,1]
	v_cmp_gt_f32_e64 s[2:3], s2, v42
	v_sub_f32_e32 v13, v30, v36
	v_pk_add_f32 v[28:29], v[28:29], v[36:37] neg_lo:[0,1] neg_hi:[0,1]
	v_sub_f32_e32 v13, v38, v13
	v_add_f32_e32 v13, v28, v13
	v_add_f32_e32 v13, v13, v29
	v_add_f32_e32 v13, v34, v13
	s_or_b64 vcc, s[2:3], vcc
	v_cndmask_b32_e32 v80, v13, v42, vcc
.LBB141_44:                             ;   in Loop: Header=BB141_12 Depth=1
	s_or_b64 exec, exec, s[36:37]
	v_add_f32_e32 v81, s40, v27
	s_mov_b32 s2, 0x41a00000
	v_cmp_ge_f32_e32 vcc, s2, v81
	v_readlane_b32 s2, v95, 10
	v_readlane_b32 s3, v95, 11
	s_and_b64 s[2:3], s[2:3], vcc
	s_and_saveexec_b64 s[36:37], s[2:3]
	s_cbranch_execz .LBB141_46
; %bb.45:                               ;   in Loop: Header=BB141_12 Depth=1
	v_mul_f32_e32 v13, 0x3fb8aa3b, v81
	v_rndne_f32_e32 v21, v13
	s_mov_b32 s2, 0x3fb8aa3b
	v_sub_f32_e32 v26, v13, v21
	v_fma_f32 v13, v81, s2, -v13
	v_fmac_f32_e32 v13, 0x32a5705f, v81
	v_add_f32_e32 v13, v26, v13
	v_cvt_i32_f32_e32 v21, v21
	v_exp_f32_e32 v13, v13
	s_mov_b32 s2, 0xc2ce8ed0
	v_cmp_ngt_f32_e32 vcc, s2, v81
	s_mov_b32 s2, 0x42b17218
	v_ldexp_f32 v13, v13, v21
	v_cndmask_b32_e32 v13, 0, v13, vcc
	v_cmp_nlt_f32_e32 vcc, s2, v81
	s_mov_b32 s2, 0x3f2aaaab
	s_nop 0
	v_cndmask_b32_e32 v42, v77, v13, vcc
	v_add_f32_e32 v13, 1.0, v42
	v_add_f32_e32 v21, -1.0, v13
	v_sub_f32_e32 v26, v21, v13
	v_add_f32_e32 v26, 1.0, v26
	v_sub_f32_e32 v21, v42, v21
	v_add_f32_e32 v21, v21, v26
	v_frexp_mant_f32_e32 v28, v13
	v_cvt_f64_f32_e32 v[26:27], v13
	v_frexp_exp_i32_f64_e32 v26, v[26:27]
	v_cmp_gt_f32_e32 vcc, s2, v28
	s_mov_b32 s2, 0x3f317218
	s_nop 0
	v_subbrev_co_u32_e32 v34, vcc, 0, v26, vcc
	v_sub_u32_e32 v26, 0, v34
	v_ldexp_f32 v13, v13, v26
	v_ldexp_f32 v21, v21, v26
	v_add_f32_e32 v26, -1.0, v13
	v_add_f32_e32 v27, 1.0, v26
	v_sub_f32_e32 v27, v13, v27
	v_add_f32_e32 v28, v21, v27
	v_add_f32_e32 v27, 1.0, v13
	v_add_f32_e32 v29, -1.0, v27
	v_sub_f32_e32 v13, v13, v29
	v_add_f32_e32 v13, v21, v13
	v_add_f32_e32 v21, v27, v13
	v_rcp_f32_e32 v35, v21
	v_sub_f32_e32 v27, v27, v21
	v_add_f32_e32 v13, v13, v27
	v_add_f32_e32 v27, v26, v28
	v_sub_f32_e32 v26, v26, v27
	v_mul_f32_e32 v37, v27, v35
	v_add_f32_e32 v36, v28, v26
	v_mul_f32_e32 v28, v21, v37
	v_fma_f32 v30, v37, v21, -v28
	v_fmac_f32_e32 v30, v37, v13
	v_add_f32_e32 v26, v28, v30
	v_sub_f32_e32 v29, v27, v26
	v_pk_add_f32 v[32:33], v[26:27], v[28:29] neg_lo:[0,1] neg_hi:[0,1]
	v_mov_b32_e32 v31, v26
	v_pk_add_f32 v[26:27], v[32:33], v[30:31] neg_lo:[0,1] neg_hi:[0,1]
	s_nop 0
	v_add_f32_e32 v27, v36, v27
	v_add_f32_e32 v26, v26, v27
	;; [unrolled: 1-line block ×3, first 2 shown]
	v_mul_f32_e32 v36, v35, v27
	v_mul_f32_e32 v28, v21, v36
	v_fma_f32 v30, v36, v21, -v28
	v_fmac_f32_e32 v30, v36, v13
	v_sub_f32_e32 v13, v29, v27
	v_add_f32_e32 v13, v26, v13
	v_add_f32_e32 v26, v28, v30
	v_sub_f32_e32 v29, v27, v26
	v_pk_add_f32 v[32:33], v[26:27], v[28:29] neg_lo:[0,1] neg_hi:[0,1]
	v_mov_b32_e32 v31, v26
	v_pk_add_f32 v[26:27], v[32:33], v[30:31] neg_lo:[0,1] neg_hi:[0,1]
	s_nop 0
	v_add_f32_e32 v13, v13, v27
	v_add_f32_e32 v13, v26, v13
	;; [unrolled: 1-line block ×4, first 2 shown]
	v_sub_f32_e32 v21, v27, v37
	v_mul_f32_e32 v13, v35, v13
	v_sub_f32_e32 v21, v36, v21
	v_add_f32_e32 v13, v21, v13
	v_add_f32_e32 v28, v27, v13
	v_cvt_f32_i32_e32 v26, v34
	v_mul_f32_e32 v30, v28, v28
	v_fmamk_f32 v21, v30, 0x3e9b6dac, v76
	v_sub_f32_e32 v27, v28, v27
	v_fmaak_f32 v21, v30, v21, 0x3f2aaada
	v_sub_f32_e32 v13, v13, v27
	v_mul_f32_e32 v27, v28, v30
	v_pk_mul_f32 v[30:31], v[26:27], v[20:21]
	v_ldexp_f32 v29, v28, 1
	v_fma_f32 v28, v26, s2, -v30
	v_fmac_f32_e32 v28, 0xb102e308, v26
	v_pk_add_f32 v[26:27], v[30:31], v[28:29]
	v_ldexp_f32 v13, v13, 1
	v_sub_f32_e32 v21, v27, v29
	v_sub_f32_e32 v21, v31, v21
	v_add_f32_e32 v33, v13, v21
	v_mov_b32_e32 v32, v30
	v_pk_add_f32 v[30:31], v[26:27], v[30:31] neg_lo:[0,1] neg_hi:[0,1]
	v_pk_add_f32 v[34:35], v[26:27], v[32:33]
	v_mov_b32_e32 v29, v26
	v_mov_b32_e32 v31, v35
	v_pk_add_f32 v[36:37], v[28:29], v[30:31] neg_lo:[0,1] neg_hi:[0,1]
	v_pk_add_f32 v[28:29], v[28:29], v[30:31]
	v_mov_b32_e32 v32, v33
	v_mov_b32_e32 v30, v29
	v_pk_add_f32 v[38:39], v[30:31], v[26:27] neg_lo:[0,1] neg_hi:[0,1]
	v_mov_b32_e32 v28, v35
	v_mov_b32_e32 v13, v38
	v_pk_add_f32 v[40:41], v[34:35], v[12:13] neg_lo:[0,1] neg_hi:[0,1]
	v_mov_b32_e32 v34, v27
	v_mov_b32_e32 v35, v38
	v_mov_b32_e32 v37, v29
	v_pk_add_f32 v[28:29], v[28:29], v[34:35] neg_lo:[0,1] neg_hi:[0,1]
	v_mov_b32_e32 v33, v26
	v_pk_add_f32 v[26:27], v[32:33], v[28:29] neg_lo:[0,1] neg_hi:[0,1]
	v_mov_b32_e32 v40, v36
	v_pk_add_f32 v[28:29], v[40:41], v[26:27]
	s_mov_b32 s2, 0x7f800000
	v_mov_b32_e32 v32, v29
	v_pk_add_f32 v[32:33], v[28:29], v[32:33]
	v_cmp_eq_f32_e32 vcc, s2, v42
	v_pk_add_f32 v[30:31], v[30:31], v[32:33]
	v_mov_b32_e32 v27, v32
	v_mov_b32_e32 v29, v30
	v_pk_add_f32 v[34:35], v[28:29], v[36:37] neg_lo:[0,1] neg_hi:[0,1]
	s_mov_b32 s2, 0x33800000
	v_sub_f32_e32 v13, v28, v34
	v_pk_add_f32 v[26:27], v[26:27], v[34:35] neg_lo:[0,1] neg_hi:[0,1]
	v_sub_f32_e32 v13, v36, v13
	v_add_f32_e32 v13, v26, v13
	v_add_f32_e32 v13, v13, v27
	v_cmp_gt_f32_e64 s[2:3], s2, v42
	v_add_f32_e32 v13, v30, v13
	s_or_b64 vcc, s[2:3], vcc
	v_cndmask_b32_e32 v81, v13, v42, vcc
.LBB141_46:                             ;   in Loop: Header=BB141_12 Depth=1
	s_or_b64 exec, exec, s[36:37]
	s_waitcnt lgkmcnt(2)
	v_add_f32_e32 v82, s40, v24
	s_mov_b32 s2, 0x41a00000
	v_cmp_ge_f32_e32 vcc, s2, v82
	v_readlane_b32 s2, v95, 10
	v_readlane_b32 s3, v95, 11
	s_and_b64 s[2:3], s[2:3], vcc
	s_and_saveexec_b64 s[36:37], s[2:3]
	s_cbranch_execz .LBB141_48
; %bb.47:                               ;   in Loop: Header=BB141_12 Depth=1
	v_mul_f32_e32 v13, 0x3fb8aa3b, v82
	v_rndne_f32_e32 v21, v13
	s_mov_b32 s2, 0x3fb8aa3b
	v_sub_f32_e32 v24, v13, v21
	v_fma_f32 v13, v82, s2, -v13
	v_fmac_f32_e32 v13, 0x32a5705f, v82
	v_add_f32_e32 v13, v24, v13
	v_cvt_i32_f32_e32 v21, v21
	v_exp_f32_e32 v13, v13
	s_mov_b32 s2, 0xc2ce8ed0
	v_cmp_ngt_f32_e32 vcc, s2, v82
	s_mov_b32 s2, 0x42b17218
	v_ldexp_f32 v13, v13, v21
	v_cndmask_b32_e32 v13, 0, v13, vcc
	v_cmp_nlt_f32_e32 vcc, s2, v82
	s_mov_b32 s2, 0x3f2aaaab
	s_nop 0
	v_cndmask_b32_e32 v40, v77, v13, vcc
	v_add_f32_e32 v13, 1.0, v40
	v_add_f32_e32 v21, -1.0, v13
	v_sub_f32_e32 v24, v21, v13
	v_add_f32_e32 v24, 1.0, v24
	v_sub_f32_e32 v21, v40, v21
	v_add_f32_e32 v21, v21, v24
	v_frexp_mant_f32_e32 v24, v13
	v_cvt_f64_f32_e32 v[26:27], v13
	v_frexp_exp_i32_f64_e32 v26, v[26:27]
	v_cmp_gt_f32_e32 vcc, s2, v24
	s_mov_b32 s2, 0x3f317218
	s_nop 0
	v_subbrev_co_u32_e32 v24, vcc, 0, v26, vcc
	v_sub_u32_e32 v26, 0, v24
	v_ldexp_f32 v13, v13, v26
	v_ldexp_f32 v21, v21, v26
	v_add_f32_e32 v26, -1.0, v13
	v_add_f32_e32 v27, 1.0, v26
	v_sub_f32_e32 v27, v13, v27
	v_add_f32_e32 v28, v21, v27
	v_add_f32_e32 v27, 1.0, v13
	v_add_f32_e32 v29, -1.0, v27
	v_sub_f32_e32 v13, v13, v29
	v_add_f32_e32 v13, v21, v13
	v_add_f32_e32 v21, v27, v13
	v_rcp_f32_e32 v34, v21
	v_sub_f32_e32 v27, v27, v21
	v_add_f32_e32 v13, v13, v27
	v_add_f32_e32 v27, v26, v28
	v_sub_f32_e32 v26, v26, v27
	v_mul_f32_e32 v36, v27, v34
	v_add_f32_e32 v35, v28, v26
	v_mul_f32_e32 v28, v21, v36
	v_fma_f32 v30, v36, v21, -v28
	v_fmac_f32_e32 v30, v36, v13
	v_add_f32_e32 v26, v28, v30
	v_sub_f32_e32 v29, v27, v26
	v_pk_add_f32 v[32:33], v[26:27], v[28:29] neg_lo:[0,1] neg_hi:[0,1]
	v_mov_b32_e32 v31, v26
	v_pk_add_f32 v[26:27], v[32:33], v[30:31] neg_lo:[0,1] neg_hi:[0,1]
	s_nop 0
	v_add_f32_e32 v27, v35, v27
	v_add_f32_e32 v26, v26, v27
	;; [unrolled: 1-line block ×3, first 2 shown]
	v_mul_f32_e32 v35, v34, v27
	v_mul_f32_e32 v28, v21, v35
	v_fma_f32 v30, v35, v21, -v28
	v_fmac_f32_e32 v30, v35, v13
	v_sub_f32_e32 v13, v29, v27
	v_add_f32_e32 v13, v26, v13
	v_add_f32_e32 v26, v28, v30
	v_sub_f32_e32 v29, v27, v26
	v_pk_add_f32 v[32:33], v[26:27], v[28:29] neg_lo:[0,1] neg_hi:[0,1]
	v_mov_b32_e32 v31, v26
	v_pk_add_f32 v[26:27], v[32:33], v[30:31] neg_lo:[0,1] neg_hi:[0,1]
	s_nop 0
	v_add_f32_e32 v13, v13, v27
	v_add_f32_e32 v13, v26, v13
	v_add_f32_e32 v27, v36, v35
	v_add_f32_e32 v13, v29, v13
	v_sub_f32_e32 v21, v27, v36
	v_mul_f32_e32 v13, v34, v13
	v_sub_f32_e32 v21, v35, v21
	v_add_f32_e32 v13, v21, v13
	v_add_f32_e32 v28, v27, v13
	v_cvt_f32_i32_e32 v26, v24
	v_mul_f32_e32 v30, v28, v28
	v_fmamk_f32 v21, v30, 0x3e9b6dac, v76
	v_fmaak_f32 v21, v30, v21, 0x3f2aaada
	v_sub_f32_e32 v24, v28, v27
	v_mul_f32_e32 v27, v28, v30
	v_pk_mul_f32 v[30:31], v[26:27], v[20:21]
	v_ldexp_f32 v29, v28, 1
	v_fma_f32 v28, v26, s2, -v30
	v_fmac_f32_e32 v28, 0xb102e308, v26
	v_pk_add_f32 v[26:27], v[30:31], v[28:29]
	v_sub_f32_e32 v13, v13, v24
	v_sub_f32_e32 v21, v27, v29
	v_ldexp_f32 v13, v13, 1
	v_sub_f32_e32 v21, v31, v21
	v_add_f32_e32 v33, v13, v21
	v_mov_b32_e32 v32, v30
	v_pk_add_f32 v[30:31], v[26:27], v[30:31] neg_lo:[0,1] neg_hi:[0,1]
	v_pk_add_f32 v[34:35], v[26:27], v[32:33]
	v_mov_b32_e32 v29, v26
	v_mov_b32_e32 v31, v35
	v_pk_add_f32 v[36:37], v[28:29], v[30:31] neg_lo:[0,1] neg_hi:[0,1]
	v_pk_add_f32 v[28:29], v[28:29], v[30:31]
	s_mov_b32 s2, 0x7f800000
	v_mov_b32_e32 v24, v29
	v_pk_add_f32 v[30:31], v[24:25], v[26:27] neg_lo:[0,1] neg_hi:[0,1]
	v_mov_b32_e32 v28, v35
	v_mov_b32_e32 v13, v30
	v_pk_add_f32 v[38:39], v[34:35], v[12:13] neg_lo:[0,1] neg_hi:[0,1]
	v_mov_b32_e32 v34, v27
	v_mov_b32_e32 v35, v30
	;; [unrolled: 1-line block ×3, first 2 shown]
	v_pk_add_f32 v[28:29], v[28:29], v[34:35] neg_lo:[0,1] neg_hi:[0,1]
	v_mov_b32_e32 v30, v33
	v_mov_b32_e32 v31, v26
	v_pk_add_f32 v[26:27], v[30:31], v[28:29] neg_lo:[0,1] neg_hi:[0,1]
	v_mov_b32_e32 v38, v36
	v_pk_add_f32 v[28:29], v[38:39], v[26:27]
	v_cmp_eq_f32_e32 vcc, s2, v40
	v_mov_b32_e32 v30, v29
	v_pk_add_f32 v[30:31], v[28:29], v[30:31]
	s_mov_b32 s2, 0x33800000
	v_pk_add_f32 v[32:33], v[24:25], v[30:31]
	v_mov_b32_e32 v27, v30
	v_mov_b32_e32 v29, v32
	v_pk_add_f32 v[34:35], v[28:29], v[36:37] neg_lo:[0,1] neg_hi:[0,1]
	v_cmp_gt_f32_e64 s[2:3], s2, v40
	v_sub_f32_e32 v13, v28, v34
	v_pk_add_f32 v[26:27], v[26:27], v[34:35] neg_lo:[0,1] neg_hi:[0,1]
	v_sub_f32_e32 v13, v36, v13
	v_add_f32_e32 v13, v26, v13
	v_add_f32_e32 v13, v13, v27
	;; [unrolled: 1-line block ×3, first 2 shown]
	s_or_b64 vcc, s[2:3], vcc
	v_cndmask_b32_e32 v82, v13, v40, vcc
.LBB141_48:                             ;   in Loop: Header=BB141_12 Depth=1
	s_or_b64 exec, exec, s[36:37]
	v_add_f32_e32 v83, s40, v25
	s_mov_b32 s2, 0x41a00000
	v_cmp_ge_f32_e32 vcc, s2, v83
	v_readlane_b32 s2, v95, 10
	v_readlane_b32 s3, v95, 11
	s_and_b64 s[2:3], s[2:3], vcc
	s_and_saveexec_b64 s[36:37], s[2:3]
	s_cbranch_execz .LBB141_50
; %bb.49:                               ;   in Loop: Header=BB141_12 Depth=1
	v_mul_f32_e32 v13, 0x3fb8aa3b, v83
	v_rndne_f32_e32 v21, v13
	s_mov_b32 s2, 0x3fb8aa3b
	v_sub_f32_e32 v24, v13, v21
	v_fma_f32 v13, v83, s2, -v13
	v_fmac_f32_e32 v13, 0x32a5705f, v83
	v_add_f32_e32 v13, v24, v13
	v_cvt_i32_f32_e32 v21, v21
	v_exp_f32_e32 v13, v13
	s_mov_b32 s2, 0xc2ce8ed0
	v_cmp_ngt_f32_e32 vcc, s2, v83
	s_mov_b32 s2, 0x42b17218
	v_ldexp_f32 v13, v13, v21
	v_cndmask_b32_e32 v13, 0, v13, vcc
	v_cmp_nlt_f32_e32 vcc, s2, v83
	s_mov_b32 s2, 0x3f2aaaab
	s_nop 0
	v_cndmask_b32_e32 v40, v77, v13, vcc
	v_add_f32_e32 v13, 1.0, v40
	v_add_f32_e32 v21, -1.0, v13
	v_sub_f32_e32 v24, v21, v13
	v_add_f32_e32 v24, 1.0, v24
	v_sub_f32_e32 v21, v40, v21
	v_add_f32_e32 v21, v21, v24
	v_frexp_mant_f32_e32 v26, v13
	v_cvt_f64_f32_e32 v[24:25], v13
	v_frexp_exp_i32_f64_e32 v24, v[24:25]
	v_cmp_gt_f32_e32 vcc, s2, v26
	s_mov_b32 s2, 0x3f317218
	s_nop 0
	v_subbrev_co_u32_e32 v32, vcc, 0, v24, vcc
	v_sub_u32_e32 v24, 0, v32
	v_ldexp_f32 v13, v13, v24
	v_ldexp_f32 v21, v21, v24
	v_add_f32_e32 v24, -1.0, v13
	v_add_f32_e32 v25, 1.0, v24
	v_sub_f32_e32 v25, v13, v25
	v_add_f32_e32 v26, v21, v25
	v_add_f32_e32 v25, 1.0, v13
	v_add_f32_e32 v27, -1.0, v25
	v_sub_f32_e32 v13, v13, v27
	v_add_f32_e32 v13, v21, v13
	v_add_f32_e32 v21, v25, v13
	v_rcp_f32_e32 v33, v21
	v_sub_f32_e32 v25, v25, v21
	v_add_f32_e32 v13, v13, v25
	v_add_f32_e32 v25, v24, v26
	v_sub_f32_e32 v24, v24, v25
	v_mul_f32_e32 v35, v25, v33
	v_add_f32_e32 v34, v26, v24
	v_mul_f32_e32 v26, v21, v35
	v_fma_f32 v28, v35, v21, -v26
	v_fmac_f32_e32 v28, v35, v13
	v_add_f32_e32 v24, v26, v28
	v_sub_f32_e32 v27, v25, v24
	v_pk_add_f32 v[30:31], v[24:25], v[26:27] neg_lo:[0,1] neg_hi:[0,1]
	v_mov_b32_e32 v29, v24
	v_pk_add_f32 v[24:25], v[30:31], v[28:29] neg_lo:[0,1] neg_hi:[0,1]
	s_nop 0
	v_add_f32_e32 v25, v34, v25
	v_add_f32_e32 v24, v24, v25
	;; [unrolled: 1-line block ×3, first 2 shown]
	v_mul_f32_e32 v34, v33, v25
	v_mul_f32_e32 v26, v21, v34
	v_fma_f32 v28, v34, v21, -v26
	v_fmac_f32_e32 v28, v34, v13
	v_sub_f32_e32 v13, v27, v25
	v_add_f32_e32 v13, v24, v13
	v_add_f32_e32 v24, v26, v28
	v_sub_f32_e32 v27, v25, v24
	v_pk_add_f32 v[30:31], v[24:25], v[26:27] neg_lo:[0,1] neg_hi:[0,1]
	v_mov_b32_e32 v29, v24
	v_pk_add_f32 v[24:25], v[30:31], v[28:29] neg_lo:[0,1] neg_hi:[0,1]
	s_nop 0
	v_add_f32_e32 v13, v13, v25
	v_add_f32_e32 v13, v24, v13
	v_add_f32_e32 v25, v35, v34
	v_add_f32_e32 v13, v27, v13
	v_sub_f32_e32 v21, v25, v35
	v_mul_f32_e32 v13, v33, v13
	v_sub_f32_e32 v21, v34, v21
	v_add_f32_e32 v13, v21, v13
	v_add_f32_e32 v26, v25, v13
	v_cvt_f32_i32_e32 v24, v32
	v_mul_f32_e32 v28, v26, v26
	v_fmamk_f32 v21, v28, 0x3e9b6dac, v76
	v_sub_f32_e32 v25, v26, v25
	v_fmaak_f32 v21, v28, v21, 0x3f2aaada
	v_sub_f32_e32 v13, v13, v25
	v_mul_f32_e32 v25, v26, v28
	v_pk_mul_f32 v[28:29], v[24:25], v[20:21]
	v_ldexp_f32 v27, v26, 1
	v_fma_f32 v26, v24, s2, -v28
	v_fmac_f32_e32 v26, 0xb102e308, v24
	v_pk_add_f32 v[24:25], v[28:29], v[26:27]
	v_ldexp_f32 v13, v13, 1
	v_sub_f32_e32 v21, v25, v27
	v_sub_f32_e32 v21, v29, v21
	v_add_f32_e32 v31, v13, v21
	v_mov_b32_e32 v30, v28
	v_pk_add_f32 v[28:29], v[24:25], v[28:29] neg_lo:[0,1] neg_hi:[0,1]
	v_pk_add_f32 v[32:33], v[24:25], v[30:31]
	v_mov_b32_e32 v27, v24
	v_mov_b32_e32 v29, v33
	v_pk_add_f32 v[34:35], v[26:27], v[28:29] neg_lo:[0,1] neg_hi:[0,1]
	v_pk_add_f32 v[26:27], v[26:27], v[28:29]
	v_mov_b32_e32 v30, v31
	v_mov_b32_e32 v28, v27
	v_pk_add_f32 v[36:37], v[28:29], v[24:25] neg_lo:[0,1] neg_hi:[0,1]
	v_mov_b32_e32 v26, v33
	v_mov_b32_e32 v13, v36
	v_pk_add_f32 v[38:39], v[32:33], v[12:13] neg_lo:[0,1] neg_hi:[0,1]
	v_mov_b32_e32 v32, v25
	v_mov_b32_e32 v33, v36
	;; [unrolled: 1-line block ×3, first 2 shown]
	v_pk_add_f32 v[26:27], v[26:27], v[32:33] neg_lo:[0,1] neg_hi:[0,1]
	v_mov_b32_e32 v31, v24
	v_pk_add_f32 v[24:25], v[30:31], v[26:27] neg_lo:[0,1] neg_hi:[0,1]
	v_mov_b32_e32 v38, v34
	v_pk_add_f32 v[26:27], v[38:39], v[24:25]
	s_mov_b32 s2, 0x7f800000
	v_mov_b32_e32 v30, v27
	v_pk_add_f32 v[30:31], v[26:27], v[30:31]
	v_cmp_eq_f32_e32 vcc, s2, v40
	v_pk_add_f32 v[28:29], v[28:29], v[30:31]
	v_mov_b32_e32 v25, v30
	v_mov_b32_e32 v27, v28
	v_pk_add_f32 v[32:33], v[26:27], v[34:35] neg_lo:[0,1] neg_hi:[0,1]
	s_mov_b32 s2, 0x33800000
	v_sub_f32_e32 v13, v26, v32
	v_pk_add_f32 v[24:25], v[24:25], v[32:33] neg_lo:[0,1] neg_hi:[0,1]
	v_sub_f32_e32 v13, v34, v13
	v_add_f32_e32 v13, v24, v13
	v_add_f32_e32 v13, v13, v25
	v_cmp_gt_f32_e64 s[2:3], s2, v40
	v_add_f32_e32 v13, v28, v13
	s_or_b64 vcc, s[2:3], vcc
	v_cndmask_b32_e32 v83, v13, v40, vcc
.LBB141_50:                             ;   in Loop: Header=BB141_12 Depth=1
	s_or_b64 exec, exec, s[36:37]
	s_waitcnt lgkmcnt(1)
	v_add_f32_e32 v84, s40, v22
	s_mov_b32 s2, 0x41a00000
	v_cmp_ge_f32_e32 vcc, s2, v84
	v_readlane_b32 s2, v95, 10
	v_readlane_b32 s3, v95, 11
	s_and_b64 s[2:3], s[2:3], vcc
	s_and_saveexec_b64 s[36:37], s[2:3]
	s_cbranch_execz .LBB141_52
; %bb.51:                               ;   in Loop: Header=BB141_12 Depth=1
	v_mul_f32_e32 v13, 0x3fb8aa3b, v84
	v_rndne_f32_e32 v21, v13
	s_mov_b32 s2, 0x3fb8aa3b
	v_sub_f32_e32 v22, v13, v21
	v_fma_f32 v13, v84, s2, -v13
	v_fmac_f32_e32 v13, 0x32a5705f, v84
	v_add_f32_e32 v13, v22, v13
	v_cvt_i32_f32_e32 v21, v21
	v_exp_f32_e32 v13, v13
	s_mov_b32 s2, 0xc2ce8ed0
	v_cmp_ngt_f32_e32 vcc, s2, v84
	s_mov_b32 s2, 0x42b17218
	v_ldexp_f32 v13, v13, v21
	v_cndmask_b32_e32 v13, 0, v13, vcc
	v_cmp_nlt_f32_e32 vcc, s2, v84
	s_mov_b32 s2, 0x3f2aaaab
	s_nop 0
	v_cndmask_b32_e32 v38, v77, v13, vcc
	v_add_f32_e32 v13, 1.0, v38
	v_add_f32_e32 v21, -1.0, v13
	v_sub_f32_e32 v22, v21, v13
	v_add_f32_e32 v22, 1.0, v22
	v_sub_f32_e32 v21, v38, v21
	v_add_f32_e32 v21, v21, v22
	v_frexp_mant_f32_e32 v22, v13
	v_cvt_f64_f32_e32 v[24:25], v13
	v_frexp_exp_i32_f64_e32 v24, v[24:25]
	v_cmp_gt_f32_e32 vcc, s2, v22
	s_mov_b32 s2, 0x3f317218
	s_nop 0
	v_subbrev_co_u32_e32 v22, vcc, 0, v24, vcc
	v_sub_u32_e32 v24, 0, v22
	v_ldexp_f32 v13, v13, v24
	v_ldexp_f32 v21, v21, v24
	v_add_f32_e32 v24, -1.0, v13
	v_add_f32_e32 v25, 1.0, v24
	v_sub_f32_e32 v25, v13, v25
	v_add_f32_e32 v26, v21, v25
	v_add_f32_e32 v25, 1.0, v13
	v_add_f32_e32 v27, -1.0, v25
	v_sub_f32_e32 v13, v13, v27
	v_add_f32_e32 v13, v21, v13
	v_add_f32_e32 v21, v25, v13
	v_rcp_f32_e32 v32, v21
	v_sub_f32_e32 v25, v25, v21
	v_add_f32_e32 v13, v13, v25
	v_add_f32_e32 v25, v24, v26
	v_sub_f32_e32 v24, v24, v25
	v_mul_f32_e32 v34, v25, v32
	v_add_f32_e32 v33, v26, v24
	v_mul_f32_e32 v26, v21, v34
	v_fma_f32 v28, v34, v21, -v26
	v_fmac_f32_e32 v28, v34, v13
	v_add_f32_e32 v24, v26, v28
	v_sub_f32_e32 v27, v25, v24
	v_pk_add_f32 v[30:31], v[24:25], v[26:27] neg_lo:[0,1] neg_hi:[0,1]
	v_mov_b32_e32 v29, v24
	v_pk_add_f32 v[24:25], v[30:31], v[28:29] neg_lo:[0,1] neg_hi:[0,1]
	s_nop 0
	v_add_f32_e32 v25, v33, v25
	v_add_f32_e32 v24, v24, v25
	;; [unrolled: 1-line block ×3, first 2 shown]
	v_mul_f32_e32 v33, v32, v25
	v_mul_f32_e32 v26, v21, v33
	v_fma_f32 v28, v33, v21, -v26
	v_fmac_f32_e32 v28, v33, v13
	v_sub_f32_e32 v13, v27, v25
	v_add_f32_e32 v13, v24, v13
	v_add_f32_e32 v24, v26, v28
	v_sub_f32_e32 v27, v25, v24
	v_pk_add_f32 v[30:31], v[24:25], v[26:27] neg_lo:[0,1] neg_hi:[0,1]
	v_mov_b32_e32 v29, v24
	v_pk_add_f32 v[24:25], v[30:31], v[28:29] neg_lo:[0,1] neg_hi:[0,1]
	s_nop 0
	v_add_f32_e32 v13, v13, v25
	v_add_f32_e32 v13, v24, v13
	;; [unrolled: 1-line block ×4, first 2 shown]
	v_sub_f32_e32 v21, v25, v34
	v_mul_f32_e32 v13, v32, v13
	v_sub_f32_e32 v21, v33, v21
	v_add_f32_e32 v13, v21, v13
	v_add_f32_e32 v26, v25, v13
	v_cvt_f32_i32_e32 v24, v22
	v_mul_f32_e32 v28, v26, v26
	v_fmamk_f32 v21, v28, 0x3e9b6dac, v76
	v_fmaak_f32 v21, v28, v21, 0x3f2aaada
	v_sub_f32_e32 v22, v26, v25
	v_mul_f32_e32 v25, v26, v28
	v_pk_mul_f32 v[28:29], v[24:25], v[20:21]
	v_ldexp_f32 v27, v26, 1
	v_fma_f32 v26, v24, s2, -v28
	v_fmac_f32_e32 v26, 0xb102e308, v24
	v_pk_add_f32 v[24:25], v[28:29], v[26:27]
	v_sub_f32_e32 v13, v13, v22
	v_sub_f32_e32 v21, v25, v27
	v_ldexp_f32 v13, v13, 1
	v_sub_f32_e32 v21, v29, v21
	v_add_f32_e32 v31, v13, v21
	v_mov_b32_e32 v30, v28
	v_pk_add_f32 v[28:29], v[24:25], v[28:29] neg_lo:[0,1] neg_hi:[0,1]
	v_pk_add_f32 v[32:33], v[24:25], v[30:31]
	v_mov_b32_e32 v27, v24
	v_mov_b32_e32 v29, v33
	v_pk_add_f32 v[34:35], v[26:27], v[28:29] neg_lo:[0,1] neg_hi:[0,1]
	v_pk_add_f32 v[26:27], v[26:27], v[28:29]
	s_mov_b32 s2, 0x7f800000
	v_mov_b32_e32 v22, v27
	v_pk_add_f32 v[28:29], v[22:23], v[24:25] neg_lo:[0,1] neg_hi:[0,1]
	v_mov_b32_e32 v26, v33
	v_mov_b32_e32 v13, v28
	v_pk_add_f32 v[36:37], v[32:33], v[12:13] neg_lo:[0,1] neg_hi:[0,1]
	v_mov_b32_e32 v32, v25
	v_mov_b32_e32 v33, v28
	;; [unrolled: 1-line block ×3, first 2 shown]
	v_pk_add_f32 v[26:27], v[26:27], v[32:33] neg_lo:[0,1] neg_hi:[0,1]
	v_mov_b32_e32 v28, v31
	v_mov_b32_e32 v29, v24
	v_pk_add_f32 v[24:25], v[28:29], v[26:27] neg_lo:[0,1] neg_hi:[0,1]
	v_mov_b32_e32 v36, v34
	v_pk_add_f32 v[26:27], v[36:37], v[24:25]
	v_cmp_eq_f32_e32 vcc, s2, v38
	v_mov_b32_e32 v28, v27
	v_pk_add_f32 v[28:29], v[26:27], v[28:29]
	s_mov_b32 s2, 0x33800000
	v_pk_add_f32 v[30:31], v[22:23], v[28:29]
	v_mov_b32_e32 v25, v28
	v_mov_b32_e32 v27, v30
	v_pk_add_f32 v[32:33], v[26:27], v[34:35] neg_lo:[0,1] neg_hi:[0,1]
	v_cmp_gt_f32_e64 s[2:3], s2, v38
	v_sub_f32_e32 v13, v26, v32
	v_pk_add_f32 v[24:25], v[24:25], v[32:33] neg_lo:[0,1] neg_hi:[0,1]
	v_sub_f32_e32 v13, v34, v13
	v_add_f32_e32 v13, v24, v13
	v_add_f32_e32 v13, v13, v25
	;; [unrolled: 1-line block ×3, first 2 shown]
	s_or_b64 vcc, s[2:3], vcc
	v_cndmask_b32_e32 v84, v13, v38, vcc
.LBB141_52:                             ;   in Loop: Header=BB141_12 Depth=1
	s_or_b64 exec, exec, s[36:37]
	v_add_f32_e32 v85, s40, v23
	s_mov_b32 s2, 0x41a00000
	v_cmp_ge_f32_e32 vcc, s2, v85
	v_readlane_b32 s2, v95, 10
	v_readlane_b32 s3, v95, 11
	s_and_b64 s[2:3], s[2:3], vcc
	s_and_saveexec_b64 s[36:37], s[2:3]
	s_cbranch_execz .LBB141_54
; %bb.53:                               ;   in Loop: Header=BB141_12 Depth=1
	v_mul_f32_e32 v13, 0x3fb8aa3b, v85
	v_rndne_f32_e32 v21, v13
	s_mov_b32 s2, 0x3fb8aa3b
	v_sub_f32_e32 v22, v13, v21
	v_fma_f32 v13, v85, s2, -v13
	v_fmac_f32_e32 v13, 0x32a5705f, v85
	v_add_f32_e32 v13, v22, v13
	v_cvt_i32_f32_e32 v21, v21
	v_exp_f32_e32 v13, v13
	s_mov_b32 s2, 0xc2ce8ed0
	v_cmp_ngt_f32_e32 vcc, s2, v85
	s_mov_b32 s2, 0x42b17218
	v_ldexp_f32 v13, v13, v21
	v_cndmask_b32_e32 v13, 0, v13, vcc
	v_cmp_nlt_f32_e32 vcc, s2, v85
	s_mov_b32 s2, 0x3f2aaaab
	s_nop 0
	v_cndmask_b32_e32 v38, v77, v13, vcc
	v_add_f32_e32 v13, 1.0, v38
	v_add_f32_e32 v21, -1.0, v13
	v_sub_f32_e32 v22, v21, v13
	v_add_f32_e32 v22, 1.0, v22
	v_sub_f32_e32 v21, v38, v21
	v_add_f32_e32 v21, v21, v22
	v_frexp_mant_f32_e32 v24, v13
	v_cvt_f64_f32_e32 v[22:23], v13
	v_frexp_exp_i32_f64_e32 v22, v[22:23]
	v_cmp_gt_f32_e32 vcc, s2, v24
	s_mov_b32 s2, 0x3f317218
	s_nop 0
	v_subbrev_co_u32_e32 v30, vcc, 0, v22, vcc
	v_sub_u32_e32 v22, 0, v30
	v_ldexp_f32 v13, v13, v22
	v_ldexp_f32 v21, v21, v22
	v_add_f32_e32 v22, -1.0, v13
	v_add_f32_e32 v23, 1.0, v22
	v_sub_f32_e32 v23, v13, v23
	v_add_f32_e32 v24, v21, v23
	v_add_f32_e32 v23, 1.0, v13
	v_add_f32_e32 v25, -1.0, v23
	v_sub_f32_e32 v13, v13, v25
	v_add_f32_e32 v13, v21, v13
	v_add_f32_e32 v21, v23, v13
	v_rcp_f32_e32 v31, v21
	v_sub_f32_e32 v23, v23, v21
	v_add_f32_e32 v13, v13, v23
	v_add_f32_e32 v23, v22, v24
	v_sub_f32_e32 v22, v22, v23
	v_mul_f32_e32 v33, v23, v31
	v_add_f32_e32 v32, v24, v22
	v_mul_f32_e32 v24, v21, v33
	v_fma_f32 v26, v33, v21, -v24
	v_fmac_f32_e32 v26, v33, v13
	v_add_f32_e32 v22, v24, v26
	v_sub_f32_e32 v25, v23, v22
	v_pk_add_f32 v[28:29], v[22:23], v[24:25] neg_lo:[0,1] neg_hi:[0,1]
	v_mov_b32_e32 v27, v22
	v_pk_add_f32 v[22:23], v[28:29], v[26:27] neg_lo:[0,1] neg_hi:[0,1]
	s_nop 0
	v_add_f32_e32 v23, v32, v23
	v_add_f32_e32 v22, v22, v23
	;; [unrolled: 1-line block ×3, first 2 shown]
	v_mul_f32_e32 v32, v31, v23
	v_mul_f32_e32 v24, v21, v32
	v_fma_f32 v26, v32, v21, -v24
	v_fmac_f32_e32 v26, v32, v13
	v_sub_f32_e32 v13, v25, v23
	v_add_f32_e32 v13, v22, v13
	v_add_f32_e32 v22, v24, v26
	v_sub_f32_e32 v25, v23, v22
	v_pk_add_f32 v[28:29], v[22:23], v[24:25] neg_lo:[0,1] neg_hi:[0,1]
	v_mov_b32_e32 v27, v22
	v_pk_add_f32 v[22:23], v[28:29], v[26:27] neg_lo:[0,1] neg_hi:[0,1]
	s_nop 0
	v_add_f32_e32 v13, v13, v23
	v_add_f32_e32 v13, v22, v13
	v_add_f32_e32 v23, v33, v32
	v_add_f32_e32 v13, v25, v13
	v_sub_f32_e32 v21, v23, v33
	v_mul_f32_e32 v13, v31, v13
	v_sub_f32_e32 v21, v32, v21
	v_add_f32_e32 v13, v21, v13
	v_add_f32_e32 v24, v23, v13
	v_cvt_f32_i32_e32 v22, v30
	v_mul_f32_e32 v26, v24, v24
	v_fmamk_f32 v21, v26, 0x3e9b6dac, v76
	v_sub_f32_e32 v23, v24, v23
	v_fmaak_f32 v21, v26, v21, 0x3f2aaada
	v_sub_f32_e32 v13, v13, v23
	v_mul_f32_e32 v23, v24, v26
	v_pk_mul_f32 v[26:27], v[22:23], v[20:21]
	v_ldexp_f32 v25, v24, 1
	v_fma_f32 v24, v22, s2, -v26
	v_fmac_f32_e32 v24, 0xb102e308, v22
	v_pk_add_f32 v[22:23], v[26:27], v[24:25]
	v_ldexp_f32 v13, v13, 1
	v_sub_f32_e32 v21, v23, v25
	v_sub_f32_e32 v21, v27, v21
	v_add_f32_e32 v29, v13, v21
	v_mov_b32_e32 v28, v26
	v_pk_add_f32 v[26:27], v[22:23], v[26:27] neg_lo:[0,1] neg_hi:[0,1]
	v_pk_add_f32 v[30:31], v[22:23], v[28:29]
	v_mov_b32_e32 v25, v22
	v_mov_b32_e32 v27, v31
	v_pk_add_f32 v[32:33], v[24:25], v[26:27] neg_lo:[0,1] neg_hi:[0,1]
	v_pk_add_f32 v[24:25], v[24:25], v[26:27]
	v_mov_b32_e32 v28, v29
	v_mov_b32_e32 v26, v25
	v_pk_add_f32 v[34:35], v[26:27], v[22:23] neg_lo:[0,1] neg_hi:[0,1]
	v_mov_b32_e32 v24, v31
	v_mov_b32_e32 v13, v34
	v_pk_add_f32 v[36:37], v[30:31], v[12:13] neg_lo:[0,1] neg_hi:[0,1]
	v_mov_b32_e32 v30, v23
	v_mov_b32_e32 v31, v34
	;; [unrolled: 1-line block ×3, first 2 shown]
	v_pk_add_f32 v[24:25], v[24:25], v[30:31] neg_lo:[0,1] neg_hi:[0,1]
	v_mov_b32_e32 v29, v22
	v_pk_add_f32 v[22:23], v[28:29], v[24:25] neg_lo:[0,1] neg_hi:[0,1]
	v_mov_b32_e32 v36, v32
	v_pk_add_f32 v[24:25], v[36:37], v[22:23]
	s_mov_b32 s2, 0x7f800000
	v_mov_b32_e32 v28, v25
	v_pk_add_f32 v[28:29], v[24:25], v[28:29]
	v_cmp_eq_f32_e32 vcc, s2, v38
	v_pk_add_f32 v[26:27], v[26:27], v[28:29]
	v_mov_b32_e32 v23, v28
	v_mov_b32_e32 v25, v26
	v_pk_add_f32 v[30:31], v[24:25], v[32:33] neg_lo:[0,1] neg_hi:[0,1]
	s_mov_b32 s2, 0x33800000
	v_sub_f32_e32 v13, v24, v30
	v_pk_add_f32 v[22:23], v[22:23], v[30:31] neg_lo:[0,1] neg_hi:[0,1]
	v_sub_f32_e32 v13, v32, v13
	v_add_f32_e32 v13, v22, v13
	v_add_f32_e32 v13, v13, v23
	v_cmp_gt_f32_e64 s[2:3], s2, v38
	v_add_f32_e32 v13, v26, v13
	s_or_b64 vcc, s[2:3], vcc
	v_cndmask_b32_e32 v85, v13, v38, vcc
.LBB141_54:                             ;   in Loop: Header=BB141_12 Depth=1
	s_or_b64 exec, exec, s[36:37]
	s_waitcnt lgkmcnt(0)
	v_add_f32_e32 v86, s40, v10
	s_mov_b32 s2, 0x41a00000
	v_cmp_ge_f32_e32 vcc, s2, v86
	v_readlane_b32 s2, v95, 10
	v_readlane_b32 s3, v95, 11
	s_and_b64 s[2:3], s[2:3], vcc
	s_and_saveexec_b64 s[36:37], s[2:3]
	s_cbranch_execz .LBB141_56
; %bb.55:                               ;   in Loop: Header=BB141_12 Depth=1
	v_mul_f32_e32 v10, 0x3fb8aa3b, v86
	v_rndne_f32_e32 v13, v10
	s_mov_b32 s2, 0x3fb8aa3b
	v_sub_f32_e32 v21, v10, v13
	v_fma_f32 v10, v86, s2, -v10
	v_fmac_f32_e32 v10, 0x32a5705f, v86
	v_add_f32_e32 v10, v21, v10
	v_cvt_i32_f32_e32 v13, v13
	v_exp_f32_e32 v10, v10
	s_mov_b32 s2, 0xc2ce8ed0
	v_cmp_ngt_f32_e32 vcc, s2, v86
	s_mov_b32 s2, 0x42b17218
	v_ldexp_f32 v10, v10, v13
	v_cndmask_b32_e32 v10, 0, v10, vcc
	v_cmp_nlt_f32_e32 vcc, s2, v86
	s_mov_b32 s2, 0x3f2aaaab
	s_nop 0
	v_cndmask_b32_e32 v36, v77, v10, vcc
	v_add_f32_e32 v10, 1.0, v36
	v_add_f32_e32 v13, -1.0, v10
	v_sub_f32_e32 v21, v13, v10
	v_add_f32_e32 v21, 1.0, v21
	v_sub_f32_e32 v13, v36, v13
	v_add_f32_e32 v13, v13, v21
	v_frexp_mant_f32_e32 v21, v10
	v_cvt_f64_f32_e32 v[22:23], v10
	v_frexp_exp_i32_f64_e32 v22, v[22:23]
	v_cmp_gt_f32_e32 vcc, s2, v21
	s_mov_b32 s2, 0x3f317218
	s_nop 0
	v_subbrev_co_u32_e32 v30, vcc, 0, v22, vcc
	v_sub_u32_e32 v21, 0, v30
	v_ldexp_f32 v10, v10, v21
	v_ldexp_f32 v13, v13, v21
	v_add_f32_e32 v21, -1.0, v10
	v_add_f32_e32 v23, 1.0, v10
	v_add_f32_e32 v22, 1.0, v21
	v_add_f32_e32 v24, -1.0, v23
	v_sub_f32_e32 v22, v10, v22
	v_sub_f32_e32 v10, v10, v24
	v_add_f32_e32 v10, v13, v10
	v_add_f32_e32 v22, v13, v22
	;; [unrolled: 1-line block ×3, first 2 shown]
	v_rcp_f32_e32 v31, v13
	v_sub_f32_e32 v23, v23, v13
	v_add_f32_e32 v10, v10, v23
	v_add_f32_e32 v23, v21, v22
	v_mul_f32_e32 v32, v23, v31
	v_mul_f32_e32 v24, v13, v32
	v_fma_f32 v26, v32, v13, -v24
	v_sub_f32_e32 v21, v21, v23
	v_fmac_f32_e32 v26, v32, v10
	v_add_f32_e32 v21, v22, v21
	v_add_f32_e32 v22, v24, v26
	v_sub_f32_e32 v25, v23, v22
	v_pk_add_f32 v[28:29], v[22:23], v[24:25] neg_lo:[0,1] neg_hi:[0,1]
	v_mov_b32_e32 v27, v22
	v_pk_add_f32 v[22:23], v[28:29], v[26:27] neg_lo:[0,1] neg_hi:[0,1]
	s_nop 0
	v_add_f32_e32 v21, v21, v23
	v_add_f32_e32 v21, v22, v21
	;; [unrolled: 1-line block ×3, first 2 shown]
	v_mul_f32_e32 v33, v31, v23
	v_mul_f32_e32 v24, v13, v33
	v_fma_f32 v26, v33, v13, -v24
	v_fmac_f32_e32 v26, v33, v10
	v_add_f32_e32 v22, v24, v26
	v_sub_f32_e32 v10, v25, v23
	v_sub_f32_e32 v25, v23, v22
	v_pk_add_f32 v[28:29], v[22:23], v[24:25] neg_lo:[0,1] neg_hi:[0,1]
	v_mov_b32_e32 v27, v22
	v_add_f32_e32 v10, v21, v10
	v_pk_add_f32 v[22:23], v[28:29], v[26:27] neg_lo:[0,1] neg_hi:[0,1]
	v_add_f32_e32 v13, v32, v33
	v_add_f32_e32 v10, v10, v23
	;; [unrolled: 1-line block ×4, first 2 shown]
	v_sub_f32_e32 v21, v13, v32
	v_mul_f32_e32 v10, v31, v10
	v_sub_f32_e32 v21, v33, v21
	v_add_f32_e32 v10, v21, v10
	v_add_f32_e32 v23, v13, v10
	v_cvt_f32_i32_e32 v22, v30
	v_mul_f32_e32 v24, v23, v23
	v_fmamk_f32 v21, v24, 0x3e9b6dac, v76
	v_fmaak_f32 v21, v24, v21, 0x3f2aaada
	v_sub_f32_e32 v13, v23, v13
	v_ldexp_f32 v25, v23, 1
	v_mul_f32_e32 v23, v23, v24
	v_pk_mul_f32 v[26:27], v[22:23], v[20:21]
	v_sub_f32_e32 v10, v10, v13
	v_fma_f32 v24, v22, s2, -v26
	v_fmac_f32_e32 v24, 0xb102e308, v22
	v_pk_add_f32 v[22:23], v[26:27], v[24:25]
	v_ldexp_f32 v10, v10, 1
	v_sub_f32_e32 v13, v23, v25
	v_sub_f32_e32 v13, v27, v13
	v_add_f32_e32 v29, v10, v13
	v_mov_b32_e32 v28, v26
	v_pk_add_f32 v[26:27], v[22:23], v[26:27] neg_lo:[0,1] neg_hi:[0,1]
	v_pk_add_f32 v[30:31], v[22:23], v[28:29]
	v_mov_b32_e32 v25, v22
	v_mov_b32_e32 v27, v31
	v_pk_add_f32 v[32:33], v[24:25], v[26:27] neg_lo:[0,1] neg_hi:[0,1]
	v_pk_add_f32 v[24:25], v[24:25], v[26:27]
	s_mov_b32 s2, 0x7f800000
	v_mov_b32_e32 v10, v25
	v_pk_add_f32 v[26:27], v[10:11], v[22:23] neg_lo:[0,1] neg_hi:[0,1]
	v_mov_b32_e32 v24, v31
	v_mov_b32_e32 v13, v26
	v_pk_add_f32 v[34:35], v[30:31], v[12:13] neg_lo:[0,1] neg_hi:[0,1]
	v_mov_b32_e32 v30, v23
	v_mov_b32_e32 v31, v26
	;; [unrolled: 1-line block ×3, first 2 shown]
	v_pk_add_f32 v[24:25], v[24:25], v[30:31] neg_lo:[0,1] neg_hi:[0,1]
	v_mov_b32_e32 v26, v29
	v_mov_b32_e32 v27, v22
	v_pk_add_f32 v[22:23], v[26:27], v[24:25] neg_lo:[0,1] neg_hi:[0,1]
	v_mov_b32_e32 v34, v32
	v_pk_add_f32 v[24:25], v[34:35], v[22:23]
	v_cmp_eq_f32_e32 vcc, s2, v36
	v_mov_b32_e32 v26, v25
	v_pk_add_f32 v[26:27], v[24:25], v[26:27]
	s_mov_b32 s2, 0x33800000
	v_pk_add_f32 v[28:29], v[10:11], v[26:27]
	v_mov_b32_e32 v23, v26
	v_mov_b32_e32 v25, v28
	v_pk_add_f32 v[30:31], v[24:25], v[32:33] neg_lo:[0,1] neg_hi:[0,1]
	v_cmp_gt_f32_e64 s[2:3], s2, v36
	v_sub_f32_e32 v10, v24, v30
	v_pk_add_f32 v[22:23], v[22:23], v[30:31] neg_lo:[0,1] neg_hi:[0,1]
	v_sub_f32_e32 v10, v32, v10
	v_add_f32_e32 v10, v22, v10
	v_add_f32_e32 v10, v10, v23
	;; [unrolled: 1-line block ×3, first 2 shown]
	s_or_b64 vcc, s[2:3], vcc
	v_cndmask_b32_e32 v86, v10, v36, vcc
.LBB141_56:                             ;   in Loop: Header=BB141_12 Depth=1
	s_or_b64 exec, exec, s[36:37]
	v_add_f32_e32 v21, s40, v11
	s_mov_b32 s2, 0x41a00000
	v_cmp_ge_f32_e32 vcc, s2, v21
	v_readlane_b32 s2, v95, 10
	v_readlane_b32 s3, v95, 11
	s_and_b64 s[2:3], s[2:3], vcc
	s_and_saveexec_b64 s[36:37], s[2:3]
	s_cbranch_execz .LBB141_58
; %bb.57:                               ;   in Loop: Header=BB141_12 Depth=1
	v_mul_f32_e32 v10, 0x3fb8aa3b, v21
	v_rndne_f32_e32 v11, v10
	s_mov_b32 s2, 0x3fb8aa3b
	v_sub_f32_e32 v13, v10, v11
	v_fma_f32 v10, v21, s2, -v10
	v_fmac_f32_e32 v10, 0x32a5705f, v21
	v_add_f32_e32 v10, v13, v10
	v_cvt_i32_f32_e32 v11, v11
	v_exp_f32_e32 v10, v10
	s_mov_b32 s2, 0xc2ce8ed0
	v_cmp_ngt_f32_e32 vcc, s2, v21
	s_mov_b32 s2, 0x42b17218
	v_ldexp_f32 v10, v10, v11
	v_cndmask_b32_e32 v10, 0, v10, vcc
	v_cmp_nlt_f32_e32 vcc, s2, v21
	s_mov_b32 s2, 0x3f2aaaab
	s_nop 0
	v_cndmask_b32_e32 v36, v77, v10, vcc
	v_add_f32_e32 v13, 1.0, v36
	v_add_f32_e32 v10, -1.0, v13
	v_sub_f32_e32 v11, v10, v13
	v_add_f32_e32 v11, 1.0, v11
	v_sub_f32_e32 v10, v36, v10
	v_add_f32_e32 v21, v10, v11
	v_frexp_mant_f32_e32 v22, v13
	v_cvt_f64_f32_e32 v[10:11], v13
	v_frexp_exp_i32_f64_e32 v10, v[10:11]
	v_cmp_gt_f32_e32 vcc, s2, v22
	s_mov_b32 s2, 0x3f317218
	s_nop 0
	v_subbrev_co_u32_e32 v28, vcc, 0, v10, vcc
	v_sub_u32_e32 v10, 0, v28
	v_ldexp_f32 v11, v13, v10
	v_add_f32_e32 v13, -1.0, v11
	v_add_f32_e32 v22, 1.0, v11
	v_ldexp_f32 v10, v21, v10
	v_add_f32_e32 v21, 1.0, v13
	v_add_f32_e32 v23, -1.0, v22
	v_sub_f32_e32 v21, v11, v21
	v_sub_f32_e32 v11, v11, v23
	v_add_f32_e32 v21, v10, v21
	v_add_f32_e32 v10, v10, v11
	;; [unrolled: 1-line block ×3, first 2 shown]
	v_rcp_f32_e32 v31, v29
	v_sub_f32_e32 v11, v22, v29
	v_add_f32_e32 v30, v10, v11
	v_add_f32_e32 v11, v13, v21
	v_sub_f32_e32 v10, v13, v11
	v_add_f32_e32 v13, v21, v10
	v_mul_f32_e32 v21, v11, v31
	v_mul_f32_e32 v22, v29, v21
	v_fma_f32 v24, v21, v29, -v22
	v_fmac_f32_e32 v24, v21, v30
	v_add_f32_e32 v10, v22, v24
	v_sub_f32_e32 v23, v11, v10
	v_pk_add_f32 v[26:27], v[10:11], v[22:23] neg_lo:[0,1] neg_hi:[0,1]
	v_mov_b32_e32 v25, v10
	v_pk_add_f32 v[10:11], v[26:27], v[24:25] neg_lo:[0,1] neg_hi:[0,1]
	s_nop 0
	v_add_f32_e32 v11, v13, v11
	v_add_f32_e32 v10, v10, v11
	;; [unrolled: 1-line block ×3, first 2 shown]
	v_mul_f32_e32 v13, v31, v11
	v_mul_f32_e32 v22, v29, v13
	v_fma_f32 v24, v13, v29, -v22
	v_fmac_f32_e32 v24, v13, v30
	v_sub_f32_e32 v23, v23, v11
	v_add_f32_e32 v29, v10, v23
	v_add_f32_e32 v10, v22, v24
	v_sub_f32_e32 v23, v11, v10
	v_pk_add_f32 v[26:27], v[10:11], v[22:23] neg_lo:[0,1] neg_hi:[0,1]
	v_mov_b32_e32 v25, v10
	v_pk_add_f32 v[10:11], v[26:27], v[24:25] neg_lo:[0,1] neg_hi:[0,1]
	s_nop 0
	v_add_f32_e32 v11, v29, v11
	v_add_f32_e32 v10, v10, v11
	;; [unrolled: 1-line block ×4, first 2 shown]
	v_sub_f32_e32 v21, v11, v21
	v_mul_f32_e32 v10, v31, v10
	v_sub_f32_e32 v13, v13, v21
	v_add_f32_e32 v13, v13, v10
	v_add_f32_e32 v22, v11, v13
	v_mul_f32_e32 v24, v22, v22
	v_fmamk_f32 v10, v24, 0x3e9b6dac, v76
	v_fmaak_f32 v21, v24, v10, 0x3f2aaada
	v_cvt_f32_i32_e32 v10, v28
	v_sub_f32_e32 v11, v22, v11
	v_sub_f32_e32 v11, v13, v11
	v_ldexp_f32 v13, v11, 1
	v_mul_f32_e32 v11, v22, v24
	v_pk_mul_f32 v[24:25], v[10:11], v[20:21]
	v_ldexp_f32 v23, v22, 1
	v_fma_f32 v22, v10, s2, -v24
	v_fmac_f32_e32 v22, 0xb102e308, v10
	v_pk_add_f32 v[10:11], v[24:25], v[22:23]
	v_mov_b32_e32 v26, v24
	v_sub_f32_e32 v21, v11, v23
	v_sub_f32_e32 v21, v25, v21
	v_add_f32_e32 v27, v13, v21
	v_pk_add_f32 v[24:25], v[10:11], v[24:25] neg_lo:[0,1] neg_hi:[0,1]
	v_pk_add_f32 v[28:29], v[10:11], v[26:27]
	v_mov_b32_e32 v23, v10
	v_mov_b32_e32 v25, v29
	v_pk_add_f32 v[30:31], v[22:23], v[24:25] neg_lo:[0,1] neg_hi:[0,1]
	v_pk_add_f32 v[22:23], v[22:23], v[24:25]
	v_mov_b32_e32 v26, v27
	v_mov_b32_e32 v24, v23
	v_pk_add_f32 v[32:33], v[24:25], v[10:11] neg_lo:[0,1] neg_hi:[0,1]
	v_mov_b32_e32 v22, v29
	v_mov_b32_e32 v13, v32
	v_pk_add_f32 v[34:35], v[28:29], v[12:13] neg_lo:[0,1] neg_hi:[0,1]
	v_mov_b32_e32 v28, v11
	v_mov_b32_e32 v29, v32
	;; [unrolled: 1-line block ×3, first 2 shown]
	v_pk_add_f32 v[22:23], v[22:23], v[28:29] neg_lo:[0,1] neg_hi:[0,1]
	v_mov_b32_e32 v27, v10
	v_pk_add_f32 v[10:11], v[26:27], v[22:23] neg_lo:[0,1] neg_hi:[0,1]
	v_mov_b32_e32 v34, v30
	v_pk_add_f32 v[22:23], v[34:35], v[10:11]
	s_mov_b32 s2, 0x7f800000
	v_mov_b32_e32 v26, v23
	v_pk_add_f32 v[26:27], v[22:23], v[26:27]
	v_cmp_eq_f32_e32 vcc, s2, v36
	v_pk_add_f32 v[24:25], v[24:25], v[26:27]
	v_mov_b32_e32 v11, v26
	v_mov_b32_e32 v23, v24
	v_pk_add_f32 v[28:29], v[22:23], v[30:31] neg_lo:[0,1] neg_hi:[0,1]
	s_mov_b32 s2, 0x33800000
	v_sub_f32_e32 v13, v22, v28
	v_pk_add_f32 v[10:11], v[10:11], v[28:29] neg_lo:[0,1] neg_hi:[0,1]
	v_sub_f32_e32 v13, v30, v13
	v_add_f32_e32 v10, v10, v13
	v_add_f32_e32 v10, v10, v11
	v_cmp_gt_f32_e64 s[2:3], s2, v36
	v_add_f32_e32 v10, v24, v10
	s_or_b64 vcc, s[2:3], vcc
	v_cndmask_b32_e32 v21, v10, v36, vcc
.LBB141_58:                             ;   in Loop: Header=BB141_12 Depth=1
	s_or_b64 exec, exec, s[36:37]
	v_readlane_b32 s2, v95, 12
	v_readlane_b32 s3, v95, 13
	v_mul_f32_e32 v22, s33, v8
	v_mul_f32_e32 v25, s33, v7
	;; [unrolled: 1-line block ×8, first 2 shown]
	s_and_b64 vcc, exec, s[2:3]
	s_waitcnt lgkmcnt(0)
	; wave barrier
	s_cbranch_vccz .LBB141_119
; %bb.59:                               ;   in Loop: Header=BB141_12 Depth=1
	v_mul_f32_e32 v94, v0, v80
	scratch_load_dword v0, off, off         ; 4-byte Folded Reload
	v_writelane_b32 v95, s42, 30
	s_cmp_lg_u32 s44, 0
	s_cselect_b64 s[2:3], -1, 0
	v_writelane_b32 v95, s43, 31
	s_mov_b64 s[54:55], s[38:39]
	v_readlane_b32 s36, v95, 17
	v_readlane_b32 s56, v95, 14
	s_cmp_eq_u32 s44, s36
	v_readlane_b32 s57, v95, 15
	s_cselect_b64 s[62:63], -1, 0
	v_lshl_add_u64 v[32:33], s[42:43], 0, v[2:3]
	s_mov_b32 s66, s44
	v_mul_f32_e32 v87, v9, v21
	v_lshl_add_u64 v[30:31], s[98:99], 0, v[2:3]
	v_mul_f32_e32 v88, v8, v86
	v_mul_f32_e32 v89, v7, v85
	;; [unrolled: 1-line block ×6, first 2 shown]
	s_mov_b32 s60, s52
	s_mov_b32 s92, 0
	;; [unrolled: 1-line block ×4, first 2 shown]
	s_mov_b64 s[64:65], s[54:55]
	s_mov_b32 s71, s55
	v_readlane_b32 s89, v95, 26
	s_waitcnt vmcnt(0)
	v_cmp_gt_u32_e32 vcc, s50, v0
	scratch_load_dword v0, off, off offset:4 ; 4-byte Folded Reload
	s_or_b64 s[36:37], s[56:57], vcc
	s_waitcnt vmcnt(0)
	v_cmp_gt_u32_e32 vcc, s50, v0
	scratch_load_dword v0, off, off offset:8 ; 4-byte Folded Reload
	s_or_b64 s[38:39], s[56:57], vcc
	;; [unrolled: 4-line block ×7, first 2 shown]
	s_waitcnt vmcnt(0)
	v_cmp_gt_u32_e32 vcc, s50, v0
	s_or_b64 s[50:51], s[56:57], vcc
	s_branch .LBB141_61
.LBB141_60:                             ;   in Loop: Header=BB141_61 Depth=2
	s_or_b64 exec, exec, s[78:79]
	v_mul_f32_e32 v10, v69, v44
	v_fma_f32 v11, v69, v45, v34
	v_cndmask_b32_e64 v34, v11, v34, s[16:17]
	v_cndmask_b32_e64 v10, v10, v69, s[16:17]
	s_waitcnt lgkmcnt(0)
	v_fmac_f32_e32 v34, v42, v10
	v_fmac_f32_e32 v35, v34, v70
	;; [unrolled: 1-line block ×4, first 2 shown]
	v_readlane_b32 s72, v95, 18
	v_fmac_f32_e32 v40, v37, v73
	v_readlane_b32 s73, v95, 19
	v_readlane_b32 s74, v95, 20
	;; [unrolled: 1-line block ×7, first 2 shown]
	v_fmac_f32_e32 v41, v40, v74
	s_add_i32 s94, s94, s72
	v_readlane_b32 s72, v95, 0
	v_fmac_f32_e32 v38, v41, v75
	v_readlane_b32 s73, v95, 1
	v_readlane_b32 s76, v95, 4
	v_fmac_f32_e32 v39, v38, v13
	s_add_i32 s89, s89, 8
	s_add_i32 s71, s71, -1
	s_add_i32 s96, s96, s70
	s_add_i32 s92, s92, s76
	;; [unrolled: 1-line block ×3, first 2 shown]
	v_pk_fma_f32 v[28:29], v[8:9], v[34:35], v[28:29]
	v_pk_fma_f32 v[26:27], v[6:7], v[36:37], v[26:27]
	v_pk_fma_f32 v[24:25], v[4:5], v[40:41], v[24:25]
	s_cmp_eq_u32 s71, 0
	v_pk_fma_f32 v[22:23], v[0:1], v[38:39], v[22:23]
	v_readlane_b32 s74, v95, 2
	v_readlane_b32 s75, v95, 3
	;; [unrolled: 1-line block ×5, first 2 shown]
	s_mov_b32 s53, s73
	s_mov_b32 s56, s76
	s_cbranch_scc1 .LBB141_118
.LBB141_61:                             ;   Parent Loop BB141_12 Depth=1
                                        ; =>  This Inner Loop Header: Depth=2
	s_lshl_b64 s[54:55], s[60:61], 2
	s_add_u32 s54, s88, s54
	s_addc_u32 s55, s84, s55
	global_load_dword v42, v3, s[54:55]
	s_mov_b32 s53, s52
	s_mov_b32 s93, s61
	;; [unrolled: 1-line block ×8, first 2 shown]
	v_mov_b64_e32 v[4:5], s[52:53]
	v_lshl_add_u64 v[0:1], s[92:93], 2, v[30:31]
	v_mov_b64_e32 v[6:7], s[54:55]
	v_mov_b64_e32 v[8:9], s[56:57]
	;; [unrolled: 1-line block ×3, first 2 shown]
	v_mov_b32_e32 v13, 0
	s_and_saveexec_b64 s[78:79], s[18:19]
	s_cbranch_execnz .LBB141_81
; %bb.62:                               ;   in Loop: Header=BB141_61 Depth=2
	s_or_b64 exec, exec, s[78:79]
	s_and_saveexec_b64 s[78:79], s[20:21]
	s_cbranch_execnz .LBB141_82
.LBB141_63:                             ;   in Loop: Header=BB141_61 Depth=2
	s_or_b64 exec, exec, s[78:79]
	s_and_saveexec_b64 s[78:79], s[22:23]
	s_cbranch_execnz .LBB141_83
.LBB141_64:                             ;   in Loop: Header=BB141_61 Depth=2
	s_or_b64 exec, exec, s[78:79]
	s_and_saveexec_b64 s[78:79], s[24:25]
	s_cbranch_execnz .LBB141_84
.LBB141_65:                             ;   in Loop: Header=BB141_61 Depth=2
	s_or_b64 exec, exec, s[78:79]
	s_and_saveexec_b64 s[78:79], s[26:27]
	s_cbranch_execnz .LBB141_85
.LBB141_66:                             ;   in Loop: Header=BB141_61 Depth=2
	s_or_b64 exec, exec, s[78:79]
	s_and_saveexec_b64 s[78:79], s[28:29]
	s_cbranch_execnz .LBB141_86
.LBB141_67:                             ;   in Loop: Header=BB141_61 Depth=2
	s_or_b64 exec, exec, s[78:79]
	s_and_saveexec_b64 s[78:79], s[30:31]
	s_cbranch_execnz .LBB141_87
.LBB141_68:                             ;   in Loop: Header=BB141_61 Depth=2
	s_or_b64 exec, exec, s[78:79]
	s_and_saveexec_b64 s[78:79], s[34:35]
	s_cbranch_execz .LBB141_70
.LBB141_69:                             ;   in Loop: Header=BB141_61 Depth=2
	global_load_dword v11, v[0:1], off offset:1792
.LBB141_70:                             ;   in Loop: Header=BB141_61 Depth=2
	s_or_b64 exec, exec, s[78:79]
	s_waitcnt vmcnt(0)
	ds_write_b32 v51, v13
	ds_write_b32 v52, v5 offset:256
	ds_write_b32 v53, v6 offset:512
	;; [unrolled: 1-line block ×7, first 2 shown]
	; wave barrier
	ds_read2_b32 v[34:35], v59 offset1:1
	ds_read2_b32 v[36:37], v59 offset0:2 offset1:3
	ds_read2_b32 v[40:41], v59 offset0:4 offset1:5
	;; [unrolled: 1-line block ×3, first 2 shown]
	s_mov_b32 s72, s61
	s_mov_b32 s73, s61
	;; [unrolled: 1-line block ×9, first 2 shown]
	v_mov_b64_e32 v[4:5], s[72:73]
	v_lshl_add_u64 v[0:1], s[94:95], 2, v[32:33]
	v_mov_b64_e32 v[6:7], s[74:75]
	v_mov_b64_e32 v[8:9], s[76:77]
	;; [unrolled: 1-line block ×3, first 2 shown]
	v_mov_b32_e32 v13, 0
	s_and_saveexec_b64 s[78:79], s[18:19]
	s_cbranch_execnz .LBB141_88
; %bb.71:                               ;   in Loop: Header=BB141_61 Depth=2
	s_or_b64 exec, exec, s[78:79]
	s_and_saveexec_b64 s[78:79], s[20:21]
	s_cbranch_execnz .LBB141_89
.LBB141_72:                             ;   in Loop: Header=BB141_61 Depth=2
	s_or_b64 exec, exec, s[78:79]
	s_and_saveexec_b64 s[78:79], s[22:23]
	s_cbranch_execnz .LBB141_90
.LBB141_73:                             ;   in Loop: Header=BB141_61 Depth=2
	s_or_b64 exec, exec, s[78:79]
	s_and_saveexec_b64 s[78:79], s[24:25]
	s_cbranch_execnz .LBB141_91
.LBB141_74:                             ;   in Loop: Header=BB141_61 Depth=2
	s_or_b64 exec, exec, s[78:79]
	s_and_saveexec_b64 s[78:79], s[26:27]
	s_cbranch_execnz .LBB141_92
.LBB141_75:                             ;   in Loop: Header=BB141_61 Depth=2
	s_or_b64 exec, exec, s[78:79]
	s_and_saveexec_b64 s[78:79], s[28:29]
	s_cbranch_execnz .LBB141_93
.LBB141_76:                             ;   in Loop: Header=BB141_61 Depth=2
	s_or_b64 exec, exec, s[78:79]
	s_and_saveexec_b64 s[78:79], s[30:31]
	s_cbranch_execnz .LBB141_94
.LBB141_77:                             ;   in Loop: Header=BB141_61 Depth=2
	s_or_b64 exec, exec, s[78:79]
	s_and_saveexec_b64 s[78:79], s[34:35]
	s_cbranch_execz .LBB141_79
.LBB141_78:                             ;   in Loop: Header=BB141_61 Depth=2
	global_load_dword v11, v[0:1], off offset:1792
.LBB141_79:                             ;   in Loop: Header=BB141_61 Depth=2
	s_or_b64 exec, exec, s[78:79]
	v_add_u32_e32 v0, 0x840, v59
	s_waitcnt vmcnt(0)
	ds_write_b32 v51, v13 offset:2112
	ds_write_b32 v60, v5 offset:256
	;; [unrolled: 1-line block ×8, first 2 shown]
	; wave barrier
	ds_read2_b32 v[6:7], v67 offset0:2 offset1:3
	ds_read2_b32 v[4:5], v67 offset0:4 offset1:5
	ds_read2_b32 v[8:9], v0 offset1:1
	ds_read2_b32 v[0:1], v67 offset0:6 offset1:7
	s_andn2_b64 vcc, exec, s[2:3]
	s_cbranch_vccnz .LBB141_95
; %bb.80:                               ;   in Loop: Header=BB141_61 Depth=2
	v_mov_b32_e32 v10, s89
	ds_read_b64 v[10:11], v10
	s_cbranch_execz .LBB141_96
	s_branch .LBB141_99
.LBB141_81:                             ;   in Loop: Header=BB141_61 Depth=2
	global_load_dword v13, v[0:1], off
	v_mov_b32_e32 v4, v3
	v_mov_b32_e32 v5, v3
	v_mov_b32_e32 v6, v3
	v_mov_b32_e32 v7, v3
	v_mov_b32_e32 v8, v3
	v_mov_b32_e32 v9, v3
	v_mov_b64_e32 v[10:11], v[8:9]
	v_mov_b64_e32 v[8:9], v[6:7]
	;; [unrolled: 1-line block ×4, first 2 shown]
	s_or_b64 exec, exec, s[78:79]
	s_and_saveexec_b64 s[78:79], s[20:21]
	s_cbranch_execz .LBB141_63
.LBB141_82:                             ;   in Loop: Header=BB141_61 Depth=2
	global_load_dword v5, v[0:1], off offset:256
	s_or_b64 exec, exec, s[78:79]
	s_and_saveexec_b64 s[78:79], s[22:23]
	s_cbranch_execz .LBB141_64
.LBB141_83:                             ;   in Loop: Header=BB141_61 Depth=2
	global_load_dword v6, v[0:1], off offset:512
	s_or_b64 exec, exec, s[78:79]
	s_and_saveexec_b64 s[78:79], s[24:25]
	s_cbranch_execz .LBB141_65
.LBB141_84:                             ;   in Loop: Header=BB141_61 Depth=2
	global_load_dword v7, v[0:1], off offset:768
	s_or_b64 exec, exec, s[78:79]
	s_and_saveexec_b64 s[78:79], s[26:27]
	s_cbranch_execz .LBB141_66
.LBB141_85:                             ;   in Loop: Header=BB141_61 Depth=2
	global_load_dword v8, v[0:1], off offset:1024
	s_or_b64 exec, exec, s[78:79]
	s_and_saveexec_b64 s[78:79], s[28:29]
	s_cbranch_execz .LBB141_67
.LBB141_86:                             ;   in Loop: Header=BB141_61 Depth=2
	global_load_dword v9, v[0:1], off offset:1280
	s_or_b64 exec, exec, s[78:79]
	s_and_saveexec_b64 s[78:79], s[30:31]
	s_cbranch_execz .LBB141_68
.LBB141_87:                             ;   in Loop: Header=BB141_61 Depth=2
	global_load_dword v10, v[0:1], off offset:1536
	s_or_b64 exec, exec, s[78:79]
	s_and_saveexec_b64 s[78:79], s[34:35]
	s_cbranch_execnz .LBB141_69
	s_branch .LBB141_70
.LBB141_88:                             ;   in Loop: Header=BB141_61 Depth=2
	global_load_dword v13, v[0:1], off
	v_mov_b32_e32 v4, v3
	v_mov_b32_e32 v5, v3
	;; [unrolled: 1-line block ×6, first 2 shown]
	v_mov_b64_e32 v[10:11], v[8:9]
	v_mov_b64_e32 v[8:9], v[6:7]
	;; [unrolled: 1-line block ×4, first 2 shown]
	s_or_b64 exec, exec, s[78:79]
	s_and_saveexec_b64 s[78:79], s[20:21]
	s_cbranch_execz .LBB141_72
.LBB141_89:                             ;   in Loop: Header=BB141_61 Depth=2
	global_load_dword v5, v[0:1], off offset:256
	s_or_b64 exec, exec, s[78:79]
	s_and_saveexec_b64 s[78:79], s[22:23]
	s_cbranch_execz .LBB141_73
.LBB141_90:                             ;   in Loop: Header=BB141_61 Depth=2
	global_load_dword v6, v[0:1], off offset:512
	s_or_b64 exec, exec, s[78:79]
	s_and_saveexec_b64 s[78:79], s[24:25]
	s_cbranch_execz .LBB141_74
.LBB141_91:                             ;   in Loop: Header=BB141_61 Depth=2
	global_load_dword v7, v[0:1], off offset:768
	s_or_b64 exec, exec, s[78:79]
	s_and_saveexec_b64 s[78:79], s[26:27]
	s_cbranch_execz .LBB141_75
.LBB141_92:                             ;   in Loop: Header=BB141_61 Depth=2
	global_load_dword v8, v[0:1], off offset:1024
	s_or_b64 exec, exec, s[78:79]
	s_and_saveexec_b64 s[78:79], s[28:29]
	s_cbranch_execz .LBB141_76
.LBB141_93:                             ;   in Loop: Header=BB141_61 Depth=2
	global_load_dword v9, v[0:1], off offset:1280
	s_or_b64 exec, exec, s[78:79]
	s_and_saveexec_b64 s[78:79], s[30:31]
	s_cbranch_execz .LBB141_77
.LBB141_94:                             ;   in Loop: Header=BB141_61 Depth=2
	global_load_dword v10, v[0:1], off offset:1536
	s_or_b64 exec, exec, s[78:79]
	s_and_saveexec_b64 s[78:79], s[34:35]
	s_cbranch_execnz .LBB141_78
	s_branch .LBB141_79
.LBB141_95:                             ;   in Loop: Header=BB141_61 Depth=2
                                        ; implicit-def: $vgpr11
.LBB141_96:                             ;   in Loop: Header=BB141_61 Depth=2
	s_andn2_b64 vcc, exec, s[90:91]
	s_waitcnt lgkmcnt(0)
	v_mov_b32_e32 v11, 0
	s_cbranch_vccnz .LBB141_98
; %bb.97:                               ;   in Loop: Header=BB141_61 Depth=2
	s_mov_b32 s97, s61
	s_lshl_b64 s[54:55], s[96:97], 2
	v_readlane_b32 s53, v95, 8
	s_add_u32 s54, s53, s54
	v_readlane_b32 s53, v95, 9
	s_addc_u32 s55, s53, s55
	global_load_dword v11, v3, s[54:55]
.LBB141_98:                             ;   in Loop: Header=BB141_61 Depth=2
	v_mov_b32_e32 v10, 1.0
.LBB141_99:                             ;   in Loop: Header=BB141_61 Depth=2
	v_mul_f32_e32 v13, 0x3fb8aa3b, v42
	v_mul_f32_e32 v42, v13, v80
	v_cmp_gt_f32_e32 vcc, s85, v42
	s_waitcnt lgkmcnt(14)
	v_mul_f32_e32 v34, v34, v94
	v_mul_f32_e32 v35, v35, v93
	v_cndmask_b32_e32 v42, 0, v78, vcc
	v_fmac_f32_e32 v42, v13, v80
	v_exp_f32_e32 v42, v42
	v_cndmask_b32_e32 v43, 1.0, v79, vcc
	v_cndmask_b32_e64 v34, 0, v34, s[36:37]
	v_cndmask_b32_e64 v35, 0, v35, s[38:39]
	v_mul_f32_e32 v42, v42, v43
	v_mul_f32_e32 v43, v13, v81
	v_cmp_gt_f32_e32 vcc, s85, v43
	v_cndmask_b32_e64 v69, 1.0, v42, s[36:37]
	v_mul_f32_e32 v36, v36, v92
	v_cndmask_b32_e32 v43, 0, v78, vcc
	v_fmac_f32_e32 v43, v13, v81
	v_exp_f32_e32 v43, v43
	v_cndmask_b32_e32 v42, 1.0, v79, vcc
	v_cndmask_b32_e64 v36, 0, v36, s[40:41]
	v_mul_f32_e32 v37, v37, v91
	v_mul_f32_e32 v42, v43, v42
	;; [unrolled: 1-line block ×3, first 2 shown]
	v_cmp_gt_f32_e32 vcc, s85, v43
	v_cndmask_b32_e64 v70, 1.0, v42, s[38:39]
	v_cndmask_b32_e64 v37, 0, v37, s[42:43]
	v_cndmask_b32_e32 v43, 0, v78, vcc
	v_fmac_f32_e32 v43, v13, v82
	v_exp_f32_e32 v43, v43
	v_cndmask_b32_e32 v42, 1.0, v79, vcc
	s_waitcnt lgkmcnt(13)
	v_mul_f32_e32 v40, v40, v90
	v_cndmask_b32_e64 v40, 0, v40, s[44:45]
	v_mul_f32_e32 v42, v43, v42
	v_mul_f32_e32 v43, v13, v83
	v_cmp_gt_f32_e32 vcc, s85, v43
	v_cndmask_b32_e64 v71, 1.0, v42, s[40:41]
	v_mul_f32_e32 v41, v41, v89
	v_cndmask_b32_e32 v43, 0, v78, vcc
	v_fmac_f32_e32 v43, v13, v83
	v_exp_f32_e32 v43, v43
	v_cndmask_b32_e32 v42, 1.0, v79, vcc
	v_cndmask_b32_e64 v41, 0, v41, s[46:47]
	s_waitcnt lgkmcnt(12)
	v_mul_f32_e32 v38, v38, v88
	v_mul_f32_e32 v42, v43, v42
	;; [unrolled: 1-line block ×3, first 2 shown]
	v_cmp_gt_f32_e32 vcc, s85, v43
	v_cndmask_b32_e64 v72, 1.0, v42, s[42:43]
	v_cndmask_b32_e64 v38, 0, v38, s[48:49]
	v_cndmask_b32_e32 v43, 0, v78, vcc
	v_fmac_f32_e32 v43, v13, v84
	v_exp_f32_e32 v43, v43
	v_cndmask_b32_e32 v42, 1.0, v79, vcc
	v_mul_f32_e32 v39, v39, v87
	v_cndmask_b32_e64 v39, 0, v39, s[50:51]
	v_mul_f32_e32 v42, v43, v42
	v_mul_f32_e32 v43, v13, v85
	v_cmp_gt_f32_e32 vcc, s85, v43
	v_cndmask_b32_e64 v73, 1.0, v42, s[44:45]
	s_nop 0
	v_cndmask_b32_e32 v43, 0, v78, vcc
	v_fmac_f32_e32 v43, v13, v85
	v_exp_f32_e32 v43, v43
	v_cndmask_b32_e32 v42, 1.0, v79, vcc
	v_mul_f32_e32 v42, v43, v42
	v_mul_f32_e32 v43, v13, v86
	v_cmp_gt_f32_e32 vcc, s85, v43
	v_cndmask_b32_e64 v74, 1.0, v42, s[46:47]
	s_nop 0
	v_cndmask_b32_e32 v43, 0, v78, vcc
	v_fmac_f32_e32 v43, v13, v86
	v_exp_f32_e32 v43, v43
	v_cndmask_b32_e32 v42, 1.0, v79, vcc
	;; [unrolled: 9-line block ×3, first 2 shown]
	v_fma_f32 v43, v70, v34, v35
	v_fma_f32 v43, v43, v71, v36
	v_mul_f32_e32 v13, v13, v42
	v_mul_f32_e32 v42, v70, v69
	;; [unrolled: 1-line block ×4, first 2 shown]
	v_fma_f32 v43, v43, v72, v37
	v_mul_f32_e32 v42, v42, v73
	v_fma_f32 v43, v43, v73, v40
	v_mul_f32_e32 v42, v42, v74
	v_fma_f32 v43, v43, v74, v41
	v_cndmask_b32_e64 v13, 1.0, v13, s[50:51]
	v_mul_f32_e32 v42, v42, v75
	v_fma_f32 v43, v43, v75, v38
	v_mul_f32_e32 v42, v42, v13
	v_fma_f32 v46, v43, v13, v39
	s_nop 0
	v_mov_b32_dpp v45, v42 row_shr:1 row_mask:0xf bank_mask:0xf
	v_mov_b32_dpp v44, v46 row_shr:1 row_mask:0xf bank_mask:0xf
	s_and_saveexec_b64 s[78:79], s[0:1]
; %bb.100:                              ;   in Loop: Header=BB141_61 Depth=2
	v_mul_f32_e32 v45, v42, v45
	v_fmac_f32_e32 v46, v42, v44
	v_mov_b32_e32 v42, v45
; %bb.101:                              ;   in Loop: Header=BB141_61 Depth=2
	s_or_b64 exec, exec, s[78:79]
	s_nop 0
	v_mov_b32_dpp v44, v42 row_shr:2 row_mask:0xf bank_mask:0xf
	v_mov_b32_dpp v45, v46 row_shr:2 row_mask:0xf bank_mask:0xf
	s_and_saveexec_b64 s[78:79], s[82:83]
; %bb.102:                              ;   in Loop: Header=BB141_61 Depth=2
	v_fmac_f32_e32 v46, v42, v45
	v_mul_f32_e32 v42, v42, v44
; %bb.103:                              ;   in Loop: Header=BB141_61 Depth=2
	s_or_b64 exec, exec, s[78:79]
	s_nop 0
	v_mov_b32_dpp v44, v42 row_shr:4 row_mask:0xf bank_mask:0xf
	v_mov_b32_dpp v45, v46 row_shr:4 row_mask:0xf bank_mask:0xf
	s_and_saveexec_b64 s[78:79], s[4:5]
; %bb.104:                              ;   in Loop: Header=BB141_61 Depth=2
	v_fmac_f32_e32 v46, v42, v45
	v_mul_f32_e32 v42, v42, v44
	;; [unrolled: 9-line block ×3, first 2 shown]
; %bb.107:                              ;   in Loop: Header=BB141_61 Depth=2
	s_or_b64 exec, exec, s[78:79]
	s_nop 0
	v_mov_b32_dpp v44, v42 row_bcast:15 row_mask:0xf bank_mask:0xf
	v_mov_b32_dpp v45, v46 row_bcast:15 row_mask:0xf bank_mask:0xf
	s_and_saveexec_b64 s[78:79], s[8:9]
; %bb.108:                              ;   in Loop: Header=BB141_61 Depth=2
	v_fmac_f32_e32 v46, v42, v45
	v_mul_f32_e32 v42, v42, v44
; %bb.109:                              ;   in Loop: Header=BB141_61 Depth=2
	s_or_b64 exec, exec, s[78:79]
	s_nop 0
	v_mov_b32_dpp v44, v42 row_bcast:31 row_mask:0xf bank_mask:0xf
	v_mov_b32_dpp v45, v46 row_bcast:31 row_mask:0xf bank_mask:0xf
	v_mov_b32_e32 v43, v46
	v_mul_f32_e32 v44, v42, v44
	v_fmac_f32_e32 v43, v42, v45
	v_cndmask_b32_e64 v42, v42, v44, s[10:11]
	v_cndmask_b32_e64 v43, v46, v43, s[10:11]
	s_and_saveexec_b64 s[78:79], s[12:13]
	s_cbranch_execz .LBB141_111
; %bb.110:                              ;   in Loop: Header=BB141_61 Depth=2
	ds_write_b64 v3, v[42:43] offset:4224
.LBB141_111:                            ;   in Loop: Header=BB141_61 Depth=2
	s_or_b64 exec, exec, s[78:79]
	ds_bpermute_b32 v44, v68, v42
	ds_bpermute_b32 v45, v68, v43
	s_waitcnt vmcnt(0) lgkmcnt(2)
	v_mov_b32_e32 v43, v11
	s_waitcnt lgkmcnt(0)
	; wave barrier
	s_waitcnt lgkmcnt(0)
	s_and_saveexec_b64 s[78:79], s[14:15]
	s_cbranch_execz .LBB141_115
; %bb.112:                              ;   in Loop: Header=BB141_61 Depth=2
	ds_read_b64 v[42:43], v3 offset:4224
	s_and_saveexec_b64 s[80:81], s[16:17]
	s_cbranch_execz .LBB141_114
; %bb.113:                              ;   in Loop: Header=BB141_61 Depth=2
	ds_write_b64 v3, v[10:11] offset:4224
.LBB141_114:                            ;   in Loop: Header=BB141_61 Depth=2
	s_or_b64 exec, exec, s[80:81]
	s_waitcnt lgkmcnt(0)
	v_fmac_f32_e32 v43, v11, v42
	v_mul_f32_e32 v10, v10, v42
	v_mov_b32_e32 v11, v43
.LBB141_115:                            ;   in Loop: Header=BB141_61 Depth=2
	s_or_b64 exec, exec, s[78:79]
	s_waitcnt lgkmcnt(0)
	; wave barrier
	ds_read_b32 v42, v3 offset:4228
	s_and_saveexec_b64 s[78:79], s[16:17]
	s_cbranch_execz .LBB141_60
; %bb.116:                              ;   in Loop: Header=BB141_61 Depth=2
	v_mov_b32_e32 v46, s89
	s_andn2_b64 vcc, exec, s[62:63]
	ds_write_b64 v46, v[10:11]
	s_cbranch_vccnz .LBB141_60
; %bb.117:                              ;   in Loop: Header=BB141_61 Depth=2
	s_mov_b32 s97, s61
	s_lshl_b64 s[54:55], s[96:97], 2
	v_readlane_b32 s53, v95, 8
	s_add_u32 s54, s53, s54
	v_readlane_b32 s53, v95, 9
	s_addc_u32 s55, s53, s55
	global_store_dword v3, v43, s[54:55]
	s_branch .LBB141_60
.LBB141_118:                            ;   in Loop: Header=BB141_12 Depth=1
	v_readlane_b32 s42, v95, 30
	s_mov_b64 s[38:39], s[64:65]
	v_readlane_b32 s40, v95, 27
	v_readlane_b32 s43, v95, 31
	s_mov_b32 s44, s66
.LBB141_119:                            ;   in Loop: Header=BB141_12 Depth=1
	s_waitcnt lgkmcnt(0)
	; wave barrier
	ds_write2_b32 v59, v28, v29 offset1:1
	ds_write2_b32 v59, v26, v27 offset0:2 offset1:3
	ds_write2_b32 v59, v24, v25 offset0:4 offset1:5
	;; [unrolled: 1-line block ×3, first 2 shown]
	; wave barrier
	ds_read_b32 v10, v52 offset:256
	ds_read_b32 v9, v53 offset:512
	;; [unrolled: 1-line block ×7, first 2 shown]
	v_readlane_b32 s2, v95, 28
	v_readlane_b32 s3, v95, 29
	s_mov_b32 s3, s61
	s_mov_b64 s[46:47], s[2:3]
	v_lshl_add_u64 v[0:1], s[2:3], 2, v[14:15]
	s_and_saveexec_b64 s[2:3], s[18:19]
	s_cbranch_execnz .LBB141_147
; %bb.120:                              ;   in Loop: Header=BB141_12 Depth=1
	s_or_b64 exec, exec, s[2:3]
	s_and_saveexec_b64 s[2:3], s[20:21]
	s_cbranch_execnz .LBB141_148
.LBB141_121:                            ;   in Loop: Header=BB141_12 Depth=1
	s_or_b64 exec, exec, s[2:3]
	s_and_saveexec_b64 s[2:3], s[22:23]
	s_cbranch_execnz .LBB141_149
.LBB141_122:                            ;   in Loop: Header=BB141_12 Depth=1
	s_or_b64 exec, exec, s[2:3]
	s_and_saveexec_b64 s[2:3], s[24:25]
	s_cbranch_execnz .LBB141_150
.LBB141_123:                            ;   in Loop: Header=BB141_12 Depth=1
	s_or_b64 exec, exec, s[2:3]
	s_and_saveexec_b64 s[2:3], s[26:27]
	s_cbranch_execnz .LBB141_151
.LBB141_124:                            ;   in Loop: Header=BB141_12 Depth=1
	s_or_b64 exec, exec, s[2:3]
	s_and_saveexec_b64 s[2:3], s[28:29]
	s_cbranch_execnz .LBB141_152
.LBB141_125:                            ;   in Loop: Header=BB141_12 Depth=1
	s_or_b64 exec, exec, s[2:3]
	s_and_saveexec_b64 s[2:3], s[30:31]
	s_cbranch_execnz .LBB141_153
.LBB141_126:                            ;   in Loop: Header=BB141_12 Depth=1
	s_or_b64 exec, exec, s[2:3]
	s_and_saveexec_b64 s[2:3], s[34:35]
	s_cbranch_execz .LBB141_128
.LBB141_127:                            ;   in Loop: Header=BB141_12 Depth=1
	s_waitcnt lgkmcnt(0)
	global_store_dword v[0:1], v4, off offset:1792
.LBB141_128:                            ;   in Loop: Header=BB141_12 Depth=1
	s_or_b64 exec, exec, s[2:3]
	s_mov_b32 s60, s61
	s_mov_b32 s62, s61
	;; [unrolled: 1-line block ×7, first 2 shown]
	s_waitcnt lgkmcnt(0)
	v_mov_b64_e32 v[4:5], s[60:61]
	v_lshl_add_u64 v[0:1], s[46:47], 2, v[16:17]
	v_mov_b64_e32 v[6:7], s[62:63]
	v_mov_b64_e32 v[8:9], s[64:65]
	;; [unrolled: 1-line block ×3, first 2 shown]
	v_mov_b32_e32 v13, 0
	s_waitcnt lgkmcnt(0)
	; wave barrier
	s_and_saveexec_b64 s[2:3], s[18:19]
	s_cbranch_execnz .LBB141_154
; %bb.129:                              ;   in Loop: Header=BB141_12 Depth=1
	s_or_b64 exec, exec, s[2:3]
	s_and_saveexec_b64 s[2:3], s[20:21]
	s_cbranch_execnz .LBB141_155
.LBB141_130:                            ;   in Loop: Header=BB141_12 Depth=1
	s_or_b64 exec, exec, s[2:3]
	s_and_saveexec_b64 s[2:3], s[22:23]
	s_cbranch_execnz .LBB141_156
.LBB141_131:                            ;   in Loop: Header=BB141_12 Depth=1
	s_or_b64 exec, exec, s[2:3]
	s_and_saveexec_b64 s[2:3], s[24:25]
	s_cbranch_execnz .LBB141_157
.LBB141_132:                            ;   in Loop: Header=BB141_12 Depth=1
	s_or_b64 exec, exec, s[2:3]
	s_and_saveexec_b64 s[2:3], s[26:27]
	s_cbranch_execnz .LBB141_158
.LBB141_133:                            ;   in Loop: Header=BB141_12 Depth=1
	s_or_b64 exec, exec, s[2:3]
	s_and_saveexec_b64 s[2:3], s[28:29]
	s_cbranch_execnz .LBB141_159
.LBB141_134:                            ;   in Loop: Header=BB141_12 Depth=1
	s_or_b64 exec, exec, s[2:3]
	s_and_saveexec_b64 s[2:3], s[30:31]
	s_cbranch_execnz .LBB141_160
.LBB141_135:                            ;   in Loop: Header=BB141_12 Depth=1
	s_or_b64 exec, exec, s[2:3]
	s_and_saveexec_b64 s[2:3], s[34:35]
	s_cbranch_execz .LBB141_137
.LBB141_136:                            ;   in Loop: Header=BB141_12 Depth=1
	global_load_dword v11, v[0:1], off offset:1792
.LBB141_137:                            ;   in Loop: Header=BB141_12 Depth=1
	s_or_b64 exec, exec, s[2:3]
	s_waitcnt vmcnt(0)
	ds_write_b32 v51, v13
	ds_write_b32 v52, v5 offset:256
	ds_write_b32 v53, v6 offset:512
	;; [unrolled: 1-line block ×7, first 2 shown]
	; wave barrier
	ds_read2_b32 v[0:1], v59 offset1:1
	ds_read2_b32 v[4:5], v59 offset0:2 offset1:3
	ds_read2_b32 v[6:7], v59 offset0:4 offset1:5
	;; [unrolled: 1-line block ×3, first 2 shown]
	s_mov_b32 s36, 0xbfb8aa3b
	s_waitcnt lgkmcnt(3)
	v_mul_f32_e32 v10, 0xbfb8aa3b, v1
	v_rndne_f32_e32 v11, v10
	v_sub_f32_e32 v13, v10, v11
	v_fma_f32 v10, v1, s36, -v10
	v_fmac_f32_e32 v10, 0xb2a5705f, v1
	v_add_f32_e32 v10, v13, v10
	v_exp_f32_e32 v10, v10
	v_cvt_i32_f32_e32 v11, v11
	s_mov_b32 s37, 0x42ce8ed0
	v_cmp_nlt_f32_e32 vcc, s37, v1
	s_mov_b32 s41, 0xc2b17218
	v_ldexp_f32 v10, v10, v11
	v_mul_f32_e32 v11, 0xbfb8aa3b, v0
	v_rndne_f32_e32 v13, v11
	v_sub_f32_e32 v21, v11, v13
	v_fma_f32 v11, v0, s36, -v11
	v_fmac_f32_e32 v11, 0xb2a5705f, v0
	v_add_f32_e32 v11, v21, v11
	v_exp_f32_e32 v21, v11
	v_cvt_i32_f32_e32 v13, v13
	v_cndmask_b32_e32 v10, 0, v10, vcc
	v_cmp_ngt_f32_e32 vcc, s41, v1
	s_waitcnt lgkmcnt(0)
	; wave barrier
	s_waitcnt lgkmcnt(0)
	v_cndmask_b32_e32 v11, v77, v10, vcc
	v_ldexp_f32 v10, v21, v13
	v_cmp_nlt_f32_e32 vcc, s37, v0
	s_nop 1
	v_cndmask_b32_e32 v10, 0, v10, vcc
	v_cmp_ngt_f32_e32 vcc, s41, v0
	s_nop 1
	v_cndmask_b32_e32 v10, v77, v10, vcc
	v_pk_add_f32 v[10:11], v[10:11], 1.0 op_sel_hi:[1,0]
	s_nop 0
	v_div_scale_f32 v13, s[2:3], v11, v11, v1
	v_rcp_f32_e32 v21, v13
	s_nop 0
	v_fma_f32 v30, -v13, v21, 1.0
	v_fmac_f32_e32 v21, v30, v21
	v_div_scale_f32 v30, vcc, v1, v11, v1
	v_mul_f32_e32 v31, v30, v21
	v_fma_f32 v32, -v13, v31, v30
	v_fmac_f32_e32 v31, v32, v21
	v_fma_f32 v13, -v13, v31, v30
	v_div_scale_f32 v30, s[2:3], v10, v10, v0
	v_rcp_f32_e32 v32, v30
	v_div_fmas_f32 v13, v13, v21, v31
	v_mul_f32_e32 v21, 0xbfb8aa3b, v5
	v_rndne_f32_e32 v31, v21
	v_sub_f32_e32 v33, v21, v31
	v_fma_f32 v21, v5, s36, -v21
	v_div_fixup_f32 v1, v13, v11, v1
	v_fma_f32 v11, -v30, v32, 1.0
	v_fmac_f32_e32 v21, 0xb2a5705f, v5
	v_fmac_f32_e32 v32, v11, v32
	v_div_scale_f32 v11, vcc, v0, v10, v0
	v_add_f32_e32 v21, v33, v21
	v_mul_f32_e32 v13, v11, v32
	v_exp_f32_e32 v21, v21
	v_cvt_i32_f32_e32 v31, v31
	v_fma_f32 v33, -v30, v13, v11
	v_fmac_f32_e32 v13, v33, v32
	v_fma_f32 v11, -v30, v13, v11
	v_mul_f32_e32 v30, 0xbfb8aa3b, v4
	v_ldexp_f32 v21, v21, v31
	v_rndne_f32_e32 v31, v30
	v_sub_f32_e32 v33, v30, v31
	v_fma_f32 v30, v4, s36, -v30
	v_fmac_f32_e32 v30, 0xb2a5705f, v4
	v_add_f32_e32 v30, v33, v30
	v_exp_f32_e32 v30, v30
	v_cvt_i32_f32_e32 v33, v31
	v_cmp_nlt_f32_e64 s[2:3], s37, v5
	v_div_fmas_f32 v11, v11, v32, v13
	v_div_fixup_f32 v0, v11, v10, v0
	v_cndmask_b32_e64 v21, 0, v21, s[2:3]
	v_cmp_ngt_f32_e64 s[2:3], s41, v5
	v_pk_mul_f32 v[0:1], v[0:1], v[28:29]
	s_nop 0
	v_cndmask_b32_e64 v31, v77, v21, s[2:3]
	v_ldexp_f32 v21, v30, v33
	v_cmp_nlt_f32_e64 s[2:3], s37, v4
	s_nop 1
	v_cndmask_b32_e64 v21, 0, v21, s[2:3]
	v_cmp_ngt_f32_e64 s[2:3], s41, v4
	s_nop 1
	v_cndmask_b32_e64 v30, v77, v21, s[2:3]
	v_pk_add_f32 v[30:31], v[30:31], 1.0 op_sel_hi:[1,0]
	s_nop 0
	v_div_scale_f32 v21, s[2:3], v31, v31, v5
	v_rcp_f32_e32 v33, v21
	s_nop 0
	v_fma_f32 v10, -v21, v33, 1.0
	v_fmac_f32_e32 v33, v10, v33
	v_div_scale_f32 v10, vcc, v5, v31, v5
	v_mul_f32_e32 v11, v10, v33
	v_fma_f32 v13, -v21, v11, v10
	v_fmac_f32_e32 v11, v13, v33
	v_fma_f32 v10, -v21, v11, v10
	v_div_scale_f32 v13, s[2:3], v30, v30, v4
	v_rcp_f32_e32 v21, v13
	v_div_fmas_f32 v10, v10, v33, v11
	v_mul_f32_e32 v11, 0xbfb8aa3b, v7
	v_rndne_f32_e32 v29, v11
	v_div_fixup_f32 v5, v10, v31, v5
	v_sub_f32_e32 v31, v11, v29
	v_fma_f32 v11, v7, s36, -v11
	v_fmac_f32_e32 v11, 0xb2a5705f, v7
	v_fma_f32 v10, -v13, v21, 1.0
	v_add_f32_e32 v11, v31, v11
	v_fmac_f32_e32 v21, v10, v21
	v_div_scale_f32 v10, vcc, v4, v30, v4
	v_exp_f32_e32 v11, v11
	v_cvt_i32_f32_e32 v29, v29
	v_mul_f32_e32 v28, v10, v21
	v_fma_f32 v31, -v13, v28, v10
	v_fmac_f32_e32 v28, v31, v21
	v_fma_f32 v13, -v13, v28, v10
	v_ldexp_f32 v10, v11, v29
	v_mul_f32_e32 v11, 0xbfb8aa3b, v6
	v_rndne_f32_e32 v29, v11
	v_sub_f32_e32 v31, v11, v29
	v_fma_f32 v11, v6, s36, -v11
	v_fmac_f32_e32 v11, 0xb2a5705f, v6
	v_add_f32_e32 v11, v31, v11
	v_exp_f32_e32 v31, v11
	v_cvt_i32_f32_e32 v29, v29
	v_cmp_nlt_f32_e64 s[2:3], s37, v7
	v_div_fmas_f32 v13, v13, v21, v28
	v_div_fixup_f32 v4, v13, v30, v4
	v_cndmask_b32_e64 v10, 0, v10, s[2:3]
	v_cmp_ngt_f32_e64 s[2:3], s41, v7
	v_pk_mul_f32 v[4:5], v[4:5], v[26:27]
	s_nop 0
	v_cndmask_b32_e64 v11, v77, v10, s[2:3]
	v_ldexp_f32 v10, v31, v29
	v_cmp_nlt_f32_e64 s[2:3], s37, v6
	s_nop 1
	v_cndmask_b32_e64 v10, 0, v10, s[2:3]
	v_cmp_ngt_f32_e64 s[2:3], s41, v6
	s_nop 1
	v_cndmask_b32_e64 v10, v77, v10, s[2:3]
	v_pk_add_f32 v[10:11], v[10:11], 1.0 op_sel_hi:[1,0]
	s_nop 0
	v_div_scale_f32 v29, s[2:3], v11, v11, v7
	v_rcp_f32_e32 v31, v29
	s_nop 0
	v_fma_f32 v13, -v29, v31, 1.0
	v_fmac_f32_e32 v31, v13, v31
	v_div_scale_f32 v13, vcc, v7, v11, v7
	v_mul_f32_e32 v21, v13, v31
	v_fma_f32 v26, -v29, v21, v13
	v_fmac_f32_e32 v21, v26, v31
	v_div_scale_f32 v26, s[2:3], v10, v10, v6
	v_fma_f32 v13, -v29, v21, v13
	v_rcp_f32_e32 v28, v26
	v_div_fmas_f32 v13, v13, v31, v21
	v_mul_f32_e32 v21, 0xbfb8aa3b, v9
	v_rndne_f32_e32 v27, v21
	v_sub_f32_e32 v29, v21, v27
	v_fma_f32 v21, v9, s36, -v21
	v_div_fixup_f32 v7, v13, v11, v7
	v_fma_f32 v11, -v26, v28, 1.0
	v_fmac_f32_e32 v21, 0xb2a5705f, v9
	v_fmac_f32_e32 v28, v11, v28
	v_div_scale_f32 v11, vcc, v6, v10, v6
	v_add_f32_e32 v21, v29, v21
	v_mul_f32_e32 v13, v11, v28
	v_exp_f32_e32 v21, v21
	v_cvt_i32_f32_e32 v27, v27
	v_fma_f32 v29, -v26, v13, v11
	v_fmac_f32_e32 v13, v29, v28
	v_fma_f32 v11, -v26, v13, v11
	v_mul_f32_e32 v26, 0xbfb8aa3b, v8
	v_ldexp_f32 v21, v21, v27
	v_rndne_f32_e32 v27, v26
	v_sub_f32_e32 v29, v26, v27
	v_fma_f32 v26, v8, s36, -v26
	v_fmac_f32_e32 v26, 0xb2a5705f, v8
	v_add_f32_e32 v26, v29, v26
	v_exp_f32_e32 v26, v26
	v_cvt_i32_f32_e32 v29, v27
	v_cmp_nlt_f32_e64 s[2:3], s37, v9
	v_div_fmas_f32 v11, v11, v28, v13
	v_div_fixup_f32 v6, v11, v10, v6
	v_cndmask_b32_e64 v21, 0, v21, s[2:3]
	v_cmp_ngt_f32_e64 s[2:3], s41, v9
	v_pk_mul_f32 v[6:7], v[6:7], v[24:25]
	s_nop 0
	v_cndmask_b32_e64 v27, v77, v21, s[2:3]
	v_ldexp_f32 v21, v26, v29
	v_cmp_nlt_f32_e64 s[2:3], s37, v8
	s_nop 1
	v_cndmask_b32_e64 v21, 0, v21, s[2:3]
	v_cmp_ngt_f32_e64 s[2:3], s41, v8
	s_nop 1
	v_cndmask_b32_e64 v26, v77, v21, s[2:3]
	v_pk_add_f32 v[26:27], v[26:27], 1.0 op_sel_hi:[1,0]
	s_nop 0
	v_div_scale_f32 v21, s[2:3], v27, v27, v9
	v_rcp_f32_e32 v29, v21
	s_nop 0
	v_fma_f32 v10, -v21, v29, 1.0
	v_fmac_f32_e32 v29, v10, v29
	v_div_scale_f32 v10, vcc, v9, v27, v9
	v_mul_f32_e32 v11, v10, v29
	v_fma_f32 v13, -v21, v11, v10
	v_fmac_f32_e32 v11, v13, v29
	v_div_scale_f32 v13, s[2:3], v26, v26, v8
	v_fma_f32 v10, -v21, v11, v10
	v_rcp_f32_e32 v21, v13
	v_div_fmas_f32 v10, v10, v29, v11
	v_div_fixup_f32 v9, v10, v27, v9
	v_fma_f32 v10, -v13, v21, 1.0
	v_fmac_f32_e32 v21, v10, v21
	v_div_scale_f32 v10, vcc, v8, v26, v8
	v_mul_f32_e32 v11, v10, v21
	v_fma_f32 v24, -v13, v11, v10
	v_fmac_f32_e32 v11, v24, v21
	v_fma_f32 v10, -v13, v11, v10
	v_div_fmas_f32 v10, v10, v21, v11
	v_div_fixup_f32 v8, v10, v26, v8
	v_pk_mul_f32 v[8:9], v[8:9], v[22:23]
	ds_write2_b32 v59, v0, v1 offset1:1
	ds_write2_b32 v59, v4, v5 offset0:2 offset1:3
	ds_write2_b32 v59, v6, v7 offset0:4 offset1:5
	ds_write2_b32 v59, v8, v9 offset0:6 offset1:7
	; wave barrier
	ds_read_b32 v10, v52 offset:256
	ds_read_b32 v9, v53 offset:512
	;; [unrolled: 1-line block ×7, first 2 shown]
	v_lshl_add_u64 v[0:1], s[46:47], 2, v[18:19]
	s_and_saveexec_b64 s[2:3], s[18:19]
	s_cbranch_execnz .LBB141_161
; %bb.138:                              ;   in Loop: Header=BB141_12 Depth=1
	s_or_b64 exec, exec, s[2:3]
	s_and_saveexec_b64 s[2:3], s[20:21]
	s_cbranch_execnz .LBB141_162
.LBB141_139:                            ;   in Loop: Header=BB141_12 Depth=1
	s_or_b64 exec, exec, s[2:3]
	s_and_saveexec_b64 s[2:3], s[22:23]
	s_cbranch_execnz .LBB141_163
.LBB141_140:                            ;   in Loop: Header=BB141_12 Depth=1
	s_or_b64 exec, exec, s[2:3]
	s_and_saveexec_b64 s[2:3], s[24:25]
	s_cbranch_execnz .LBB141_164
.LBB141_141:                            ;   in Loop: Header=BB141_12 Depth=1
	s_or_b64 exec, exec, s[2:3]
	s_and_saveexec_b64 s[2:3], s[26:27]
	s_cbranch_execnz .LBB141_165
.LBB141_142:                            ;   in Loop: Header=BB141_12 Depth=1
	s_or_b64 exec, exec, s[2:3]
	s_and_saveexec_b64 s[2:3], s[28:29]
	s_cbranch_execnz .LBB141_166
.LBB141_143:                            ;   in Loop: Header=BB141_12 Depth=1
	s_or_b64 exec, exec, s[2:3]
	s_and_saveexec_b64 s[2:3], s[30:31]
	s_cbranch_execnz .LBB141_167
.LBB141_144:                            ;   in Loop: Header=BB141_12 Depth=1
	s_or_b64 exec, exec, s[2:3]
	s_and_saveexec_b64 s[2:3], s[34:35]
	s_cbranch_execz .LBB141_11
	s_branch .LBB141_168
.LBB141_145:                            ;   in Loop: Header=BB141_12 Depth=1
	global_load_dword v26, v[10:11], off offset:1280
	s_or_b64 exec, exec, s[2:3]
	s_and_saveexec_b64 s[2:3], s[30:31]
	s_cbranch_execz .LBB141_40
.LBB141_146:                            ;   in Loop: Header=BB141_12 Depth=1
	global_load_dword v25, v[10:11], off offset:1536
	s_or_b64 exec, exec, s[2:3]
	v_mov_b32_e32 v27, 0
	s_and_saveexec_b64 s[2:3], s[34:35]
	s_cbranch_execnz .LBB141_41
	s_branch .LBB141_42
.LBB141_147:                            ;   in Loop: Header=BB141_12 Depth=1
	ds_read_b32 v11, v51
	s_waitcnt lgkmcnt(0)
	global_store_dword v[0:1], v11, off
	s_or_b64 exec, exec, s[2:3]
	s_and_saveexec_b64 s[2:3], s[20:21]
	s_cbranch_execz .LBB141_121
.LBB141_148:                            ;   in Loop: Header=BB141_12 Depth=1
	s_waitcnt lgkmcnt(6)
	global_store_dword v[0:1], v10, off offset:256
	s_or_b64 exec, exec, s[2:3]
	s_and_saveexec_b64 s[2:3], s[22:23]
	s_cbranch_execz .LBB141_122
.LBB141_149:                            ;   in Loop: Header=BB141_12 Depth=1
	s_waitcnt lgkmcnt(5)
	global_store_dword v[0:1], v9, off offset:512
	s_or_b64 exec, exec, s[2:3]
	s_and_saveexec_b64 s[2:3], s[24:25]
	s_cbranch_execz .LBB141_123
.LBB141_150:                            ;   in Loop: Header=BB141_12 Depth=1
	s_waitcnt lgkmcnt(4)
	global_store_dword v[0:1], v8, off offset:768
	s_or_b64 exec, exec, s[2:3]
	s_and_saveexec_b64 s[2:3], s[26:27]
	s_cbranch_execz .LBB141_124
.LBB141_151:                            ;   in Loop: Header=BB141_12 Depth=1
	s_waitcnt lgkmcnt(3)
	global_store_dword v[0:1], v7, off offset:1024
	s_or_b64 exec, exec, s[2:3]
	s_and_saveexec_b64 s[2:3], s[28:29]
	s_cbranch_execz .LBB141_125
.LBB141_152:                            ;   in Loop: Header=BB141_12 Depth=1
	s_waitcnt lgkmcnt(2)
	global_store_dword v[0:1], v6, off offset:1280
	s_or_b64 exec, exec, s[2:3]
	s_and_saveexec_b64 s[2:3], s[30:31]
	s_cbranch_execz .LBB141_126
.LBB141_153:                            ;   in Loop: Header=BB141_12 Depth=1
	s_waitcnt lgkmcnt(1)
	global_store_dword v[0:1], v5, off offset:1536
	s_or_b64 exec, exec, s[2:3]
	s_and_saveexec_b64 s[2:3], s[34:35]
	s_cbranch_execnz .LBB141_127
	s_branch .LBB141_128
.LBB141_154:                            ;   in Loop: Header=BB141_12 Depth=1
	global_load_dword v13, v[0:1], off
	v_mov_b32_e32 v4, v3
	v_mov_b32_e32 v5, v3
	;; [unrolled: 1-line block ×6, first 2 shown]
	v_mov_b64_e32 v[10:11], v[8:9]
	v_mov_b64_e32 v[8:9], v[6:7]
	;; [unrolled: 1-line block ×4, first 2 shown]
	s_or_b64 exec, exec, s[2:3]
	s_and_saveexec_b64 s[2:3], s[20:21]
	s_cbranch_execz .LBB141_130
.LBB141_155:                            ;   in Loop: Header=BB141_12 Depth=1
	global_load_dword v5, v[0:1], off offset:256
	s_or_b64 exec, exec, s[2:3]
	s_and_saveexec_b64 s[2:3], s[22:23]
	s_cbranch_execz .LBB141_131
.LBB141_156:                            ;   in Loop: Header=BB141_12 Depth=1
	global_load_dword v6, v[0:1], off offset:512
	s_or_b64 exec, exec, s[2:3]
	s_and_saveexec_b64 s[2:3], s[24:25]
	s_cbranch_execz .LBB141_132
.LBB141_157:                            ;   in Loop: Header=BB141_12 Depth=1
	global_load_dword v7, v[0:1], off offset:768
	s_or_b64 exec, exec, s[2:3]
	s_and_saveexec_b64 s[2:3], s[26:27]
	s_cbranch_execz .LBB141_133
.LBB141_158:                            ;   in Loop: Header=BB141_12 Depth=1
	global_load_dword v8, v[0:1], off offset:1024
	s_or_b64 exec, exec, s[2:3]
	s_and_saveexec_b64 s[2:3], s[28:29]
	s_cbranch_execz .LBB141_134
.LBB141_159:                            ;   in Loop: Header=BB141_12 Depth=1
	global_load_dword v9, v[0:1], off offset:1280
	s_or_b64 exec, exec, s[2:3]
	s_and_saveexec_b64 s[2:3], s[30:31]
	s_cbranch_execz .LBB141_135
.LBB141_160:                            ;   in Loop: Header=BB141_12 Depth=1
	global_load_dword v10, v[0:1], off offset:1536
	s_or_b64 exec, exec, s[2:3]
	s_and_saveexec_b64 s[2:3], s[34:35]
	s_cbranch_execnz .LBB141_136
	s_branch .LBB141_137
.LBB141_161:                            ;   in Loop: Header=BB141_12 Depth=1
	ds_read_b32 v11, v51
	s_waitcnt lgkmcnt(0)
	global_store_dword v[0:1], v11, off
	s_or_b64 exec, exec, s[2:3]
	s_and_saveexec_b64 s[2:3], s[20:21]
	s_cbranch_execz .LBB141_139
.LBB141_162:                            ;   in Loop: Header=BB141_12 Depth=1
	s_waitcnt lgkmcnt(6)
	global_store_dword v[0:1], v10, off offset:256
	s_or_b64 exec, exec, s[2:3]
	s_and_saveexec_b64 s[2:3], s[22:23]
	s_cbranch_execz .LBB141_140
.LBB141_163:                            ;   in Loop: Header=BB141_12 Depth=1
	s_waitcnt lgkmcnt(5)
	global_store_dword v[0:1], v9, off offset:512
	s_or_b64 exec, exec, s[2:3]
	s_and_saveexec_b64 s[2:3], s[24:25]
	s_cbranch_execz .LBB141_141
.LBB141_164:                            ;   in Loop: Header=BB141_12 Depth=1
	s_waitcnt lgkmcnt(4)
	global_store_dword v[0:1], v8, off offset:768
	s_or_b64 exec, exec, s[2:3]
	s_and_saveexec_b64 s[2:3], s[26:27]
	s_cbranch_execz .LBB141_142
.LBB141_165:                            ;   in Loop: Header=BB141_12 Depth=1
	s_waitcnt lgkmcnt(3)
	global_store_dword v[0:1], v7, off offset:1024
	s_or_b64 exec, exec, s[2:3]
	s_and_saveexec_b64 s[2:3], s[28:29]
	s_cbranch_execz .LBB141_143
.LBB141_166:                            ;   in Loop: Header=BB141_12 Depth=1
	s_waitcnt lgkmcnt(2)
	global_store_dword v[0:1], v6, off offset:1280
	s_or_b64 exec, exec, s[2:3]
	s_and_saveexec_b64 s[2:3], s[30:31]
	s_cbranch_execz .LBB141_144
.LBB141_167:                            ;   in Loop: Header=BB141_12 Depth=1
	s_waitcnt lgkmcnt(1)
	global_store_dword v[0:1], v5, off offset:1536
	s_or_b64 exec, exec, s[2:3]
	s_and_saveexec_b64 s[2:3], s[34:35]
	s_cbranch_execz .LBB141_11
.LBB141_168:                            ;   in Loop: Header=BB141_12 Depth=1
	s_waitcnt lgkmcnt(0)
	global_store_dword v[0:1], v4, off offset:1792
	s_branch .LBB141_11
.LBB141_169:
	s_endpgm
	.section	.rodata,"a",@progbits
	.p2align	6, 0x0
	.amdhsa_kernel _Z25selective_scan_fwd_kernelI32Selective_Scan_fwd_kernel_traitsILi64ELi8ELi1ELb0ELb1ELb1ELb1ELb0EfffEEv13SSMParamsBase
		.amdhsa_group_segment_fixed_size 0
		.amdhsa_private_segment_fixed_size 36
		.amdhsa_kernarg_size 248
		.amdhsa_user_sgpr_count 2
		.amdhsa_user_sgpr_dispatch_ptr 0
		.amdhsa_user_sgpr_queue_ptr 0
		.amdhsa_user_sgpr_kernarg_segment_ptr 1
		.amdhsa_user_sgpr_dispatch_id 0
		.amdhsa_user_sgpr_kernarg_preload_length 0
		.amdhsa_user_sgpr_kernarg_preload_offset 0
		.amdhsa_user_sgpr_private_segment_size 0
		.amdhsa_uses_dynamic_stack 0
		.amdhsa_enable_private_segment 1
		.amdhsa_system_sgpr_workgroup_id_x 1
		.amdhsa_system_sgpr_workgroup_id_y 1
		.amdhsa_system_sgpr_workgroup_id_z 0
		.amdhsa_system_sgpr_workgroup_info 0
		.amdhsa_system_vgpr_workitem_id 0
		.amdhsa_next_free_vgpr 96
		.amdhsa_next_free_sgpr 100
		.amdhsa_accum_offset 96
		.amdhsa_reserve_vcc 1
		.amdhsa_float_round_mode_32 0
		.amdhsa_float_round_mode_16_64 0
		.amdhsa_float_denorm_mode_32 3
		.amdhsa_float_denorm_mode_16_64 3
		.amdhsa_dx10_clamp 1
		.amdhsa_ieee_mode 1
		.amdhsa_fp16_overflow 0
		.amdhsa_tg_split 0
		.amdhsa_exception_fp_ieee_invalid_op 0
		.amdhsa_exception_fp_denorm_src 0
		.amdhsa_exception_fp_ieee_div_zero 0
		.amdhsa_exception_fp_ieee_overflow 0
		.amdhsa_exception_fp_ieee_underflow 0
		.amdhsa_exception_fp_ieee_inexact 0
		.amdhsa_exception_int_div_zero 0
	.end_amdhsa_kernel
	.section	.text._Z25selective_scan_fwd_kernelI32Selective_Scan_fwd_kernel_traitsILi64ELi8ELi1ELb0ELb1ELb1ELb1ELb0EfffEEv13SSMParamsBase,"axG",@progbits,_Z25selective_scan_fwd_kernelI32Selective_Scan_fwd_kernel_traitsILi64ELi8ELi1ELb0ELb1ELb1ELb1ELb0EfffEEv13SSMParamsBase,comdat
.Lfunc_end141:
	.size	_Z25selective_scan_fwd_kernelI32Selective_Scan_fwd_kernel_traitsILi64ELi8ELi1ELb0ELb1ELb1ELb1ELb0EfffEEv13SSMParamsBase, .Lfunc_end141-_Z25selective_scan_fwd_kernelI32Selective_Scan_fwd_kernel_traitsILi64ELi8ELi1ELb0ELb1ELb1ELb1ELb0EfffEEv13SSMParamsBase
                                        ; -- End function
	.section	.AMDGPU.csdata,"",@progbits
; Kernel info:
; codeLenInByte = 13784
; NumSgprs: 106
; NumVgprs: 96
; NumAgprs: 0
; TotalNumVgprs: 96
; ScratchSize: 36
; MemoryBound: 0
; FloatMode: 240
; IeeeMode: 1
; LDSByteSize: 0 bytes/workgroup (compile time only)
; SGPRBlocks: 13
; VGPRBlocks: 11
; NumSGPRsForWavesPerEU: 106
; NumVGPRsForWavesPerEU: 96
; AccumOffset: 96
; Occupancy: 5
; WaveLimiterHint : 0
; COMPUTE_PGM_RSRC2:SCRATCH_EN: 1
; COMPUTE_PGM_RSRC2:USER_SGPR: 2
; COMPUTE_PGM_RSRC2:TRAP_HANDLER: 0
; COMPUTE_PGM_RSRC2:TGID_X_EN: 1
; COMPUTE_PGM_RSRC2:TGID_Y_EN: 1
; COMPUTE_PGM_RSRC2:TGID_Z_EN: 0
; COMPUTE_PGM_RSRC2:TIDIG_COMP_CNT: 0
; COMPUTE_PGM_RSRC3_GFX90A:ACCUM_OFFSET: 23
; COMPUTE_PGM_RSRC3_GFX90A:TG_SPLIT: 0
	.section	.text._Z25selective_scan_fwd_kernelI32Selective_Scan_fwd_kernel_traitsILi64ELi8ELi1ELb0ELb1ELb1ELb0ELb1EfffEEv13SSMParamsBase,"axG",@progbits,_Z25selective_scan_fwd_kernelI32Selective_Scan_fwd_kernel_traitsILi64ELi8ELi1ELb0ELb1ELb1ELb0ELb1EfffEEv13SSMParamsBase,comdat
	.protected	_Z25selective_scan_fwd_kernelI32Selective_Scan_fwd_kernel_traitsILi64ELi8ELi1ELb0ELb1ELb1ELb0ELb1EfffEEv13SSMParamsBase ; -- Begin function _Z25selective_scan_fwd_kernelI32Selective_Scan_fwd_kernel_traitsILi64ELi8ELi1ELb0ELb1ELb1ELb0ELb1EfffEEv13SSMParamsBase
	.globl	_Z25selective_scan_fwd_kernelI32Selective_Scan_fwd_kernel_traitsILi64ELi8ELi1ELb0ELb1ELb1ELb0ELb1EfffEEv13SSMParamsBase
	.p2align	8
	.type	_Z25selective_scan_fwd_kernelI32Selective_Scan_fwd_kernel_traitsILi64ELi8ELi1ELb0ELb1ELb1ELb0ELb1EfffEEv13SSMParamsBase,@function
_Z25selective_scan_fwd_kernelI32Selective_Scan_fwd_kernel_traitsILi64ELi8ELi1ELb0ELb1ELb1ELb0ELb1EfffEEv13SSMParamsBase: ; @_Z25selective_scan_fwd_kernelI32Selective_Scan_fwd_kernel_traitsILi64ELi8ELi1ELb0ELb1ELb1ELb0ELb1EfffEEv13SSMParamsBase
; %bb.0:
	s_load_dword s27, s[0:1], 0x18
	s_load_dwordx4 s[4:7], s[0:1], 0xe0
	s_load_dwordx2 s[10:11], s[0:1], 0xf0
	s_mov_b32 s20, s3
	s_ashr_i32 s3, s2, 31
	s_waitcnt lgkmcnt(0)
	s_abs_i32 s26, s27
	v_cvt_f32_u32_e32 v1, s26
	s_lshl_b64 s[8:9], s[2:3], 2
	s_add_u32 s24, s4, s8
	s_addc_u32 s25, s5, s9
	v_rcp_iflag_f32_e32 v1, v1
	s_cmp_eq_u64 s[10:11], 0
	v_mul_f32_e32 v1, 0x4f7ffffe, v1
	v_cvt_u32_f32_e32 v1, v1
	s_nop 0
	v_readfirstlane_b32 s28, v1
	s_cbranch_scc1 .LBB142_137
; %bb.1:
	s_add_u32 s4, s10, s2
	s_addc_u32 s5, s11, s3
	v_mov_b32_e32 v1, 0
	global_load_ubyte v1, v1, s[4:5]
	s_waitcnt vmcnt(0)
	v_and_b32_e32 v1, 1, v1
	v_cmp_eq_u32_e64 s[76:77], 1, v1
	s_load_dwordx2 s[4:5], s[0:1], 0x20
	s_cmp_eq_u64 s[6:7], 0
	s_cbranch_scc1 .LBB142_3
.LBB142_2:
	s_add_u32 s2, s6, s8
	s_addc_u32 s3, s7, s9
	s_load_dword s2, s[2:3], 0x0
	s_waitcnt lgkmcnt(0)
	s_ashr_i32 s3, s2, 31
.LBB142_3:
	s_waitcnt lgkmcnt(0)
	s_cmp_eq_u64 s[4:5], s[2:3]
	s_cbranch_scc1 .LBB142_136
; %bb.4:
	s_load_dwordx16 s[4:19], s[0:1], 0x88
	s_load_dwordx2 s[22:23], s[24:25], 0x0
	s_mov_b32 s3, 0
                                        ; implicit-def: $vgpr95 : SGPR spill to VGPR lane
	s_mov_b32 s57, 0
	v_writelane_b32 v95, s3, 0
	s_waitcnt lgkmcnt(0)
	s_cmp_eq_u64 s[10:11], 0
	s_cbranch_scc1 .LBB142_6
; %bb.5:
	s_ashr_i32 s21, s20, 31
	s_lshl_b64 s[24:25], s[20:21], 2
	s_add_u32 s10, s10, s24
	s_addc_u32 s11, s11, s25
	s_load_dword s3, s[10:11], 0x0
	s_waitcnt lgkmcnt(0)
	v_writelane_b32 v95, s3, 0
.LBB142_6:
	s_cmp_eq_u64 s[16:17], 0
	s_cbranch_scc1 .LBB142_8
; %bb.7:
	s_ashr_i32 s21, s20, 31
	s_lshl_b64 s[10:11], s[20:21], 2
	s_add_u32 s10, s16, s10
	s_addc_u32 s11, s17, s11
	s_load_dword s57, s[10:11], 0x0
.LBB142_8:
	s_sub_i32 s29, s23, s22
	s_cmp_lt_i32 s29, 1
	s_cbranch_scc1 .LBB142_136
; %bb.9:
	s_sub_i32 s3, 0, s26
	s_mul_i32 s3, s3, s28
	s_mul_hi_u32 s3, s28, s3
	s_abs_i32 s21, s20
	s_add_i32 s28, s28, s3
	s_load_dwordx8 s[40:47], s[0:1], 0x2c
	s_load_dwordx2 s[10:11], s[0:1], 0x5c
	s_load_dwordx4 s[36:39], s[0:1], 0x4c
	s_load_dwordx4 s[72:75], s[0:1], 0x7c
	s_load_dwordx2 s[24:25], s[0:1], 0x6c
	s_load_dwordx2 s[16:17], s[0:1], 0xc8
	s_mul_hi_u32 s3, s21, s28
	s_load_dword s28, s[0:1], 0xc
	s_load_dword s23, s[0:1], 0x28
	s_ashr_i32 s0, s20, 31
	s_ashr_i32 s1, s27, 31
	s_xor_b32 s0, s0, s1
	s_mul_i32 s1, s3, s26
	s_sub_i32 s1, s21, s1
	s_add_i32 s21, s3, 1
	s_sub_i32 s27, s1, s26
	s_cmp_ge_u32 s1, s26
	s_cselect_b32 s3, s21, s3
	s_cselect_b32 s1, s27, s1
	s_add_i32 s21, s3, 1
	s_cmp_ge_u32 s1, s26
	s_cselect_b32 s1, s21, s3
	s_xor_b32 s1, s1, s0
	s_waitcnt lgkmcnt(0)
	s_mul_i32 s78, s22, s38
	s_mov_b32 s79, 0
	s_sub_i32 s3, s1, s0
	s_lshl_b64 s[0:1], s[78:79], 2
	s_add_u32 s12, s12, s0
	s_mul_i32 s78, s39, s20
	s_addc_u32 s13, s13, s1
	s_lshl_b64 s[0:1], s[78:79], 2
	s_add_u32 s84, s12, s0
	s_mul_i32 s78, s22, s10
	s_addc_u32 s85, s13, s1
	;; [unrolled: 4-line block ×10, first 2 shown]
	s_lshl_b64 s[0:1], s[78:79], 2
	s_add_u32 s98, s2, s0
	s_addc_u32 s86, s3, s1
	s_add_i32 s0, s29, 0x7ff
	s_lshr_b32 s12, s0, 11
	v_mbcnt_lo_u32_b32 v2, -1, 0
	v_mbcnt_hi_u32_b32 v10, -1, v2
	s_bitcmp1_b32 s23, 0
	v_lshrrev_b32_e32 v2, 5, v10
	s_cselect_b64 s[72:73], -1, 0
	s_cmp_gt_i32 s28, 0
	v_add_u32_e32 v40, 64, v10
	v_or_b32_e32 v41, 0x80, v10
	v_add_u32_e32 v42, 0xc0, v10
	v_or_b32_e32 v43, 0x100, v10
	;; [unrolled: 2-line block ×3, first 2 shown]
	v_add_u32_e32 v46, 0x1c0, v10
	v_add_u32_e32 v2, v2, v10
	v_writelane_b32 v95, s28, 1
	s_cselect_b64 s[0:1], -1, 0
	v_lshl_add_u32 v47, v2, 2, 0
	v_lshrrev_b32_e32 v2, 5, v40
	v_lshrrev_b32_e32 v3, 5, v41
	;; [unrolled: 1-line block ×7, first 2 shown]
	v_lshlrev_b32_e32 v9, 3, v10
	v_bfe_u32 v12, v10, 2, 27
	v_writelane_b32 v95, s0, 2
	v_add_lshl_u32 v2, v2, v10, 2
	v_add_lshl_u32 v3, v3, v10, 2
	;; [unrolled: 1-line block ×8, first 2 shown]
	v_writelane_b32 v95, s1, 3
	s_add_i32 s0, 0, 0x840
	v_add_u32_e32 v56, s0, v2
	v_add_u32_e32 v57, s0, v3
	;; [unrolled: 1-line block ×8, first 2 shown]
	s_and_b32 s0, s29, 0x1ff
	s_cmp_eq_u32 s0, 0
	v_writelane_b32 v95, s29, 4
	s_cselect_b64 s[0:1], -1, 0
	v_writelane_b32 v95, s0, 5
	s_mul_i32 s78, s22, s24
	v_add_u32_e32 v48, 0, v2
	v_writelane_b32 v95, s1, 6
	v_writelane_b32 v95, s12, 7
	s_add_i32 s12, s12, -1
	v_writelane_b32 v95, s12, 8
	s_lshl_b64 s[12:13], s[78:79], 2
	v_and_b32_e32 v2, 15, v10
	s_add_u32 s21, s18, s12
	s_mul_i32 s78, s25, s20
	v_cmp_ne_u32_e64 s[0:1], 0, v2
	v_cmp_lt_u32_e64 s[2:3], 1, v2
	v_cmp_lt_u32_e64 s[4:5], 3, v2
	v_cmp_lt_u32_e64 s[6:7], 7, v2
	v_and_b32_e32 v2, 16, v10
	s_addc_u32 s22, s19, s13
	s_lshl_b64 s[18:19], s[78:79], 2
	v_add_u32_e32 v49, 0, v3
	v_cmp_ne_u32_e64 s[8:9], 0, v2
	v_add_u32_e32 v2, -1, v10
	v_and_b32_e32 v3, 64, v10
	s_add_u32 s18, s21, s18
	v_mov_b32_e32 v1, 0
	v_lshlrev_b32_e32 v11, 3, v0
	v_cmp_eq_u32_e64 s[12:13], 63, v0
	v_cmp_lt_i32_e32 vcc, v2, v3
	v_cmp_gt_u32_e64 s[14:15], 64, v0
	v_cmp_eq_u32_e64 s[16:17], 0, v0
	s_addc_u32 s19, s22, s19
	v_lshlrev_b32_e32 v0, 2, v10
	v_cndmask_b32_e32 v2, v2, v10, vcc
	v_lshl_add_u64 v[12:13], s[18:19], 0, v[0:1]
	s_add_i32 s18, 0, 0x1088
	s_mov_b32 s53, s41
	s_mov_b32 s56, s44
	s_mov_b32 s52, s36
	v_add_u32_e32 v50, 0, v4
	v_add_u32_e32 v51, 0, v5
	;; [unrolled: 1-line block ×6, first 2 shown]
	v_cmp_lt_u32_e64 s[10:11], 31, v10
	v_lshlrev_b32_e32 v64, 2, v2
	v_lshlrev_b32_e32 v0, 2, v10
	s_mov_b32 s40, 0x41a00000
	s_mov_b32 s41, 0x3fb8aa3b
	;; [unrolled: 1-line block ×6, first 2 shown]
	v_mov_b32_e32 v72, 0x3ecc95a3
	s_mov_b32 s46, 0x3f317218
	s_mov_b32 s47, 0x33800000
	v_writelane_b32 v95, s18, 9
	s_mov_b32 s99, 0xc2fc0000
	v_mov_b32_e32 v73, 0x7f800000
	v_mov_b32_e32 v14, 0x3f317218
	v_mov_b32_e32 v74, 0x42800000
	v_mov_b32_e32 v75, 0x1f800000
	s_mov_b32 s82, 0
	s_mov_b32 s60, 0
                                        ; implicit-def: $vgpr2
	s_branch .LBB142_11
.LBB142_10:                             ;   in Loop: Header=BB142_11 Depth=1
	s_or_b64 exec, exec, s[18:19]
	s_add_u32 s80, s80, 0x800
	s_addc_u32 s81, s81, 0
	s_add_u32 s84, s84, 0x800
	s_addc_u32 s85, s85, 0
	;; [unrolled: 2-line block ×4, first 2 shown]
	s_add_i32 s82, s82, 1
	v_readlane_b32 s18, v95, 7
	s_cmp_eq_u32 s82, s18
	s_cbranch_scc1 .LBB142_136
.LBB142_11:                             ; =>This Loop Header: Depth=1
                                        ;     Child Loop BB142_60 Depth 2
	s_lshl_b32 s22, s82, 9
	v_readlane_b32 s18, v95, 4
	s_mov_b32 s20, s22
	v_writelane_b32 v95, s20, 10
	s_sub_i32 s50, s18, s22
	v_lshl_add_u64 v[2:3], s[84:85], 0, v[0:1]
	v_writelane_b32 v95, s21, 11
	v_cmp_gt_u32_e64 s[18:19], s50, v10
	s_waitcnt lgkmcnt(0)
	v_mov_b32_e32 v4, v1
	s_waitcnt lgkmcnt(0)
	; wave barrier
	s_and_saveexec_b64 s[20:21], s[18:19]
	s_cbranch_execz .LBB142_13
; %bb.12:                               ;   in Loop: Header=BB142_11 Depth=1
	global_load_dword v4, v[2:3], off
.LBB142_13:                             ;   in Loop: Header=BB142_11 Depth=1
	s_or_b64 exec, exec, s[20:21]
	v_cmp_gt_u32_e64 s[20:21], s50, v40
	v_mov_b32_e32 v5, 0
	v_mov_b32_e32 v6, 0
	s_and_saveexec_b64 s[22:23], s[20:21]
	s_cbranch_execz .LBB142_15
; %bb.14:                               ;   in Loop: Header=BB142_11 Depth=1
	global_load_dword v6, v[2:3], off offset:256
.LBB142_15:                             ;   in Loop: Header=BB142_11 Depth=1
	s_or_b64 exec, exec, s[22:23]
	v_cmp_gt_u32_e64 s[22:23], s50, v41
	s_and_saveexec_b64 s[24:25], s[22:23]
	s_cbranch_execz .LBB142_17
; %bb.16:                               ;   in Loop: Header=BB142_11 Depth=1
	global_load_dword v5, v[2:3], off offset:512
.LBB142_17:                             ;   in Loop: Header=BB142_11 Depth=1
	s_or_b64 exec, exec, s[24:25]
	v_cmp_gt_u32_e64 s[24:25], s50, v42
	v_mov_b32_e32 v7, 0
	v_mov_b32_e32 v8, 0
	s_and_saveexec_b64 s[26:27], s[24:25]
	s_cbranch_execz .LBB142_19
; %bb.18:                               ;   in Loop: Header=BB142_11 Depth=1
	global_load_dword v8, v[2:3], off offset:768
.LBB142_19:                             ;   in Loop: Header=BB142_11 Depth=1
	s_or_b64 exec, exec, s[26:27]
	v_cmp_gt_u32_e64 s[26:27], s50, v43
	s_and_saveexec_b64 s[28:29], s[26:27]
	s_cbranch_execz .LBB142_21
; %bb.20:                               ;   in Loop: Header=BB142_11 Depth=1
	global_load_dword v7, v[2:3], off offset:1024
.LBB142_21:                             ;   in Loop: Header=BB142_11 Depth=1
	;; [unrolled: 16-line block ×3, first 2 shown]
	s_or_b64 exec, exec, s[34:35]
	v_cmp_gt_u32_e64 s[34:35], s50, v46
	v_mov_b32_e32 v15, 0
	v_mov_b32_e32 v17, 0
	s_and_saveexec_b64 s[36:37], s[34:35]
	s_cbranch_execz .LBB142_27
; %bb.26:                               ;   in Loop: Header=BB142_11 Depth=1
	global_load_dword v17, v[2:3], off offset:1792
.LBB142_27:                             ;   in Loop: Header=BB142_11 Depth=1
	s_or_b64 exec, exec, s[36:37]
	s_waitcnt vmcnt(0)
	ds_write_b32 v47, v4
	ds_write_b32 v48, v6 offset:256
	ds_write_b32 v49, v5 offset:512
	;; [unrolled: 1-line block ×7, first 2 shown]
	; wave barrier
	ds_read2_b32 v[2:3], v55 offset1:1
	ds_read2_b32 v[4:5], v55 offset0:2 offset1:3
	ds_read2_b32 v[6:7], v55 offset0:4 offset1:5
	;; [unrolled: 1-line block ×3, first 2 shown]
	v_lshl_add_u64 v[16:17], s[80:81], 0, v[0:1]
	s_waitcnt lgkmcnt(0)
	; wave barrier
	s_waitcnt lgkmcnt(0)
	s_and_saveexec_b64 s[36:37], s[18:19]
	s_cbranch_execz .LBB142_29
; %bb.28:                               ;   in Loop: Header=BB142_11 Depth=1
	global_load_dword v15, v[16:17], off
.LBB142_29:                             ;   in Loop: Header=BB142_11 Depth=1
	s_or_b64 exec, exec, s[36:37]
	v_mov_b32_e32 v18, 0
	v_mov_b32_e32 v19, 0
	s_and_saveexec_b64 s[36:37], s[20:21]
	s_cbranch_execz .LBB142_31
; %bb.30:                               ;   in Loop: Header=BB142_11 Depth=1
	global_load_dword v19, v[16:17], off offset:256
.LBB142_31:                             ;   in Loop: Header=BB142_11 Depth=1
	s_or_b64 exec, exec, s[36:37]
	s_and_saveexec_b64 s[36:37], s[22:23]
	s_cbranch_execz .LBB142_33
; %bb.32:                               ;   in Loop: Header=BB142_11 Depth=1
	global_load_dword v18, v[16:17], off offset:512
.LBB142_33:                             ;   in Loop: Header=BB142_11 Depth=1
	s_or_b64 exec, exec, s[36:37]
	v_mov_b32_e32 v20, 0
	v_mov_b32_e32 v21, 0
	s_and_saveexec_b64 s[36:37], s[24:25]
	s_cbranch_execz .LBB142_35
; %bb.34:                               ;   in Loop: Header=BB142_11 Depth=1
	global_load_dword v21, v[16:17], off offset:768
.LBB142_35:                             ;   in Loop: Header=BB142_11 Depth=1
	s_or_b64 exec, exec, s[36:37]
	s_and_saveexec_b64 s[36:37], s[26:27]
	s_cbranch_execz .LBB142_37
; %bb.36:                               ;   in Loop: Header=BB142_11 Depth=1
	global_load_dword v20, v[16:17], off offset:1024
.LBB142_37:                             ;   in Loop: Header=BB142_11 Depth=1
	s_or_b64 exec, exec, s[36:37]
	v_mov_b32_e32 v22, 0
	v_mov_b32_e32 v23, 0
	s_and_saveexec_b64 s[36:37], s[28:29]
	s_cbranch_execnz .LBB142_126
; %bb.38:                               ;   in Loop: Header=BB142_11 Depth=1
	s_or_b64 exec, exec, s[36:37]
	s_and_saveexec_b64 s[36:37], s[30:31]
	s_cbranch_execnz .LBB142_127
.LBB142_39:                             ;   in Loop: Header=BB142_11 Depth=1
	s_or_b64 exec, exec, s[36:37]
	v_mov_b32_e32 v24, 0
	s_and_saveexec_b64 s[36:37], s[34:35]
	s_cbranch_execz .LBB142_41
.LBB142_40:                             ;   in Loop: Header=BB142_11 Depth=1
	global_load_dword v24, v[16:17], off offset:1792
.LBB142_41:                             ;   in Loop: Header=BB142_11 Depth=1
	s_or_b64 exec, exec, s[36:37]
	s_waitcnt vmcnt(0)
	ds_write_b32 v47, v15
	ds_write_b32 v48, v19 offset:256
	ds_write_b32 v49, v18 offset:512
	;; [unrolled: 1-line block ×7, first 2 shown]
	; wave barrier
	ds_read2_b32 v[22:23], v55 offset1:1
	ds_read2_b32 v[20:21], v55 offset0:2 offset1:3
	ds_read2_b32 v[18:19], v55 offset0:4 offset1:5
	;; [unrolled: 1-line block ×3, first 2 shown]
	s_waitcnt lgkmcnt(3)
	v_add_f32_e32 v76, s57, v22
	v_cmp_ge_f32_e32 vcc, s40, v76
	s_and_b64 s[36:37], s[72:73], vcc
	s_and_saveexec_b64 s[38:39], s[36:37]
	s_cbranch_execz .LBB142_43
; %bb.42:                               ;   in Loop: Header=BB142_11 Depth=1
	v_mul_f32_e32 v15, 0x3fb8aa3b, v76
	v_rndne_f32_e32 v22, v15
	v_sub_f32_e32 v24, v15, v22
	v_fma_f32 v15, v76, s41, -v15
	v_fmac_f32_e32 v15, 0x32a5705f, v76
	v_add_f32_e32 v15, v24, v15
	v_cvt_i32_f32_e32 v22, v22
	v_exp_f32_e32 v15, v15
	v_cmp_ngt_f32_e32 vcc, s42, v76
	v_ldexp_f32 v15, v15, v22
	s_nop 0
	v_cndmask_b32_e32 v15, 0, v15, vcc
	v_cmp_nlt_f32_e32 vcc, s43, v76
	s_nop 1
	v_cndmask_b32_e32 v38, v73, v15, vcc
	v_add_f32_e32 v15, 1.0, v38
	v_add_f32_e32 v22, -1.0, v15
	v_sub_f32_e32 v24, v22, v15
	v_add_f32_e32 v24, 1.0, v24
	v_sub_f32_e32 v22, v38, v22
	v_add_f32_e32 v22, v22, v24
	v_frexp_mant_f32_e32 v26, v15
	v_cvt_f64_f32_e32 v[24:25], v15
	v_frexp_exp_i32_f64_e32 v24, v[24:25]
	v_cmp_gt_f32_e32 vcc, s45, v26
	v_cmp_gt_f32_e64 s[36:37], s47, v38
	s_nop 0
	v_subbrev_co_u32_e32 v32, vcc, 0, v24, vcc
	v_sub_u32_e32 v24, 0, v32
	v_ldexp_f32 v15, v15, v24
	v_ldexp_f32 v22, v22, v24
	v_add_f32_e32 v24, -1.0, v15
	v_add_f32_e32 v25, 1.0, v24
	v_sub_f32_e32 v25, v15, v25
	v_add_f32_e32 v26, v22, v25
	v_add_f32_e32 v25, 1.0, v15
	v_add_f32_e32 v27, -1.0, v25
	v_sub_f32_e32 v15, v15, v27
	v_add_f32_e32 v15, v22, v15
	v_add_f32_e32 v22, v25, v15
	v_rcp_f32_e32 v33, v22
	v_sub_f32_e32 v25, v25, v22
	v_add_f32_e32 v15, v15, v25
	v_add_f32_e32 v25, v24, v26
	v_sub_f32_e32 v24, v24, v25
	v_mul_f32_e32 v35, v25, v33
	v_add_f32_e32 v34, v26, v24
	v_mul_f32_e32 v26, v22, v35
	v_fma_f32 v28, v35, v22, -v26
	v_fmac_f32_e32 v28, v35, v15
	v_add_f32_e32 v24, v26, v28
	v_sub_f32_e32 v27, v25, v24
	v_pk_add_f32 v[30:31], v[24:25], v[26:27] neg_lo:[0,1] neg_hi:[0,1]
	v_mov_b32_e32 v29, v24
	v_pk_add_f32 v[24:25], v[30:31], v[28:29] neg_lo:[0,1] neg_hi:[0,1]
	v_cmp_eq_f32_e32 vcc, s44, v38
	v_add_f32_e32 v25, v34, v25
	v_add_f32_e32 v24, v24, v25
	;; [unrolled: 1-line block ×3, first 2 shown]
	v_mul_f32_e32 v34, v33, v25
	v_mul_f32_e32 v26, v22, v34
	v_fma_f32 v28, v34, v22, -v26
	v_fmac_f32_e32 v28, v34, v15
	v_sub_f32_e32 v15, v27, v25
	v_add_f32_e32 v15, v24, v15
	v_add_f32_e32 v24, v26, v28
	v_sub_f32_e32 v27, v25, v24
	v_pk_add_f32 v[30:31], v[24:25], v[26:27] neg_lo:[0,1] neg_hi:[0,1]
	v_mov_b32_e32 v29, v24
	v_pk_add_f32 v[24:25], v[30:31], v[28:29] neg_lo:[0,1] neg_hi:[0,1]
	v_add_f32_e32 v22, v35, v34
	v_add_f32_e32 v15, v15, v25
	;; [unrolled: 1-line block ×4, first 2 shown]
	v_sub_f32_e32 v24, v22, v35
	v_mul_f32_e32 v15, v33, v15
	v_sub_f32_e32 v24, v34, v24
	v_add_f32_e32 v25, v24, v15
	v_add_f32_e32 v26, v22, v25
	v_cvt_f32_i32_e32 v24, v32
	v_mul_f32_e32 v28, v26, v26
	v_fmamk_f32 v15, v28, 0x3e9b6dac, v72
	v_sub_f32_e32 v22, v26, v22
	v_fmaak_f32 v15, v28, v15, 0x3f2aaada
	v_sub_f32_e32 v22, v25, v22
	v_mul_f32_e32 v25, v26, v28
	v_pk_mul_f32 v[28:29], v[24:25], v[14:15]
	v_ldexp_f32 v27, v26, 1
	v_fma_f32 v26, v24, s46, -v28
	v_fmac_f32_e32 v26, 0xb102e308, v24
	v_pk_add_f32 v[24:25], v[28:29], v[26:27]
	v_ldexp_f32 v22, v22, 1
	v_sub_f32_e32 v15, v25, v27
	v_sub_f32_e32 v15, v29, v15
	v_add_f32_e32 v31, v22, v15
	v_mov_b32_e32 v30, v28
	v_pk_add_f32 v[28:29], v[24:25], v[28:29] neg_lo:[0,1] neg_hi:[0,1]
	v_pk_add_f32 v[32:33], v[24:25], v[30:31]
	v_mov_b32_e32 v27, v24
	v_mov_b32_e32 v29, v33
	v_pk_add_f32 v[34:35], v[26:27], v[28:29] neg_lo:[0,1] neg_hi:[0,1]
	v_pk_add_f32 v[26:27], v[26:27], v[28:29]
	s_or_b64 vcc, s[36:37], vcc
	v_mov_b32_e32 v22, v27
	v_pk_add_f32 v[28:29], v[22:23], v[24:25] neg_lo:[0,1] neg_hi:[0,1]
	v_mov_b32_e32 v26, v33
	v_mov_b32_e32 v15, v28
	v_pk_add_f32 v[36:37], v[32:33], v[14:15] neg_lo:[0,1] neg_hi:[0,1]
	v_mov_b32_e32 v32, v25
	v_mov_b32_e32 v33, v28
	;; [unrolled: 1-line block ×3, first 2 shown]
	v_pk_add_f32 v[26:27], v[26:27], v[32:33] neg_lo:[0,1] neg_hi:[0,1]
	v_mov_b32_e32 v28, v31
	v_mov_b32_e32 v29, v24
	v_pk_add_f32 v[24:25], v[28:29], v[26:27] neg_lo:[0,1] neg_hi:[0,1]
	v_mov_b32_e32 v36, v34
	v_pk_add_f32 v[26:27], v[36:37], v[24:25]
	s_nop 0
	v_mov_b32_e32 v28, v27
	v_pk_add_f32 v[28:29], v[26:27], v[28:29]
	s_nop 0
	v_pk_add_f32 v[30:31], v[22:23], v[28:29]
	v_mov_b32_e32 v25, v28
	v_mov_b32_e32 v27, v30
	v_pk_add_f32 v[32:33], v[26:27], v[34:35] neg_lo:[0,1] neg_hi:[0,1]
	s_nop 0
	v_sub_f32_e32 v15, v26, v32
	v_pk_add_f32 v[24:25], v[24:25], v[32:33] neg_lo:[0,1] neg_hi:[0,1]
	v_sub_f32_e32 v15, v34, v15
	v_add_f32_e32 v15, v24, v15
	v_add_f32_e32 v15, v15, v25
	;; [unrolled: 1-line block ×3, first 2 shown]
	v_cndmask_b32_e32 v76, v15, v38, vcc
.LBB142_43:                             ;   in Loop: Header=BB142_11 Depth=1
	s_or_b64 exec, exec, s[38:39]
	v_add_f32_e32 v77, s57, v23
	v_cmp_ge_f32_e32 vcc, s40, v77
	s_and_b64 s[36:37], s[72:73], vcc
	s_and_saveexec_b64 s[38:39], s[36:37]
	s_cbranch_execz .LBB142_45
; %bb.44:                               ;   in Loop: Header=BB142_11 Depth=1
	v_mul_f32_e32 v15, 0x3fb8aa3b, v77
	v_rndne_f32_e32 v22, v15
	v_sub_f32_e32 v23, v15, v22
	v_fma_f32 v15, v77, s41, -v15
	v_fmac_f32_e32 v15, 0x32a5705f, v77
	v_add_f32_e32 v15, v23, v15
	v_cvt_i32_f32_e32 v22, v22
	v_exp_f32_e32 v15, v15
	v_cmp_ngt_f32_e32 vcc, s42, v77
	v_ldexp_f32 v15, v15, v22
	s_nop 0
	v_cndmask_b32_e32 v15, 0, v15, vcc
	v_cmp_nlt_f32_e32 vcc, s43, v77
	s_nop 1
	v_cndmask_b32_e32 v38, v73, v15, vcc
	v_add_f32_e32 v15, 1.0, v38
	v_add_f32_e32 v22, -1.0, v15
	v_sub_f32_e32 v23, v22, v15
	v_add_f32_e32 v23, 1.0, v23
	v_sub_f32_e32 v22, v38, v22
	v_add_f32_e32 v24, v22, v23
	v_frexp_mant_f32_e32 v25, v15
	v_cvt_f64_f32_e32 v[22:23], v15
	v_frexp_exp_i32_f64_e32 v22, v[22:23]
	v_cmp_gt_f32_e32 vcc, s45, v25
	v_cmp_gt_f32_e64 s[36:37], s47, v38
	s_nop 0
	v_subbrev_co_u32_e32 v30, vcc, 0, v22, vcc
	v_sub_u32_e32 v22, 0, v30
	v_ldexp_f32 v15, v15, v22
	v_ldexp_f32 v22, v24, v22
	v_add_f32_e32 v24, -1.0, v15
	v_add_f32_e32 v23, 1.0, v24
	v_sub_f32_e32 v23, v15, v23
	v_add_f32_e32 v25, v22, v23
	v_add_f32_e32 v23, 1.0, v15
	v_add_f32_e32 v26, -1.0, v23
	v_sub_f32_e32 v15, v15, v26
	v_add_f32_e32 v15, v22, v15
	v_add_f32_e32 v31, v23, v15
	v_rcp_f32_e32 v32, v31
	v_sub_f32_e32 v22, v23, v31
	v_add_f32_e32 v23, v24, v25
	v_add_f32_e32 v15, v15, v22
	v_mul_f32_e32 v34, v23, v32
	v_sub_f32_e32 v22, v24, v23
	v_mul_f32_e32 v24, v31, v34
	v_fma_f32 v26, v34, v31, -v24
	v_fmac_f32_e32 v26, v34, v15
	v_add_f32_e32 v33, v25, v22
	v_add_f32_e32 v22, v24, v26
	v_sub_f32_e32 v25, v23, v22
	v_pk_add_f32 v[28:29], v[22:23], v[24:25] neg_lo:[0,1] neg_hi:[0,1]
	v_mov_b32_e32 v27, v22
	v_pk_add_f32 v[22:23], v[28:29], v[26:27] neg_lo:[0,1] neg_hi:[0,1]
	v_cmp_eq_f32_e32 vcc, s44, v38
	v_add_f32_e32 v23, v33, v23
	v_add_f32_e32 v22, v22, v23
	;; [unrolled: 1-line block ×3, first 2 shown]
	v_mul_f32_e32 v33, v32, v23
	v_mul_f32_e32 v24, v31, v33
	v_fma_f32 v26, v33, v31, -v24
	v_fmac_f32_e32 v26, v33, v15
	v_sub_f32_e32 v15, v25, v23
	v_add_f32_e32 v15, v22, v15
	v_add_f32_e32 v22, v24, v26
	v_sub_f32_e32 v25, v23, v22
	v_pk_add_f32 v[28:29], v[22:23], v[24:25] neg_lo:[0,1] neg_hi:[0,1]
	v_mov_b32_e32 v27, v22
	v_pk_add_f32 v[22:23], v[28:29], v[26:27] neg_lo:[0,1] neg_hi:[0,1]
	s_or_b64 vcc, s[36:37], vcc
	v_add_f32_e32 v15, v15, v23
	v_add_f32_e32 v15, v22, v15
	;; [unrolled: 1-line block ×4, first 2 shown]
	v_sub_f32_e32 v22, v23, v34
	v_mul_f32_e32 v15, v32, v15
	v_sub_f32_e32 v22, v33, v22
	v_add_f32_e32 v24, v22, v15
	v_add_f32_e32 v26, v23, v24
	v_cvt_f32_i32_e32 v22, v30
	v_mul_f32_e32 v27, v26, v26
	v_sub_f32_e32 v23, v26, v23
	v_fmamk_f32 v15, v27, 0x3e9b6dac, v72
	v_sub_f32_e32 v23, v24, v23
	v_fmaak_f32 v15, v27, v15, 0x3f2aaada
	v_ldexp_f32 v28, v23, 1
	v_mul_f32_e32 v23, v26, v27
	v_ldexp_f32 v25, v26, 1
	v_pk_mul_f32 v[26:27], v[22:23], v[14:15]
	s_nop 0
	v_fma_f32 v24, v22, s46, -v26
	v_fmac_f32_e32 v24, 0xb102e308, v22
	v_pk_add_f32 v[22:23], v[26:27], v[24:25]
	s_nop 0
	v_sub_f32_e32 v15, v23, v25
	v_sub_f32_e32 v15, v27, v15
	v_add_f32_e32 v29, v28, v15
	v_mov_b32_e32 v28, v26
	v_pk_add_f32 v[26:27], v[22:23], v[26:27] neg_lo:[0,1] neg_hi:[0,1]
	v_pk_add_f32 v[30:31], v[22:23], v[28:29]
	v_mov_b32_e32 v25, v22
	v_mov_b32_e32 v27, v31
	v_pk_add_f32 v[32:33], v[24:25], v[26:27] neg_lo:[0,1] neg_hi:[0,1]
	v_pk_add_f32 v[24:25], v[24:25], v[26:27]
	v_mov_b32_e32 v28, v29
	v_mov_b32_e32 v26, v25
	v_pk_add_f32 v[34:35], v[26:27], v[22:23] neg_lo:[0,1] neg_hi:[0,1]
	v_mov_b32_e32 v24, v31
	v_mov_b32_e32 v15, v34
	v_pk_add_f32 v[36:37], v[30:31], v[14:15] neg_lo:[0,1] neg_hi:[0,1]
	v_mov_b32_e32 v30, v23
	v_mov_b32_e32 v31, v34
	;; [unrolled: 1-line block ×3, first 2 shown]
	v_pk_add_f32 v[24:25], v[24:25], v[30:31] neg_lo:[0,1] neg_hi:[0,1]
	v_mov_b32_e32 v29, v22
	v_pk_add_f32 v[22:23], v[28:29], v[24:25] neg_lo:[0,1] neg_hi:[0,1]
	v_mov_b32_e32 v36, v32
	v_pk_add_f32 v[24:25], v[36:37], v[22:23]
	s_nop 0
	v_mov_b32_e32 v28, v25
	v_pk_add_f32 v[28:29], v[24:25], v[28:29]
	s_nop 0
	v_pk_add_f32 v[26:27], v[26:27], v[28:29]
	v_mov_b32_e32 v23, v28
	v_mov_b32_e32 v25, v26
	v_pk_add_f32 v[30:31], v[24:25], v[32:33] neg_lo:[0,1] neg_hi:[0,1]
	s_nop 0
	v_sub_f32_e32 v15, v24, v30
	v_pk_add_f32 v[22:23], v[22:23], v[30:31] neg_lo:[0,1] neg_hi:[0,1]
	v_sub_f32_e32 v15, v32, v15
	v_add_f32_e32 v15, v22, v15
	v_add_f32_e32 v15, v15, v23
	;; [unrolled: 1-line block ×3, first 2 shown]
	v_cndmask_b32_e32 v77, v15, v38, vcc
.LBB142_45:                             ;   in Loop: Header=BB142_11 Depth=1
	s_or_b64 exec, exec, s[38:39]
	s_waitcnt lgkmcnt(2)
	v_add_f32_e32 v78, s57, v20
	v_cmp_ge_f32_e32 vcc, s40, v78
	s_and_b64 s[36:37], s[72:73], vcc
	s_and_saveexec_b64 s[38:39], s[36:37]
	s_cbranch_execz .LBB142_47
; %bb.46:                               ;   in Loop: Header=BB142_11 Depth=1
	v_mul_f32_e32 v15, 0x3fb8aa3b, v78
	v_rndne_f32_e32 v20, v15
	v_sub_f32_e32 v22, v15, v20
	v_fma_f32 v15, v78, s41, -v15
	v_fmac_f32_e32 v15, 0x32a5705f, v78
	v_add_f32_e32 v15, v22, v15
	v_cvt_i32_f32_e32 v20, v20
	v_exp_f32_e32 v15, v15
	v_cmp_ngt_f32_e32 vcc, s42, v78
	v_ldexp_f32 v15, v15, v20
	s_nop 0
	v_cndmask_b32_e32 v15, 0, v15, vcc
	v_cmp_nlt_f32_e32 vcc, s43, v78
	s_nop 1
	v_cndmask_b32_e32 v36, v73, v15, vcc
	v_add_f32_e32 v15, 1.0, v36
	v_add_f32_e32 v20, -1.0, v15
	v_sub_f32_e32 v22, v20, v15
	v_add_f32_e32 v22, 1.0, v22
	v_sub_f32_e32 v20, v36, v20
	v_add_f32_e32 v20, v20, v22
	v_frexp_mant_f32_e32 v24, v15
	v_cvt_f64_f32_e32 v[22:23], v15
	v_frexp_exp_i32_f64_e32 v22, v[22:23]
	v_cmp_gt_f32_e32 vcc, s45, v24
	v_cmp_gt_f32_e64 s[36:37], s47, v36
	s_nop 0
	v_subbrev_co_u32_e32 v30, vcc, 0, v22, vcc
	v_sub_u32_e32 v22, 0, v30
	v_ldexp_f32 v15, v15, v22
	v_ldexp_f32 v20, v20, v22
	v_add_f32_e32 v22, -1.0, v15
	v_add_f32_e32 v23, 1.0, v22
	v_sub_f32_e32 v23, v15, v23
	v_add_f32_e32 v24, v20, v23
	v_add_f32_e32 v23, 1.0, v15
	v_add_f32_e32 v25, -1.0, v23
	v_sub_f32_e32 v15, v15, v25
	v_add_f32_e32 v15, v20, v15
	v_add_f32_e32 v20, v23, v15
	v_rcp_f32_e32 v31, v20
	v_sub_f32_e32 v23, v23, v20
	v_add_f32_e32 v15, v15, v23
	v_add_f32_e32 v23, v22, v24
	v_sub_f32_e32 v22, v22, v23
	v_mul_f32_e32 v33, v23, v31
	v_add_f32_e32 v32, v24, v22
	v_mul_f32_e32 v24, v20, v33
	v_fma_f32 v26, v33, v20, -v24
	v_fmac_f32_e32 v26, v33, v15
	v_add_f32_e32 v22, v24, v26
	v_sub_f32_e32 v25, v23, v22
	v_pk_add_f32 v[28:29], v[22:23], v[24:25] neg_lo:[0,1] neg_hi:[0,1]
	v_mov_b32_e32 v27, v22
	v_pk_add_f32 v[22:23], v[28:29], v[26:27] neg_lo:[0,1] neg_hi:[0,1]
	v_cmp_eq_f32_e32 vcc, s44, v36
	v_add_f32_e32 v23, v32, v23
	v_add_f32_e32 v22, v22, v23
	;; [unrolled: 1-line block ×3, first 2 shown]
	v_mul_f32_e32 v32, v31, v23
	v_mul_f32_e32 v24, v20, v32
	v_fma_f32 v26, v32, v20, -v24
	v_fmac_f32_e32 v26, v32, v15
	v_sub_f32_e32 v15, v25, v23
	v_add_f32_e32 v15, v22, v15
	v_add_f32_e32 v22, v24, v26
	v_sub_f32_e32 v25, v23, v22
	v_pk_add_f32 v[28:29], v[22:23], v[24:25] neg_lo:[0,1] neg_hi:[0,1]
	v_mov_b32_e32 v27, v22
	v_pk_add_f32 v[22:23], v[28:29], v[26:27] neg_lo:[0,1] neg_hi:[0,1]
	v_add_f32_e32 v20, v33, v32
	v_add_f32_e32 v15, v15, v23
	;; [unrolled: 1-line block ×4, first 2 shown]
	v_sub_f32_e32 v22, v20, v33
	v_mul_f32_e32 v15, v31, v15
	v_sub_f32_e32 v22, v32, v22
	v_add_f32_e32 v23, v22, v15
	v_add_f32_e32 v24, v20, v23
	v_cvt_f32_i32_e32 v22, v30
	v_mul_f32_e32 v26, v24, v24
	v_fmamk_f32 v15, v26, 0x3e9b6dac, v72
	v_sub_f32_e32 v20, v24, v20
	v_fmaak_f32 v15, v26, v15, 0x3f2aaada
	v_sub_f32_e32 v20, v23, v20
	v_mul_f32_e32 v23, v24, v26
	v_pk_mul_f32 v[26:27], v[22:23], v[14:15]
	v_ldexp_f32 v25, v24, 1
	v_fma_f32 v24, v22, s46, -v26
	v_fmac_f32_e32 v24, 0xb102e308, v22
	v_pk_add_f32 v[22:23], v[26:27], v[24:25]
	v_ldexp_f32 v20, v20, 1
	v_sub_f32_e32 v15, v23, v25
	v_sub_f32_e32 v15, v27, v15
	v_add_f32_e32 v29, v20, v15
	v_mov_b32_e32 v28, v26
	v_pk_add_f32 v[26:27], v[22:23], v[26:27] neg_lo:[0,1] neg_hi:[0,1]
	v_pk_add_f32 v[30:31], v[22:23], v[28:29]
	v_mov_b32_e32 v25, v22
	v_mov_b32_e32 v27, v31
	v_pk_add_f32 v[32:33], v[24:25], v[26:27] neg_lo:[0,1] neg_hi:[0,1]
	v_pk_add_f32 v[24:25], v[24:25], v[26:27]
	s_or_b64 vcc, s[36:37], vcc
	v_mov_b32_e32 v20, v25
	v_pk_add_f32 v[26:27], v[20:21], v[22:23] neg_lo:[0,1] neg_hi:[0,1]
	v_mov_b32_e32 v24, v31
	v_mov_b32_e32 v15, v26
	v_pk_add_f32 v[34:35], v[30:31], v[14:15] neg_lo:[0,1] neg_hi:[0,1]
	v_mov_b32_e32 v30, v23
	v_mov_b32_e32 v31, v26
	;; [unrolled: 1-line block ×3, first 2 shown]
	v_pk_add_f32 v[24:25], v[24:25], v[30:31] neg_lo:[0,1] neg_hi:[0,1]
	v_mov_b32_e32 v26, v29
	v_mov_b32_e32 v27, v22
	v_pk_add_f32 v[22:23], v[26:27], v[24:25] neg_lo:[0,1] neg_hi:[0,1]
	v_mov_b32_e32 v34, v32
	v_pk_add_f32 v[24:25], v[34:35], v[22:23]
	s_nop 0
	v_mov_b32_e32 v26, v25
	v_pk_add_f32 v[26:27], v[24:25], v[26:27]
	s_nop 0
	v_pk_add_f32 v[28:29], v[20:21], v[26:27]
	v_mov_b32_e32 v23, v26
	v_mov_b32_e32 v25, v28
	v_pk_add_f32 v[30:31], v[24:25], v[32:33] neg_lo:[0,1] neg_hi:[0,1]
	s_nop 0
	v_sub_f32_e32 v15, v24, v30
	v_pk_add_f32 v[22:23], v[22:23], v[30:31] neg_lo:[0,1] neg_hi:[0,1]
	v_sub_f32_e32 v15, v32, v15
	v_add_f32_e32 v15, v22, v15
	v_add_f32_e32 v15, v15, v23
	;; [unrolled: 1-line block ×3, first 2 shown]
	v_cndmask_b32_e32 v78, v15, v36, vcc
.LBB142_47:                             ;   in Loop: Header=BB142_11 Depth=1
	s_or_b64 exec, exec, s[38:39]
	v_add_f32_e32 v79, s57, v21
	v_cmp_ge_f32_e32 vcc, s40, v79
	s_and_b64 s[36:37], s[72:73], vcc
	s_and_saveexec_b64 s[38:39], s[36:37]
	s_cbranch_execz .LBB142_49
; %bb.48:                               ;   in Loop: Header=BB142_11 Depth=1
	v_mul_f32_e32 v15, 0x3fb8aa3b, v79
	v_rndne_f32_e32 v20, v15
	v_sub_f32_e32 v21, v15, v20
	v_fma_f32 v15, v79, s41, -v15
	v_fmac_f32_e32 v15, 0x32a5705f, v79
	v_add_f32_e32 v15, v21, v15
	v_cvt_i32_f32_e32 v20, v20
	v_exp_f32_e32 v15, v15
	v_cmp_ngt_f32_e32 vcc, s42, v79
	v_ldexp_f32 v15, v15, v20
	s_nop 0
	v_cndmask_b32_e32 v15, 0, v15, vcc
	v_cmp_nlt_f32_e32 vcc, s43, v79
	s_nop 1
	v_cndmask_b32_e32 v36, v73, v15, vcc
	v_add_f32_e32 v15, 1.0, v36
	v_add_f32_e32 v20, -1.0, v15
	v_sub_f32_e32 v21, v20, v15
	v_add_f32_e32 v21, 1.0, v21
	v_sub_f32_e32 v20, v36, v20
	v_add_f32_e32 v22, v20, v21
	v_frexp_mant_f32_e32 v23, v15
	v_cvt_f64_f32_e32 v[20:21], v15
	v_frexp_exp_i32_f64_e32 v20, v[20:21]
	v_cmp_gt_f32_e32 vcc, s45, v23
	v_cmp_gt_f32_e64 s[36:37], s47, v36
	s_nop 0
	v_subbrev_co_u32_e32 v28, vcc, 0, v20, vcc
	v_sub_u32_e32 v20, 0, v28
	v_ldexp_f32 v15, v15, v20
	v_ldexp_f32 v20, v22, v20
	v_add_f32_e32 v22, -1.0, v15
	v_add_f32_e32 v21, 1.0, v22
	v_sub_f32_e32 v21, v15, v21
	v_add_f32_e32 v23, v20, v21
	v_add_f32_e32 v21, 1.0, v15
	v_add_f32_e32 v24, -1.0, v21
	v_sub_f32_e32 v15, v15, v24
	v_add_f32_e32 v15, v20, v15
	v_add_f32_e32 v29, v21, v15
	v_rcp_f32_e32 v30, v29
	v_sub_f32_e32 v20, v21, v29
	v_add_f32_e32 v21, v22, v23
	v_add_f32_e32 v15, v15, v20
	v_mul_f32_e32 v32, v21, v30
	v_sub_f32_e32 v20, v22, v21
	v_mul_f32_e32 v22, v29, v32
	v_fma_f32 v24, v32, v29, -v22
	v_fmac_f32_e32 v24, v32, v15
	v_add_f32_e32 v31, v23, v20
	v_add_f32_e32 v20, v22, v24
	v_sub_f32_e32 v23, v21, v20
	v_pk_add_f32 v[26:27], v[20:21], v[22:23] neg_lo:[0,1] neg_hi:[0,1]
	v_mov_b32_e32 v25, v20
	v_pk_add_f32 v[20:21], v[26:27], v[24:25] neg_lo:[0,1] neg_hi:[0,1]
	v_cmp_eq_f32_e32 vcc, s44, v36
	v_add_f32_e32 v21, v31, v21
	v_add_f32_e32 v20, v20, v21
	;; [unrolled: 1-line block ×3, first 2 shown]
	v_mul_f32_e32 v31, v30, v21
	v_mul_f32_e32 v22, v29, v31
	v_fma_f32 v24, v31, v29, -v22
	v_fmac_f32_e32 v24, v31, v15
	v_sub_f32_e32 v15, v23, v21
	v_add_f32_e32 v15, v20, v15
	v_add_f32_e32 v20, v22, v24
	v_sub_f32_e32 v23, v21, v20
	v_pk_add_f32 v[26:27], v[20:21], v[22:23] neg_lo:[0,1] neg_hi:[0,1]
	v_mov_b32_e32 v25, v20
	v_pk_add_f32 v[20:21], v[26:27], v[24:25] neg_lo:[0,1] neg_hi:[0,1]
	s_or_b64 vcc, s[36:37], vcc
	v_add_f32_e32 v15, v15, v21
	v_add_f32_e32 v15, v20, v15
	;; [unrolled: 1-line block ×4, first 2 shown]
	v_sub_f32_e32 v20, v21, v32
	v_mul_f32_e32 v15, v30, v15
	v_sub_f32_e32 v20, v31, v20
	v_add_f32_e32 v22, v20, v15
	v_add_f32_e32 v24, v21, v22
	v_cvt_f32_i32_e32 v20, v28
	v_mul_f32_e32 v25, v24, v24
	v_sub_f32_e32 v21, v24, v21
	v_fmamk_f32 v15, v25, 0x3e9b6dac, v72
	v_sub_f32_e32 v21, v22, v21
	v_fmaak_f32 v15, v25, v15, 0x3f2aaada
	v_ldexp_f32 v26, v21, 1
	v_mul_f32_e32 v21, v24, v25
	v_ldexp_f32 v23, v24, 1
	v_pk_mul_f32 v[24:25], v[20:21], v[14:15]
	s_nop 0
	v_fma_f32 v22, v20, s46, -v24
	v_fmac_f32_e32 v22, 0xb102e308, v20
	v_pk_add_f32 v[20:21], v[24:25], v[22:23]
	s_nop 0
	v_sub_f32_e32 v15, v21, v23
	v_sub_f32_e32 v15, v25, v15
	v_add_f32_e32 v27, v26, v15
	v_mov_b32_e32 v26, v24
	v_pk_add_f32 v[24:25], v[20:21], v[24:25] neg_lo:[0,1] neg_hi:[0,1]
	v_pk_add_f32 v[28:29], v[20:21], v[26:27]
	v_mov_b32_e32 v23, v20
	v_mov_b32_e32 v25, v29
	v_pk_add_f32 v[30:31], v[22:23], v[24:25] neg_lo:[0,1] neg_hi:[0,1]
	v_pk_add_f32 v[22:23], v[22:23], v[24:25]
	v_mov_b32_e32 v26, v27
	v_mov_b32_e32 v24, v23
	v_pk_add_f32 v[32:33], v[24:25], v[20:21] neg_lo:[0,1] neg_hi:[0,1]
	v_mov_b32_e32 v22, v29
	v_mov_b32_e32 v15, v32
	v_pk_add_f32 v[34:35], v[28:29], v[14:15] neg_lo:[0,1] neg_hi:[0,1]
	v_mov_b32_e32 v28, v21
	v_mov_b32_e32 v29, v32
	;; [unrolled: 1-line block ×3, first 2 shown]
	v_pk_add_f32 v[22:23], v[22:23], v[28:29] neg_lo:[0,1] neg_hi:[0,1]
	v_mov_b32_e32 v27, v20
	v_pk_add_f32 v[20:21], v[26:27], v[22:23] neg_lo:[0,1] neg_hi:[0,1]
	v_mov_b32_e32 v34, v30
	v_pk_add_f32 v[22:23], v[34:35], v[20:21]
	s_nop 0
	v_mov_b32_e32 v26, v23
	v_pk_add_f32 v[26:27], v[22:23], v[26:27]
	s_nop 0
	v_pk_add_f32 v[24:25], v[24:25], v[26:27]
	v_mov_b32_e32 v21, v26
	v_mov_b32_e32 v23, v24
	v_pk_add_f32 v[28:29], v[22:23], v[30:31] neg_lo:[0,1] neg_hi:[0,1]
	s_nop 0
	v_sub_f32_e32 v15, v22, v28
	v_pk_add_f32 v[20:21], v[20:21], v[28:29] neg_lo:[0,1] neg_hi:[0,1]
	v_sub_f32_e32 v15, v30, v15
	v_add_f32_e32 v15, v20, v15
	v_add_f32_e32 v15, v15, v21
	;; [unrolled: 1-line block ×3, first 2 shown]
	v_cndmask_b32_e32 v79, v15, v36, vcc
.LBB142_49:                             ;   in Loop: Header=BB142_11 Depth=1
	s_or_b64 exec, exec, s[38:39]
	s_waitcnt lgkmcnt(1)
	v_add_f32_e32 v80, s57, v18
	v_cmp_ge_f32_e32 vcc, s40, v80
	s_and_b64 s[36:37], s[72:73], vcc
	s_and_saveexec_b64 s[38:39], s[36:37]
	s_cbranch_execz .LBB142_51
; %bb.50:                               ;   in Loop: Header=BB142_11 Depth=1
	v_mul_f32_e32 v15, 0x3fb8aa3b, v80
	v_rndne_f32_e32 v18, v15
	v_sub_f32_e32 v20, v15, v18
	v_fma_f32 v15, v80, s41, -v15
	v_fmac_f32_e32 v15, 0x32a5705f, v80
	v_add_f32_e32 v15, v20, v15
	v_cvt_i32_f32_e32 v18, v18
	v_exp_f32_e32 v15, v15
	v_cmp_ngt_f32_e32 vcc, s42, v80
	v_ldexp_f32 v15, v15, v18
	s_nop 0
	v_cndmask_b32_e32 v15, 0, v15, vcc
	v_cmp_nlt_f32_e32 vcc, s43, v80
	s_nop 1
	v_cndmask_b32_e32 v34, v73, v15, vcc
	v_add_f32_e32 v15, 1.0, v34
	v_add_f32_e32 v18, -1.0, v15
	v_sub_f32_e32 v20, v18, v15
	v_add_f32_e32 v20, 1.0, v20
	v_sub_f32_e32 v18, v34, v18
	v_add_f32_e32 v18, v18, v20
	v_frexp_mant_f32_e32 v22, v15
	v_cvt_f64_f32_e32 v[20:21], v15
	v_frexp_exp_i32_f64_e32 v20, v[20:21]
	v_cmp_gt_f32_e32 vcc, s45, v22
	v_cmp_gt_f32_e64 s[36:37], s47, v34
	s_nop 0
	v_subbrev_co_u32_e32 v28, vcc, 0, v20, vcc
	v_sub_u32_e32 v20, 0, v28
	v_ldexp_f32 v15, v15, v20
	v_ldexp_f32 v18, v18, v20
	v_add_f32_e32 v20, -1.0, v15
	v_add_f32_e32 v21, 1.0, v20
	v_sub_f32_e32 v21, v15, v21
	v_add_f32_e32 v22, v18, v21
	v_add_f32_e32 v21, 1.0, v15
	v_add_f32_e32 v23, -1.0, v21
	v_sub_f32_e32 v15, v15, v23
	v_add_f32_e32 v15, v18, v15
	v_add_f32_e32 v18, v21, v15
	v_rcp_f32_e32 v29, v18
	v_sub_f32_e32 v21, v21, v18
	v_add_f32_e32 v15, v15, v21
	v_add_f32_e32 v21, v20, v22
	v_sub_f32_e32 v20, v20, v21
	v_mul_f32_e32 v31, v21, v29
	v_add_f32_e32 v30, v22, v20
	v_mul_f32_e32 v22, v18, v31
	v_fma_f32 v24, v31, v18, -v22
	v_fmac_f32_e32 v24, v31, v15
	v_add_f32_e32 v20, v22, v24
	v_sub_f32_e32 v23, v21, v20
	v_pk_add_f32 v[26:27], v[20:21], v[22:23] neg_lo:[0,1] neg_hi:[0,1]
	v_mov_b32_e32 v25, v20
	v_pk_add_f32 v[20:21], v[26:27], v[24:25] neg_lo:[0,1] neg_hi:[0,1]
	v_cmp_eq_f32_e32 vcc, s44, v34
	v_add_f32_e32 v21, v30, v21
	v_add_f32_e32 v20, v20, v21
	;; [unrolled: 1-line block ×3, first 2 shown]
	v_mul_f32_e32 v30, v29, v21
	v_mul_f32_e32 v22, v18, v30
	v_fma_f32 v24, v30, v18, -v22
	v_fmac_f32_e32 v24, v30, v15
	v_sub_f32_e32 v15, v23, v21
	v_add_f32_e32 v15, v20, v15
	v_add_f32_e32 v20, v22, v24
	v_sub_f32_e32 v23, v21, v20
	v_pk_add_f32 v[26:27], v[20:21], v[22:23] neg_lo:[0,1] neg_hi:[0,1]
	v_mov_b32_e32 v25, v20
	v_pk_add_f32 v[20:21], v[26:27], v[24:25] neg_lo:[0,1] neg_hi:[0,1]
	v_add_f32_e32 v18, v31, v30
	v_add_f32_e32 v15, v15, v21
	;; [unrolled: 1-line block ×4, first 2 shown]
	v_sub_f32_e32 v20, v18, v31
	v_mul_f32_e32 v15, v29, v15
	v_sub_f32_e32 v20, v30, v20
	v_add_f32_e32 v21, v20, v15
	v_add_f32_e32 v22, v18, v21
	v_cvt_f32_i32_e32 v20, v28
	v_mul_f32_e32 v24, v22, v22
	v_fmamk_f32 v15, v24, 0x3e9b6dac, v72
	v_sub_f32_e32 v18, v22, v18
	v_fmaak_f32 v15, v24, v15, 0x3f2aaada
	v_sub_f32_e32 v18, v21, v18
	v_mul_f32_e32 v21, v22, v24
	v_pk_mul_f32 v[24:25], v[20:21], v[14:15]
	v_ldexp_f32 v23, v22, 1
	v_fma_f32 v22, v20, s46, -v24
	v_fmac_f32_e32 v22, 0xb102e308, v20
	v_pk_add_f32 v[20:21], v[24:25], v[22:23]
	v_ldexp_f32 v18, v18, 1
	v_sub_f32_e32 v15, v21, v23
	v_sub_f32_e32 v15, v25, v15
	v_add_f32_e32 v27, v18, v15
	v_mov_b32_e32 v26, v24
	v_pk_add_f32 v[24:25], v[20:21], v[24:25] neg_lo:[0,1] neg_hi:[0,1]
	v_pk_add_f32 v[28:29], v[20:21], v[26:27]
	v_mov_b32_e32 v23, v20
	v_mov_b32_e32 v25, v29
	v_pk_add_f32 v[30:31], v[22:23], v[24:25] neg_lo:[0,1] neg_hi:[0,1]
	v_pk_add_f32 v[22:23], v[22:23], v[24:25]
	s_or_b64 vcc, s[36:37], vcc
	v_mov_b32_e32 v18, v23
	v_pk_add_f32 v[24:25], v[18:19], v[20:21] neg_lo:[0,1] neg_hi:[0,1]
	v_mov_b32_e32 v22, v29
	v_mov_b32_e32 v15, v24
	v_pk_add_f32 v[32:33], v[28:29], v[14:15] neg_lo:[0,1] neg_hi:[0,1]
	v_mov_b32_e32 v28, v21
	v_mov_b32_e32 v29, v24
	;; [unrolled: 1-line block ×3, first 2 shown]
	v_pk_add_f32 v[22:23], v[22:23], v[28:29] neg_lo:[0,1] neg_hi:[0,1]
	v_mov_b32_e32 v24, v27
	v_mov_b32_e32 v25, v20
	v_pk_add_f32 v[20:21], v[24:25], v[22:23] neg_lo:[0,1] neg_hi:[0,1]
	v_mov_b32_e32 v32, v30
	v_pk_add_f32 v[22:23], v[32:33], v[20:21]
	s_nop 0
	v_mov_b32_e32 v24, v23
	v_pk_add_f32 v[24:25], v[22:23], v[24:25]
	s_nop 0
	v_pk_add_f32 v[26:27], v[18:19], v[24:25]
	v_mov_b32_e32 v21, v24
	v_mov_b32_e32 v23, v26
	v_pk_add_f32 v[28:29], v[22:23], v[30:31] neg_lo:[0,1] neg_hi:[0,1]
	s_nop 0
	v_sub_f32_e32 v15, v22, v28
	v_pk_add_f32 v[20:21], v[20:21], v[28:29] neg_lo:[0,1] neg_hi:[0,1]
	v_sub_f32_e32 v15, v30, v15
	v_add_f32_e32 v15, v20, v15
	v_add_f32_e32 v15, v15, v21
	;; [unrolled: 1-line block ×3, first 2 shown]
	v_cndmask_b32_e32 v80, v15, v34, vcc
.LBB142_51:                             ;   in Loop: Header=BB142_11 Depth=1
	s_or_b64 exec, exec, s[38:39]
	v_add_f32_e32 v81, s57, v19
	v_cmp_ge_f32_e32 vcc, s40, v81
	s_and_b64 s[36:37], s[72:73], vcc
	s_and_saveexec_b64 s[38:39], s[36:37]
	s_cbranch_execz .LBB142_53
; %bb.52:                               ;   in Loop: Header=BB142_11 Depth=1
	v_mul_f32_e32 v15, 0x3fb8aa3b, v81
	v_rndne_f32_e32 v18, v15
	v_sub_f32_e32 v19, v15, v18
	v_fma_f32 v15, v81, s41, -v15
	v_fmac_f32_e32 v15, 0x32a5705f, v81
	v_add_f32_e32 v15, v19, v15
	v_cvt_i32_f32_e32 v18, v18
	v_exp_f32_e32 v15, v15
	v_cmp_ngt_f32_e32 vcc, s42, v81
	v_ldexp_f32 v15, v15, v18
	s_nop 0
	v_cndmask_b32_e32 v15, 0, v15, vcc
	v_cmp_nlt_f32_e32 vcc, s43, v81
	s_nop 1
	v_cndmask_b32_e32 v34, v73, v15, vcc
	v_add_f32_e32 v15, 1.0, v34
	v_add_f32_e32 v18, -1.0, v15
	v_sub_f32_e32 v19, v18, v15
	v_add_f32_e32 v19, 1.0, v19
	v_sub_f32_e32 v18, v34, v18
	v_add_f32_e32 v20, v18, v19
	v_frexp_mant_f32_e32 v21, v15
	v_cvt_f64_f32_e32 v[18:19], v15
	v_frexp_exp_i32_f64_e32 v18, v[18:19]
	v_cmp_gt_f32_e32 vcc, s45, v21
	v_cmp_gt_f32_e64 s[36:37], s47, v34
	s_nop 0
	v_subbrev_co_u32_e32 v26, vcc, 0, v18, vcc
	v_sub_u32_e32 v18, 0, v26
	v_ldexp_f32 v15, v15, v18
	v_ldexp_f32 v18, v20, v18
	v_add_f32_e32 v20, -1.0, v15
	v_add_f32_e32 v19, 1.0, v20
	v_sub_f32_e32 v19, v15, v19
	v_add_f32_e32 v21, v18, v19
	v_add_f32_e32 v19, 1.0, v15
	v_add_f32_e32 v22, -1.0, v19
	v_sub_f32_e32 v15, v15, v22
	v_add_f32_e32 v15, v18, v15
	v_add_f32_e32 v27, v19, v15
	v_rcp_f32_e32 v28, v27
	v_sub_f32_e32 v18, v19, v27
	v_add_f32_e32 v19, v20, v21
	v_add_f32_e32 v15, v15, v18
	v_mul_f32_e32 v30, v19, v28
	v_sub_f32_e32 v18, v20, v19
	v_mul_f32_e32 v20, v27, v30
	v_fma_f32 v22, v30, v27, -v20
	v_fmac_f32_e32 v22, v30, v15
	v_add_f32_e32 v29, v21, v18
	v_add_f32_e32 v18, v20, v22
	v_sub_f32_e32 v21, v19, v18
	v_pk_add_f32 v[24:25], v[18:19], v[20:21] neg_lo:[0,1] neg_hi:[0,1]
	v_mov_b32_e32 v23, v18
	v_pk_add_f32 v[18:19], v[24:25], v[22:23] neg_lo:[0,1] neg_hi:[0,1]
	v_cmp_eq_f32_e32 vcc, s44, v34
	v_add_f32_e32 v19, v29, v19
	v_add_f32_e32 v18, v18, v19
	;; [unrolled: 1-line block ×3, first 2 shown]
	v_mul_f32_e32 v29, v28, v19
	v_mul_f32_e32 v20, v27, v29
	v_fma_f32 v22, v29, v27, -v20
	v_fmac_f32_e32 v22, v29, v15
	v_sub_f32_e32 v15, v21, v19
	v_add_f32_e32 v15, v18, v15
	v_add_f32_e32 v18, v20, v22
	v_sub_f32_e32 v21, v19, v18
	v_pk_add_f32 v[24:25], v[18:19], v[20:21] neg_lo:[0,1] neg_hi:[0,1]
	v_mov_b32_e32 v23, v18
	v_pk_add_f32 v[18:19], v[24:25], v[22:23] neg_lo:[0,1] neg_hi:[0,1]
	s_or_b64 vcc, s[36:37], vcc
	v_add_f32_e32 v15, v15, v19
	v_add_f32_e32 v15, v18, v15
	v_add_f32_e32 v19, v30, v29
	v_add_f32_e32 v15, v21, v15
	v_sub_f32_e32 v18, v19, v30
	v_mul_f32_e32 v15, v28, v15
	v_sub_f32_e32 v18, v29, v18
	v_add_f32_e32 v20, v18, v15
	v_add_f32_e32 v22, v19, v20
	v_cvt_f32_i32_e32 v18, v26
	v_mul_f32_e32 v23, v22, v22
	v_sub_f32_e32 v19, v22, v19
	v_fmamk_f32 v15, v23, 0x3e9b6dac, v72
	v_sub_f32_e32 v19, v20, v19
	v_fmaak_f32 v15, v23, v15, 0x3f2aaada
	v_ldexp_f32 v24, v19, 1
	v_mul_f32_e32 v19, v22, v23
	v_ldexp_f32 v21, v22, 1
	v_pk_mul_f32 v[22:23], v[18:19], v[14:15]
	s_nop 0
	v_fma_f32 v20, v18, s46, -v22
	v_fmac_f32_e32 v20, 0xb102e308, v18
	v_pk_add_f32 v[18:19], v[22:23], v[20:21]
	s_nop 0
	v_sub_f32_e32 v15, v19, v21
	v_sub_f32_e32 v15, v23, v15
	v_add_f32_e32 v25, v24, v15
	v_mov_b32_e32 v24, v22
	v_pk_add_f32 v[22:23], v[18:19], v[22:23] neg_lo:[0,1] neg_hi:[0,1]
	v_pk_add_f32 v[26:27], v[18:19], v[24:25]
	v_mov_b32_e32 v21, v18
	v_mov_b32_e32 v23, v27
	v_pk_add_f32 v[28:29], v[20:21], v[22:23] neg_lo:[0,1] neg_hi:[0,1]
	v_pk_add_f32 v[20:21], v[20:21], v[22:23]
	v_mov_b32_e32 v24, v25
	v_mov_b32_e32 v22, v21
	v_pk_add_f32 v[30:31], v[22:23], v[18:19] neg_lo:[0,1] neg_hi:[0,1]
	v_mov_b32_e32 v20, v27
	v_mov_b32_e32 v15, v30
	v_pk_add_f32 v[32:33], v[26:27], v[14:15] neg_lo:[0,1] neg_hi:[0,1]
	v_mov_b32_e32 v26, v19
	v_mov_b32_e32 v27, v30
	;; [unrolled: 1-line block ×3, first 2 shown]
	v_pk_add_f32 v[20:21], v[20:21], v[26:27] neg_lo:[0,1] neg_hi:[0,1]
	v_mov_b32_e32 v25, v18
	v_pk_add_f32 v[18:19], v[24:25], v[20:21] neg_lo:[0,1] neg_hi:[0,1]
	v_mov_b32_e32 v32, v28
	v_pk_add_f32 v[20:21], v[32:33], v[18:19]
	s_nop 0
	v_mov_b32_e32 v24, v21
	v_pk_add_f32 v[24:25], v[20:21], v[24:25]
	s_nop 0
	v_pk_add_f32 v[22:23], v[22:23], v[24:25]
	v_mov_b32_e32 v19, v24
	v_mov_b32_e32 v21, v22
	v_pk_add_f32 v[26:27], v[20:21], v[28:29] neg_lo:[0,1] neg_hi:[0,1]
	s_nop 0
	v_sub_f32_e32 v15, v20, v26
	v_pk_add_f32 v[18:19], v[18:19], v[26:27] neg_lo:[0,1] neg_hi:[0,1]
	v_sub_f32_e32 v15, v28, v15
	v_add_f32_e32 v15, v18, v15
	v_add_f32_e32 v15, v15, v19
	;; [unrolled: 1-line block ×3, first 2 shown]
	v_cndmask_b32_e32 v81, v15, v34, vcc
.LBB142_53:                             ;   in Loop: Header=BB142_11 Depth=1
	s_or_b64 exec, exec, s[38:39]
	s_waitcnt lgkmcnt(0)
	v_add_f32_e32 v82, s57, v16
	v_cmp_ge_f32_e32 vcc, s40, v82
	s_and_b64 s[36:37], s[72:73], vcc
	s_and_saveexec_b64 s[38:39], s[36:37]
	s_cbranch_execz .LBB142_55
; %bb.54:                               ;   in Loop: Header=BB142_11 Depth=1
	v_mul_f32_e32 v15, 0x3fb8aa3b, v82
	v_rndne_f32_e32 v16, v15
	v_sub_f32_e32 v18, v15, v16
	v_fma_f32 v15, v82, s41, -v15
	v_fmac_f32_e32 v15, 0x32a5705f, v82
	v_add_f32_e32 v15, v18, v15
	v_cvt_i32_f32_e32 v16, v16
	v_exp_f32_e32 v15, v15
	v_cmp_ngt_f32_e32 vcc, s42, v82
	v_ldexp_f32 v15, v15, v16
	s_nop 0
	v_cndmask_b32_e32 v15, 0, v15, vcc
	v_cmp_nlt_f32_e32 vcc, s43, v82
	s_nop 1
	v_cndmask_b32_e32 v32, v73, v15, vcc
	v_add_f32_e32 v15, 1.0, v32
	v_add_f32_e32 v16, -1.0, v15
	v_sub_f32_e32 v18, v16, v15
	v_add_f32_e32 v18, 1.0, v18
	v_sub_f32_e32 v16, v32, v16
	v_add_f32_e32 v16, v16, v18
	v_frexp_mant_f32_e32 v20, v15
	v_cvt_f64_f32_e32 v[18:19], v15
	v_frexp_exp_i32_f64_e32 v18, v[18:19]
	v_cmp_gt_f32_e32 vcc, s45, v20
	v_cmp_gt_f32_e64 s[36:37], s47, v32
	s_nop 0
	v_subbrev_co_u32_e32 v26, vcc, 0, v18, vcc
	v_sub_u32_e32 v18, 0, v26
	v_ldexp_f32 v15, v15, v18
	v_ldexp_f32 v16, v16, v18
	v_add_f32_e32 v18, -1.0, v15
	v_add_f32_e32 v19, 1.0, v18
	v_sub_f32_e32 v19, v15, v19
	v_add_f32_e32 v20, v16, v19
	v_add_f32_e32 v19, 1.0, v15
	v_add_f32_e32 v21, -1.0, v19
	v_sub_f32_e32 v15, v15, v21
	v_add_f32_e32 v15, v16, v15
	v_add_f32_e32 v16, v19, v15
	v_rcp_f32_e32 v27, v16
	v_sub_f32_e32 v19, v19, v16
	v_add_f32_e32 v15, v15, v19
	v_add_f32_e32 v19, v18, v20
	v_sub_f32_e32 v18, v18, v19
	v_mul_f32_e32 v29, v19, v27
	v_add_f32_e32 v28, v20, v18
	v_mul_f32_e32 v20, v16, v29
	v_fma_f32 v22, v29, v16, -v20
	v_fmac_f32_e32 v22, v29, v15
	v_add_f32_e32 v18, v20, v22
	v_sub_f32_e32 v21, v19, v18
	v_pk_add_f32 v[24:25], v[18:19], v[20:21] neg_lo:[0,1] neg_hi:[0,1]
	v_mov_b32_e32 v23, v18
	v_pk_add_f32 v[18:19], v[24:25], v[22:23] neg_lo:[0,1] neg_hi:[0,1]
	v_cmp_eq_f32_e32 vcc, s44, v32
	v_add_f32_e32 v19, v28, v19
	v_add_f32_e32 v18, v18, v19
	;; [unrolled: 1-line block ×3, first 2 shown]
	v_mul_f32_e32 v28, v27, v19
	v_mul_f32_e32 v20, v16, v28
	v_fma_f32 v22, v28, v16, -v20
	v_fmac_f32_e32 v22, v28, v15
	v_sub_f32_e32 v15, v21, v19
	v_add_f32_e32 v15, v18, v15
	v_add_f32_e32 v18, v20, v22
	v_sub_f32_e32 v21, v19, v18
	v_pk_add_f32 v[24:25], v[18:19], v[20:21] neg_lo:[0,1] neg_hi:[0,1]
	v_mov_b32_e32 v23, v18
	v_pk_add_f32 v[18:19], v[24:25], v[22:23] neg_lo:[0,1] neg_hi:[0,1]
	v_add_f32_e32 v16, v29, v28
	v_add_f32_e32 v15, v15, v19
	v_add_f32_e32 v15, v18, v15
	v_add_f32_e32 v15, v21, v15
	v_sub_f32_e32 v18, v16, v29
	v_mul_f32_e32 v15, v27, v15
	v_sub_f32_e32 v18, v28, v18
	v_add_f32_e32 v19, v18, v15
	v_add_f32_e32 v20, v16, v19
	v_cvt_f32_i32_e32 v18, v26
	v_mul_f32_e32 v22, v20, v20
	v_fmamk_f32 v15, v22, 0x3e9b6dac, v72
	v_sub_f32_e32 v16, v20, v16
	v_fmaak_f32 v15, v22, v15, 0x3f2aaada
	v_sub_f32_e32 v16, v19, v16
	v_mul_f32_e32 v19, v20, v22
	v_pk_mul_f32 v[22:23], v[18:19], v[14:15]
	v_ldexp_f32 v21, v20, 1
	v_fma_f32 v20, v18, s46, -v22
	v_fmac_f32_e32 v20, 0xb102e308, v18
	v_pk_add_f32 v[18:19], v[22:23], v[20:21]
	v_ldexp_f32 v16, v16, 1
	v_sub_f32_e32 v15, v19, v21
	v_sub_f32_e32 v15, v23, v15
	v_add_f32_e32 v25, v16, v15
	v_mov_b32_e32 v24, v22
	v_pk_add_f32 v[22:23], v[18:19], v[22:23] neg_lo:[0,1] neg_hi:[0,1]
	v_pk_add_f32 v[26:27], v[18:19], v[24:25]
	v_mov_b32_e32 v21, v18
	v_mov_b32_e32 v23, v27
	v_pk_add_f32 v[28:29], v[20:21], v[22:23] neg_lo:[0,1] neg_hi:[0,1]
	v_pk_add_f32 v[20:21], v[20:21], v[22:23]
	s_or_b64 vcc, s[36:37], vcc
	v_mov_b32_e32 v16, v21
	v_pk_add_f32 v[22:23], v[16:17], v[18:19] neg_lo:[0,1] neg_hi:[0,1]
	v_mov_b32_e32 v20, v27
	v_mov_b32_e32 v15, v22
	v_pk_add_f32 v[30:31], v[26:27], v[14:15] neg_lo:[0,1] neg_hi:[0,1]
	v_mov_b32_e32 v26, v19
	v_mov_b32_e32 v27, v22
	;; [unrolled: 1-line block ×3, first 2 shown]
	v_pk_add_f32 v[20:21], v[20:21], v[26:27] neg_lo:[0,1] neg_hi:[0,1]
	v_mov_b32_e32 v22, v25
	v_mov_b32_e32 v23, v18
	v_pk_add_f32 v[18:19], v[22:23], v[20:21] neg_lo:[0,1] neg_hi:[0,1]
	v_mov_b32_e32 v30, v28
	v_pk_add_f32 v[20:21], v[30:31], v[18:19]
	s_nop 0
	v_mov_b32_e32 v22, v21
	v_pk_add_f32 v[22:23], v[20:21], v[22:23]
	s_nop 0
	v_pk_add_f32 v[24:25], v[16:17], v[22:23]
	v_mov_b32_e32 v19, v22
	v_mov_b32_e32 v21, v24
	v_pk_add_f32 v[26:27], v[20:21], v[28:29] neg_lo:[0,1] neg_hi:[0,1]
	s_nop 0
	v_sub_f32_e32 v15, v20, v26
	v_pk_add_f32 v[18:19], v[18:19], v[26:27] neg_lo:[0,1] neg_hi:[0,1]
	v_sub_f32_e32 v15, v28, v15
	v_add_f32_e32 v15, v18, v15
	v_add_f32_e32 v15, v15, v19
	;; [unrolled: 1-line block ×3, first 2 shown]
	v_cndmask_b32_e32 v82, v15, v32, vcc
.LBB142_55:                             ;   in Loop: Header=BB142_11 Depth=1
	s_or_b64 exec, exec, s[38:39]
	v_add_f32_e32 v15, s57, v17
	v_cmp_ge_f32_e32 vcc, s40, v15
	s_and_b64 s[36:37], s[72:73], vcc
	s_and_saveexec_b64 s[38:39], s[36:37]
	s_cbranch_execz .LBB142_57
; %bb.56:                               ;   in Loop: Header=BB142_11 Depth=1
	v_mul_f32_e32 v16, 0x3fb8aa3b, v15
	v_rndne_f32_e32 v17, v16
	v_sub_f32_e32 v18, v16, v17
	v_fma_f32 v16, v15, s41, -v16
	v_fmac_f32_e32 v16, 0x32a5705f, v15
	v_add_f32_e32 v16, v18, v16
	v_cvt_i32_f32_e32 v17, v17
	v_exp_f32_e32 v16, v16
	v_cmp_ngt_f32_e32 vcc, s42, v15
	v_ldexp_f32 v16, v16, v17
	s_nop 0
	v_cndmask_b32_e32 v16, 0, v16, vcc
	v_cmp_nlt_f32_e32 vcc, s43, v15
	s_nop 1
	v_cndmask_b32_e32 v32, v73, v16, vcc
	v_add_f32_e32 v15, 1.0, v32
	v_add_f32_e32 v16, -1.0, v15
	v_sub_f32_e32 v17, v16, v15
	v_add_f32_e32 v17, 1.0, v17
	v_sub_f32_e32 v16, v32, v16
	v_add_f32_e32 v18, v16, v17
	v_frexp_mant_f32_e32 v19, v15
	v_cvt_f64_f32_e32 v[16:17], v15
	v_frexp_exp_i32_f64_e32 v16, v[16:17]
	v_cmp_gt_f32_e32 vcc, s45, v19
	v_cmp_gt_f32_e64 s[36:37], s47, v32
	s_nop 0
	v_subbrev_co_u32_e32 v24, vcc, 0, v16, vcc
	v_sub_u32_e32 v16, 0, v24
	v_ldexp_f32 v15, v15, v16
	v_ldexp_f32 v16, v18, v16
	v_add_f32_e32 v18, -1.0, v15
	v_add_f32_e32 v17, 1.0, v18
	v_sub_f32_e32 v17, v15, v17
	v_add_f32_e32 v19, v16, v17
	v_add_f32_e32 v17, 1.0, v15
	v_add_f32_e32 v20, -1.0, v17
	v_sub_f32_e32 v15, v15, v20
	v_add_f32_e32 v15, v16, v15
	v_add_f32_e32 v25, v17, v15
	v_rcp_f32_e32 v26, v25
	v_sub_f32_e32 v16, v17, v25
	v_add_f32_e32 v17, v18, v19
	v_add_f32_e32 v15, v15, v16
	v_mul_f32_e32 v28, v17, v26
	v_sub_f32_e32 v16, v18, v17
	v_mul_f32_e32 v18, v25, v28
	v_fma_f32 v20, v28, v25, -v18
	v_fmac_f32_e32 v20, v28, v15
	v_add_f32_e32 v27, v19, v16
	v_add_f32_e32 v16, v18, v20
	v_sub_f32_e32 v19, v17, v16
	v_pk_add_f32 v[22:23], v[16:17], v[18:19] neg_lo:[0,1] neg_hi:[0,1]
	v_mov_b32_e32 v21, v16
	v_pk_add_f32 v[16:17], v[22:23], v[20:21] neg_lo:[0,1] neg_hi:[0,1]
	v_cmp_eq_f32_e32 vcc, s44, v32
	v_add_f32_e32 v17, v27, v17
	v_add_f32_e32 v16, v16, v17
	;; [unrolled: 1-line block ×3, first 2 shown]
	v_mul_f32_e32 v27, v26, v17
	v_mul_f32_e32 v18, v25, v27
	v_fma_f32 v20, v27, v25, -v18
	v_fmac_f32_e32 v20, v27, v15
	v_sub_f32_e32 v15, v19, v17
	v_add_f32_e32 v15, v16, v15
	v_add_f32_e32 v16, v18, v20
	v_sub_f32_e32 v19, v17, v16
	v_pk_add_f32 v[22:23], v[16:17], v[18:19] neg_lo:[0,1] neg_hi:[0,1]
	v_mov_b32_e32 v21, v16
	v_pk_add_f32 v[16:17], v[22:23], v[20:21] neg_lo:[0,1] neg_hi:[0,1]
	s_or_b64 vcc, s[36:37], vcc
	v_add_f32_e32 v15, v15, v17
	v_add_f32_e32 v15, v16, v15
	;; [unrolled: 1-line block ×4, first 2 shown]
	v_sub_f32_e32 v16, v17, v28
	v_mul_f32_e32 v15, v26, v15
	v_sub_f32_e32 v16, v27, v16
	v_add_f32_e32 v18, v16, v15
	v_add_f32_e32 v20, v17, v18
	v_cvt_f32_i32_e32 v16, v24
	v_mul_f32_e32 v21, v20, v20
	v_sub_f32_e32 v17, v20, v17
	v_fmamk_f32 v15, v21, 0x3e9b6dac, v72
	v_sub_f32_e32 v17, v18, v17
	v_fmaak_f32 v15, v21, v15, 0x3f2aaada
	v_ldexp_f32 v22, v17, 1
	v_mul_f32_e32 v17, v20, v21
	v_ldexp_f32 v19, v20, 1
	v_pk_mul_f32 v[20:21], v[16:17], v[14:15]
	s_nop 0
	v_fma_f32 v18, v16, s46, -v20
	v_fmac_f32_e32 v18, 0xb102e308, v16
	v_pk_add_f32 v[16:17], v[20:21], v[18:19]
	s_nop 0
	v_sub_f32_e32 v15, v17, v19
	v_sub_f32_e32 v15, v21, v15
	v_add_f32_e32 v23, v22, v15
	v_mov_b32_e32 v22, v20
	v_pk_add_f32 v[20:21], v[16:17], v[20:21] neg_lo:[0,1] neg_hi:[0,1]
	v_pk_add_f32 v[24:25], v[16:17], v[22:23]
	v_mov_b32_e32 v19, v16
	v_mov_b32_e32 v21, v25
	v_pk_add_f32 v[26:27], v[18:19], v[20:21] neg_lo:[0,1] neg_hi:[0,1]
	v_pk_add_f32 v[18:19], v[18:19], v[20:21]
	v_mov_b32_e32 v22, v23
	v_mov_b32_e32 v20, v19
	v_pk_add_f32 v[28:29], v[20:21], v[16:17] neg_lo:[0,1] neg_hi:[0,1]
	v_mov_b32_e32 v18, v25
	v_mov_b32_e32 v15, v28
	v_pk_add_f32 v[30:31], v[24:25], v[14:15] neg_lo:[0,1] neg_hi:[0,1]
	v_mov_b32_e32 v24, v17
	v_mov_b32_e32 v25, v28
	;; [unrolled: 1-line block ×3, first 2 shown]
	v_pk_add_f32 v[18:19], v[18:19], v[24:25] neg_lo:[0,1] neg_hi:[0,1]
	v_mov_b32_e32 v23, v16
	v_pk_add_f32 v[16:17], v[22:23], v[18:19] neg_lo:[0,1] neg_hi:[0,1]
	v_mov_b32_e32 v30, v26
	v_pk_add_f32 v[18:19], v[30:31], v[16:17]
	s_nop 0
	v_mov_b32_e32 v22, v19
	v_pk_add_f32 v[22:23], v[18:19], v[22:23]
	s_nop 0
	v_pk_add_f32 v[20:21], v[20:21], v[22:23]
	v_mov_b32_e32 v17, v22
	v_mov_b32_e32 v19, v20
	v_pk_add_f32 v[24:25], v[18:19], v[26:27] neg_lo:[0,1] neg_hi:[0,1]
	s_nop 0
	v_sub_f32_e32 v15, v18, v24
	v_pk_add_f32 v[16:17], v[16:17], v[24:25] neg_lo:[0,1] neg_hi:[0,1]
	v_sub_f32_e32 v15, v26, v15
	v_add_f32_e32 v15, v16, v15
	v_add_f32_e32 v15, v15, v17
	;; [unrolled: 1-line block ×3, first 2 shown]
	v_cndmask_b32_e32 v15, v15, v32, vcc
.LBB142_57:                             ;   in Loop: Header=BB142_11 Depth=1
	s_or_b64 exec, exec, s[38:39]
	v_readlane_b32 s36, v95, 0
	s_waitcnt lgkmcnt(0)
	; wave barrier
	s_nop 0
	v_mul_f32_e32 v16, s36, v8
	v_mul_f32_e32 v19, s36, v7
	;; [unrolled: 1-line block ×8, first 2 shown]
	v_readlane_b32 s36, v95, 2
	v_readlane_b32 s37, v95, 3
	s_and_b64 vcc, exec, s[36:37]
	s_cbranch_vccz .LBB142_118
; %bb.58:                               ;   in Loop: Header=BB142_11 Depth=1
	s_cmp_lg_u32 s82, 0
	v_readlane_b32 s36, v95, 8
	v_readlane_b32 s62, v95, 5
	v_mul_f32_e32 v90, v2, v76
	s_cselect_b64 s[88:89], -1, 0
	s_cmp_eq_u32 s82, s36
	v_cmp_gt_u32_e32 vcc, s50, v11
	v_readlane_b32 s63, v95, 6
	v_or_b32_e32 v2, 1, v11
	s_cselect_b64 s[90:91], -1, 0
	s_or_b64 s[36:37], s[62:63], vcc
	v_cmp_gt_u32_e32 vcc, s50, v2
	v_or_b32_e32 v2, 2, v11
	s_or_b64 s[38:39], s[62:63], vcc
	v_cmp_gt_u32_e32 vcc, s50, v2
	v_or_b32_e32 v2, 3, v11
	;; [unrolled: 3-line block ×6, first 2 shown]
	s_or_b64 s[48:49], s[62:63], vcc
	v_cmp_gt_u32_e32 vcc, s50, v2
	v_mul_f32_e32 v83, v9, v15
	v_lshl_add_u64 v[24:25], s[54:55], 0, v[0:1]
	v_lshl_add_u64 v[26:27], s[58:59], 0, v[0:1]
	v_mul_f32_e32 v84, v8, v82
	v_mul_f32_e32 v85, v7, v81
	;; [unrolled: 1-line block ×6, first 2 shown]
	s_or_b64 s[50:51], s[62:63], vcc
	s_mov_b32 s78, s60
	s_mov_b32 s92, 0
	;; [unrolled: 1-line block ×4, first 2 shown]
	v_readlane_b32 s87, v95, 1
	v_readlane_b32 s83, v95, 9
	s_branch .LBB142_60
.LBB142_59:                             ;   in Loop: Header=BB142_60 Depth=2
	s_or_b64 exec, exec, s[62:63]
	v_mul_f32_e32 v28, v91, v69
	v_fma_f32 v29, v91, v70, v30
	v_cndmask_b32_e64 v30, v29, v30, s[16:17]
	v_cndmask_b32_e64 v28, v28, v91, s[16:17]
	s_waitcnt lgkmcnt(0)
	v_fmac_f32_e32 v30, v38, v28
	v_fmac_f32_e32 v31, v30, v92
	;; [unrolled: 1-line block ×8, first 2 shown]
	s_add_i32 s83, s83, 8
	s_add_i32 s87, s87, -1
	s_add_i32 s96, s96, s74
	s_add_i32 s94, s94, s52
	;; [unrolled: 1-line block ×4, first 2 shown]
	v_pk_fma_f32 v[22:23], v[8:9], v[30:31], v[22:23]
	v_pk_fma_f32 v[20:21], v[6:7], v[32:33], v[20:21]
	;; [unrolled: 1-line block ×3, first 2 shown]
	s_cmp_eq_u32 s87, 0
	v_pk_fma_f32 v[16:17], v[2:3], v[34:35], v[16:17]
	s_mov_b32 s61, s53
	s_mov_b32 s64, s56
	s_cbranch_scc1 .LBB142_117
.LBB142_60:                             ;   Parent Loop BB142_11 Depth=1
                                        ; =>  This Inner Loop Header: Depth=2
	s_lshl_b64 s[62:63], s[78:79], 2
	s_add_u32 s62, s33, s62
	s_addc_u32 s63, s75, s63
	global_load_dword v38, v1, s[62:63]
	s_mov_b32 s61, s60
	s_mov_b32 s93, s79
	;; [unrolled: 1-line block ×8, first 2 shown]
	v_mov_b64_e32 v[2:3], s[60:61]
	v_lshl_add_u64 v[28:29], s[92:93], 2, v[24:25]
	v_mov_b64_e32 v[4:5], s[62:63]
	v_mov_b64_e32 v[6:7], s[64:65]
	;; [unrolled: 1-line block ×3, first 2 shown]
	v_mov_b32_e32 v30, 0
	s_and_saveexec_b64 s[62:63], s[18:19]
	s_cbranch_execnz .LBB142_80
; %bb.61:                               ;   in Loop: Header=BB142_60 Depth=2
	s_or_b64 exec, exec, s[62:63]
	s_and_saveexec_b64 s[62:63], s[20:21]
	s_cbranch_execnz .LBB142_81
.LBB142_62:                             ;   in Loop: Header=BB142_60 Depth=2
	s_or_b64 exec, exec, s[62:63]
	s_and_saveexec_b64 s[62:63], s[22:23]
	s_cbranch_execnz .LBB142_82
.LBB142_63:                             ;   in Loop: Header=BB142_60 Depth=2
	s_or_b64 exec, exec, s[62:63]
	s_and_saveexec_b64 s[62:63], s[24:25]
	s_cbranch_execnz .LBB142_83
.LBB142_64:                             ;   in Loop: Header=BB142_60 Depth=2
	s_or_b64 exec, exec, s[62:63]
	s_and_saveexec_b64 s[62:63], s[26:27]
	s_cbranch_execnz .LBB142_84
.LBB142_65:                             ;   in Loop: Header=BB142_60 Depth=2
	s_or_b64 exec, exec, s[62:63]
	s_and_saveexec_b64 s[62:63], s[28:29]
	s_cbranch_execnz .LBB142_85
.LBB142_66:                             ;   in Loop: Header=BB142_60 Depth=2
	s_or_b64 exec, exec, s[62:63]
	s_and_saveexec_b64 s[62:63], s[30:31]
	s_cbranch_execnz .LBB142_86
.LBB142_67:                             ;   in Loop: Header=BB142_60 Depth=2
	s_or_b64 exec, exec, s[62:63]
	s_and_saveexec_b64 s[62:63], s[34:35]
	s_cbranch_execz .LBB142_69
.LBB142_68:                             ;   in Loop: Header=BB142_60 Depth=2
	global_load_dword v9, v[28:29], off offset:1792
.LBB142_69:                             ;   in Loop: Header=BB142_60 Depth=2
	s_or_b64 exec, exec, s[62:63]
	s_waitcnt vmcnt(0)
	ds_write_b32 v47, v30
	ds_write_b32 v48, v3 offset:256
	ds_write_b32 v49, v4 offset:512
	ds_write_b32 v50, v5 offset:768
	ds_write_b32 v51, v6 offset:1024
	ds_write_b32 v52, v7 offset:1280
	ds_write_b32 v53, v8 offset:1536
	ds_write_b32 v54, v9 offset:1792
	; wave barrier
	ds_read2_b32 v[30:31], v55 offset1:1
	ds_read2_b32 v[32:33], v55 offset0:2 offset1:3
	ds_read2_b32 v[36:37], v55 offset0:4 offset1:5
	;; [unrolled: 1-line block ×3, first 2 shown]
	s_mov_b32 s64, s79
	s_mov_b32 s65, s79
	;; [unrolled: 1-line block ×9, first 2 shown]
	v_mov_b64_e32 v[2:3], s[64:65]
	v_lshl_add_u64 v[28:29], s[94:95], 2, v[26:27]
	v_mov_b64_e32 v[4:5], s[66:67]
	v_mov_b64_e32 v[6:7], s[68:69]
	;; [unrolled: 1-line block ×3, first 2 shown]
	v_mov_b32_e32 v39, 0
	s_and_saveexec_b64 s[62:63], s[18:19]
	s_cbranch_execnz .LBB142_87
; %bb.70:                               ;   in Loop: Header=BB142_60 Depth=2
	s_or_b64 exec, exec, s[62:63]
	s_and_saveexec_b64 s[62:63], s[20:21]
	s_cbranch_execnz .LBB142_88
.LBB142_71:                             ;   in Loop: Header=BB142_60 Depth=2
	s_or_b64 exec, exec, s[62:63]
	s_and_saveexec_b64 s[62:63], s[22:23]
	s_cbranch_execnz .LBB142_89
.LBB142_72:                             ;   in Loop: Header=BB142_60 Depth=2
	s_or_b64 exec, exec, s[62:63]
	s_and_saveexec_b64 s[62:63], s[24:25]
	s_cbranch_execnz .LBB142_90
.LBB142_73:                             ;   in Loop: Header=BB142_60 Depth=2
	s_or_b64 exec, exec, s[62:63]
	s_and_saveexec_b64 s[62:63], s[26:27]
	s_cbranch_execnz .LBB142_91
.LBB142_74:                             ;   in Loop: Header=BB142_60 Depth=2
	s_or_b64 exec, exec, s[62:63]
	s_and_saveexec_b64 s[62:63], s[28:29]
	s_cbranch_execnz .LBB142_92
.LBB142_75:                             ;   in Loop: Header=BB142_60 Depth=2
	s_or_b64 exec, exec, s[62:63]
	s_and_saveexec_b64 s[62:63], s[30:31]
	s_cbranch_execnz .LBB142_93
.LBB142_76:                             ;   in Loop: Header=BB142_60 Depth=2
	s_or_b64 exec, exec, s[62:63]
	s_and_saveexec_b64 s[62:63], s[34:35]
	s_cbranch_execz .LBB142_78
.LBB142_77:                             ;   in Loop: Header=BB142_60 Depth=2
	global_load_dword v9, v[28:29], off offset:1792
.LBB142_78:                             ;   in Loop: Header=BB142_60 Depth=2
	s_or_b64 exec, exec, s[62:63]
	v_add_u32_e32 v2, 0x840, v55
	s_waitcnt vmcnt(0)
	ds_write_b32 v47, v39 offset:2112
	ds_write_b32 v56, v3 offset:256
	;; [unrolled: 1-line block ×8, first 2 shown]
	; wave barrier
	ds_read2_b32 v[6:7], v63 offset0:2 offset1:3
	ds_read2_b32 v[4:5], v63 offset0:4 offset1:5
	ds_read2_b32 v[8:9], v2 offset1:1
	ds_read2_b32 v[2:3], v63 offset0:6 offset1:7
	s_andn2_b64 vcc, exec, s[88:89]
	s_cbranch_vccnz .LBB142_94
; %bb.79:                               ;   in Loop: Header=BB142_60 Depth=2
	v_mov_b32_e32 v28, s83
	ds_read_b64 v[28:29], v28
	s_cbranch_execz .LBB142_95
	s_branch .LBB142_98
.LBB142_80:                             ;   in Loop: Header=BB142_60 Depth=2
	global_load_dword v30, v[28:29], off
	v_mov_b32_e32 v2, v1
	v_mov_b32_e32 v3, v1
	;; [unrolled: 1-line block ×6, first 2 shown]
	v_mov_b64_e32 v[8:9], v[6:7]
	v_mov_b64_e32 v[6:7], v[4:5]
	;; [unrolled: 1-line block ×4, first 2 shown]
	s_or_b64 exec, exec, s[62:63]
	s_and_saveexec_b64 s[62:63], s[20:21]
	s_cbranch_execz .LBB142_62
.LBB142_81:                             ;   in Loop: Header=BB142_60 Depth=2
	global_load_dword v3, v[28:29], off offset:256
	s_or_b64 exec, exec, s[62:63]
	s_and_saveexec_b64 s[62:63], s[22:23]
	s_cbranch_execz .LBB142_63
.LBB142_82:                             ;   in Loop: Header=BB142_60 Depth=2
	global_load_dword v4, v[28:29], off offset:512
	s_or_b64 exec, exec, s[62:63]
	s_and_saveexec_b64 s[62:63], s[24:25]
	s_cbranch_execz .LBB142_64
.LBB142_83:                             ;   in Loop: Header=BB142_60 Depth=2
	global_load_dword v5, v[28:29], off offset:768
	s_or_b64 exec, exec, s[62:63]
	s_and_saveexec_b64 s[62:63], s[26:27]
	s_cbranch_execz .LBB142_65
.LBB142_84:                             ;   in Loop: Header=BB142_60 Depth=2
	global_load_dword v6, v[28:29], off offset:1024
	s_or_b64 exec, exec, s[62:63]
	s_and_saveexec_b64 s[62:63], s[28:29]
	s_cbranch_execz .LBB142_66
.LBB142_85:                             ;   in Loop: Header=BB142_60 Depth=2
	global_load_dword v7, v[28:29], off offset:1280
	s_or_b64 exec, exec, s[62:63]
	s_and_saveexec_b64 s[62:63], s[30:31]
	s_cbranch_execz .LBB142_67
.LBB142_86:                             ;   in Loop: Header=BB142_60 Depth=2
	global_load_dword v8, v[28:29], off offset:1536
	s_or_b64 exec, exec, s[62:63]
	s_and_saveexec_b64 s[62:63], s[34:35]
	s_cbranch_execnz .LBB142_68
	s_branch .LBB142_69
.LBB142_87:                             ;   in Loop: Header=BB142_60 Depth=2
	global_load_dword v39, v[28:29], off
	v_mov_b32_e32 v2, v1
	v_mov_b32_e32 v3, v1
	;; [unrolled: 1-line block ×6, first 2 shown]
	v_mov_b64_e32 v[8:9], v[6:7]
	v_mov_b64_e32 v[6:7], v[4:5]
	;; [unrolled: 1-line block ×4, first 2 shown]
	s_or_b64 exec, exec, s[62:63]
	s_and_saveexec_b64 s[62:63], s[20:21]
	s_cbranch_execz .LBB142_71
.LBB142_88:                             ;   in Loop: Header=BB142_60 Depth=2
	global_load_dword v3, v[28:29], off offset:256
	s_or_b64 exec, exec, s[62:63]
	s_and_saveexec_b64 s[62:63], s[22:23]
	s_cbranch_execz .LBB142_72
.LBB142_89:                             ;   in Loop: Header=BB142_60 Depth=2
	global_load_dword v4, v[28:29], off offset:512
	s_or_b64 exec, exec, s[62:63]
	s_and_saveexec_b64 s[62:63], s[24:25]
	s_cbranch_execz .LBB142_73
.LBB142_90:                             ;   in Loop: Header=BB142_60 Depth=2
	global_load_dword v5, v[28:29], off offset:768
	s_or_b64 exec, exec, s[62:63]
	s_and_saveexec_b64 s[62:63], s[26:27]
	s_cbranch_execz .LBB142_74
.LBB142_91:                             ;   in Loop: Header=BB142_60 Depth=2
	global_load_dword v6, v[28:29], off offset:1024
	s_or_b64 exec, exec, s[62:63]
	s_and_saveexec_b64 s[62:63], s[28:29]
	s_cbranch_execz .LBB142_75
.LBB142_92:                             ;   in Loop: Header=BB142_60 Depth=2
	global_load_dword v7, v[28:29], off offset:1280
	s_or_b64 exec, exec, s[62:63]
	s_and_saveexec_b64 s[62:63], s[30:31]
	s_cbranch_execz .LBB142_76
.LBB142_93:                             ;   in Loop: Header=BB142_60 Depth=2
	global_load_dword v8, v[28:29], off offset:1536
	s_or_b64 exec, exec, s[62:63]
	s_and_saveexec_b64 s[62:63], s[34:35]
	s_cbranch_execnz .LBB142_77
	s_branch .LBB142_78
.LBB142_94:                             ;   in Loop: Header=BB142_60 Depth=2
                                        ; implicit-def: $vgpr29
.LBB142_95:                             ;   in Loop: Header=BB142_60 Depth=2
	s_andn2_b64 vcc, exec, s[76:77]
	s_waitcnt lgkmcnt(0)
	v_mov_b32_e32 v29, 0
	s_cbranch_vccnz .LBB142_97
; %bb.96:                               ;   in Loop: Header=BB142_60 Depth=2
	s_mov_b32 s97, s79
	s_lshl_b64 s[62:63], s[96:97], 2
	s_add_u32 s62, s98, s62
	s_addc_u32 s63, s86, s63
	global_load_dword v29, v1, s[62:63]
.LBB142_97:                             ;   in Loop: Header=BB142_60 Depth=2
	v_mov_b32_e32 v28, 1.0
.LBB142_98:                             ;   in Loop: Header=BB142_60 Depth=2
	v_mul_f32_e32 v38, 0x3fb8aa3b, v38
	v_mul_f32_e32 v39, v38, v76
	v_cmp_gt_f32_e32 vcc, s99, v39
	s_waitcnt lgkmcnt(14)
	v_mul_f32_e32 v30, v30, v90
	v_mul_f32_e32 v31, v31, v89
	v_cndmask_b32_e32 v39, 0, v74, vcc
	v_fmac_f32_e32 v39, v38, v76
	v_exp_f32_e32 v39, v39
	v_cndmask_b32_e32 v65, 1.0, v75, vcc
	v_cndmask_b32_e64 v30, 0, v30, s[36:37]
	v_cndmask_b32_e64 v31, 0, v31, s[38:39]
	v_mul_f32_e32 v39, v39, v65
	v_mul_f32_e32 v65, v38, v77
	v_cmp_gt_f32_e32 vcc, s99, v65
	v_cndmask_b32_e64 v91, 1.0, v39, s[36:37]
	v_mul_f32_e32 v32, v32, v88
	v_cndmask_b32_e32 v65, 0, v74, vcc
	v_fmac_f32_e32 v65, v38, v77
	v_exp_f32_e32 v65, v65
	v_cndmask_b32_e32 v39, 1.0, v75, vcc
	v_cndmask_b32_e64 v32, 0, v32, s[40:41]
	v_mul_f32_e32 v33, v33, v87
	v_mul_f32_e32 v39, v65, v39
	;; [unrolled: 1-line block ×3, first 2 shown]
	v_cmp_gt_f32_e32 vcc, s99, v65
	v_cndmask_b32_e64 v92, 1.0, v39, s[38:39]
	v_cndmask_b32_e64 v33, 0, v33, s[42:43]
	v_cndmask_b32_e32 v65, 0, v74, vcc
	v_fmac_f32_e32 v65, v38, v78
	v_exp_f32_e32 v65, v65
	v_cndmask_b32_e32 v39, 1.0, v75, vcc
	s_waitcnt lgkmcnt(13)
	v_mul_f32_e32 v36, v36, v86
	v_cndmask_b32_e64 v36, 0, v36, s[44:45]
	v_mul_f32_e32 v39, v65, v39
	v_mul_f32_e32 v65, v38, v79
	v_cmp_gt_f32_e32 vcc, s99, v65
	v_cndmask_b32_e64 v93, 1.0, v39, s[40:41]
	v_mul_f32_e32 v37, v37, v85
	v_cndmask_b32_e32 v65, 0, v74, vcc
	v_fmac_f32_e32 v65, v38, v79
	v_exp_f32_e32 v65, v65
	v_cndmask_b32_e32 v39, 1.0, v75, vcc
	v_cndmask_b32_e64 v37, 0, v37, s[46:47]
	s_waitcnt lgkmcnt(12)
	v_mul_f32_e32 v34, v34, v84
	v_mul_f32_e32 v39, v65, v39
	;; [unrolled: 1-line block ×3, first 2 shown]
	v_cmp_gt_f32_e32 vcc, s99, v65
	v_cndmask_b32_e64 v94, 1.0, v39, s[42:43]
	v_cndmask_b32_e64 v34, 0, v34, s[48:49]
	v_cndmask_b32_e32 v65, 0, v74, vcc
	v_fmac_f32_e32 v65, v38, v80
	v_exp_f32_e32 v65, v65
	v_cndmask_b32_e32 v39, 1.0, v75, vcc
	v_mul_f32_e32 v35, v35, v83
	v_cndmask_b32_e64 v35, 0, v35, s[50:51]
	v_mul_f32_e32 v39, v65, v39
	v_mul_f32_e32 v65, v38, v81
	v_cmp_gt_f32_e32 vcc, s99, v65
	s_nop 1
	v_cndmask_b32_e32 v65, 0, v74, vcc
	v_fmac_f32_e32 v65, v38, v81
	v_exp_f32_e32 v66, v65
	v_cndmask_b32_e64 v65, 1.0, v39, s[44:45]
	v_cndmask_b32_e32 v39, 1.0, v75, vcc
	v_mul_f32_e32 v39, v66, v39
	v_mul_f32_e32 v66, v38, v82
	v_cmp_gt_f32_e32 vcc, s99, v66
	s_nop 1
	v_cndmask_b32_e32 v66, 0, v74, vcc
	v_fmac_f32_e32 v66, v38, v82
	v_exp_f32_e32 v67, v66
	v_cndmask_b32_e64 v66, 1.0, v39, s[46:47]
	v_cndmask_b32_e32 v39, 1.0, v75, vcc
	;; [unrolled: 9-line block ×3, first 2 shown]
	v_mul_f32_e32 v38, v38, v39
	v_cndmask_b32_e64 v68, 1.0, v38, s[50:51]
	v_mul_f32_e32 v38, v92, v91
	v_fma_f32 v39, v92, v30, v31
	v_mul_f32_e32 v38, v38, v93
	v_fma_f32 v39, v39, v93, v32
	;; [unrolled: 2-line block ×7, first 2 shown]
	s_nop 0
	v_mov_b32_dpp v70, v38 row_shr:1 row_mask:0xf bank_mask:0xf
	v_mov_b32_dpp v69, v71 row_shr:1 row_mask:0xf bank_mask:0xf
	s_and_saveexec_b64 s[62:63], s[0:1]
; %bb.99:                               ;   in Loop: Header=BB142_60 Depth=2
	v_mul_f32_e32 v70, v38, v70
	v_fmac_f32_e32 v71, v38, v69
	v_mov_b32_e32 v38, v70
; %bb.100:                              ;   in Loop: Header=BB142_60 Depth=2
	s_or_b64 exec, exec, s[62:63]
	s_nop 0
	v_mov_b32_dpp v69, v38 row_shr:2 row_mask:0xf bank_mask:0xf
	v_mov_b32_dpp v70, v71 row_shr:2 row_mask:0xf bank_mask:0xf
	s_and_saveexec_b64 s[62:63], s[2:3]
; %bb.101:                              ;   in Loop: Header=BB142_60 Depth=2
	v_fmac_f32_e32 v71, v38, v70
	v_mul_f32_e32 v38, v38, v69
; %bb.102:                              ;   in Loop: Header=BB142_60 Depth=2
	s_or_b64 exec, exec, s[62:63]
	s_nop 0
	v_mov_b32_dpp v69, v38 row_shr:4 row_mask:0xf bank_mask:0xf
	v_mov_b32_dpp v70, v71 row_shr:4 row_mask:0xf bank_mask:0xf
	s_and_saveexec_b64 s[62:63], s[4:5]
; %bb.103:                              ;   in Loop: Header=BB142_60 Depth=2
	v_fmac_f32_e32 v71, v38, v70
	v_mul_f32_e32 v38, v38, v69
; %bb.104:                              ;   in Loop: Header=BB142_60 Depth=2
	s_or_b64 exec, exec, s[62:63]
	s_nop 0
	v_mov_b32_dpp v69, v38 row_shr:8 row_mask:0xf bank_mask:0xf
	v_mov_b32_dpp v70, v71 row_shr:8 row_mask:0xf bank_mask:0xf
	s_and_saveexec_b64 s[62:63], s[6:7]
; %bb.105:                              ;   in Loop: Header=BB142_60 Depth=2
	v_fmac_f32_e32 v71, v38, v70
	v_mul_f32_e32 v38, v38, v69
; %bb.106:                              ;   in Loop: Header=BB142_60 Depth=2
	s_or_b64 exec, exec, s[62:63]
	s_nop 0
	v_mov_b32_dpp v69, v38 row_bcast:15 row_mask:0xf bank_mask:0xf
	v_mov_b32_dpp v70, v71 row_bcast:15 row_mask:0xf bank_mask:0xf
	s_and_saveexec_b64 s[62:63], s[8:9]
; %bb.107:                              ;   in Loop: Header=BB142_60 Depth=2
	v_fmac_f32_e32 v71, v38, v70
	v_mul_f32_e32 v38, v38, v69
; %bb.108:                              ;   in Loop: Header=BB142_60 Depth=2
	s_or_b64 exec, exec, s[62:63]
	s_nop 0
	v_mov_b32_dpp v69, v38 row_bcast:31 row_mask:0xf bank_mask:0xf
	v_mov_b32_dpp v70, v71 row_bcast:31 row_mask:0xf bank_mask:0xf
	v_mov_b32_e32 v39, v71
	v_mul_f32_e32 v69, v38, v69
	v_fmac_f32_e32 v39, v38, v70
	v_cndmask_b32_e64 v38, v38, v69, s[10:11]
	v_cndmask_b32_e64 v39, v71, v39, s[10:11]
	s_and_saveexec_b64 s[62:63], s[12:13]
	s_cbranch_execz .LBB142_110
; %bb.109:                              ;   in Loop: Header=BB142_60 Depth=2
	ds_write_b64 v1, v[38:39] offset:4224
.LBB142_110:                            ;   in Loop: Header=BB142_60 Depth=2
	s_or_b64 exec, exec, s[62:63]
	ds_bpermute_b32 v69, v64, v38
	ds_bpermute_b32 v70, v64, v39
	s_waitcnt vmcnt(0) lgkmcnt(2)
	v_mov_b32_e32 v39, v29
	s_waitcnt lgkmcnt(0)
	; wave barrier
	s_waitcnt lgkmcnt(0)
	s_and_saveexec_b64 s[62:63], s[14:15]
	s_cbranch_execz .LBB142_114
; %bb.111:                              ;   in Loop: Header=BB142_60 Depth=2
	ds_read_b64 v[38:39], v1 offset:4224
	s_and_saveexec_b64 s[64:65], s[16:17]
	s_cbranch_execz .LBB142_113
; %bb.112:                              ;   in Loop: Header=BB142_60 Depth=2
	ds_write_b64 v1, v[28:29] offset:4224
.LBB142_113:                            ;   in Loop: Header=BB142_60 Depth=2
	s_or_b64 exec, exec, s[64:65]
	s_waitcnt lgkmcnt(0)
	v_fmac_f32_e32 v39, v29, v38
	v_mul_f32_e32 v28, v28, v38
	v_mov_b32_e32 v29, v39
.LBB142_114:                            ;   in Loop: Header=BB142_60 Depth=2
	s_or_b64 exec, exec, s[62:63]
	s_waitcnt lgkmcnt(0)
	; wave barrier
	ds_read_b32 v38, v1 offset:4228
	s_and_saveexec_b64 s[62:63], s[16:17]
	s_cbranch_execz .LBB142_59
; %bb.115:                              ;   in Loop: Header=BB142_60 Depth=2
	v_mov_b32_e32 v71, s83
	s_andn2_b64 vcc, exec, s[90:91]
	ds_write_b64 v71, v[28:29]
	s_cbranch_vccnz .LBB142_59
; %bb.116:                              ;   in Loop: Header=BB142_60 Depth=2
	s_mov_b32 s97, s79
	s_lshl_b64 s[64:65], s[96:97], 2
	s_add_u32 s64, s98, s64
	s_addc_u32 s65, s86, s65
	global_store_dword v1, v39, s[64:65]
	s_branch .LBB142_59
.LBB142_117:                            ;   in Loop: Header=BB142_11 Depth=1
	s_mov_b32 s40, 0x41a00000
	s_mov_b32 s41, 0x3fb8aa3b
	s_mov_b32 s42, 0xc2ce8ed0
	s_mov_b32 s43, 0x42b17218
	s_mov_b32 s44, 0x7f800000
	s_mov_b32 s45, 0x3f2aaaab
	s_mov_b32 s46, 0x3f317218
	s_mov_b32 s47, 0x33800000
.LBB142_118:                            ;   in Loop: Header=BB142_11 Depth=1
	s_waitcnt lgkmcnt(0)
	; wave barrier
	ds_write2_b32 v55, v22, v23 offset1:1
	ds_write2_b32 v55, v20, v21 offset0:2 offset1:3
	ds_write2_b32 v55, v18, v19 offset0:4 offset1:5
	;; [unrolled: 1-line block ×3, first 2 shown]
	; wave barrier
	ds_read_b32 v15, v48 offset:256
	ds_read_b32 v9, v49 offset:512
	ds_read_b32 v8, v50 offset:768
	ds_read_b32 v7, v51 offset:1024
	ds_read_b32 v6, v52 offset:1280
	ds_read_b32 v5, v53 offset:1536
	ds_read_b32 v4, v54 offset:1792
	v_readlane_b32 s36, v95, 10
	v_readlane_b32 s37, v95, 11
	s_mov_b32 s37, s79
	s_nop 0
	v_lshl_add_u64 v[2:3], s[36:37], 2, v[12:13]
	s_and_saveexec_b64 s[36:37], s[18:19]
	s_cbranch_execnz .LBB142_128
; %bb.119:                              ;   in Loop: Header=BB142_11 Depth=1
	s_or_b64 exec, exec, s[36:37]
	s_and_saveexec_b64 s[18:19], s[20:21]
	s_cbranch_execnz .LBB142_129
.LBB142_120:                            ;   in Loop: Header=BB142_11 Depth=1
	s_or_b64 exec, exec, s[18:19]
	s_and_saveexec_b64 s[18:19], s[22:23]
	s_cbranch_execnz .LBB142_130
.LBB142_121:                            ;   in Loop: Header=BB142_11 Depth=1
	s_or_b64 exec, exec, s[18:19]
	s_and_saveexec_b64 s[18:19], s[24:25]
	s_cbranch_execnz .LBB142_131
.LBB142_122:                            ;   in Loop: Header=BB142_11 Depth=1
	s_or_b64 exec, exec, s[18:19]
	s_and_saveexec_b64 s[18:19], s[26:27]
	s_cbranch_execnz .LBB142_132
.LBB142_123:                            ;   in Loop: Header=BB142_11 Depth=1
	s_or_b64 exec, exec, s[18:19]
	s_and_saveexec_b64 s[18:19], s[28:29]
	s_cbranch_execnz .LBB142_133
.LBB142_124:                            ;   in Loop: Header=BB142_11 Depth=1
	s_or_b64 exec, exec, s[18:19]
	s_and_saveexec_b64 s[18:19], s[30:31]
	s_cbranch_execnz .LBB142_134
.LBB142_125:                            ;   in Loop: Header=BB142_11 Depth=1
	s_or_b64 exec, exec, s[18:19]
	s_and_saveexec_b64 s[18:19], s[34:35]
	s_cbranch_execz .LBB142_10
	s_branch .LBB142_135
.LBB142_126:                            ;   in Loop: Header=BB142_11 Depth=1
	global_load_dword v23, v[16:17], off offset:1280
	s_or_b64 exec, exec, s[36:37]
	s_and_saveexec_b64 s[36:37], s[30:31]
	s_cbranch_execz .LBB142_39
.LBB142_127:                            ;   in Loop: Header=BB142_11 Depth=1
	global_load_dword v22, v[16:17], off offset:1536
	s_or_b64 exec, exec, s[36:37]
	v_mov_b32_e32 v24, 0
	s_and_saveexec_b64 s[36:37], s[34:35]
	s_cbranch_execnz .LBB142_40
	s_branch .LBB142_41
.LBB142_128:                            ;   in Loop: Header=BB142_11 Depth=1
	ds_read_b32 v16, v47
	s_waitcnt lgkmcnt(0)
	global_store_dword v[2:3], v16, off
	s_or_b64 exec, exec, s[36:37]
	s_and_saveexec_b64 s[18:19], s[20:21]
	s_cbranch_execz .LBB142_120
.LBB142_129:                            ;   in Loop: Header=BB142_11 Depth=1
	s_waitcnt lgkmcnt(6)
	global_store_dword v[2:3], v15, off offset:256
	s_or_b64 exec, exec, s[18:19]
	s_and_saveexec_b64 s[18:19], s[22:23]
	s_cbranch_execz .LBB142_121
.LBB142_130:                            ;   in Loop: Header=BB142_11 Depth=1
	s_waitcnt lgkmcnt(5)
	global_store_dword v[2:3], v9, off offset:512
	s_or_b64 exec, exec, s[18:19]
	s_and_saveexec_b64 s[18:19], s[24:25]
	s_cbranch_execz .LBB142_122
.LBB142_131:                            ;   in Loop: Header=BB142_11 Depth=1
	s_waitcnt lgkmcnt(4)
	global_store_dword v[2:3], v8, off offset:768
	s_or_b64 exec, exec, s[18:19]
	s_and_saveexec_b64 s[18:19], s[26:27]
	s_cbranch_execz .LBB142_123
.LBB142_132:                            ;   in Loop: Header=BB142_11 Depth=1
	s_waitcnt lgkmcnt(3)
	global_store_dword v[2:3], v7, off offset:1024
	s_or_b64 exec, exec, s[18:19]
	s_and_saveexec_b64 s[18:19], s[28:29]
	s_cbranch_execz .LBB142_124
.LBB142_133:                            ;   in Loop: Header=BB142_11 Depth=1
	s_waitcnt lgkmcnt(2)
	global_store_dword v[2:3], v6, off offset:1280
	s_or_b64 exec, exec, s[18:19]
	s_and_saveexec_b64 s[18:19], s[30:31]
	s_cbranch_execz .LBB142_125
.LBB142_134:                            ;   in Loop: Header=BB142_11 Depth=1
	s_waitcnt lgkmcnt(1)
	global_store_dword v[2:3], v5, off offset:1536
	s_or_b64 exec, exec, s[18:19]
	s_and_saveexec_b64 s[18:19], s[34:35]
	s_cbranch_execz .LBB142_10
.LBB142_135:                            ;   in Loop: Header=BB142_11 Depth=1
	s_waitcnt lgkmcnt(0)
	global_store_dword v[2:3], v4, off offset:1792
	s_branch .LBB142_10
.LBB142_136:
	s_endpgm
.LBB142_137:
	s_mov_b64 s[76:77], 0
	s_load_dwordx2 s[4:5], s[0:1], 0x20
	s_cmp_eq_u64 s[6:7], 0
	s_cbranch_scc0 .LBB142_2
	s_branch .LBB142_3
	.section	.rodata,"a",@progbits
	.p2align	6, 0x0
	.amdhsa_kernel _Z25selective_scan_fwd_kernelI32Selective_Scan_fwd_kernel_traitsILi64ELi8ELi1ELb0ELb1ELb1ELb0ELb1EfffEEv13SSMParamsBase
		.amdhsa_group_segment_fixed_size 0
		.amdhsa_private_segment_fixed_size 0
		.amdhsa_kernarg_size 248
		.amdhsa_user_sgpr_count 2
		.amdhsa_user_sgpr_dispatch_ptr 0
		.amdhsa_user_sgpr_queue_ptr 0
		.amdhsa_user_sgpr_kernarg_segment_ptr 1
		.amdhsa_user_sgpr_dispatch_id 0
		.amdhsa_user_sgpr_kernarg_preload_length 0
		.amdhsa_user_sgpr_kernarg_preload_offset 0
		.amdhsa_user_sgpr_private_segment_size 0
		.amdhsa_uses_dynamic_stack 0
		.amdhsa_enable_private_segment 0
		.amdhsa_system_sgpr_workgroup_id_x 1
		.amdhsa_system_sgpr_workgroup_id_y 1
		.amdhsa_system_sgpr_workgroup_id_z 0
		.amdhsa_system_sgpr_workgroup_info 0
		.amdhsa_system_vgpr_workitem_id 0
		.amdhsa_next_free_vgpr 96
		.amdhsa_next_free_sgpr 100
		.amdhsa_accum_offset 96
		.amdhsa_reserve_vcc 1
		.amdhsa_float_round_mode_32 0
		.amdhsa_float_round_mode_16_64 0
		.amdhsa_float_denorm_mode_32 3
		.amdhsa_float_denorm_mode_16_64 3
		.amdhsa_dx10_clamp 1
		.amdhsa_ieee_mode 1
		.amdhsa_fp16_overflow 0
		.amdhsa_tg_split 0
		.amdhsa_exception_fp_ieee_invalid_op 0
		.amdhsa_exception_fp_denorm_src 0
		.amdhsa_exception_fp_ieee_div_zero 0
		.amdhsa_exception_fp_ieee_overflow 0
		.amdhsa_exception_fp_ieee_underflow 0
		.amdhsa_exception_fp_ieee_inexact 0
		.amdhsa_exception_int_div_zero 0
	.end_amdhsa_kernel
	.section	.text._Z25selective_scan_fwd_kernelI32Selective_Scan_fwd_kernel_traitsILi64ELi8ELi1ELb0ELb1ELb1ELb0ELb1EfffEEv13SSMParamsBase,"axG",@progbits,_Z25selective_scan_fwd_kernelI32Selective_Scan_fwd_kernel_traitsILi64ELi8ELi1ELb0ELb1ELb1ELb0ELb1EfffEEv13SSMParamsBase,comdat
.Lfunc_end142:
	.size	_Z25selective_scan_fwd_kernelI32Selective_Scan_fwd_kernel_traitsILi64ELi8ELi1ELb0ELb1ELb1ELb0ELb1EfffEEv13SSMParamsBase, .Lfunc_end142-_Z25selective_scan_fwd_kernelI32Selective_Scan_fwd_kernel_traitsILi64ELi8ELi1ELb0ELb1ELb1ELb0ELb1EfffEEv13SSMParamsBase
                                        ; -- End function
	.section	.AMDGPU.csdata,"",@progbits
; Kernel info:
; codeLenInByte = 10556
; NumSgprs: 106
; NumVgprs: 96
; NumAgprs: 0
; TotalNumVgprs: 96
; ScratchSize: 0
; MemoryBound: 0
; FloatMode: 240
; IeeeMode: 1
; LDSByteSize: 0 bytes/workgroup (compile time only)
; SGPRBlocks: 13
; VGPRBlocks: 11
; NumSGPRsForWavesPerEU: 106
; NumVGPRsForWavesPerEU: 96
; AccumOffset: 96
; Occupancy: 5
; WaveLimiterHint : 1
; COMPUTE_PGM_RSRC2:SCRATCH_EN: 0
; COMPUTE_PGM_RSRC2:USER_SGPR: 2
; COMPUTE_PGM_RSRC2:TRAP_HANDLER: 0
; COMPUTE_PGM_RSRC2:TGID_X_EN: 1
; COMPUTE_PGM_RSRC2:TGID_Y_EN: 1
; COMPUTE_PGM_RSRC2:TGID_Z_EN: 0
; COMPUTE_PGM_RSRC2:TIDIG_COMP_CNT: 0
; COMPUTE_PGM_RSRC3_GFX90A:ACCUM_OFFSET: 23
; COMPUTE_PGM_RSRC3_GFX90A:TG_SPLIT: 0
	.section	.text._Z25selective_scan_fwd_kernelI32Selective_Scan_fwd_kernel_traitsILi64ELi8ELi1ELb0ELb1ELb1ELb0ELb0EfffEEv13SSMParamsBase,"axG",@progbits,_Z25selective_scan_fwd_kernelI32Selective_Scan_fwd_kernel_traitsILi64ELi8ELi1ELb0ELb1ELb1ELb0ELb0EfffEEv13SSMParamsBase,comdat
	.protected	_Z25selective_scan_fwd_kernelI32Selective_Scan_fwd_kernel_traitsILi64ELi8ELi1ELb0ELb1ELb1ELb0ELb0EfffEEv13SSMParamsBase ; -- Begin function _Z25selective_scan_fwd_kernelI32Selective_Scan_fwd_kernel_traitsILi64ELi8ELi1ELb0ELb1ELb1ELb0ELb0EfffEEv13SSMParamsBase
	.globl	_Z25selective_scan_fwd_kernelI32Selective_Scan_fwd_kernel_traitsILi64ELi8ELi1ELb0ELb1ELb1ELb0ELb0EfffEEv13SSMParamsBase
	.p2align	8
	.type	_Z25selective_scan_fwd_kernelI32Selective_Scan_fwd_kernel_traitsILi64ELi8ELi1ELb0ELb1ELb1ELb0ELb0EfffEEv13SSMParamsBase,@function
_Z25selective_scan_fwd_kernelI32Selective_Scan_fwd_kernel_traitsILi64ELi8ELi1ELb0ELb1ELb1ELb0ELb0EfffEEv13SSMParamsBase: ; @_Z25selective_scan_fwd_kernelI32Selective_Scan_fwd_kernel_traitsILi64ELi8ELi1ELb0ELb1ELb1ELb0ELb0EfffEEv13SSMParamsBase
; %bb.0:
	s_load_dword s27, s[0:1], 0x18
	s_load_dwordx4 s[4:7], s[0:1], 0xe8
	s_mov_b32 s20, s3
	s_waitcnt lgkmcnt(0)
	s_abs_i32 s26, s27
	v_cvt_f32_u32_e32 v1, s26
	s_cmp_eq_u64 s[6:7], 0
	v_rcp_iflag_f32_e32 v1, v1
	s_nop 0
	v_mul_f32_e32 v1, 0x4f7ffffe, v1
	v_cvt_u32_f32_e32 v1, v1
	s_nop 0
	v_readfirstlane_b32 s22, v1
	s_cbranch_scc1 .LBB143_3
; %bb.1:
	s_ashr_i32 s3, s2, 31
	s_add_u32 s6, s6, s2
	s_addc_u32 s7, s7, s3
	v_mov_b32_e32 v1, 0
	global_load_ubyte v1, v1, s[6:7]
	s_waitcnt vmcnt(0)
	v_and_b32_e32 v1, 1, v1
	v_cmp_eq_u32_e64 s[76:77], 1, v1
	s_load_dwordx2 s[6:7], s[0:1], 0x20
	s_cmp_eq_u64 s[4:5], 0
	s_cbranch_scc1 .LBB143_4
.LBB143_2:
	s_ashr_i32 s3, s2, 31
	s_lshl_b64 s[8:9], s[2:3], 2
	s_add_u32 s4, s4, s8
	s_addc_u32 s5, s5, s9
	s_load_dword s24, s[4:5], 0x0
	s_waitcnt lgkmcnt(0)
	s_ashr_i32 s25, s24, 31
	s_cmp_eq_u64 s[6:7], s[24:25]
	s_cbranch_scc0 .LBB143_5
	s_branch .LBB143_137
.LBB143_3:
	s_mov_b64 s[76:77], 0
	s_load_dwordx2 s[6:7], s[0:1], 0x20
	s_cmp_eq_u64 s[4:5], 0
	s_cbranch_scc0 .LBB143_2
.LBB143_4:
	s_mov_b32 s24, s2
	s_ashr_i32 s25, s24, 31
	s_waitcnt lgkmcnt(0)
	s_cmp_eq_u64 s[6:7], s[24:25]
	s_cbranch_scc1 .LBB143_137
.LBB143_5:
	s_load_dwordx16 s[4:19], s[0:1], 0x88
	s_load_dwordx2 s[38:39], s[0:1], 0x8
	s_mov_b32 s61, 0
	s_mov_b32 s78, 0
	s_waitcnt lgkmcnt(0)
	s_cmp_eq_u64 s[10:11], 0
	s_cbranch_scc1 .LBB143_7
; %bb.6:
	s_ashr_i32 s21, s20, 31
	s_lshl_b64 s[28:29], s[20:21], 2
	s_add_u32 s10, s10, s28
	s_addc_u32 s11, s11, s29
	s_load_dword s78, s[10:11], 0x0
.LBB143_7:
	s_cmp_eq_u64 s[16:17], 0
	s_cbranch_scc1 .LBB143_9
; %bb.8:
	s_ashr_i32 s21, s20, 31
	s_lshl_b64 s[10:11], s[20:21], 2
	s_add_u32 s10, s16, s10
	s_addc_u32 s11, s17, s11
	s_load_dword s61, s[10:11], 0x0
.LBB143_9:
	s_cmp_lt_i32 s38, 1
	s_cbranch_scc1 .LBB143_137
; %bb.10:
	s_sub_i32 s3, 0, s26
	s_mul_i32 s3, s3, s22
	s_mul_hi_u32 s3, s22, s3
	s_abs_i32 s21, s20
	s_add_i32 s3, s22, s3
	s_load_dwordx8 s[52:59], s[0:1], 0x2c
	s_load_dwordx2 s[10:11], s[0:1], 0x5c
	s_load_dwordx4 s[28:31], s[0:1], 0x4c
	s_load_dwordx4 s[40:43], s[0:1], 0x7c
	s_load_dwordx2 s[22:23], s[0:1], 0x6c
	s_load_dwordx2 s[16:17], s[0:1], 0xc8
	s_mul_hi_u32 s3, s21, s3
	s_load_dword s25, s[0:1], 0x28
	s_ashr_i32 s0, s20, 31
	s_ashr_i32 s1, s27, 31
	s_xor_b32 s0, s0, s1
	s_mul_i32 s1, s3, s26
	s_sub_i32 s1, s21, s1
	s_add_i32 s21, s3, 1
	s_sub_i32 s27, s1, s26
	s_cmp_ge_u32 s1, s26
	s_cselect_b32 s3, s21, s3
	s_cselect_b32 s1, s27, s1
	s_add_i32 s21, s3, 1
	s_cmp_ge_u32 s1, s26
	s_cselect_b32 s1, s21, s3
	s_xor_b32 s1, s1, s0
	s_waitcnt lgkmcnt(0)
	s_mul_i32 s80, s30, s2
	s_mov_b32 s81, 0
	s_sub_i32 s3, s1, s0
	s_lshl_b64 s[0:1], s[80:81], 2
	s_add_u32 s12, s12, s0
	s_mul_i32 s80, s31, s20
	s_addc_u32 s13, s13, s1
	s_lshl_b64 s[0:1], s[80:81], 2
	s_add_u32 s88, s12, s0
	s_mul_i32 s80, s10, s2
	s_addc_u32 s89, s13, s1
	;; [unrolled: 4-line block ×10, first 2 shown]
	s_lshl_b64 s[0:1], s[80:81], 2
	s_add_u32 s57, s3, s0
	s_addc_u32 s90, s4, s1
	s_add_i32 s0, s38, 0x7ff
	s_lshr_b32 s63, s0, 11
	v_mbcnt_lo_u32_b32 v2, -1, 0
	v_mbcnt_hi_u32_b32 v10, -1, v2
	s_bitcmp1_b32 s25, 0
	v_lshrrev_b32_e32 v2, 5, v10
	s_cselect_b64 s[40:41], -1, 0
	s_cmp_gt_i32 s39, 0
	v_add_u32_e32 v40, 64, v10
	v_or_b32_e32 v41, 0x80, v10
	v_add_u32_e32 v42, 0xc0, v10
	v_or_b32_e32 v43, 0x100, v10
	;; [unrolled: 2-line block ×3, first 2 shown]
	v_add_u32_e32 v46, 0x1c0, v10
	v_add_u32_e32 v2, v2, v10
	s_cselect_b64 s[0:1], -1, 0
                                        ; implicit-def: $vgpr95 : SGPR spill to VGPR lane
	v_lshl_add_u32 v47, v2, 2, 0
	v_lshrrev_b32_e32 v2, 5, v40
	v_lshrrev_b32_e32 v3, 5, v41
	;; [unrolled: 1-line block ×7, first 2 shown]
	v_lshlrev_b32_e32 v9, 3, v10
	v_bfe_u32 v12, v10, 2, 27
	v_writelane_b32 v95, s0, 0
	v_add_lshl_u32 v2, v2, v10, 2
	v_add_lshl_u32 v3, v3, v10, 2
	;; [unrolled: 1-line block ×8, first 2 shown]
	v_writelane_b32 v95, s1, 1
	s_add_i32 s0, 0, 0x840
	v_add_u32_e32 v56, s0, v2
	v_add_u32_e32 v57, s0, v3
	;; [unrolled: 1-line block ×8, first 2 shown]
	s_and_b32 s0, s38, 0x1ff
	s_cmp_eq_u32 s0, 0
	s_cselect_b64 s[0:1], -1, 0
	v_writelane_b32 v95, s0, 2
	s_add_i32 s3, s63, -1
	s_mul_i32 s80, s22, s2
	v_writelane_b32 v95, s1, 3
	v_writelane_b32 v95, s3, 4
	s_lshl_b64 s[2:3], s[80:81], 2
	s_add_u32 s18, s18, s2
	s_mul_i32 s80, s23, s20
	s_addc_u32 s19, s19, s3
	s_lshl_b64 s[2:3], s[80:81], 2
	s_add_u32 s2, s18, s2
	v_mov_b32_e32 v1, 0
	v_lshlrev_b32_e32 v11, 3, v0
	v_cmp_eq_u32_e64 s[12:13], 63, v0
	v_cmp_gt_u32_e64 s[14:15], 64, v0
	v_cmp_eq_u32_e64 s[16:17], 0, v0
	s_addc_u32 s3, s19, s3
	v_lshlrev_b32_e32 v0, 2, v10
	v_add_u32_e32 v48, 0, v2
	v_and_b32_e32 v2, 15, v10
	v_lshl_add_u64 v[12:13], s[2:3], 0, v[0:1]
	s_add_i32 s2, 0, 0x1088
	v_cmp_ne_u32_e64 s[0:1], 0, v2
	v_cmp_lt_u32_e64 s[54:55], 1, v2
	v_cmp_lt_u32_e64 s[4:5], 3, v2
	;; [unrolled: 1-line block ×3, first 2 shown]
	v_and_b32_e32 v2, 16, v10
	v_writelane_b32 v95, s2, 5
	v_add_u32_e32 v49, 0, v3
	v_cmp_ne_u32_e64 s[8:9], 0, v2
	v_add_u32_e32 v2, -1, v10
	v_and_b32_e32 v3, 64, v10
	v_writelane_b32 v95, s38, 6
	v_cmp_lt_i32_e32 vcc, v2, v3
	s_mov_b32 s60, s28
	v_writelane_b32 v95, s39, 7
	v_cndmask_b32_e32 v2, v2, v10, vcc
	v_writelane_b32 v95, s40, 8
	s_mov_b32 s62, s42
	v_add_u32_e32 v50, 0, v4
	v_add_u32_e32 v51, 0, v5
	;; [unrolled: 1-line block ×6, first 2 shown]
	v_cmp_lt_u32_e64 s[10:11], 31, v10
	v_lshlrev_b32_e32 v64, 2, v2
	v_lshlrev_b32_e32 v0, 2, v10
	v_mov_b32_e32 v72, 0x3ecc95a3
	s_mov_b32 s79, 0xc2fc0000
	v_mov_b32_e32 v73, 0x7f800000
	v_mov_b32_e32 v14, 0x3f317218
	;; [unrolled: 1-line block ×4, first 2 shown]
	s_mov_b32 s87, 0
	v_writelane_b32 v95, s41, 9
	s_mov_b32 s64, 0
                                        ; implicit-def: $vgpr2
	s_branch .LBB143_12
.LBB143_11:                             ;   in Loop: Header=BB143_12 Depth=1
	s_or_b64 exec, exec, s[2:3]
	s_add_u32 s82, s82, 0x800
	s_addc_u32 s83, s83, 0
	s_add_u32 s88, s88, 0x800
	s_addc_u32 s89, s89, 0
	;; [unrolled: 2-line block ×4, first 2 shown]
	s_add_i32 s87, s87, 1
	s_cmp_eq_u32 s87, s63
	s_cbranch_scc1 .LBB143_137
.LBB143_12:                             ; =>This Loop Header: Depth=1
                                        ;     Child Loop BB143_61 Depth 2
	s_lshl_b32 s18, s87, 9
	s_mov_b32 s2, s18
	v_writelane_b32 v95, s2, 10
	s_sub_i32 s50, s38, s18
	v_lshl_add_u64 v[2:3], s[88:89], 0, v[0:1]
	v_writelane_b32 v95, s3, 11
	v_cmp_gt_u32_e64 s[18:19], s50, v10
	s_waitcnt lgkmcnt(0)
	v_mov_b32_e32 v4, v1
	s_waitcnt lgkmcnt(0)
	; wave barrier
	s_and_saveexec_b64 s[2:3], s[18:19]
	s_cbranch_execz .LBB143_14
; %bb.13:                               ;   in Loop: Header=BB143_12 Depth=1
	global_load_dword v4, v[2:3], off
.LBB143_14:                             ;   in Loop: Header=BB143_12 Depth=1
	s_or_b64 exec, exec, s[2:3]
	v_cmp_gt_u32_e64 s[20:21], s50, v40
	v_mov_b32_e32 v5, 0
	v_mov_b32_e32 v6, 0
	s_and_saveexec_b64 s[2:3], s[20:21]
	s_cbranch_execz .LBB143_16
; %bb.15:                               ;   in Loop: Header=BB143_12 Depth=1
	global_load_dword v6, v[2:3], off offset:256
.LBB143_16:                             ;   in Loop: Header=BB143_12 Depth=1
	s_or_b64 exec, exec, s[2:3]
	v_cmp_gt_u32_e64 s[22:23], s50, v41
	s_and_saveexec_b64 s[2:3], s[22:23]
	s_cbranch_execz .LBB143_18
; %bb.17:                               ;   in Loop: Header=BB143_12 Depth=1
	global_load_dword v5, v[2:3], off offset:512
.LBB143_18:                             ;   in Loop: Header=BB143_12 Depth=1
	s_or_b64 exec, exec, s[2:3]
	v_cmp_gt_u32_e64 s[24:25], s50, v42
	v_mov_b32_e32 v7, 0
	v_mov_b32_e32 v8, 0
	s_and_saveexec_b64 s[2:3], s[24:25]
	s_cbranch_execz .LBB143_20
; %bb.19:                               ;   in Loop: Header=BB143_12 Depth=1
	global_load_dword v8, v[2:3], off offset:768
.LBB143_20:                             ;   in Loop: Header=BB143_12 Depth=1
	s_or_b64 exec, exec, s[2:3]
	v_cmp_gt_u32_e64 s[26:27], s50, v43
	s_and_saveexec_b64 s[2:3], s[26:27]
	s_cbranch_execz .LBB143_22
; %bb.21:                               ;   in Loop: Header=BB143_12 Depth=1
	global_load_dword v7, v[2:3], off offset:1024
.LBB143_22:                             ;   in Loop: Header=BB143_12 Depth=1
	;; [unrolled: 16-line block ×3, first 2 shown]
	s_or_b64 exec, exec, s[2:3]
	v_cmp_gt_u32_e64 s[34:35], s50, v46
	v_mov_b32_e32 v15, 0
	v_mov_b32_e32 v17, 0
	s_and_saveexec_b64 s[2:3], s[34:35]
	s_cbranch_execz .LBB143_28
; %bb.27:                               ;   in Loop: Header=BB143_12 Depth=1
	global_load_dword v17, v[2:3], off offset:1792
.LBB143_28:                             ;   in Loop: Header=BB143_12 Depth=1
	s_or_b64 exec, exec, s[2:3]
	s_waitcnt vmcnt(0)
	ds_write_b32 v47, v4
	ds_write_b32 v48, v6 offset:256
	ds_write_b32 v49, v5 offset:512
	;; [unrolled: 1-line block ×7, first 2 shown]
	; wave barrier
	ds_read2_b32 v[2:3], v55 offset1:1
	ds_read2_b32 v[4:5], v55 offset0:2 offset1:3
	ds_read2_b32 v[6:7], v55 offset0:4 offset1:5
	;; [unrolled: 1-line block ×3, first 2 shown]
	v_lshl_add_u64 v[16:17], s[82:83], 0, v[0:1]
	s_waitcnt lgkmcnt(0)
	; wave barrier
	s_waitcnt lgkmcnt(0)
	s_and_saveexec_b64 s[2:3], s[18:19]
	s_cbranch_execz .LBB143_30
; %bb.29:                               ;   in Loop: Header=BB143_12 Depth=1
	global_load_dword v15, v[16:17], off
.LBB143_30:                             ;   in Loop: Header=BB143_12 Depth=1
	s_or_b64 exec, exec, s[2:3]
	v_mov_b32_e32 v18, 0
	v_mov_b32_e32 v19, 0
	s_and_saveexec_b64 s[2:3], s[20:21]
	s_cbranch_execz .LBB143_32
; %bb.31:                               ;   in Loop: Header=BB143_12 Depth=1
	global_load_dword v19, v[16:17], off offset:256
.LBB143_32:                             ;   in Loop: Header=BB143_12 Depth=1
	s_or_b64 exec, exec, s[2:3]
	s_and_saveexec_b64 s[2:3], s[22:23]
	s_cbranch_execz .LBB143_34
; %bb.33:                               ;   in Loop: Header=BB143_12 Depth=1
	global_load_dword v18, v[16:17], off offset:512
.LBB143_34:                             ;   in Loop: Header=BB143_12 Depth=1
	s_or_b64 exec, exec, s[2:3]
	v_mov_b32_e32 v20, 0
	v_mov_b32_e32 v21, 0
	s_and_saveexec_b64 s[2:3], s[24:25]
	s_cbranch_execz .LBB143_36
; %bb.35:                               ;   in Loop: Header=BB143_12 Depth=1
	global_load_dword v21, v[16:17], off offset:768
.LBB143_36:                             ;   in Loop: Header=BB143_12 Depth=1
	s_or_b64 exec, exec, s[2:3]
	s_and_saveexec_b64 s[2:3], s[26:27]
	s_cbranch_execz .LBB143_38
; %bb.37:                               ;   in Loop: Header=BB143_12 Depth=1
	global_load_dword v20, v[16:17], off offset:1024
.LBB143_38:                             ;   in Loop: Header=BB143_12 Depth=1
	s_or_b64 exec, exec, s[2:3]
	v_mov_b32_e32 v22, 0
	v_mov_b32_e32 v23, 0
	s_and_saveexec_b64 s[2:3], s[28:29]
	s_cbranch_execnz .LBB143_127
; %bb.39:                               ;   in Loop: Header=BB143_12 Depth=1
	s_or_b64 exec, exec, s[2:3]
	s_and_saveexec_b64 s[2:3], s[30:31]
	s_cbranch_execnz .LBB143_128
.LBB143_40:                             ;   in Loop: Header=BB143_12 Depth=1
	s_or_b64 exec, exec, s[2:3]
	v_mov_b32_e32 v24, 0
	s_and_saveexec_b64 s[2:3], s[34:35]
	s_cbranch_execz .LBB143_42
.LBB143_41:                             ;   in Loop: Header=BB143_12 Depth=1
	global_load_dword v24, v[16:17], off offset:1792
.LBB143_42:                             ;   in Loop: Header=BB143_12 Depth=1
	s_or_b64 exec, exec, s[2:3]
	s_waitcnt vmcnt(0)
	ds_write_b32 v47, v15
	ds_write_b32 v48, v19 offset:256
	ds_write_b32 v49, v18 offset:512
	;; [unrolled: 1-line block ×7, first 2 shown]
	; wave barrier
	ds_read2_b32 v[22:23], v55 offset1:1
	ds_read2_b32 v[20:21], v55 offset0:2 offset1:3
	ds_read2_b32 v[18:19], v55 offset0:4 offset1:5
	;; [unrolled: 1-line block ×3, first 2 shown]
	s_mov_b32 s2, 0x41a00000
	s_waitcnt lgkmcnt(3)
	v_add_f32_e32 v76, s61, v22
	v_cmp_ge_f32_e32 vcc, s2, v76
	s_and_b64 s[2:3], s[40:41], vcc
	s_and_saveexec_b64 s[36:37], s[2:3]
	s_cbranch_execz .LBB143_44
; %bb.43:                               ;   in Loop: Header=BB143_12 Depth=1
	v_mul_f32_e32 v15, 0x3fb8aa3b, v76
	v_rndne_f32_e32 v22, v15
	s_mov_b32 s2, 0x3fb8aa3b
	v_sub_f32_e32 v24, v15, v22
	v_fma_f32 v15, v76, s2, -v15
	v_fmac_f32_e32 v15, 0x32a5705f, v76
	v_add_f32_e32 v15, v24, v15
	v_cvt_i32_f32_e32 v22, v22
	v_exp_f32_e32 v15, v15
	s_mov_b32 s2, 0xc2ce8ed0
	v_cmp_ngt_f32_e32 vcc, s2, v76
	s_mov_b32 s2, 0x42b17218
	v_ldexp_f32 v15, v15, v22
	v_cndmask_b32_e32 v15, 0, v15, vcc
	v_cmp_nlt_f32_e32 vcc, s2, v76
	s_mov_b32 s2, 0x3f2aaaab
	s_nop 0
	v_cndmask_b32_e32 v38, v73, v15, vcc
	v_add_f32_e32 v15, 1.0, v38
	v_add_f32_e32 v22, -1.0, v15
	v_sub_f32_e32 v24, v22, v15
	v_add_f32_e32 v24, 1.0, v24
	v_sub_f32_e32 v22, v38, v22
	v_add_f32_e32 v22, v22, v24
	v_frexp_mant_f32_e32 v26, v15
	v_cvt_f64_f32_e32 v[24:25], v15
	v_frexp_exp_i32_f64_e32 v24, v[24:25]
	v_cmp_gt_f32_e32 vcc, s2, v26
	s_mov_b32 s2, 0x3f317218
	s_nop 0
	v_subbrev_co_u32_e32 v32, vcc, 0, v24, vcc
	v_sub_u32_e32 v24, 0, v32
	v_ldexp_f32 v15, v15, v24
	v_ldexp_f32 v22, v22, v24
	v_add_f32_e32 v24, -1.0, v15
	v_add_f32_e32 v25, 1.0, v24
	v_sub_f32_e32 v25, v15, v25
	v_add_f32_e32 v26, v22, v25
	v_add_f32_e32 v25, 1.0, v15
	v_add_f32_e32 v27, -1.0, v25
	v_sub_f32_e32 v15, v15, v27
	v_add_f32_e32 v15, v22, v15
	v_add_f32_e32 v22, v25, v15
	v_rcp_f32_e32 v33, v22
	v_sub_f32_e32 v25, v25, v22
	v_add_f32_e32 v15, v15, v25
	v_add_f32_e32 v25, v24, v26
	v_sub_f32_e32 v24, v24, v25
	v_mul_f32_e32 v35, v25, v33
	v_add_f32_e32 v34, v26, v24
	v_mul_f32_e32 v26, v22, v35
	v_fma_f32 v28, v35, v22, -v26
	v_fmac_f32_e32 v28, v35, v15
	v_add_f32_e32 v24, v26, v28
	v_sub_f32_e32 v27, v25, v24
	v_pk_add_f32 v[30:31], v[24:25], v[26:27] neg_lo:[0,1] neg_hi:[0,1]
	v_mov_b32_e32 v29, v24
	v_pk_add_f32 v[24:25], v[30:31], v[28:29] neg_lo:[0,1] neg_hi:[0,1]
	s_nop 0
	v_add_f32_e32 v25, v34, v25
	v_add_f32_e32 v24, v24, v25
	;; [unrolled: 1-line block ×3, first 2 shown]
	v_mul_f32_e32 v34, v33, v25
	v_mul_f32_e32 v26, v22, v34
	v_fma_f32 v28, v34, v22, -v26
	v_fmac_f32_e32 v28, v34, v15
	v_sub_f32_e32 v15, v27, v25
	v_add_f32_e32 v15, v24, v15
	v_add_f32_e32 v24, v26, v28
	v_sub_f32_e32 v27, v25, v24
	v_pk_add_f32 v[30:31], v[24:25], v[26:27] neg_lo:[0,1] neg_hi:[0,1]
	v_mov_b32_e32 v29, v24
	v_pk_add_f32 v[24:25], v[30:31], v[28:29] neg_lo:[0,1] neg_hi:[0,1]
	v_add_f32_e32 v22, v35, v34
	v_add_f32_e32 v15, v15, v25
	;; [unrolled: 1-line block ×4, first 2 shown]
	v_sub_f32_e32 v24, v22, v35
	v_mul_f32_e32 v15, v33, v15
	v_sub_f32_e32 v24, v34, v24
	v_add_f32_e32 v25, v24, v15
	v_add_f32_e32 v26, v22, v25
	v_cvt_f32_i32_e32 v24, v32
	v_mul_f32_e32 v28, v26, v26
	v_fmamk_f32 v15, v28, 0x3e9b6dac, v72
	v_sub_f32_e32 v22, v26, v22
	v_fmaak_f32 v15, v28, v15, 0x3f2aaada
	v_sub_f32_e32 v22, v25, v22
	v_mul_f32_e32 v25, v26, v28
	v_pk_mul_f32 v[28:29], v[24:25], v[14:15]
	v_ldexp_f32 v27, v26, 1
	v_fma_f32 v26, v24, s2, -v28
	v_fmac_f32_e32 v26, 0xb102e308, v24
	v_pk_add_f32 v[24:25], v[28:29], v[26:27]
	v_ldexp_f32 v22, v22, 1
	v_sub_f32_e32 v15, v25, v27
	v_sub_f32_e32 v15, v29, v15
	v_add_f32_e32 v31, v22, v15
	v_mov_b32_e32 v30, v28
	v_pk_add_f32 v[28:29], v[24:25], v[28:29] neg_lo:[0,1] neg_hi:[0,1]
	v_pk_add_f32 v[32:33], v[24:25], v[30:31]
	v_mov_b32_e32 v27, v24
	v_mov_b32_e32 v29, v33
	v_pk_add_f32 v[34:35], v[26:27], v[28:29] neg_lo:[0,1] neg_hi:[0,1]
	v_pk_add_f32 v[26:27], v[26:27], v[28:29]
	s_mov_b32 s2, 0x7f800000
	v_mov_b32_e32 v22, v27
	v_pk_add_f32 v[28:29], v[22:23], v[24:25] neg_lo:[0,1] neg_hi:[0,1]
	v_mov_b32_e32 v26, v33
	v_mov_b32_e32 v15, v28
	v_pk_add_f32 v[36:37], v[32:33], v[14:15] neg_lo:[0,1] neg_hi:[0,1]
	v_mov_b32_e32 v32, v25
	v_mov_b32_e32 v33, v28
	;; [unrolled: 1-line block ×3, first 2 shown]
	v_pk_add_f32 v[26:27], v[26:27], v[32:33] neg_lo:[0,1] neg_hi:[0,1]
	v_mov_b32_e32 v28, v31
	v_mov_b32_e32 v29, v24
	v_pk_add_f32 v[24:25], v[28:29], v[26:27] neg_lo:[0,1] neg_hi:[0,1]
	v_mov_b32_e32 v36, v34
	v_pk_add_f32 v[26:27], v[36:37], v[24:25]
	v_cmp_eq_f32_e32 vcc, s2, v38
	v_mov_b32_e32 v28, v27
	v_pk_add_f32 v[28:29], v[26:27], v[28:29]
	s_mov_b32 s2, 0x33800000
	v_pk_add_f32 v[30:31], v[22:23], v[28:29]
	v_mov_b32_e32 v25, v28
	v_mov_b32_e32 v27, v30
	v_pk_add_f32 v[32:33], v[26:27], v[34:35] neg_lo:[0,1] neg_hi:[0,1]
	v_cmp_gt_f32_e64 s[2:3], s2, v38
	v_sub_f32_e32 v15, v26, v32
	v_pk_add_f32 v[24:25], v[24:25], v[32:33] neg_lo:[0,1] neg_hi:[0,1]
	v_sub_f32_e32 v15, v34, v15
	v_add_f32_e32 v15, v24, v15
	v_add_f32_e32 v15, v15, v25
	;; [unrolled: 1-line block ×3, first 2 shown]
	s_or_b64 vcc, s[2:3], vcc
	v_cndmask_b32_e32 v76, v15, v38, vcc
.LBB143_44:                             ;   in Loop: Header=BB143_12 Depth=1
	s_or_b64 exec, exec, s[36:37]
	v_add_f32_e32 v77, s61, v23
	s_mov_b32 s2, 0x41a00000
	v_cmp_ge_f32_e32 vcc, s2, v77
	s_and_b64 s[2:3], s[40:41], vcc
	s_and_saveexec_b64 s[36:37], s[2:3]
	s_cbranch_execz .LBB143_46
; %bb.45:                               ;   in Loop: Header=BB143_12 Depth=1
	v_mul_f32_e32 v15, 0x3fb8aa3b, v77
	v_rndne_f32_e32 v22, v15
	s_mov_b32 s2, 0x3fb8aa3b
	v_sub_f32_e32 v23, v15, v22
	v_fma_f32 v15, v77, s2, -v15
	v_fmac_f32_e32 v15, 0x32a5705f, v77
	v_add_f32_e32 v15, v23, v15
	v_cvt_i32_f32_e32 v22, v22
	v_exp_f32_e32 v15, v15
	s_mov_b32 s2, 0xc2ce8ed0
	v_cmp_ngt_f32_e32 vcc, s2, v77
	s_mov_b32 s2, 0x42b17218
	v_ldexp_f32 v15, v15, v22
	v_cndmask_b32_e32 v15, 0, v15, vcc
	v_cmp_nlt_f32_e32 vcc, s2, v77
	s_mov_b32 s2, 0x3f2aaaab
	s_nop 0
	v_cndmask_b32_e32 v38, v73, v15, vcc
	v_add_f32_e32 v15, 1.0, v38
	v_add_f32_e32 v22, -1.0, v15
	v_sub_f32_e32 v23, v22, v15
	v_add_f32_e32 v23, 1.0, v23
	v_sub_f32_e32 v22, v38, v22
	v_add_f32_e32 v24, v22, v23
	v_frexp_mant_f32_e32 v25, v15
	v_cvt_f64_f32_e32 v[22:23], v15
	v_frexp_exp_i32_f64_e32 v22, v[22:23]
	v_cmp_gt_f32_e32 vcc, s2, v25
	s_mov_b32 s2, 0x3f317218
	s_nop 0
	v_subbrev_co_u32_e32 v30, vcc, 0, v22, vcc
	v_sub_u32_e32 v22, 0, v30
	v_ldexp_f32 v15, v15, v22
	v_ldexp_f32 v22, v24, v22
	v_add_f32_e32 v24, -1.0, v15
	v_add_f32_e32 v23, 1.0, v24
	v_sub_f32_e32 v23, v15, v23
	v_add_f32_e32 v25, v22, v23
	v_add_f32_e32 v23, 1.0, v15
	v_add_f32_e32 v26, -1.0, v23
	v_sub_f32_e32 v15, v15, v26
	v_add_f32_e32 v15, v22, v15
	v_add_f32_e32 v31, v23, v15
	v_rcp_f32_e32 v32, v31
	v_sub_f32_e32 v22, v23, v31
	v_add_f32_e32 v23, v24, v25
	v_add_f32_e32 v15, v15, v22
	v_mul_f32_e32 v34, v23, v32
	v_sub_f32_e32 v22, v24, v23
	v_mul_f32_e32 v24, v31, v34
	v_fma_f32 v26, v34, v31, -v24
	v_fmac_f32_e32 v26, v34, v15
	v_add_f32_e32 v33, v25, v22
	v_add_f32_e32 v22, v24, v26
	v_sub_f32_e32 v25, v23, v22
	v_pk_add_f32 v[28:29], v[22:23], v[24:25] neg_lo:[0,1] neg_hi:[0,1]
	v_mov_b32_e32 v27, v22
	v_pk_add_f32 v[22:23], v[28:29], v[26:27] neg_lo:[0,1] neg_hi:[0,1]
	s_nop 0
	v_add_f32_e32 v23, v33, v23
	v_add_f32_e32 v22, v22, v23
	;; [unrolled: 1-line block ×3, first 2 shown]
	v_mul_f32_e32 v33, v32, v23
	v_mul_f32_e32 v24, v31, v33
	v_fma_f32 v26, v33, v31, -v24
	v_fmac_f32_e32 v26, v33, v15
	v_sub_f32_e32 v15, v25, v23
	v_add_f32_e32 v15, v22, v15
	v_add_f32_e32 v22, v24, v26
	v_sub_f32_e32 v25, v23, v22
	v_pk_add_f32 v[28:29], v[22:23], v[24:25] neg_lo:[0,1] neg_hi:[0,1]
	v_mov_b32_e32 v27, v22
	v_pk_add_f32 v[22:23], v[28:29], v[26:27] neg_lo:[0,1] neg_hi:[0,1]
	s_nop 0
	v_add_f32_e32 v15, v15, v23
	v_add_f32_e32 v15, v22, v15
	;; [unrolled: 1-line block ×4, first 2 shown]
	v_sub_f32_e32 v22, v23, v34
	v_mul_f32_e32 v15, v32, v15
	v_sub_f32_e32 v22, v33, v22
	v_add_f32_e32 v24, v22, v15
	v_add_f32_e32 v26, v23, v24
	v_cvt_f32_i32_e32 v22, v30
	v_mul_f32_e32 v27, v26, v26
	v_sub_f32_e32 v23, v26, v23
	v_fmamk_f32 v15, v27, 0x3e9b6dac, v72
	v_sub_f32_e32 v23, v24, v23
	v_fmaak_f32 v15, v27, v15, 0x3f2aaada
	v_ldexp_f32 v28, v23, 1
	v_mul_f32_e32 v23, v26, v27
	v_ldexp_f32 v25, v26, 1
	v_pk_mul_f32 v[26:27], v[22:23], v[14:15]
	s_nop 0
	v_fma_f32 v24, v22, s2, -v26
	v_fmac_f32_e32 v24, 0xb102e308, v22
	v_pk_add_f32 v[22:23], v[26:27], v[24:25]
	s_mov_b32 s2, 0x7f800000
	v_sub_f32_e32 v15, v23, v25
	v_sub_f32_e32 v15, v27, v15
	v_add_f32_e32 v29, v28, v15
	v_mov_b32_e32 v28, v26
	v_pk_add_f32 v[26:27], v[22:23], v[26:27] neg_lo:[0,1] neg_hi:[0,1]
	v_pk_add_f32 v[30:31], v[22:23], v[28:29]
	v_mov_b32_e32 v25, v22
	v_mov_b32_e32 v27, v31
	v_pk_add_f32 v[32:33], v[24:25], v[26:27] neg_lo:[0,1] neg_hi:[0,1]
	v_pk_add_f32 v[24:25], v[24:25], v[26:27]
	v_mov_b32_e32 v28, v29
	v_mov_b32_e32 v26, v25
	v_pk_add_f32 v[34:35], v[26:27], v[22:23] neg_lo:[0,1] neg_hi:[0,1]
	v_mov_b32_e32 v24, v31
	v_mov_b32_e32 v15, v34
	v_pk_add_f32 v[36:37], v[30:31], v[14:15] neg_lo:[0,1] neg_hi:[0,1]
	v_mov_b32_e32 v30, v23
	v_mov_b32_e32 v31, v34
	;; [unrolled: 1-line block ×3, first 2 shown]
	v_pk_add_f32 v[24:25], v[24:25], v[30:31] neg_lo:[0,1] neg_hi:[0,1]
	v_mov_b32_e32 v29, v22
	v_pk_add_f32 v[22:23], v[28:29], v[24:25] neg_lo:[0,1] neg_hi:[0,1]
	v_mov_b32_e32 v36, v32
	v_pk_add_f32 v[24:25], v[36:37], v[22:23]
	v_cmp_eq_f32_e32 vcc, s2, v38
	v_mov_b32_e32 v28, v25
	v_pk_add_f32 v[28:29], v[24:25], v[28:29]
	s_mov_b32 s2, 0x33800000
	v_pk_add_f32 v[26:27], v[26:27], v[28:29]
	v_mov_b32_e32 v23, v28
	v_mov_b32_e32 v25, v26
	v_pk_add_f32 v[30:31], v[24:25], v[32:33] neg_lo:[0,1] neg_hi:[0,1]
	v_cmp_gt_f32_e64 s[2:3], s2, v38
	v_sub_f32_e32 v15, v24, v30
	v_pk_add_f32 v[22:23], v[22:23], v[30:31] neg_lo:[0,1] neg_hi:[0,1]
	v_sub_f32_e32 v15, v32, v15
	v_add_f32_e32 v15, v22, v15
	v_add_f32_e32 v15, v15, v23
	;; [unrolled: 1-line block ×3, first 2 shown]
	s_or_b64 vcc, s[2:3], vcc
	v_cndmask_b32_e32 v77, v15, v38, vcc
.LBB143_46:                             ;   in Loop: Header=BB143_12 Depth=1
	s_or_b64 exec, exec, s[36:37]
	s_waitcnt lgkmcnt(2)
	v_add_f32_e32 v78, s61, v20
	s_mov_b32 s2, 0x41a00000
	v_cmp_ge_f32_e32 vcc, s2, v78
	s_and_b64 s[2:3], s[40:41], vcc
	s_and_saveexec_b64 s[36:37], s[2:3]
	s_cbranch_execz .LBB143_48
; %bb.47:                               ;   in Loop: Header=BB143_12 Depth=1
	v_mul_f32_e32 v15, 0x3fb8aa3b, v78
	v_rndne_f32_e32 v20, v15
	s_mov_b32 s2, 0x3fb8aa3b
	v_sub_f32_e32 v22, v15, v20
	v_fma_f32 v15, v78, s2, -v15
	v_fmac_f32_e32 v15, 0x32a5705f, v78
	v_add_f32_e32 v15, v22, v15
	v_cvt_i32_f32_e32 v20, v20
	v_exp_f32_e32 v15, v15
	s_mov_b32 s2, 0xc2ce8ed0
	v_cmp_ngt_f32_e32 vcc, s2, v78
	s_mov_b32 s2, 0x42b17218
	v_ldexp_f32 v15, v15, v20
	v_cndmask_b32_e32 v15, 0, v15, vcc
	v_cmp_nlt_f32_e32 vcc, s2, v78
	s_mov_b32 s2, 0x3f2aaaab
	s_nop 0
	v_cndmask_b32_e32 v36, v73, v15, vcc
	v_add_f32_e32 v15, 1.0, v36
	v_add_f32_e32 v20, -1.0, v15
	v_sub_f32_e32 v22, v20, v15
	v_add_f32_e32 v22, 1.0, v22
	v_sub_f32_e32 v20, v36, v20
	v_add_f32_e32 v20, v20, v22
	v_frexp_mant_f32_e32 v24, v15
	v_cvt_f64_f32_e32 v[22:23], v15
	v_frexp_exp_i32_f64_e32 v22, v[22:23]
	v_cmp_gt_f32_e32 vcc, s2, v24
	s_mov_b32 s2, 0x3f317218
	s_nop 0
	v_subbrev_co_u32_e32 v30, vcc, 0, v22, vcc
	v_sub_u32_e32 v22, 0, v30
	v_ldexp_f32 v15, v15, v22
	v_ldexp_f32 v20, v20, v22
	v_add_f32_e32 v22, -1.0, v15
	v_add_f32_e32 v23, 1.0, v22
	v_sub_f32_e32 v23, v15, v23
	v_add_f32_e32 v24, v20, v23
	v_add_f32_e32 v23, 1.0, v15
	v_add_f32_e32 v25, -1.0, v23
	v_sub_f32_e32 v15, v15, v25
	v_add_f32_e32 v15, v20, v15
	v_add_f32_e32 v20, v23, v15
	v_rcp_f32_e32 v31, v20
	v_sub_f32_e32 v23, v23, v20
	v_add_f32_e32 v15, v15, v23
	v_add_f32_e32 v23, v22, v24
	v_sub_f32_e32 v22, v22, v23
	v_mul_f32_e32 v33, v23, v31
	v_add_f32_e32 v32, v24, v22
	v_mul_f32_e32 v24, v20, v33
	v_fma_f32 v26, v33, v20, -v24
	v_fmac_f32_e32 v26, v33, v15
	v_add_f32_e32 v22, v24, v26
	v_sub_f32_e32 v25, v23, v22
	v_pk_add_f32 v[28:29], v[22:23], v[24:25] neg_lo:[0,1] neg_hi:[0,1]
	v_mov_b32_e32 v27, v22
	v_pk_add_f32 v[22:23], v[28:29], v[26:27] neg_lo:[0,1] neg_hi:[0,1]
	s_nop 0
	v_add_f32_e32 v23, v32, v23
	v_add_f32_e32 v22, v22, v23
	;; [unrolled: 1-line block ×3, first 2 shown]
	v_mul_f32_e32 v32, v31, v23
	v_mul_f32_e32 v24, v20, v32
	v_fma_f32 v26, v32, v20, -v24
	v_fmac_f32_e32 v26, v32, v15
	v_sub_f32_e32 v15, v25, v23
	v_add_f32_e32 v15, v22, v15
	v_add_f32_e32 v22, v24, v26
	v_sub_f32_e32 v25, v23, v22
	v_pk_add_f32 v[28:29], v[22:23], v[24:25] neg_lo:[0,1] neg_hi:[0,1]
	v_mov_b32_e32 v27, v22
	v_pk_add_f32 v[22:23], v[28:29], v[26:27] neg_lo:[0,1] neg_hi:[0,1]
	v_add_f32_e32 v20, v33, v32
	v_add_f32_e32 v15, v15, v23
	;; [unrolled: 1-line block ×4, first 2 shown]
	v_sub_f32_e32 v22, v20, v33
	v_mul_f32_e32 v15, v31, v15
	v_sub_f32_e32 v22, v32, v22
	v_add_f32_e32 v23, v22, v15
	v_add_f32_e32 v24, v20, v23
	v_cvt_f32_i32_e32 v22, v30
	v_mul_f32_e32 v26, v24, v24
	v_fmamk_f32 v15, v26, 0x3e9b6dac, v72
	v_sub_f32_e32 v20, v24, v20
	v_fmaak_f32 v15, v26, v15, 0x3f2aaada
	v_sub_f32_e32 v20, v23, v20
	v_mul_f32_e32 v23, v24, v26
	v_pk_mul_f32 v[26:27], v[22:23], v[14:15]
	v_ldexp_f32 v25, v24, 1
	v_fma_f32 v24, v22, s2, -v26
	v_fmac_f32_e32 v24, 0xb102e308, v22
	v_pk_add_f32 v[22:23], v[26:27], v[24:25]
	v_ldexp_f32 v20, v20, 1
	v_sub_f32_e32 v15, v23, v25
	v_sub_f32_e32 v15, v27, v15
	v_add_f32_e32 v29, v20, v15
	v_mov_b32_e32 v28, v26
	v_pk_add_f32 v[26:27], v[22:23], v[26:27] neg_lo:[0,1] neg_hi:[0,1]
	v_pk_add_f32 v[30:31], v[22:23], v[28:29]
	v_mov_b32_e32 v25, v22
	v_mov_b32_e32 v27, v31
	v_pk_add_f32 v[32:33], v[24:25], v[26:27] neg_lo:[0,1] neg_hi:[0,1]
	v_pk_add_f32 v[24:25], v[24:25], v[26:27]
	s_mov_b32 s2, 0x7f800000
	v_mov_b32_e32 v20, v25
	v_pk_add_f32 v[26:27], v[20:21], v[22:23] neg_lo:[0,1] neg_hi:[0,1]
	v_mov_b32_e32 v24, v31
	v_mov_b32_e32 v15, v26
	v_pk_add_f32 v[34:35], v[30:31], v[14:15] neg_lo:[0,1] neg_hi:[0,1]
	v_mov_b32_e32 v30, v23
	v_mov_b32_e32 v31, v26
	;; [unrolled: 1-line block ×3, first 2 shown]
	v_pk_add_f32 v[24:25], v[24:25], v[30:31] neg_lo:[0,1] neg_hi:[0,1]
	v_mov_b32_e32 v26, v29
	v_mov_b32_e32 v27, v22
	v_pk_add_f32 v[22:23], v[26:27], v[24:25] neg_lo:[0,1] neg_hi:[0,1]
	v_mov_b32_e32 v34, v32
	v_pk_add_f32 v[24:25], v[34:35], v[22:23]
	v_cmp_eq_f32_e32 vcc, s2, v36
	v_mov_b32_e32 v26, v25
	v_pk_add_f32 v[26:27], v[24:25], v[26:27]
	s_mov_b32 s2, 0x33800000
	v_pk_add_f32 v[28:29], v[20:21], v[26:27]
	v_mov_b32_e32 v23, v26
	v_mov_b32_e32 v25, v28
	v_pk_add_f32 v[30:31], v[24:25], v[32:33] neg_lo:[0,1] neg_hi:[0,1]
	v_cmp_gt_f32_e64 s[2:3], s2, v36
	v_sub_f32_e32 v15, v24, v30
	v_pk_add_f32 v[22:23], v[22:23], v[30:31] neg_lo:[0,1] neg_hi:[0,1]
	v_sub_f32_e32 v15, v32, v15
	v_add_f32_e32 v15, v22, v15
	v_add_f32_e32 v15, v15, v23
	v_add_f32_e32 v15, v28, v15
	s_or_b64 vcc, s[2:3], vcc
	v_cndmask_b32_e32 v78, v15, v36, vcc
.LBB143_48:                             ;   in Loop: Header=BB143_12 Depth=1
	s_or_b64 exec, exec, s[36:37]
	v_add_f32_e32 v79, s61, v21
	s_mov_b32 s2, 0x41a00000
	v_cmp_ge_f32_e32 vcc, s2, v79
	s_and_b64 s[2:3], s[40:41], vcc
	s_and_saveexec_b64 s[36:37], s[2:3]
	s_cbranch_execz .LBB143_50
; %bb.49:                               ;   in Loop: Header=BB143_12 Depth=1
	v_mul_f32_e32 v15, 0x3fb8aa3b, v79
	v_rndne_f32_e32 v20, v15
	s_mov_b32 s2, 0x3fb8aa3b
	v_sub_f32_e32 v21, v15, v20
	v_fma_f32 v15, v79, s2, -v15
	v_fmac_f32_e32 v15, 0x32a5705f, v79
	v_add_f32_e32 v15, v21, v15
	v_cvt_i32_f32_e32 v20, v20
	v_exp_f32_e32 v15, v15
	s_mov_b32 s2, 0xc2ce8ed0
	v_cmp_ngt_f32_e32 vcc, s2, v79
	s_mov_b32 s2, 0x42b17218
	v_ldexp_f32 v15, v15, v20
	v_cndmask_b32_e32 v15, 0, v15, vcc
	v_cmp_nlt_f32_e32 vcc, s2, v79
	s_mov_b32 s2, 0x3f2aaaab
	s_nop 0
	v_cndmask_b32_e32 v36, v73, v15, vcc
	v_add_f32_e32 v15, 1.0, v36
	v_add_f32_e32 v20, -1.0, v15
	v_sub_f32_e32 v21, v20, v15
	v_add_f32_e32 v21, 1.0, v21
	v_sub_f32_e32 v20, v36, v20
	v_add_f32_e32 v22, v20, v21
	v_frexp_mant_f32_e32 v23, v15
	v_cvt_f64_f32_e32 v[20:21], v15
	v_frexp_exp_i32_f64_e32 v20, v[20:21]
	v_cmp_gt_f32_e32 vcc, s2, v23
	s_mov_b32 s2, 0x3f317218
	s_nop 0
	v_subbrev_co_u32_e32 v28, vcc, 0, v20, vcc
	v_sub_u32_e32 v20, 0, v28
	v_ldexp_f32 v15, v15, v20
	v_ldexp_f32 v20, v22, v20
	v_add_f32_e32 v22, -1.0, v15
	v_add_f32_e32 v21, 1.0, v22
	v_sub_f32_e32 v21, v15, v21
	v_add_f32_e32 v23, v20, v21
	v_add_f32_e32 v21, 1.0, v15
	v_add_f32_e32 v24, -1.0, v21
	v_sub_f32_e32 v15, v15, v24
	v_add_f32_e32 v15, v20, v15
	v_add_f32_e32 v29, v21, v15
	v_rcp_f32_e32 v30, v29
	v_sub_f32_e32 v20, v21, v29
	v_add_f32_e32 v21, v22, v23
	v_add_f32_e32 v15, v15, v20
	v_mul_f32_e32 v32, v21, v30
	v_sub_f32_e32 v20, v22, v21
	v_mul_f32_e32 v22, v29, v32
	v_fma_f32 v24, v32, v29, -v22
	v_fmac_f32_e32 v24, v32, v15
	v_add_f32_e32 v31, v23, v20
	v_add_f32_e32 v20, v22, v24
	v_sub_f32_e32 v23, v21, v20
	v_pk_add_f32 v[26:27], v[20:21], v[22:23] neg_lo:[0,1] neg_hi:[0,1]
	v_mov_b32_e32 v25, v20
	v_pk_add_f32 v[20:21], v[26:27], v[24:25] neg_lo:[0,1] neg_hi:[0,1]
	s_nop 0
	v_add_f32_e32 v21, v31, v21
	v_add_f32_e32 v20, v20, v21
	;; [unrolled: 1-line block ×3, first 2 shown]
	v_mul_f32_e32 v31, v30, v21
	v_mul_f32_e32 v22, v29, v31
	v_fma_f32 v24, v31, v29, -v22
	v_fmac_f32_e32 v24, v31, v15
	v_sub_f32_e32 v15, v23, v21
	v_add_f32_e32 v15, v20, v15
	v_add_f32_e32 v20, v22, v24
	v_sub_f32_e32 v23, v21, v20
	v_pk_add_f32 v[26:27], v[20:21], v[22:23] neg_lo:[0,1] neg_hi:[0,1]
	v_mov_b32_e32 v25, v20
	v_pk_add_f32 v[20:21], v[26:27], v[24:25] neg_lo:[0,1] neg_hi:[0,1]
	s_nop 0
	v_add_f32_e32 v15, v15, v21
	v_add_f32_e32 v15, v20, v15
	;; [unrolled: 1-line block ×4, first 2 shown]
	v_sub_f32_e32 v20, v21, v32
	v_mul_f32_e32 v15, v30, v15
	v_sub_f32_e32 v20, v31, v20
	v_add_f32_e32 v22, v20, v15
	v_add_f32_e32 v24, v21, v22
	v_cvt_f32_i32_e32 v20, v28
	v_mul_f32_e32 v25, v24, v24
	v_sub_f32_e32 v21, v24, v21
	v_fmamk_f32 v15, v25, 0x3e9b6dac, v72
	v_sub_f32_e32 v21, v22, v21
	v_fmaak_f32 v15, v25, v15, 0x3f2aaada
	v_ldexp_f32 v26, v21, 1
	v_mul_f32_e32 v21, v24, v25
	v_ldexp_f32 v23, v24, 1
	v_pk_mul_f32 v[24:25], v[20:21], v[14:15]
	s_nop 0
	v_fma_f32 v22, v20, s2, -v24
	v_fmac_f32_e32 v22, 0xb102e308, v20
	v_pk_add_f32 v[20:21], v[24:25], v[22:23]
	s_mov_b32 s2, 0x7f800000
	v_sub_f32_e32 v15, v21, v23
	v_sub_f32_e32 v15, v25, v15
	v_add_f32_e32 v27, v26, v15
	v_mov_b32_e32 v26, v24
	v_pk_add_f32 v[24:25], v[20:21], v[24:25] neg_lo:[0,1] neg_hi:[0,1]
	v_pk_add_f32 v[28:29], v[20:21], v[26:27]
	v_mov_b32_e32 v23, v20
	v_mov_b32_e32 v25, v29
	v_pk_add_f32 v[30:31], v[22:23], v[24:25] neg_lo:[0,1] neg_hi:[0,1]
	v_pk_add_f32 v[22:23], v[22:23], v[24:25]
	v_mov_b32_e32 v26, v27
	v_mov_b32_e32 v24, v23
	v_pk_add_f32 v[32:33], v[24:25], v[20:21] neg_lo:[0,1] neg_hi:[0,1]
	v_mov_b32_e32 v22, v29
	v_mov_b32_e32 v15, v32
	v_pk_add_f32 v[34:35], v[28:29], v[14:15] neg_lo:[0,1] neg_hi:[0,1]
	v_mov_b32_e32 v28, v21
	v_mov_b32_e32 v29, v32
	;; [unrolled: 1-line block ×3, first 2 shown]
	v_pk_add_f32 v[22:23], v[22:23], v[28:29] neg_lo:[0,1] neg_hi:[0,1]
	v_mov_b32_e32 v27, v20
	v_pk_add_f32 v[20:21], v[26:27], v[22:23] neg_lo:[0,1] neg_hi:[0,1]
	v_mov_b32_e32 v34, v30
	v_pk_add_f32 v[22:23], v[34:35], v[20:21]
	v_cmp_eq_f32_e32 vcc, s2, v36
	v_mov_b32_e32 v26, v23
	v_pk_add_f32 v[26:27], v[22:23], v[26:27]
	s_mov_b32 s2, 0x33800000
	v_pk_add_f32 v[24:25], v[24:25], v[26:27]
	v_mov_b32_e32 v21, v26
	v_mov_b32_e32 v23, v24
	v_pk_add_f32 v[28:29], v[22:23], v[30:31] neg_lo:[0,1] neg_hi:[0,1]
	v_cmp_gt_f32_e64 s[2:3], s2, v36
	v_sub_f32_e32 v15, v22, v28
	v_pk_add_f32 v[20:21], v[20:21], v[28:29] neg_lo:[0,1] neg_hi:[0,1]
	v_sub_f32_e32 v15, v30, v15
	v_add_f32_e32 v15, v20, v15
	v_add_f32_e32 v15, v15, v21
	v_add_f32_e32 v15, v24, v15
	s_or_b64 vcc, s[2:3], vcc
	v_cndmask_b32_e32 v79, v15, v36, vcc
.LBB143_50:                             ;   in Loop: Header=BB143_12 Depth=1
	s_or_b64 exec, exec, s[36:37]
	s_waitcnt lgkmcnt(1)
	v_add_f32_e32 v80, s61, v18
	s_mov_b32 s2, 0x41a00000
	v_cmp_ge_f32_e32 vcc, s2, v80
	s_and_b64 s[2:3], s[40:41], vcc
	s_and_saveexec_b64 s[36:37], s[2:3]
	s_cbranch_execz .LBB143_52
; %bb.51:                               ;   in Loop: Header=BB143_12 Depth=1
	v_mul_f32_e32 v15, 0x3fb8aa3b, v80
	v_rndne_f32_e32 v18, v15
	s_mov_b32 s2, 0x3fb8aa3b
	v_sub_f32_e32 v20, v15, v18
	v_fma_f32 v15, v80, s2, -v15
	v_fmac_f32_e32 v15, 0x32a5705f, v80
	v_add_f32_e32 v15, v20, v15
	v_cvt_i32_f32_e32 v18, v18
	v_exp_f32_e32 v15, v15
	s_mov_b32 s2, 0xc2ce8ed0
	v_cmp_ngt_f32_e32 vcc, s2, v80
	s_mov_b32 s2, 0x42b17218
	v_ldexp_f32 v15, v15, v18
	v_cndmask_b32_e32 v15, 0, v15, vcc
	v_cmp_nlt_f32_e32 vcc, s2, v80
	s_mov_b32 s2, 0x3f2aaaab
	s_nop 0
	v_cndmask_b32_e32 v34, v73, v15, vcc
	v_add_f32_e32 v15, 1.0, v34
	v_add_f32_e32 v18, -1.0, v15
	v_sub_f32_e32 v20, v18, v15
	v_add_f32_e32 v20, 1.0, v20
	v_sub_f32_e32 v18, v34, v18
	v_add_f32_e32 v18, v18, v20
	v_frexp_mant_f32_e32 v22, v15
	v_cvt_f64_f32_e32 v[20:21], v15
	v_frexp_exp_i32_f64_e32 v20, v[20:21]
	v_cmp_gt_f32_e32 vcc, s2, v22
	s_mov_b32 s2, 0x3f317218
	s_nop 0
	v_subbrev_co_u32_e32 v28, vcc, 0, v20, vcc
	v_sub_u32_e32 v20, 0, v28
	v_ldexp_f32 v15, v15, v20
	v_ldexp_f32 v18, v18, v20
	v_add_f32_e32 v20, -1.0, v15
	v_add_f32_e32 v21, 1.0, v20
	v_sub_f32_e32 v21, v15, v21
	v_add_f32_e32 v22, v18, v21
	v_add_f32_e32 v21, 1.0, v15
	v_add_f32_e32 v23, -1.0, v21
	v_sub_f32_e32 v15, v15, v23
	v_add_f32_e32 v15, v18, v15
	v_add_f32_e32 v18, v21, v15
	v_rcp_f32_e32 v29, v18
	v_sub_f32_e32 v21, v21, v18
	v_add_f32_e32 v15, v15, v21
	v_add_f32_e32 v21, v20, v22
	v_sub_f32_e32 v20, v20, v21
	v_mul_f32_e32 v31, v21, v29
	v_add_f32_e32 v30, v22, v20
	v_mul_f32_e32 v22, v18, v31
	v_fma_f32 v24, v31, v18, -v22
	v_fmac_f32_e32 v24, v31, v15
	v_add_f32_e32 v20, v22, v24
	v_sub_f32_e32 v23, v21, v20
	v_pk_add_f32 v[26:27], v[20:21], v[22:23] neg_lo:[0,1] neg_hi:[0,1]
	v_mov_b32_e32 v25, v20
	v_pk_add_f32 v[20:21], v[26:27], v[24:25] neg_lo:[0,1] neg_hi:[0,1]
	s_nop 0
	v_add_f32_e32 v21, v30, v21
	v_add_f32_e32 v20, v20, v21
	;; [unrolled: 1-line block ×3, first 2 shown]
	v_mul_f32_e32 v30, v29, v21
	v_mul_f32_e32 v22, v18, v30
	v_fma_f32 v24, v30, v18, -v22
	v_fmac_f32_e32 v24, v30, v15
	v_sub_f32_e32 v15, v23, v21
	v_add_f32_e32 v15, v20, v15
	v_add_f32_e32 v20, v22, v24
	v_sub_f32_e32 v23, v21, v20
	v_pk_add_f32 v[26:27], v[20:21], v[22:23] neg_lo:[0,1] neg_hi:[0,1]
	v_mov_b32_e32 v25, v20
	v_pk_add_f32 v[20:21], v[26:27], v[24:25] neg_lo:[0,1] neg_hi:[0,1]
	v_add_f32_e32 v18, v31, v30
	v_add_f32_e32 v15, v15, v21
	;; [unrolled: 1-line block ×4, first 2 shown]
	v_sub_f32_e32 v20, v18, v31
	v_mul_f32_e32 v15, v29, v15
	v_sub_f32_e32 v20, v30, v20
	v_add_f32_e32 v21, v20, v15
	v_add_f32_e32 v22, v18, v21
	v_cvt_f32_i32_e32 v20, v28
	v_mul_f32_e32 v24, v22, v22
	v_fmamk_f32 v15, v24, 0x3e9b6dac, v72
	v_sub_f32_e32 v18, v22, v18
	v_fmaak_f32 v15, v24, v15, 0x3f2aaada
	v_sub_f32_e32 v18, v21, v18
	v_mul_f32_e32 v21, v22, v24
	v_pk_mul_f32 v[24:25], v[20:21], v[14:15]
	v_ldexp_f32 v23, v22, 1
	v_fma_f32 v22, v20, s2, -v24
	v_fmac_f32_e32 v22, 0xb102e308, v20
	v_pk_add_f32 v[20:21], v[24:25], v[22:23]
	v_ldexp_f32 v18, v18, 1
	v_sub_f32_e32 v15, v21, v23
	v_sub_f32_e32 v15, v25, v15
	v_add_f32_e32 v27, v18, v15
	v_mov_b32_e32 v26, v24
	v_pk_add_f32 v[24:25], v[20:21], v[24:25] neg_lo:[0,1] neg_hi:[0,1]
	v_pk_add_f32 v[28:29], v[20:21], v[26:27]
	v_mov_b32_e32 v23, v20
	v_mov_b32_e32 v25, v29
	v_pk_add_f32 v[30:31], v[22:23], v[24:25] neg_lo:[0,1] neg_hi:[0,1]
	v_pk_add_f32 v[22:23], v[22:23], v[24:25]
	s_mov_b32 s2, 0x7f800000
	v_mov_b32_e32 v18, v23
	v_pk_add_f32 v[24:25], v[18:19], v[20:21] neg_lo:[0,1] neg_hi:[0,1]
	v_mov_b32_e32 v22, v29
	v_mov_b32_e32 v15, v24
	v_pk_add_f32 v[32:33], v[28:29], v[14:15] neg_lo:[0,1] neg_hi:[0,1]
	v_mov_b32_e32 v28, v21
	v_mov_b32_e32 v29, v24
	;; [unrolled: 1-line block ×3, first 2 shown]
	v_pk_add_f32 v[22:23], v[22:23], v[28:29] neg_lo:[0,1] neg_hi:[0,1]
	v_mov_b32_e32 v24, v27
	v_mov_b32_e32 v25, v20
	v_pk_add_f32 v[20:21], v[24:25], v[22:23] neg_lo:[0,1] neg_hi:[0,1]
	v_mov_b32_e32 v32, v30
	v_pk_add_f32 v[22:23], v[32:33], v[20:21]
	v_cmp_eq_f32_e32 vcc, s2, v34
	v_mov_b32_e32 v24, v23
	v_pk_add_f32 v[24:25], v[22:23], v[24:25]
	s_mov_b32 s2, 0x33800000
	v_pk_add_f32 v[26:27], v[18:19], v[24:25]
	v_mov_b32_e32 v21, v24
	v_mov_b32_e32 v23, v26
	v_pk_add_f32 v[28:29], v[22:23], v[30:31] neg_lo:[0,1] neg_hi:[0,1]
	v_cmp_gt_f32_e64 s[2:3], s2, v34
	v_sub_f32_e32 v15, v22, v28
	v_pk_add_f32 v[20:21], v[20:21], v[28:29] neg_lo:[0,1] neg_hi:[0,1]
	v_sub_f32_e32 v15, v30, v15
	v_add_f32_e32 v15, v20, v15
	v_add_f32_e32 v15, v15, v21
	;; [unrolled: 1-line block ×3, first 2 shown]
	s_or_b64 vcc, s[2:3], vcc
	v_cndmask_b32_e32 v80, v15, v34, vcc
.LBB143_52:                             ;   in Loop: Header=BB143_12 Depth=1
	s_or_b64 exec, exec, s[36:37]
	v_add_f32_e32 v81, s61, v19
	s_mov_b32 s2, 0x41a00000
	v_cmp_ge_f32_e32 vcc, s2, v81
	s_and_b64 s[2:3], s[40:41], vcc
	s_and_saveexec_b64 s[36:37], s[2:3]
	s_cbranch_execz .LBB143_54
; %bb.53:                               ;   in Loop: Header=BB143_12 Depth=1
	v_mul_f32_e32 v15, 0x3fb8aa3b, v81
	v_rndne_f32_e32 v18, v15
	s_mov_b32 s2, 0x3fb8aa3b
	v_sub_f32_e32 v19, v15, v18
	v_fma_f32 v15, v81, s2, -v15
	v_fmac_f32_e32 v15, 0x32a5705f, v81
	v_add_f32_e32 v15, v19, v15
	v_cvt_i32_f32_e32 v18, v18
	v_exp_f32_e32 v15, v15
	s_mov_b32 s2, 0xc2ce8ed0
	v_cmp_ngt_f32_e32 vcc, s2, v81
	s_mov_b32 s2, 0x42b17218
	v_ldexp_f32 v15, v15, v18
	v_cndmask_b32_e32 v15, 0, v15, vcc
	v_cmp_nlt_f32_e32 vcc, s2, v81
	s_mov_b32 s2, 0x3f2aaaab
	s_nop 0
	v_cndmask_b32_e32 v34, v73, v15, vcc
	v_add_f32_e32 v15, 1.0, v34
	v_add_f32_e32 v18, -1.0, v15
	v_sub_f32_e32 v19, v18, v15
	v_add_f32_e32 v19, 1.0, v19
	v_sub_f32_e32 v18, v34, v18
	v_add_f32_e32 v20, v18, v19
	v_frexp_mant_f32_e32 v21, v15
	v_cvt_f64_f32_e32 v[18:19], v15
	v_frexp_exp_i32_f64_e32 v18, v[18:19]
	v_cmp_gt_f32_e32 vcc, s2, v21
	s_mov_b32 s2, 0x3f317218
	s_nop 0
	v_subbrev_co_u32_e32 v26, vcc, 0, v18, vcc
	v_sub_u32_e32 v18, 0, v26
	v_ldexp_f32 v15, v15, v18
	v_ldexp_f32 v18, v20, v18
	v_add_f32_e32 v20, -1.0, v15
	v_add_f32_e32 v19, 1.0, v20
	v_sub_f32_e32 v19, v15, v19
	v_add_f32_e32 v21, v18, v19
	v_add_f32_e32 v19, 1.0, v15
	v_add_f32_e32 v22, -1.0, v19
	v_sub_f32_e32 v15, v15, v22
	v_add_f32_e32 v15, v18, v15
	v_add_f32_e32 v27, v19, v15
	v_rcp_f32_e32 v28, v27
	v_sub_f32_e32 v18, v19, v27
	v_add_f32_e32 v19, v20, v21
	v_add_f32_e32 v15, v15, v18
	v_mul_f32_e32 v30, v19, v28
	v_sub_f32_e32 v18, v20, v19
	v_mul_f32_e32 v20, v27, v30
	v_fma_f32 v22, v30, v27, -v20
	v_fmac_f32_e32 v22, v30, v15
	v_add_f32_e32 v29, v21, v18
	v_add_f32_e32 v18, v20, v22
	v_sub_f32_e32 v21, v19, v18
	v_pk_add_f32 v[24:25], v[18:19], v[20:21] neg_lo:[0,1] neg_hi:[0,1]
	v_mov_b32_e32 v23, v18
	v_pk_add_f32 v[18:19], v[24:25], v[22:23] neg_lo:[0,1] neg_hi:[0,1]
	s_nop 0
	v_add_f32_e32 v19, v29, v19
	v_add_f32_e32 v18, v18, v19
	;; [unrolled: 1-line block ×3, first 2 shown]
	v_mul_f32_e32 v29, v28, v19
	v_mul_f32_e32 v20, v27, v29
	v_fma_f32 v22, v29, v27, -v20
	v_fmac_f32_e32 v22, v29, v15
	v_sub_f32_e32 v15, v21, v19
	v_add_f32_e32 v15, v18, v15
	v_add_f32_e32 v18, v20, v22
	v_sub_f32_e32 v21, v19, v18
	v_pk_add_f32 v[24:25], v[18:19], v[20:21] neg_lo:[0,1] neg_hi:[0,1]
	v_mov_b32_e32 v23, v18
	v_pk_add_f32 v[18:19], v[24:25], v[22:23] neg_lo:[0,1] neg_hi:[0,1]
	s_nop 0
	v_add_f32_e32 v15, v15, v19
	v_add_f32_e32 v15, v18, v15
	;; [unrolled: 1-line block ×4, first 2 shown]
	v_sub_f32_e32 v18, v19, v30
	v_mul_f32_e32 v15, v28, v15
	v_sub_f32_e32 v18, v29, v18
	v_add_f32_e32 v20, v18, v15
	v_add_f32_e32 v22, v19, v20
	v_cvt_f32_i32_e32 v18, v26
	v_mul_f32_e32 v23, v22, v22
	v_sub_f32_e32 v19, v22, v19
	v_fmamk_f32 v15, v23, 0x3e9b6dac, v72
	v_sub_f32_e32 v19, v20, v19
	v_fmaak_f32 v15, v23, v15, 0x3f2aaada
	v_ldexp_f32 v24, v19, 1
	v_mul_f32_e32 v19, v22, v23
	v_ldexp_f32 v21, v22, 1
	v_pk_mul_f32 v[22:23], v[18:19], v[14:15]
	s_nop 0
	v_fma_f32 v20, v18, s2, -v22
	v_fmac_f32_e32 v20, 0xb102e308, v18
	v_pk_add_f32 v[18:19], v[22:23], v[20:21]
	s_mov_b32 s2, 0x7f800000
	v_sub_f32_e32 v15, v19, v21
	v_sub_f32_e32 v15, v23, v15
	v_add_f32_e32 v25, v24, v15
	v_mov_b32_e32 v24, v22
	v_pk_add_f32 v[22:23], v[18:19], v[22:23] neg_lo:[0,1] neg_hi:[0,1]
	v_pk_add_f32 v[26:27], v[18:19], v[24:25]
	v_mov_b32_e32 v21, v18
	v_mov_b32_e32 v23, v27
	v_pk_add_f32 v[28:29], v[20:21], v[22:23] neg_lo:[0,1] neg_hi:[0,1]
	v_pk_add_f32 v[20:21], v[20:21], v[22:23]
	v_mov_b32_e32 v24, v25
	v_mov_b32_e32 v22, v21
	v_pk_add_f32 v[30:31], v[22:23], v[18:19] neg_lo:[0,1] neg_hi:[0,1]
	v_mov_b32_e32 v20, v27
	v_mov_b32_e32 v15, v30
	v_pk_add_f32 v[32:33], v[26:27], v[14:15] neg_lo:[0,1] neg_hi:[0,1]
	v_mov_b32_e32 v26, v19
	v_mov_b32_e32 v27, v30
	v_mov_b32_e32 v29, v21
	v_pk_add_f32 v[20:21], v[20:21], v[26:27] neg_lo:[0,1] neg_hi:[0,1]
	v_mov_b32_e32 v25, v18
	v_pk_add_f32 v[18:19], v[24:25], v[20:21] neg_lo:[0,1] neg_hi:[0,1]
	v_mov_b32_e32 v32, v28
	v_pk_add_f32 v[20:21], v[32:33], v[18:19]
	v_cmp_eq_f32_e32 vcc, s2, v34
	v_mov_b32_e32 v24, v21
	v_pk_add_f32 v[24:25], v[20:21], v[24:25]
	s_mov_b32 s2, 0x33800000
	v_pk_add_f32 v[22:23], v[22:23], v[24:25]
	v_mov_b32_e32 v19, v24
	v_mov_b32_e32 v21, v22
	v_pk_add_f32 v[26:27], v[20:21], v[28:29] neg_lo:[0,1] neg_hi:[0,1]
	v_cmp_gt_f32_e64 s[2:3], s2, v34
	v_sub_f32_e32 v15, v20, v26
	v_pk_add_f32 v[18:19], v[18:19], v[26:27] neg_lo:[0,1] neg_hi:[0,1]
	v_sub_f32_e32 v15, v28, v15
	v_add_f32_e32 v15, v18, v15
	v_add_f32_e32 v15, v15, v19
	v_add_f32_e32 v15, v22, v15
	s_or_b64 vcc, s[2:3], vcc
	v_cndmask_b32_e32 v81, v15, v34, vcc
.LBB143_54:                             ;   in Loop: Header=BB143_12 Depth=1
	s_or_b64 exec, exec, s[36:37]
	s_waitcnt lgkmcnt(0)
	v_add_f32_e32 v82, s61, v16
	s_mov_b32 s2, 0x41a00000
	v_cmp_ge_f32_e32 vcc, s2, v82
	s_and_b64 s[2:3], s[40:41], vcc
	s_and_saveexec_b64 s[36:37], s[2:3]
	s_cbranch_execz .LBB143_56
; %bb.55:                               ;   in Loop: Header=BB143_12 Depth=1
	v_mul_f32_e32 v15, 0x3fb8aa3b, v82
	v_rndne_f32_e32 v16, v15
	s_mov_b32 s2, 0x3fb8aa3b
	v_sub_f32_e32 v18, v15, v16
	v_fma_f32 v15, v82, s2, -v15
	v_fmac_f32_e32 v15, 0x32a5705f, v82
	v_add_f32_e32 v15, v18, v15
	v_cvt_i32_f32_e32 v16, v16
	v_exp_f32_e32 v15, v15
	s_mov_b32 s2, 0xc2ce8ed0
	v_cmp_ngt_f32_e32 vcc, s2, v82
	s_mov_b32 s2, 0x42b17218
	v_ldexp_f32 v15, v15, v16
	v_cndmask_b32_e32 v15, 0, v15, vcc
	v_cmp_nlt_f32_e32 vcc, s2, v82
	s_mov_b32 s2, 0x3f2aaaab
	s_nop 0
	v_cndmask_b32_e32 v32, v73, v15, vcc
	v_add_f32_e32 v15, 1.0, v32
	v_add_f32_e32 v16, -1.0, v15
	v_sub_f32_e32 v18, v16, v15
	v_add_f32_e32 v18, 1.0, v18
	v_sub_f32_e32 v16, v32, v16
	v_add_f32_e32 v16, v16, v18
	v_frexp_mant_f32_e32 v20, v15
	v_cvt_f64_f32_e32 v[18:19], v15
	v_frexp_exp_i32_f64_e32 v18, v[18:19]
	v_cmp_gt_f32_e32 vcc, s2, v20
	s_mov_b32 s2, 0x3f317218
	s_nop 0
	v_subbrev_co_u32_e32 v26, vcc, 0, v18, vcc
	v_sub_u32_e32 v18, 0, v26
	v_ldexp_f32 v15, v15, v18
	v_ldexp_f32 v16, v16, v18
	v_add_f32_e32 v18, -1.0, v15
	v_add_f32_e32 v19, 1.0, v18
	v_sub_f32_e32 v19, v15, v19
	v_add_f32_e32 v20, v16, v19
	v_add_f32_e32 v19, 1.0, v15
	v_add_f32_e32 v21, -1.0, v19
	v_sub_f32_e32 v15, v15, v21
	v_add_f32_e32 v15, v16, v15
	v_add_f32_e32 v16, v19, v15
	v_rcp_f32_e32 v27, v16
	v_sub_f32_e32 v19, v19, v16
	v_add_f32_e32 v15, v15, v19
	v_add_f32_e32 v19, v18, v20
	v_sub_f32_e32 v18, v18, v19
	v_mul_f32_e32 v29, v19, v27
	v_add_f32_e32 v28, v20, v18
	v_mul_f32_e32 v20, v16, v29
	v_fma_f32 v22, v29, v16, -v20
	v_fmac_f32_e32 v22, v29, v15
	v_add_f32_e32 v18, v20, v22
	v_sub_f32_e32 v21, v19, v18
	v_pk_add_f32 v[24:25], v[18:19], v[20:21] neg_lo:[0,1] neg_hi:[0,1]
	v_mov_b32_e32 v23, v18
	v_pk_add_f32 v[18:19], v[24:25], v[22:23] neg_lo:[0,1] neg_hi:[0,1]
	s_nop 0
	v_add_f32_e32 v19, v28, v19
	v_add_f32_e32 v18, v18, v19
	v_add_f32_e32 v19, v21, v18
	v_mul_f32_e32 v28, v27, v19
	v_mul_f32_e32 v20, v16, v28
	v_fma_f32 v22, v28, v16, -v20
	v_fmac_f32_e32 v22, v28, v15
	v_sub_f32_e32 v15, v21, v19
	v_add_f32_e32 v15, v18, v15
	v_add_f32_e32 v18, v20, v22
	v_sub_f32_e32 v21, v19, v18
	v_pk_add_f32 v[24:25], v[18:19], v[20:21] neg_lo:[0,1] neg_hi:[0,1]
	v_mov_b32_e32 v23, v18
	v_pk_add_f32 v[18:19], v[24:25], v[22:23] neg_lo:[0,1] neg_hi:[0,1]
	v_add_f32_e32 v16, v29, v28
	v_add_f32_e32 v15, v15, v19
	;; [unrolled: 1-line block ×4, first 2 shown]
	v_sub_f32_e32 v18, v16, v29
	v_mul_f32_e32 v15, v27, v15
	v_sub_f32_e32 v18, v28, v18
	v_add_f32_e32 v19, v18, v15
	v_add_f32_e32 v20, v16, v19
	v_cvt_f32_i32_e32 v18, v26
	v_mul_f32_e32 v22, v20, v20
	v_fmamk_f32 v15, v22, 0x3e9b6dac, v72
	v_sub_f32_e32 v16, v20, v16
	v_fmaak_f32 v15, v22, v15, 0x3f2aaada
	v_sub_f32_e32 v16, v19, v16
	v_mul_f32_e32 v19, v20, v22
	v_pk_mul_f32 v[22:23], v[18:19], v[14:15]
	v_ldexp_f32 v21, v20, 1
	v_fma_f32 v20, v18, s2, -v22
	v_fmac_f32_e32 v20, 0xb102e308, v18
	v_pk_add_f32 v[18:19], v[22:23], v[20:21]
	v_ldexp_f32 v16, v16, 1
	v_sub_f32_e32 v15, v19, v21
	v_sub_f32_e32 v15, v23, v15
	v_add_f32_e32 v25, v16, v15
	v_mov_b32_e32 v24, v22
	v_pk_add_f32 v[22:23], v[18:19], v[22:23] neg_lo:[0,1] neg_hi:[0,1]
	v_pk_add_f32 v[26:27], v[18:19], v[24:25]
	v_mov_b32_e32 v21, v18
	v_mov_b32_e32 v23, v27
	v_pk_add_f32 v[28:29], v[20:21], v[22:23] neg_lo:[0,1] neg_hi:[0,1]
	v_pk_add_f32 v[20:21], v[20:21], v[22:23]
	s_mov_b32 s2, 0x7f800000
	v_mov_b32_e32 v16, v21
	v_pk_add_f32 v[22:23], v[16:17], v[18:19] neg_lo:[0,1] neg_hi:[0,1]
	v_mov_b32_e32 v20, v27
	v_mov_b32_e32 v15, v22
	v_pk_add_f32 v[30:31], v[26:27], v[14:15] neg_lo:[0,1] neg_hi:[0,1]
	v_mov_b32_e32 v26, v19
	v_mov_b32_e32 v27, v22
	;; [unrolled: 1-line block ×3, first 2 shown]
	v_pk_add_f32 v[20:21], v[20:21], v[26:27] neg_lo:[0,1] neg_hi:[0,1]
	v_mov_b32_e32 v22, v25
	v_mov_b32_e32 v23, v18
	v_pk_add_f32 v[18:19], v[22:23], v[20:21] neg_lo:[0,1] neg_hi:[0,1]
	v_mov_b32_e32 v30, v28
	v_pk_add_f32 v[20:21], v[30:31], v[18:19]
	v_cmp_eq_f32_e32 vcc, s2, v32
	v_mov_b32_e32 v22, v21
	v_pk_add_f32 v[22:23], v[20:21], v[22:23]
	s_mov_b32 s2, 0x33800000
	v_pk_add_f32 v[24:25], v[16:17], v[22:23]
	v_mov_b32_e32 v19, v22
	v_mov_b32_e32 v21, v24
	v_pk_add_f32 v[26:27], v[20:21], v[28:29] neg_lo:[0,1] neg_hi:[0,1]
	v_cmp_gt_f32_e64 s[2:3], s2, v32
	v_sub_f32_e32 v15, v20, v26
	v_pk_add_f32 v[18:19], v[18:19], v[26:27] neg_lo:[0,1] neg_hi:[0,1]
	v_sub_f32_e32 v15, v28, v15
	v_add_f32_e32 v15, v18, v15
	v_add_f32_e32 v15, v15, v19
	;; [unrolled: 1-line block ×3, first 2 shown]
	s_or_b64 vcc, s[2:3], vcc
	v_cndmask_b32_e32 v82, v15, v32, vcc
.LBB143_56:                             ;   in Loop: Header=BB143_12 Depth=1
	s_or_b64 exec, exec, s[36:37]
	v_add_f32_e32 v15, s61, v17
	s_mov_b32 s2, 0x41a00000
	v_cmp_ge_f32_e32 vcc, s2, v15
	s_and_b64 s[2:3], s[40:41], vcc
	s_and_saveexec_b64 s[36:37], s[2:3]
	s_cbranch_execz .LBB143_58
; %bb.57:                               ;   in Loop: Header=BB143_12 Depth=1
	v_mul_f32_e32 v16, 0x3fb8aa3b, v15
	v_rndne_f32_e32 v17, v16
	s_mov_b32 s2, 0x3fb8aa3b
	v_sub_f32_e32 v18, v16, v17
	v_fma_f32 v16, v15, s2, -v16
	v_fmac_f32_e32 v16, 0x32a5705f, v15
	v_add_f32_e32 v16, v18, v16
	v_cvt_i32_f32_e32 v17, v17
	v_exp_f32_e32 v16, v16
	s_mov_b32 s2, 0xc2ce8ed0
	v_cmp_ngt_f32_e32 vcc, s2, v15
	s_mov_b32 s2, 0x42b17218
	v_ldexp_f32 v16, v16, v17
	v_cndmask_b32_e32 v16, 0, v16, vcc
	v_cmp_nlt_f32_e32 vcc, s2, v15
	s_mov_b32 s2, 0x3f2aaaab
	s_nop 0
	v_cndmask_b32_e32 v32, v73, v16, vcc
	v_add_f32_e32 v15, 1.0, v32
	v_add_f32_e32 v16, -1.0, v15
	v_sub_f32_e32 v17, v16, v15
	v_add_f32_e32 v17, 1.0, v17
	v_sub_f32_e32 v16, v32, v16
	v_add_f32_e32 v18, v16, v17
	v_frexp_mant_f32_e32 v19, v15
	v_cvt_f64_f32_e32 v[16:17], v15
	v_frexp_exp_i32_f64_e32 v16, v[16:17]
	v_cmp_gt_f32_e32 vcc, s2, v19
	s_mov_b32 s2, 0x3f317218
	s_nop 0
	v_subbrev_co_u32_e32 v24, vcc, 0, v16, vcc
	v_sub_u32_e32 v16, 0, v24
	v_ldexp_f32 v15, v15, v16
	v_ldexp_f32 v16, v18, v16
	v_add_f32_e32 v18, -1.0, v15
	v_add_f32_e32 v17, 1.0, v18
	v_sub_f32_e32 v17, v15, v17
	v_add_f32_e32 v19, v16, v17
	v_add_f32_e32 v17, 1.0, v15
	v_add_f32_e32 v20, -1.0, v17
	v_sub_f32_e32 v15, v15, v20
	v_add_f32_e32 v15, v16, v15
	v_add_f32_e32 v25, v17, v15
	v_rcp_f32_e32 v26, v25
	v_sub_f32_e32 v16, v17, v25
	v_add_f32_e32 v17, v18, v19
	v_add_f32_e32 v15, v15, v16
	v_mul_f32_e32 v28, v17, v26
	v_sub_f32_e32 v16, v18, v17
	v_mul_f32_e32 v18, v25, v28
	v_fma_f32 v20, v28, v25, -v18
	v_fmac_f32_e32 v20, v28, v15
	v_add_f32_e32 v27, v19, v16
	v_add_f32_e32 v16, v18, v20
	v_sub_f32_e32 v19, v17, v16
	v_pk_add_f32 v[22:23], v[16:17], v[18:19] neg_lo:[0,1] neg_hi:[0,1]
	v_mov_b32_e32 v21, v16
	v_pk_add_f32 v[16:17], v[22:23], v[20:21] neg_lo:[0,1] neg_hi:[0,1]
	s_nop 0
	v_add_f32_e32 v17, v27, v17
	v_add_f32_e32 v16, v16, v17
	;; [unrolled: 1-line block ×3, first 2 shown]
	v_mul_f32_e32 v27, v26, v17
	v_mul_f32_e32 v18, v25, v27
	v_fma_f32 v20, v27, v25, -v18
	v_fmac_f32_e32 v20, v27, v15
	v_sub_f32_e32 v15, v19, v17
	v_add_f32_e32 v15, v16, v15
	v_add_f32_e32 v16, v18, v20
	v_sub_f32_e32 v19, v17, v16
	v_pk_add_f32 v[22:23], v[16:17], v[18:19] neg_lo:[0,1] neg_hi:[0,1]
	v_mov_b32_e32 v21, v16
	v_pk_add_f32 v[16:17], v[22:23], v[20:21] neg_lo:[0,1] neg_hi:[0,1]
	s_nop 0
	v_add_f32_e32 v15, v15, v17
	v_add_f32_e32 v15, v16, v15
	;; [unrolled: 1-line block ×4, first 2 shown]
	v_sub_f32_e32 v16, v17, v28
	v_mul_f32_e32 v15, v26, v15
	v_sub_f32_e32 v16, v27, v16
	v_add_f32_e32 v18, v16, v15
	v_add_f32_e32 v20, v17, v18
	v_cvt_f32_i32_e32 v16, v24
	v_mul_f32_e32 v21, v20, v20
	v_sub_f32_e32 v17, v20, v17
	v_fmamk_f32 v15, v21, 0x3e9b6dac, v72
	v_sub_f32_e32 v17, v18, v17
	v_fmaak_f32 v15, v21, v15, 0x3f2aaada
	v_ldexp_f32 v22, v17, 1
	v_mul_f32_e32 v17, v20, v21
	v_ldexp_f32 v19, v20, 1
	v_pk_mul_f32 v[20:21], v[16:17], v[14:15]
	s_nop 0
	v_fma_f32 v18, v16, s2, -v20
	v_fmac_f32_e32 v18, 0xb102e308, v16
	v_pk_add_f32 v[16:17], v[20:21], v[18:19]
	s_mov_b32 s2, 0x7f800000
	v_sub_f32_e32 v15, v17, v19
	v_sub_f32_e32 v15, v21, v15
	v_add_f32_e32 v23, v22, v15
	v_mov_b32_e32 v22, v20
	v_pk_add_f32 v[20:21], v[16:17], v[20:21] neg_lo:[0,1] neg_hi:[0,1]
	v_pk_add_f32 v[24:25], v[16:17], v[22:23]
	v_mov_b32_e32 v19, v16
	v_mov_b32_e32 v21, v25
	v_pk_add_f32 v[26:27], v[18:19], v[20:21] neg_lo:[0,1] neg_hi:[0,1]
	v_pk_add_f32 v[18:19], v[18:19], v[20:21]
	v_mov_b32_e32 v22, v23
	v_mov_b32_e32 v20, v19
	v_pk_add_f32 v[28:29], v[20:21], v[16:17] neg_lo:[0,1] neg_hi:[0,1]
	v_mov_b32_e32 v18, v25
	v_mov_b32_e32 v15, v28
	v_pk_add_f32 v[30:31], v[24:25], v[14:15] neg_lo:[0,1] neg_hi:[0,1]
	v_mov_b32_e32 v24, v17
	v_mov_b32_e32 v25, v28
	;; [unrolled: 1-line block ×3, first 2 shown]
	v_pk_add_f32 v[18:19], v[18:19], v[24:25] neg_lo:[0,1] neg_hi:[0,1]
	v_mov_b32_e32 v23, v16
	v_pk_add_f32 v[16:17], v[22:23], v[18:19] neg_lo:[0,1] neg_hi:[0,1]
	v_mov_b32_e32 v30, v26
	v_pk_add_f32 v[18:19], v[30:31], v[16:17]
	v_cmp_eq_f32_e32 vcc, s2, v32
	v_mov_b32_e32 v22, v19
	v_pk_add_f32 v[22:23], v[18:19], v[22:23]
	s_mov_b32 s2, 0x33800000
	v_pk_add_f32 v[20:21], v[20:21], v[22:23]
	v_mov_b32_e32 v17, v22
	v_mov_b32_e32 v19, v20
	v_pk_add_f32 v[24:25], v[18:19], v[26:27] neg_lo:[0,1] neg_hi:[0,1]
	v_cmp_gt_f32_e64 s[2:3], s2, v32
	v_sub_f32_e32 v15, v18, v24
	v_pk_add_f32 v[16:17], v[16:17], v[24:25] neg_lo:[0,1] neg_hi:[0,1]
	v_sub_f32_e32 v15, v26, v15
	v_add_f32_e32 v15, v16, v15
	v_add_f32_e32 v15, v15, v17
	;; [unrolled: 1-line block ×3, first 2 shown]
	s_or_b64 vcc, s[2:3], vcc
	v_cndmask_b32_e32 v15, v15, v32, vcc
.LBB143_58:                             ;   in Loop: Header=BB143_12 Depth=1
	s_or_b64 exec, exec, s[36:37]
	v_readlane_b32 s2, v95, 0
	v_readlane_b32 s3, v95, 1
	v_mul_f32_e32 v16, s78, v8
	v_mul_f32_e32 v19, s78, v7
	;; [unrolled: 1-line block ×8, first 2 shown]
	s_and_b64 vcc, exec, s[2:3]
	s_waitcnt lgkmcnt(0)
	; wave barrier
	s_cbranch_vccz .LBB143_119
; %bb.59:                               ;   in Loop: Header=BB143_12 Depth=1
	s_cmp_lg_u32 s87, 0
	v_readlane_b32 s36, v95, 4
	v_readlane_b32 s68, v95, 2
	v_mul_f32_e32 v90, v2, v76
	s_cselect_b64 s[2:3], -1, 0
	s_cmp_eq_u32 s87, s36
	v_cmp_gt_u32_e32 vcc, s50, v11
	v_readlane_b32 s69, v95, 3
	v_or_b32_e32 v2, 1, v11
	s_cselect_b64 s[92:93], -1, 0
	s_or_b64 s[36:37], s[68:69], vcc
	v_cmp_gt_u32_e32 vcc, s50, v2
	v_or_b32_e32 v2, 2, v11
	s_mov_b64 s[66:67], s[38:39]
	s_or_b64 s[38:39], s[68:69], vcc
	v_cmp_gt_u32_e32 vcc, s50, v2
	v_or_b32_e32 v2, 3, v11
	s_or_b64 s[40:41], s[68:69], vcc
	v_cmp_gt_u32_e32 vcc, s50, v2
	v_or_b32_e32 v2, 4, v11
	s_or_b64 s[42:43], s[68:69], vcc
	v_cmp_gt_u32_e32 vcc, s50, v2
	v_or_b32_e32 v2, 5, v11
	s_or_b64 s[44:45], s[68:69], vcc
	v_cmp_gt_u32_e32 vcc, s50, v2
	v_or_b32_e32 v2, 6, v11
	s_or_b64 s[46:47], s[68:69], vcc
	v_cmp_gt_u32_e32 vcc, s50, v2
	v_or_b32_e32 v2, 7, v11
	s_or_b64 s[48:49], s[68:69], vcc
	v_cmp_gt_u32_e32 vcc, s50, v2
	v_mul_f32_e32 v83, v9, v15
	v_lshl_add_u64 v[24:25], s[84:85], 0, v[0:1]
	v_lshl_add_u64 v[26:27], s[58:59], 0, v[0:1]
	v_mul_f32_e32 v84, v8, v82
	v_mul_f32_e32 v85, v7, v81
	;; [unrolled: 1-line block ×6, first 2 shown]
	s_or_b64 s[50:51], s[68:69], vcc
	s_mov_b32 s80, s64
	s_mov_b32 s94, 0
	;; [unrolled: 1-line block ×5, first 2 shown]
	v_readlane_b32 s86, v95, 5
	s_branch .LBB143_61
.LBB143_60:                             ;   in Loop: Header=BB143_61 Depth=2
	s_or_b64 exec, exec, s[66:67]
	v_mul_f32_e32 v28, v91, v69
	v_fma_f32 v29, v91, v70, v30
	v_cndmask_b32_e64 v30, v29, v30, s[16:17]
	v_cndmask_b32_e64 v28, v28, v91, s[16:17]
	s_waitcnt lgkmcnt(0)
	v_fmac_f32_e32 v30, v38, v28
	v_fmac_f32_e32 v31, v30, v92
	;; [unrolled: 1-line block ×8, first 2 shown]
	s_add_i32 s86, s86, 8
	s_add_i32 s91, s91, -1
	s_add_i32 s98, s98, s62
	s_add_i32 s96, s96, s60
	;; [unrolled: 1-line block ×4, first 2 shown]
	v_pk_fma_f32 v[22:23], v[8:9], v[30:31], v[22:23]
	v_pk_fma_f32 v[20:21], v[6:7], v[32:33], v[20:21]
	;; [unrolled: 1-line block ×3, first 2 shown]
	s_cmp_eq_u32 s91, 0
	v_pk_fma_f32 v[16:17], v[2:3], v[34:35], v[16:17]
	s_mov_b32 s65, s53
	s_mov_b32 s68, s56
	s_cbranch_scc1 .LBB143_118
.LBB143_61:                             ;   Parent Loop BB143_12 Depth=1
                                        ; =>  This Inner Loop Header: Depth=2
	s_lshl_b64 s[66:67], s[80:81], 2
	s_add_u32 s66, s52, s66
	s_addc_u32 s67, s33, s67
	global_load_dword v38, v1, s[66:67]
	s_mov_b32 s65, s64
	s_mov_b32 s95, s81
	;; [unrolled: 1-line block ×8, first 2 shown]
	v_mov_b64_e32 v[2:3], s[64:65]
	v_lshl_add_u64 v[28:29], s[94:95], 2, v[24:25]
	v_mov_b64_e32 v[4:5], s[66:67]
	v_mov_b64_e32 v[6:7], s[68:69]
	;; [unrolled: 1-line block ×3, first 2 shown]
	v_mov_b32_e32 v30, 0
	s_and_saveexec_b64 s[66:67], s[18:19]
	s_cbranch_execnz .LBB143_81
; %bb.62:                               ;   in Loop: Header=BB143_61 Depth=2
	s_or_b64 exec, exec, s[66:67]
	s_and_saveexec_b64 s[66:67], s[20:21]
	s_cbranch_execnz .LBB143_82
.LBB143_63:                             ;   in Loop: Header=BB143_61 Depth=2
	s_or_b64 exec, exec, s[66:67]
	s_and_saveexec_b64 s[66:67], s[22:23]
	s_cbranch_execnz .LBB143_83
.LBB143_64:                             ;   in Loop: Header=BB143_61 Depth=2
	s_or_b64 exec, exec, s[66:67]
	s_and_saveexec_b64 s[66:67], s[24:25]
	s_cbranch_execnz .LBB143_84
.LBB143_65:                             ;   in Loop: Header=BB143_61 Depth=2
	s_or_b64 exec, exec, s[66:67]
	s_and_saveexec_b64 s[66:67], s[26:27]
	s_cbranch_execnz .LBB143_85
.LBB143_66:                             ;   in Loop: Header=BB143_61 Depth=2
	s_or_b64 exec, exec, s[66:67]
	s_and_saveexec_b64 s[66:67], s[28:29]
	s_cbranch_execnz .LBB143_86
.LBB143_67:                             ;   in Loop: Header=BB143_61 Depth=2
	s_or_b64 exec, exec, s[66:67]
	s_and_saveexec_b64 s[66:67], s[30:31]
	s_cbranch_execnz .LBB143_87
.LBB143_68:                             ;   in Loop: Header=BB143_61 Depth=2
	s_or_b64 exec, exec, s[66:67]
	s_and_saveexec_b64 s[66:67], s[34:35]
	s_cbranch_execz .LBB143_70
.LBB143_69:                             ;   in Loop: Header=BB143_61 Depth=2
	global_load_dword v9, v[28:29], off offset:1792
.LBB143_70:                             ;   in Loop: Header=BB143_61 Depth=2
	s_or_b64 exec, exec, s[66:67]
	s_waitcnt vmcnt(0)
	ds_write_b32 v47, v30
	ds_write_b32 v48, v3 offset:256
	ds_write_b32 v49, v4 offset:512
	ds_write_b32 v50, v5 offset:768
	ds_write_b32 v51, v6 offset:1024
	ds_write_b32 v52, v7 offset:1280
	ds_write_b32 v53, v8 offset:1536
	ds_write_b32 v54, v9 offset:1792
	; wave barrier
	ds_read2_b32 v[30:31], v55 offset1:1
	ds_read2_b32 v[32:33], v55 offset0:2 offset1:3
	ds_read2_b32 v[36:37], v55 offset0:4 offset1:5
	;; [unrolled: 1-line block ×3, first 2 shown]
	s_mov_b32 s68, s81
	s_mov_b32 s69, s81
	;; [unrolled: 1-line block ×9, first 2 shown]
	v_mov_b64_e32 v[2:3], s[68:69]
	v_lshl_add_u64 v[28:29], s[96:97], 2, v[26:27]
	v_mov_b64_e32 v[4:5], s[70:71]
	v_mov_b64_e32 v[6:7], s[72:73]
	;; [unrolled: 1-line block ×3, first 2 shown]
	v_mov_b32_e32 v39, 0
	s_and_saveexec_b64 s[66:67], s[18:19]
	s_cbranch_execnz .LBB143_88
; %bb.71:                               ;   in Loop: Header=BB143_61 Depth=2
	s_or_b64 exec, exec, s[66:67]
	s_and_saveexec_b64 s[66:67], s[20:21]
	s_cbranch_execnz .LBB143_89
.LBB143_72:                             ;   in Loop: Header=BB143_61 Depth=2
	s_or_b64 exec, exec, s[66:67]
	s_and_saveexec_b64 s[66:67], s[22:23]
	s_cbranch_execnz .LBB143_90
.LBB143_73:                             ;   in Loop: Header=BB143_61 Depth=2
	s_or_b64 exec, exec, s[66:67]
	s_and_saveexec_b64 s[66:67], s[24:25]
	s_cbranch_execnz .LBB143_91
.LBB143_74:                             ;   in Loop: Header=BB143_61 Depth=2
	s_or_b64 exec, exec, s[66:67]
	s_and_saveexec_b64 s[66:67], s[26:27]
	s_cbranch_execnz .LBB143_92
.LBB143_75:                             ;   in Loop: Header=BB143_61 Depth=2
	s_or_b64 exec, exec, s[66:67]
	s_and_saveexec_b64 s[66:67], s[28:29]
	s_cbranch_execnz .LBB143_93
.LBB143_76:                             ;   in Loop: Header=BB143_61 Depth=2
	s_or_b64 exec, exec, s[66:67]
	s_and_saveexec_b64 s[66:67], s[30:31]
	s_cbranch_execnz .LBB143_94
.LBB143_77:                             ;   in Loop: Header=BB143_61 Depth=2
	s_or_b64 exec, exec, s[66:67]
	s_and_saveexec_b64 s[66:67], s[34:35]
	s_cbranch_execz .LBB143_79
.LBB143_78:                             ;   in Loop: Header=BB143_61 Depth=2
	global_load_dword v9, v[28:29], off offset:1792
.LBB143_79:                             ;   in Loop: Header=BB143_61 Depth=2
	s_or_b64 exec, exec, s[66:67]
	v_add_u32_e32 v2, 0x840, v55
	s_waitcnt vmcnt(0)
	ds_write_b32 v47, v39 offset:2112
	ds_write_b32 v56, v3 offset:256
	;; [unrolled: 1-line block ×8, first 2 shown]
	; wave barrier
	ds_read2_b32 v[6:7], v63 offset0:2 offset1:3
	ds_read2_b32 v[4:5], v63 offset0:4 offset1:5
	ds_read2_b32 v[8:9], v2 offset1:1
	ds_read2_b32 v[2:3], v63 offset0:6 offset1:7
	s_andn2_b64 vcc, exec, s[2:3]
	s_cbranch_vccnz .LBB143_95
; %bb.80:                               ;   in Loop: Header=BB143_61 Depth=2
	v_mov_b32_e32 v28, s86
	ds_read_b64 v[28:29], v28
	s_cbranch_execz .LBB143_96
	s_branch .LBB143_99
.LBB143_81:                             ;   in Loop: Header=BB143_61 Depth=2
	global_load_dword v30, v[28:29], off
	v_mov_b32_e32 v2, v1
	v_mov_b32_e32 v3, v1
	;; [unrolled: 1-line block ×6, first 2 shown]
	v_mov_b64_e32 v[8:9], v[6:7]
	v_mov_b64_e32 v[6:7], v[4:5]
	;; [unrolled: 1-line block ×4, first 2 shown]
	s_or_b64 exec, exec, s[66:67]
	s_and_saveexec_b64 s[66:67], s[20:21]
	s_cbranch_execz .LBB143_63
.LBB143_82:                             ;   in Loop: Header=BB143_61 Depth=2
	global_load_dword v3, v[28:29], off offset:256
	s_or_b64 exec, exec, s[66:67]
	s_and_saveexec_b64 s[66:67], s[22:23]
	s_cbranch_execz .LBB143_64
.LBB143_83:                             ;   in Loop: Header=BB143_61 Depth=2
	global_load_dword v4, v[28:29], off offset:512
	s_or_b64 exec, exec, s[66:67]
	s_and_saveexec_b64 s[66:67], s[24:25]
	s_cbranch_execz .LBB143_65
.LBB143_84:                             ;   in Loop: Header=BB143_61 Depth=2
	global_load_dword v5, v[28:29], off offset:768
	s_or_b64 exec, exec, s[66:67]
	s_and_saveexec_b64 s[66:67], s[26:27]
	s_cbranch_execz .LBB143_66
.LBB143_85:                             ;   in Loop: Header=BB143_61 Depth=2
	global_load_dword v6, v[28:29], off offset:1024
	s_or_b64 exec, exec, s[66:67]
	s_and_saveexec_b64 s[66:67], s[28:29]
	s_cbranch_execz .LBB143_67
.LBB143_86:                             ;   in Loop: Header=BB143_61 Depth=2
	global_load_dword v7, v[28:29], off offset:1280
	s_or_b64 exec, exec, s[66:67]
	s_and_saveexec_b64 s[66:67], s[30:31]
	s_cbranch_execz .LBB143_68
.LBB143_87:                             ;   in Loop: Header=BB143_61 Depth=2
	global_load_dword v8, v[28:29], off offset:1536
	s_or_b64 exec, exec, s[66:67]
	s_and_saveexec_b64 s[66:67], s[34:35]
	s_cbranch_execnz .LBB143_69
	s_branch .LBB143_70
.LBB143_88:                             ;   in Loop: Header=BB143_61 Depth=2
	global_load_dword v39, v[28:29], off
	v_mov_b32_e32 v2, v1
	v_mov_b32_e32 v3, v1
	;; [unrolled: 1-line block ×6, first 2 shown]
	v_mov_b64_e32 v[8:9], v[6:7]
	v_mov_b64_e32 v[6:7], v[4:5]
	;; [unrolled: 1-line block ×4, first 2 shown]
	s_or_b64 exec, exec, s[66:67]
	s_and_saveexec_b64 s[66:67], s[20:21]
	s_cbranch_execz .LBB143_72
.LBB143_89:                             ;   in Loop: Header=BB143_61 Depth=2
	global_load_dword v3, v[28:29], off offset:256
	s_or_b64 exec, exec, s[66:67]
	s_and_saveexec_b64 s[66:67], s[22:23]
	s_cbranch_execz .LBB143_73
.LBB143_90:                             ;   in Loop: Header=BB143_61 Depth=2
	global_load_dword v4, v[28:29], off offset:512
	s_or_b64 exec, exec, s[66:67]
	s_and_saveexec_b64 s[66:67], s[24:25]
	s_cbranch_execz .LBB143_74
.LBB143_91:                             ;   in Loop: Header=BB143_61 Depth=2
	global_load_dword v5, v[28:29], off offset:768
	s_or_b64 exec, exec, s[66:67]
	s_and_saveexec_b64 s[66:67], s[26:27]
	s_cbranch_execz .LBB143_75
.LBB143_92:                             ;   in Loop: Header=BB143_61 Depth=2
	global_load_dword v6, v[28:29], off offset:1024
	s_or_b64 exec, exec, s[66:67]
	s_and_saveexec_b64 s[66:67], s[28:29]
	s_cbranch_execz .LBB143_76
.LBB143_93:                             ;   in Loop: Header=BB143_61 Depth=2
	global_load_dword v7, v[28:29], off offset:1280
	s_or_b64 exec, exec, s[66:67]
	s_and_saveexec_b64 s[66:67], s[30:31]
	s_cbranch_execz .LBB143_77
.LBB143_94:                             ;   in Loop: Header=BB143_61 Depth=2
	global_load_dword v8, v[28:29], off offset:1536
	s_or_b64 exec, exec, s[66:67]
	s_and_saveexec_b64 s[66:67], s[34:35]
	s_cbranch_execnz .LBB143_78
	s_branch .LBB143_79
.LBB143_95:                             ;   in Loop: Header=BB143_61 Depth=2
                                        ; implicit-def: $vgpr29
.LBB143_96:                             ;   in Loop: Header=BB143_61 Depth=2
	s_andn2_b64 vcc, exec, s[76:77]
	s_waitcnt lgkmcnt(0)
	v_mov_b32_e32 v29, 0
	s_cbranch_vccnz .LBB143_98
; %bb.97:                               ;   in Loop: Header=BB143_61 Depth=2
	s_mov_b32 s99, s81
	s_lshl_b64 s[66:67], s[98:99], 2
	s_add_u32 s66, s57, s66
	s_addc_u32 s67, s90, s67
	global_load_dword v29, v1, s[66:67]
.LBB143_98:                             ;   in Loop: Header=BB143_61 Depth=2
	v_mov_b32_e32 v28, 1.0
.LBB143_99:                             ;   in Loop: Header=BB143_61 Depth=2
	v_mul_f32_e32 v38, 0x3fb8aa3b, v38
	v_mul_f32_e32 v39, v38, v76
	v_cmp_gt_f32_e32 vcc, s79, v39
	s_waitcnt lgkmcnt(14)
	v_mul_f32_e32 v30, v30, v90
	v_mul_f32_e32 v31, v31, v89
	v_cndmask_b32_e32 v39, 0, v74, vcc
	v_fmac_f32_e32 v39, v38, v76
	v_exp_f32_e32 v39, v39
	v_cndmask_b32_e32 v65, 1.0, v75, vcc
	v_cndmask_b32_e64 v30, 0, v30, s[36:37]
	v_cndmask_b32_e64 v31, 0, v31, s[38:39]
	v_mul_f32_e32 v39, v39, v65
	v_mul_f32_e32 v65, v38, v77
	v_cmp_gt_f32_e32 vcc, s79, v65
	v_cndmask_b32_e64 v91, 1.0, v39, s[36:37]
	v_mul_f32_e32 v32, v32, v88
	v_cndmask_b32_e32 v65, 0, v74, vcc
	v_fmac_f32_e32 v65, v38, v77
	v_exp_f32_e32 v65, v65
	v_cndmask_b32_e32 v39, 1.0, v75, vcc
	v_cndmask_b32_e64 v32, 0, v32, s[40:41]
	v_mul_f32_e32 v33, v33, v87
	v_mul_f32_e32 v39, v65, v39
	;; [unrolled: 1-line block ×3, first 2 shown]
	v_cmp_gt_f32_e32 vcc, s79, v65
	v_cndmask_b32_e64 v92, 1.0, v39, s[38:39]
	v_cndmask_b32_e64 v33, 0, v33, s[42:43]
	v_cndmask_b32_e32 v65, 0, v74, vcc
	v_fmac_f32_e32 v65, v38, v78
	v_exp_f32_e32 v65, v65
	v_cndmask_b32_e32 v39, 1.0, v75, vcc
	s_waitcnt lgkmcnt(13)
	v_mul_f32_e32 v36, v36, v86
	v_cndmask_b32_e64 v36, 0, v36, s[44:45]
	v_mul_f32_e32 v39, v65, v39
	v_mul_f32_e32 v65, v38, v79
	v_cmp_gt_f32_e32 vcc, s79, v65
	v_cndmask_b32_e64 v93, 1.0, v39, s[40:41]
	v_mul_f32_e32 v37, v37, v85
	v_cndmask_b32_e32 v65, 0, v74, vcc
	v_fmac_f32_e32 v65, v38, v79
	v_exp_f32_e32 v65, v65
	v_cndmask_b32_e32 v39, 1.0, v75, vcc
	v_cndmask_b32_e64 v37, 0, v37, s[46:47]
	s_waitcnt lgkmcnt(12)
	v_mul_f32_e32 v34, v34, v84
	v_mul_f32_e32 v39, v65, v39
	;; [unrolled: 1-line block ×3, first 2 shown]
	v_cmp_gt_f32_e32 vcc, s79, v65
	v_cndmask_b32_e64 v94, 1.0, v39, s[42:43]
	v_cndmask_b32_e64 v34, 0, v34, s[48:49]
	v_cndmask_b32_e32 v65, 0, v74, vcc
	v_fmac_f32_e32 v65, v38, v80
	v_exp_f32_e32 v65, v65
	v_cndmask_b32_e32 v39, 1.0, v75, vcc
	v_mul_f32_e32 v35, v35, v83
	v_cndmask_b32_e64 v35, 0, v35, s[50:51]
	v_mul_f32_e32 v39, v65, v39
	v_mul_f32_e32 v65, v38, v81
	v_cmp_gt_f32_e32 vcc, s79, v65
	s_nop 1
	v_cndmask_b32_e32 v65, 0, v74, vcc
	v_fmac_f32_e32 v65, v38, v81
	v_exp_f32_e32 v66, v65
	v_cndmask_b32_e64 v65, 1.0, v39, s[44:45]
	v_cndmask_b32_e32 v39, 1.0, v75, vcc
	v_mul_f32_e32 v39, v66, v39
	v_mul_f32_e32 v66, v38, v82
	v_cmp_gt_f32_e32 vcc, s79, v66
	s_nop 1
	v_cndmask_b32_e32 v66, 0, v74, vcc
	v_fmac_f32_e32 v66, v38, v82
	v_exp_f32_e32 v67, v66
	v_cndmask_b32_e64 v66, 1.0, v39, s[46:47]
	v_cndmask_b32_e32 v39, 1.0, v75, vcc
	;; [unrolled: 9-line block ×3, first 2 shown]
	v_mul_f32_e32 v38, v38, v39
	v_cndmask_b32_e64 v68, 1.0, v38, s[50:51]
	v_mul_f32_e32 v38, v92, v91
	v_fma_f32 v39, v92, v30, v31
	v_mul_f32_e32 v38, v38, v93
	v_fma_f32 v39, v39, v93, v32
	;; [unrolled: 2-line block ×7, first 2 shown]
	s_nop 0
	v_mov_b32_dpp v70, v38 row_shr:1 row_mask:0xf bank_mask:0xf
	v_mov_b32_dpp v69, v71 row_shr:1 row_mask:0xf bank_mask:0xf
	s_and_saveexec_b64 s[66:67], s[0:1]
; %bb.100:                              ;   in Loop: Header=BB143_61 Depth=2
	v_mul_f32_e32 v70, v38, v70
	v_fmac_f32_e32 v71, v38, v69
	v_mov_b32_e32 v38, v70
; %bb.101:                              ;   in Loop: Header=BB143_61 Depth=2
	s_or_b64 exec, exec, s[66:67]
	s_nop 0
	v_mov_b32_dpp v69, v38 row_shr:2 row_mask:0xf bank_mask:0xf
	v_mov_b32_dpp v70, v71 row_shr:2 row_mask:0xf bank_mask:0xf
	s_and_saveexec_b64 s[66:67], s[54:55]
; %bb.102:                              ;   in Loop: Header=BB143_61 Depth=2
	v_fmac_f32_e32 v71, v38, v70
	v_mul_f32_e32 v38, v38, v69
; %bb.103:                              ;   in Loop: Header=BB143_61 Depth=2
	s_or_b64 exec, exec, s[66:67]
	s_nop 0
	v_mov_b32_dpp v69, v38 row_shr:4 row_mask:0xf bank_mask:0xf
	v_mov_b32_dpp v70, v71 row_shr:4 row_mask:0xf bank_mask:0xf
	s_and_saveexec_b64 s[66:67], s[4:5]
; %bb.104:                              ;   in Loop: Header=BB143_61 Depth=2
	v_fmac_f32_e32 v71, v38, v70
	v_mul_f32_e32 v38, v38, v69
	;; [unrolled: 9-line block ×3, first 2 shown]
; %bb.107:                              ;   in Loop: Header=BB143_61 Depth=2
	s_or_b64 exec, exec, s[66:67]
	s_nop 0
	v_mov_b32_dpp v69, v38 row_bcast:15 row_mask:0xf bank_mask:0xf
	v_mov_b32_dpp v70, v71 row_bcast:15 row_mask:0xf bank_mask:0xf
	s_and_saveexec_b64 s[66:67], s[8:9]
; %bb.108:                              ;   in Loop: Header=BB143_61 Depth=2
	v_fmac_f32_e32 v71, v38, v70
	v_mul_f32_e32 v38, v38, v69
; %bb.109:                              ;   in Loop: Header=BB143_61 Depth=2
	s_or_b64 exec, exec, s[66:67]
	s_nop 0
	v_mov_b32_dpp v69, v38 row_bcast:31 row_mask:0xf bank_mask:0xf
	v_mov_b32_dpp v70, v71 row_bcast:31 row_mask:0xf bank_mask:0xf
	v_mov_b32_e32 v39, v71
	v_mul_f32_e32 v69, v38, v69
	v_fmac_f32_e32 v39, v38, v70
	v_cndmask_b32_e64 v38, v38, v69, s[10:11]
	v_cndmask_b32_e64 v39, v71, v39, s[10:11]
	s_and_saveexec_b64 s[66:67], s[12:13]
	s_cbranch_execz .LBB143_111
; %bb.110:                              ;   in Loop: Header=BB143_61 Depth=2
	ds_write_b64 v1, v[38:39] offset:4224
.LBB143_111:                            ;   in Loop: Header=BB143_61 Depth=2
	s_or_b64 exec, exec, s[66:67]
	ds_bpermute_b32 v69, v64, v38
	ds_bpermute_b32 v70, v64, v39
	s_waitcnt vmcnt(0) lgkmcnt(2)
	v_mov_b32_e32 v39, v29
	s_waitcnt lgkmcnt(0)
	; wave barrier
	s_waitcnt lgkmcnt(0)
	s_and_saveexec_b64 s[66:67], s[14:15]
	s_cbranch_execz .LBB143_115
; %bb.112:                              ;   in Loop: Header=BB143_61 Depth=2
	ds_read_b64 v[38:39], v1 offset:4224
	s_and_saveexec_b64 s[68:69], s[16:17]
	s_cbranch_execz .LBB143_114
; %bb.113:                              ;   in Loop: Header=BB143_61 Depth=2
	ds_write_b64 v1, v[28:29] offset:4224
.LBB143_114:                            ;   in Loop: Header=BB143_61 Depth=2
	s_or_b64 exec, exec, s[68:69]
	s_waitcnt lgkmcnt(0)
	v_fmac_f32_e32 v39, v29, v38
	v_mul_f32_e32 v28, v28, v38
	v_mov_b32_e32 v29, v39
.LBB143_115:                            ;   in Loop: Header=BB143_61 Depth=2
	s_or_b64 exec, exec, s[66:67]
	s_waitcnt lgkmcnt(0)
	; wave barrier
	ds_read_b32 v38, v1 offset:4228
	s_and_saveexec_b64 s[66:67], s[16:17]
	s_cbranch_execz .LBB143_60
; %bb.116:                              ;   in Loop: Header=BB143_61 Depth=2
	v_mov_b32_e32 v71, s86
	s_andn2_b64 vcc, exec, s[92:93]
	ds_write_b64 v71, v[28:29]
	s_cbranch_vccnz .LBB143_60
; %bb.117:                              ;   in Loop: Header=BB143_61 Depth=2
	s_mov_b32 s99, s81
	s_lshl_b64 s[68:69], s[98:99], 2
	s_add_u32 s68, s57, s68
	s_addc_u32 s69, s90, s69
	global_store_dword v1, v39, s[68:69]
	s_branch .LBB143_60
.LBB143_118:                            ;   in Loop: Header=BB143_12 Depth=1
	v_readlane_b32 s38, v95, 6
	v_readlane_b32 s40, v95, 8
	;; [unrolled: 1-line block ×4, first 2 shown]
.LBB143_119:                            ;   in Loop: Header=BB143_12 Depth=1
	s_waitcnt lgkmcnt(0)
	; wave barrier
	ds_write2_b32 v55, v22, v23 offset1:1
	ds_write2_b32 v55, v20, v21 offset0:2 offset1:3
	ds_write2_b32 v55, v18, v19 offset0:4 offset1:5
	;; [unrolled: 1-line block ×3, first 2 shown]
	; wave barrier
	ds_read_b32 v15, v48 offset:256
	ds_read_b32 v9, v49 offset:512
	;; [unrolled: 1-line block ×7, first 2 shown]
	v_readlane_b32 s2, v95, 10
	v_readlane_b32 s3, v95, 11
	s_mov_b32 s3, s81
	s_nop 0
	v_lshl_add_u64 v[2:3], s[2:3], 2, v[12:13]
	s_and_saveexec_b64 s[2:3], s[18:19]
	s_cbranch_execnz .LBB143_129
; %bb.120:                              ;   in Loop: Header=BB143_12 Depth=1
	s_or_b64 exec, exec, s[2:3]
	s_and_saveexec_b64 s[2:3], s[20:21]
	s_cbranch_execnz .LBB143_130
.LBB143_121:                            ;   in Loop: Header=BB143_12 Depth=1
	s_or_b64 exec, exec, s[2:3]
	s_and_saveexec_b64 s[2:3], s[22:23]
	s_cbranch_execnz .LBB143_131
.LBB143_122:                            ;   in Loop: Header=BB143_12 Depth=1
	s_or_b64 exec, exec, s[2:3]
	s_and_saveexec_b64 s[2:3], s[24:25]
	s_cbranch_execnz .LBB143_132
.LBB143_123:                            ;   in Loop: Header=BB143_12 Depth=1
	s_or_b64 exec, exec, s[2:3]
	s_and_saveexec_b64 s[2:3], s[26:27]
	s_cbranch_execnz .LBB143_133
.LBB143_124:                            ;   in Loop: Header=BB143_12 Depth=1
	s_or_b64 exec, exec, s[2:3]
	s_and_saveexec_b64 s[2:3], s[28:29]
	s_cbranch_execnz .LBB143_134
.LBB143_125:                            ;   in Loop: Header=BB143_12 Depth=1
	s_or_b64 exec, exec, s[2:3]
	s_and_saveexec_b64 s[2:3], s[30:31]
	s_cbranch_execnz .LBB143_135
.LBB143_126:                            ;   in Loop: Header=BB143_12 Depth=1
	s_or_b64 exec, exec, s[2:3]
	s_and_saveexec_b64 s[2:3], s[34:35]
	s_cbranch_execz .LBB143_11
	s_branch .LBB143_136
.LBB143_127:                            ;   in Loop: Header=BB143_12 Depth=1
	global_load_dword v23, v[16:17], off offset:1280
	s_or_b64 exec, exec, s[2:3]
	s_and_saveexec_b64 s[2:3], s[30:31]
	s_cbranch_execz .LBB143_40
.LBB143_128:                            ;   in Loop: Header=BB143_12 Depth=1
	global_load_dword v22, v[16:17], off offset:1536
	s_or_b64 exec, exec, s[2:3]
	v_mov_b32_e32 v24, 0
	s_and_saveexec_b64 s[2:3], s[34:35]
	s_cbranch_execnz .LBB143_41
	s_branch .LBB143_42
.LBB143_129:                            ;   in Loop: Header=BB143_12 Depth=1
	ds_read_b32 v16, v47
	s_waitcnt lgkmcnt(0)
	global_store_dword v[2:3], v16, off
	s_or_b64 exec, exec, s[2:3]
	s_and_saveexec_b64 s[2:3], s[20:21]
	s_cbranch_execz .LBB143_121
.LBB143_130:                            ;   in Loop: Header=BB143_12 Depth=1
	s_waitcnt lgkmcnt(6)
	global_store_dword v[2:3], v15, off offset:256
	s_or_b64 exec, exec, s[2:3]
	s_and_saveexec_b64 s[2:3], s[22:23]
	s_cbranch_execz .LBB143_122
.LBB143_131:                            ;   in Loop: Header=BB143_12 Depth=1
	s_waitcnt lgkmcnt(5)
	global_store_dword v[2:3], v9, off offset:512
	s_or_b64 exec, exec, s[2:3]
	s_and_saveexec_b64 s[2:3], s[24:25]
	s_cbranch_execz .LBB143_123
.LBB143_132:                            ;   in Loop: Header=BB143_12 Depth=1
	s_waitcnt lgkmcnt(4)
	global_store_dword v[2:3], v8, off offset:768
	s_or_b64 exec, exec, s[2:3]
	s_and_saveexec_b64 s[2:3], s[26:27]
	s_cbranch_execz .LBB143_124
.LBB143_133:                            ;   in Loop: Header=BB143_12 Depth=1
	s_waitcnt lgkmcnt(3)
	global_store_dword v[2:3], v7, off offset:1024
	s_or_b64 exec, exec, s[2:3]
	s_and_saveexec_b64 s[2:3], s[28:29]
	s_cbranch_execz .LBB143_125
.LBB143_134:                            ;   in Loop: Header=BB143_12 Depth=1
	s_waitcnt lgkmcnt(2)
	global_store_dword v[2:3], v6, off offset:1280
	s_or_b64 exec, exec, s[2:3]
	s_and_saveexec_b64 s[2:3], s[30:31]
	s_cbranch_execz .LBB143_126
.LBB143_135:                            ;   in Loop: Header=BB143_12 Depth=1
	s_waitcnt lgkmcnt(1)
	global_store_dword v[2:3], v5, off offset:1536
	s_or_b64 exec, exec, s[2:3]
	s_and_saveexec_b64 s[2:3], s[34:35]
	s_cbranch_execz .LBB143_11
.LBB143_136:                            ;   in Loop: Header=BB143_12 Depth=1
	s_waitcnt lgkmcnt(0)
	global_store_dword v[2:3], v4, off offset:1792
	s_branch .LBB143_11
.LBB143_137:
	s_endpgm
	.section	.rodata,"a",@progbits
	.p2align	6, 0x0
	.amdhsa_kernel _Z25selective_scan_fwd_kernelI32Selective_Scan_fwd_kernel_traitsILi64ELi8ELi1ELb0ELb1ELb1ELb0ELb0EfffEEv13SSMParamsBase
		.amdhsa_group_segment_fixed_size 0
		.amdhsa_private_segment_fixed_size 0
		.amdhsa_kernarg_size 248
		.amdhsa_user_sgpr_count 2
		.amdhsa_user_sgpr_dispatch_ptr 0
		.amdhsa_user_sgpr_queue_ptr 0
		.amdhsa_user_sgpr_kernarg_segment_ptr 1
		.amdhsa_user_sgpr_dispatch_id 0
		.amdhsa_user_sgpr_kernarg_preload_length 0
		.amdhsa_user_sgpr_kernarg_preload_offset 0
		.amdhsa_user_sgpr_private_segment_size 0
		.amdhsa_uses_dynamic_stack 0
		.amdhsa_enable_private_segment 0
		.amdhsa_system_sgpr_workgroup_id_x 1
		.amdhsa_system_sgpr_workgroup_id_y 1
		.amdhsa_system_sgpr_workgroup_id_z 0
		.amdhsa_system_sgpr_workgroup_info 0
		.amdhsa_system_vgpr_workitem_id 0
		.amdhsa_next_free_vgpr 96
		.amdhsa_next_free_sgpr 100
		.amdhsa_accum_offset 96
		.amdhsa_reserve_vcc 1
		.amdhsa_float_round_mode_32 0
		.amdhsa_float_round_mode_16_64 0
		.amdhsa_float_denorm_mode_32 3
		.amdhsa_float_denorm_mode_16_64 3
		.amdhsa_dx10_clamp 1
		.amdhsa_ieee_mode 1
		.amdhsa_fp16_overflow 0
		.amdhsa_tg_split 0
		.amdhsa_exception_fp_ieee_invalid_op 0
		.amdhsa_exception_fp_denorm_src 0
		.amdhsa_exception_fp_ieee_div_zero 0
		.amdhsa_exception_fp_ieee_overflow 0
		.amdhsa_exception_fp_ieee_underflow 0
		.amdhsa_exception_fp_ieee_inexact 0
		.amdhsa_exception_int_div_zero 0
	.end_amdhsa_kernel
	.section	.text._Z25selective_scan_fwd_kernelI32Selective_Scan_fwd_kernel_traitsILi64ELi8ELi1ELb0ELb1ELb1ELb0ELb0EfffEEv13SSMParamsBase,"axG",@progbits,_Z25selective_scan_fwd_kernelI32Selective_Scan_fwd_kernel_traitsILi64ELi8ELi1ELb0ELb1ELb1ELb0ELb0EfffEEv13SSMParamsBase,comdat
.Lfunc_end143:
	.size	_Z25selective_scan_fwd_kernelI32Selective_Scan_fwd_kernel_traitsILi64ELi8ELi1ELb0ELb1ELb1ELb0ELb0EfffEEv13SSMParamsBase, .Lfunc_end143-_Z25selective_scan_fwd_kernelI32Selective_Scan_fwd_kernel_traitsILi64ELi8ELi1ELb0ELb1ELb1ELb0ELb0EfffEEv13SSMParamsBase
                                        ; -- End function
	.section	.AMDGPU.csdata,"",@progbits
; Kernel info:
; codeLenInByte = 10828
; NumSgprs: 106
; NumVgprs: 96
; NumAgprs: 0
; TotalNumVgprs: 96
; ScratchSize: 0
; MemoryBound: 0
; FloatMode: 240
; IeeeMode: 1
; LDSByteSize: 0 bytes/workgroup (compile time only)
; SGPRBlocks: 13
; VGPRBlocks: 11
; NumSGPRsForWavesPerEU: 106
; NumVGPRsForWavesPerEU: 96
; AccumOffset: 96
; Occupancy: 5
; WaveLimiterHint : 0
; COMPUTE_PGM_RSRC2:SCRATCH_EN: 0
; COMPUTE_PGM_RSRC2:USER_SGPR: 2
; COMPUTE_PGM_RSRC2:TRAP_HANDLER: 0
; COMPUTE_PGM_RSRC2:TGID_X_EN: 1
; COMPUTE_PGM_RSRC2:TGID_Y_EN: 1
; COMPUTE_PGM_RSRC2:TGID_Z_EN: 0
; COMPUTE_PGM_RSRC2:TIDIG_COMP_CNT: 0
; COMPUTE_PGM_RSRC3_GFX90A:ACCUM_OFFSET: 23
; COMPUTE_PGM_RSRC3_GFX90A:TG_SPLIT: 0
	.section	.text._Z25selective_scan_fwd_kernelI32Selective_Scan_fwd_kernel_traitsILi64ELi16ELi1ELb1ELb1ELb1ELb1ELb1EfffEEv13SSMParamsBase,"axG",@progbits,_Z25selective_scan_fwd_kernelI32Selective_Scan_fwd_kernel_traitsILi64ELi16ELi1ELb1ELb1ELb1ELb1ELb1EfffEEv13SSMParamsBase,comdat
	.protected	_Z25selective_scan_fwd_kernelI32Selective_Scan_fwd_kernel_traitsILi64ELi16ELi1ELb1ELb1ELb1ELb1ELb1EfffEEv13SSMParamsBase ; -- Begin function _Z25selective_scan_fwd_kernelI32Selective_Scan_fwd_kernel_traitsILi64ELi16ELi1ELb1ELb1ELb1ELb1ELb1EfffEEv13SSMParamsBase
	.globl	_Z25selective_scan_fwd_kernelI32Selective_Scan_fwd_kernel_traitsILi64ELi16ELi1ELb1ELb1ELb1ELb1ELb1EfffEEv13SSMParamsBase
	.p2align	8
	.type	_Z25selective_scan_fwd_kernelI32Selective_Scan_fwd_kernel_traitsILi64ELi16ELi1ELb1ELb1ELb1ELb1ELb1EfffEEv13SSMParamsBase,@function
_Z25selective_scan_fwd_kernelI32Selective_Scan_fwd_kernel_traitsILi64ELi16ELi1ELb1ELb1ELb1ELb1ELb1EfffEEv13SSMParamsBase: ; @_Z25selective_scan_fwd_kernelI32Selective_Scan_fwd_kernel_traitsILi64ELi16ELi1ELb1ELb1ELb1ELb1ELb1EfffEEv13SSMParamsBase
; %bb.0:
	s_load_dword s34, s[0:1], 0x18
	s_load_dwordx4 s[4:7], s[0:1], 0xe8
	s_load_dwordx8 s[20:27], s[0:1], 0xc8
	s_mov_b32 s28, s3
	s_ashr_i32 s3, s2, 31
	s_lshl_b64 s[8:9], s[2:3], 2
	s_waitcnt lgkmcnt(0)
	s_abs_i32 s33, s34
	v_cvt_f32_u32_e32 v1, s33
	s_add_u32 s30, s26, s8
	s_addc_u32 s31, s27, s9
	s_cmp_eq_u64 s[6:7], 0
	v_rcp_iflag_f32_e32 v1, v1
                                        ; implicit-def: $vgpr95 : SGPR spill to VGPR lane
	s_nop 0
	v_mul_f32_e32 v1, 0x4f7ffffe, v1
	v_cvt_u32_f32_e32 v1, v1
	s_nop 0
	v_readfirstlane_b32 s35, v1
	s_cbranch_scc1 .LBB144_2
; %bb.1:
	s_add_u32 s6, s6, s2
	s_addc_u32 s7, s7, s3
	v_mov_b32_e32 v1, 0
	global_load_ubyte v1, v1, s[6:7]
	s_waitcnt vmcnt(0)
	v_and_b32_e32 v1, 1, v1
	v_cmp_eq_u32_e64 s[6:7], 1, v1
	s_branch .LBB144_3
.LBB144_2:
	s_mov_b64 s[6:7], 0
.LBB144_3:
	s_nop 0
	v_writelane_b32 v95, s6, 0
	s_cmp_eq_u64 s[4:5], 0
	s_nop 0
	v_writelane_b32 v95, s7, 1
	s_load_dwordx2 s[6:7], s[0:1], 0x20
	s_cbranch_scc1 .LBB144_5
; %bb.4:
	s_add_u32 s2, s4, s8
	s_addc_u32 s3, s5, s9
	s_load_dword s2, s[2:3], 0x0
	s_waitcnt lgkmcnt(0)
	s_ashr_i32 s3, s2, 31
.LBB144_5:
	s_waitcnt lgkmcnt(0)
	s_cmp_eq_u64 s[6:7], s[2:3]
	s_cbranch_scc1 .LBB144_298
; %bb.6:
	s_load_dwordx16 s[36:51], s[0:1], 0x88
	s_load_dwordx2 s[26:27], s[30:31], 0x0
	s_mov_b32 s3, 0
	s_mov_b32 s56, 0
	v_writelane_b32 v95, s3, 2
	s_waitcnt lgkmcnt(0)
	s_cmp_eq_u64 s[42:43], 0
	s_cbranch_scc1 .LBB144_8
; %bb.7:
	s_ashr_i32 s29, s28, 31
	s_lshl_b64 s[30:31], s[28:29], 2
	s_add_u32 s10, s42, s30
	s_addc_u32 s11, s43, s31
	s_load_dword s3, s[10:11], 0x0
	s_waitcnt lgkmcnt(0)
	v_writelane_b32 v95, s3, 2
.LBB144_8:
	s_cmp_eq_u64 s[48:49], 0
	s_cbranch_scc1 .LBB144_10
; %bb.9:
	s_ashr_i32 s29, s28, 31
	s_lshl_b64 s[10:11], s[28:29], 2
	s_add_u32 s10, s48, s10
	s_addc_u32 s11, s49, s11
	s_load_dword s56, s[10:11], 0x0
.LBB144_10:
	s_sub_i32 s27, s27, s26
	s_cmp_lt_i32 s27, 1
	s_cbranch_scc1 .LBB144_298
; %bb.11:
	s_sub_i32 s3, 0, s33
	s_mul_i32 s3, s3, s35
	s_mul_hi_u32 s3, s35, s3
	s_abs_i32 s10, s28
	s_add_i32 s35, s35, s3
	s_mul_hi_u32 s3, s10, s35
	s_ashr_i32 s11, s28, 31
	s_ashr_i32 s16, s34, 31
	s_xor_b32 s11, s11, s16
	s_mul_i32 s16, s3, s33
	s_sub_i32 s10, s10, s16
	s_add_i32 s16, s3, 1
	s_sub_i32 s17, s10, s33
	s_load_dwordx8 s[60:67], s[0:1], 0x2c
	s_load_dwordx8 s[68:75], s[0:1], 0x4c
	s_cmp_ge_u32 s10, s33
	s_cselect_b32 s3, s16, s3
	s_cselect_b32 s10, s17, s10
	s_add_i32 s16, s3, 1
	s_cmp_ge_u32 s10, s33
	s_cselect_b32 s3, s16, s3
	s_xor_b32 s3, s3, s11
	s_waitcnt lgkmcnt(0)
	s_mul_i32 s84, s26, s70
	s_mov_b32 s85, 0
	s_sub_i32 s3, s3, s11
	s_lshl_b64 s[10:11], s[84:85], 2
	s_add_u32 s12, s44, s10
	s_mul_i32 s84, s71, s28
	s_addc_u32 s13, s45, s11
	s_lshl_b64 s[10:11], s[84:85], 2
	s_add_u32 s30, s12, s10
	s_mul_i32 s84, s26, s72
	s_addc_u32 s31, s13, s11
	;; [unrolled: 4-line block ×3, first 2 shown]
	s_lshl_b64 s[10:11], s[84:85], 2
	s_add_u32 s4, s12, s10
	s_addc_u32 s5, s13, s11
	s_mul_i32 s84, s60, s28
	v_writelane_b32 v95, s4, 3
	s_lshl_b64 s[10:11], s[84:85], 2
	s_mul_i32 s84, s26, s62
	v_writelane_b32 v95, s5, 4
	s_add_u32 s4, s36, s10
	v_writelane_b32 v95, s4, 5
	s_addc_u32 s4, s37, s11
	v_writelane_b32 v95, s4, 6
	s_lshl_b64 s[4:5], s[84:85], 2
	s_add_u32 s6, s38, s4
	s_mul_i32 s84, s3, s65
	v_mbcnt_lo_u32_b32 v1, -1, 0
	s_addc_u32 s7, s39, s5
	s_lshl_b64 s[4:5], s[84:85], 2
	v_mbcnt_hi_u32_b32 v22, -1, v1
	s_add_u32 s58, s6, s4
	v_writelane_b32 v95, s60, 7
	s_mul_i32 s84, s26, s66
	v_add_u32_e32 v1, 64, v22
	s_addc_u32 s59, s7, s5
	s_lshl_b64 s[6:7], s[84:85], 2
	scratch_store_dword off, v1, off offset:212 ; 4-byte Folded Spill
	v_lshrrev_b32_e32 v1, 5, v1
	s_add_u32 s4, s40, s6
	v_add_lshl_u32 v3, v1, v22, 2
	s_addc_u32 s9, s41, s7
	s_load_dwordx2 s[6:7], s[0:1], 0x7c
	s_load_dwordx4 s[12:15], s[0:1], 0x6c
	v_or_b32_e32 v4, 0x80, v22
	v_add_u32_e32 v1, 0, v3
	scratch_store_dword off, v1, off offset:4 ; 4-byte Folded Spill
	scratch_store_dword off, v4, off offset:216 ; 4-byte Folded Spill
	v_lshrrev_b32_e32 v1, 5, v4
	v_add_lshl_u32 v4, v1, v22, 2
	v_writelane_b32 v95, s61, 8
	s_mul_i32 s84, s3, s69
	v_add_u32_e32 v5, 0xc0, v22
	v_add_u32_e32 v1, 0, v4
	v_writelane_b32 v95, s62, 9
	s_lshl_b64 s[10:11], s[84:85], 2
	scratch_store_dword off, v1, off offset:8 ; 4-byte Folded Spill
	scratch_store_dword off, v5, off offset:220 ; 4-byte Folded Spill
	v_lshrrev_b32_e32 v1, 5, v5
	v_writelane_b32 v95, s63, 10
	s_add_u32 s8, s4, s10
	s_waitcnt lgkmcnt(0)
	s_mul_i32 s84, s2, s6
	v_add_lshl_u32 v5, v1, v22, 2
	v_writelane_b32 v95, s64, 11
	s_addc_u32 s9, s9, s11
	s_lshl_b64 s[2:3], s[84:85], 2
	v_or_b32_e32 v6, 0x100, v22
	v_add_u32_e32 v1, 0, v5
	v_writelane_b32 v95, s65, 12
	s_mul_i32 s84, s7, s28
	s_add_u32 s4, s20, s2
	scratch_store_dword off, v1, off offset:12 ; 4-byte Folded Spill
	scratch_store_dword off, v6, off offset:224 ; 4-byte Folded Spill
	v_lshrrev_b32_e32 v1, 5, v6
	v_writelane_b32 v95, s66, 13
	s_addc_u32 s6, s21, s3
	s_lshl_b64 s[2:3], s[84:85], 2
	v_add_lshl_u32 v6, v1, v22, 2
	v_writelane_b32 v95, s67, 14
	s_add_u32 s2, s4, s2
	v_add_u32_e32 v7, 0x140, v22
	v_add_u32_e32 v1, 0, v6
	v_writelane_b32 v95, s2, 15
	s_load_dword s2, s[0:1], 0x28
	s_load_dword s4, s[0:1], 0xc
	scratch_store_dword off, v1, off offset:16 ; 4-byte Folded Spill
	scratch_store_dword off, v7, off offset:228 ; 4-byte Folded Spill
	v_lshrrev_b32_e32 v1, 5, v7
	v_add_lshl_u32 v7, v1, v22, 2
	s_addc_u32 s3, s6, s3
	v_or_b32_e32 v8, 0x180, v22
	v_add_u32_e32 v1, 0, v7
	v_writelane_b32 v95, s3, 16
	s_add_i32 s3, s27, 0x7ff
	scratch_store_dword off, v1, off offset:20 ; 4-byte Folded Spill
	scratch_store_dword off, v8, off offset:232 ; 4-byte Folded Spill
	v_lshrrev_b32_e32 v1, 5, v8
	s_lshr_b32 s3, s3, 11
	v_add_lshl_u32 v8, v1, v22, 2
	s_waitcnt lgkmcnt(0)
	s_bitcmp1_b32 s2, 0
	v_add_u32_e32 v9, 0x1c0, v22
	v_add_u32_e32 v1, 0, v8
	s_cselect_b64 s[6:7], -1, 0
	scratch_store_dword off, v1, off offset:24 ; 4-byte Folded Spill
	scratch_store_dword off, v9, off offset:236 ; 4-byte Folded Spill
	v_lshrrev_b32_e32 v1, 5, v9
	v_writelane_b32 v95, s6, 17
	v_add_lshl_u32 v9, v1, v22, 2
	s_cmp_gt_i32 s4, 0
	v_writelane_b32 v95, s7, 18
	v_or_b32_e32 v10, 0x200, v22
	v_add_u32_e32 v1, 0, v9
	v_writelane_b32 v95, s4, 19
	s_cselect_b64 s[4:5], -1, 0
	scratch_store_dword off, v1, off offset:28 ; 4-byte Folded Spill
	scratch_store_dword off, v10, off offset:240 ; 4-byte Folded Spill
	v_lshrrev_b32_e32 v1, 5, v10
	v_writelane_b32 v95, s4, 20
	s_add_i32 s16, 0, 0x1080
	s_and_b32 s2, s27, 0x3ff
	v_add_lshl_u32 v10, v1, v22, 2
	v_writelane_b32 v95, s5, 21
	s_cmp_eq_u32 s2, 0
	v_add_u32_e32 v11, 0x240, v22
	v_add_u32_e32 v1, 0, v10
	v_writelane_b32 v95, s27, 22
	s_cselect_b64 s[4:5], -1, 0
	scratch_store_dword off, v1, off offset:32 ; 4-byte Folded Spill
	scratch_store_dword off, v11, off offset:244 ; 4-byte Folded Spill
	v_lshrrev_b32_e32 v1, 5, v11
	v_writelane_b32 v95, s4, 23
	v_add_lshl_u32 v11, v1, v22, 2
	v_or_b32_e32 v12, 0x280, v22
	v_writelane_b32 v95, s5, 24
	v_add_u32_e32 v1, 0, v11
	s_mul_i32 s84, s26, s12
	v_writelane_b32 v95, s3, 25
	s_add_i32 s2, s3, -1
	scratch_store_dword off, v1, off offset:36 ; 4-byte Folded Spill
	scratch_store_dword off, v12, off offset:248 ; 4-byte Folded Spill
	v_lshrrev_b32_e32 v1, 5, v12
	v_writelane_b32 v95, s2, 26
	s_lshl_b64 s[2:3], s[84:85], 2
	v_add_lshl_u32 v12, v1, v22, 2
	s_add_u32 s4, s50, s2
	s_mul_i32 s84, s13, s28
	v_add_u32_e32 v13, 0x2c0, v22
	v_add_u32_e32 v1, 0, v12
	s_addc_u32 s6, s51, s3
	s_lshl_b64 s[2:3], s[84:85], 2
	s_mul_i32 s84, s26, s74
	v_writelane_b32 v95, s68, 27
	scratch_store_dword off, v1, off offset:40 ; 4-byte Folded Spill
	scratch_store_dword off, v13, off offset:252 ; 4-byte Folded Spill
	v_lshrrev_b32_e32 v1, 5, v13
	v_writelane_b32 v95, s69, 28
	v_add_lshl_u32 v13, v1, v22, 2
	v_writelane_b32 v95, s70, 29
	v_or_b32_e32 v14, 0x300, v22
	v_add_u32_e32 v1, 0, v13
	v_writelane_b32 v95, s71, 30
	s_load_dword s0, s[0:1], 0x84
	scratch_store_dword off, v1, off offset:44 ; 4-byte Folded Spill
	scratch_store_dword off, v14, off offset:256 ; 4-byte Folded Spill
	v_lshrrev_b32_e32 v1, 5, v14
	v_writelane_b32 v95, s72, 31
	v_add_lshl_u32 v14, v1, v22, 2
	v_writelane_b32 v95, s73, 32
	v_add_u32_e32 v1, 0, v14
	v_writelane_b32 v95, s74, 33
	v_add_u32_e32 v15, 0x340, v22
	scratch_store_dword off, v1, off offset:48 ; 4-byte Folded Spill
	scratch_store_dword off, v15, off offset:260 ; 4-byte Folded Spill
	v_lshlrev_b32_e32 v1, 4, v22
	v_bfe_u32 v16, v22, 1, 27
	v_writelane_b32 v95, s75, 34
	v_add_lshl_u32 v16, v16, v1, 2
	v_and_b32_e32 v1, 15, v22
	v_add_u32_e32 v3, s16, v3
	s_waitcnt lgkmcnt(0)
	v_writelane_b32 v95, s0, 35
	v_cmp_ne_u32_e64 s[0:1], 0, v1
	scratch_store_dword off, v3, off offset:128 ; 4-byte Folded Spill
	v_add_u32_e32 v3, s16, v4
	v_writelane_b32 v95, s0, 36
	scratch_store_dword off, v3, off offset:132 ; 4-byte Folded Spill
	v_add_u32_e32 v3, s16, v5
	v_writelane_b32 v95, s1, 37
	v_cmp_lt_u32_e64 s[0:1], 1, v1
	scratch_store_dword off, v3, off offset:136 ; 4-byte Folded Spill
	v_add_u32_e32 v3, s16, v6
	s_add_u32 s18, s4, s2
	v_writelane_b32 v95, s0, 38
	scratch_store_dword off, v3, off offset:140 ; 4-byte Folded Spill
	v_add_u32_e32 v3, s16, v7
	s_addc_u32 s19, s6, s3
	s_lshl_b64 s[2:3], s[84:85], 2
	v_writelane_b32 v95, s1, 39
	v_cmp_lt_u32_e64 s[0:1], 3, v1
	scratch_store_dword off, v3, off offset:144 ; 4-byte Folded Spill
	v_add_u32_e32 v3, s16, v8
	s_add_u32 s4, s22, s2
	s_mul_i32 s84, s75, s28
	v_writelane_b32 v95, s0, 40
	scratch_store_dword off, v3, off offset:148 ; 4-byte Folded Spill
	v_add_u32_e32 v3, s16, v9
	s_addc_u32 s6, s23, s3
	s_lshl_b64 s[2:3], s[84:85], 2
	v_writelane_b32 v95, s1, 41
	v_cmp_lt_u32_e64 s[0:1], 7, v1
	scratch_store_dword off, v3, off offset:152 ; 4-byte Folded Spill
	v_add_u32_e32 v3, s16, v10
	s_add_u32 s20, s4, s2
	s_mul_i32 s84, s26, s14
	v_lshrrev_b32_e32 v2, 5, v22
	v_writelane_b32 v95, s0, 42
	scratch_store_dword off, v3, off offset:156 ; 4-byte Folded Spill
	v_add_u32_e32 v3, s16, v11
	s_addc_u32 s21, s6, s3
	s_lshl_b64 s[2:3], s[84:85], 2
	v_writelane_b32 v95, s1, 43
	s_mul_i32 s84, s15, s28
	v_cmp_eq_u32_e64 s[0:1], 63, v0
	v_cmp_gt_u32_e64 s[12:13], 64, v0
	v_cmp_eq_u32_e64 s[14:15], 0, v0
	v_lshlrev_b32_e32 v21, 4, v0
	v_add_u32_e32 v0, v2, v22
	scratch_store_dword off, v3, off offset:160 ; 4-byte Folded Spill
	v_add_u32_e32 v3, s16, v12
	v_or_b32_e32 v19, 0x380, v22
	v_lshrrev_b32_e32 v15, 5, v15
	v_lshl_add_u32 v0, v0, 2, 0
	scratch_store_dword off, v3, off offset:164 ; 4-byte Folded Spill
	v_add_u32_e32 v3, s16, v13
	scratch_store_dword off, v19, off offset:264 ; 4-byte Folded Spill
	v_lshrrev_b32_e32 v19, 5, v19
	scratch_store_dword off, v0, off        ; 4-byte Folded Spill
	v_add_lshl_u32 v0, v15, v22, 2
	scratch_store_dword off, v3, off offset:168 ; 4-byte Folded Spill
	v_add_u32_e32 v3, s16, v14
	v_add_lshl_u32 v2, v19, v22, 2
	scratch_store_dword off, v3, off offset:172 ; 4-byte Folded Spill
	v_add_u32_e32 v3, 0, v0
	v_add_u32_e32 v0, s16, v0
	scratch_store_dword off, v0, off offset:176 ; 4-byte Folded Spill
	v_add_u32_e32 v0, 0, v2
	scratch_store_dword off, v0, off offset:56 ; 4-byte Folded Spill
	v_add_u32_e32 v0, s16, v2
	v_or_b32_e32 v2, 1, v21
	scratch_store_dword off, v2, off offset:300 ; 4-byte Folded Spill
                                        ; implicit-def: $vgpr2
	v_add_u32_e32 v20, 0x3c0, v22
	v_or_b32_e32 v2, 2, v21
	scratch_store_dword off, v2, off offset:304 ; 4-byte Folded Spill
	v_or_b32_e32 v2, 3, v21
	scratch_store_dword off, v2, off offset:308 ; 4-byte Folded Spill
	;; [unrolled: 2-line block ×5, first 2 shown]
	v_lshrrev_b32_e32 v20, 5, v20
	scratch_store_dword off, v2, off offset:320 ; 4-byte Folded Spill
	v_or_b32_e32 v2, 7, v21
	v_add_lshl_u32 v15, v20, v22, 2
	scratch_store_dword off, v2, off offset:324 ; 4-byte Folded Spill
	v_or_b32_e32 v2, 8, v21
	scratch_store_dword off, v0, off offset:180 ; 4-byte Folded Spill
	v_add_u32_e32 v0, 0, v15
	scratch_store_dword off, v2, off offset:328 ; 4-byte Folded Spill
	v_or_b32_e32 v2, 9, v21
	v_add_u32_e32 v17, -1, v22
	v_and_b32_e32 v18, 64, v22
	scratch_store_dword off, v0, off offset:60 ; 4-byte Folded Spill
	v_add_u32_e32 v0, s16, v15
	scratch_store_dword off, v2, off offset:332 ; 4-byte Folded Spill
	v_or_b32_e32 v2, 10, v21
	scratch_store_dword off, v0, off offset:184 ; 4-byte Folded Spill
	v_add_u32_e32 v0, s16, v16
	v_cmp_lt_i32_e32 vcc, v17, v18
	scratch_store_dword off, v2, off offset:336 ; 4-byte Folded Spill
	v_or_b32_e32 v2, 11, v21
	scratch_store_dword off, v0, off offset:188 ; 4-byte Folded Spill
	v_cndmask_b32_e32 v0, v17, v22, vcc
	scratch_store_dword off, v2, off offset:340 ; 4-byte Folded Spill
	v_or_b32_e32 v2, 12, v21
	s_add_u32 s22, s24, s2
	v_and_b32_e32 v1, 16, v22
	v_writelane_b32 v95, s0, 44
	v_lshlrev_b32_e32 v0, 2, v0
	scratch_store_dword off, v2, off offset:344 ; 4-byte Folded Spill
	v_or_b32_e32 v2, 13, v21
	s_addc_u32 s23, s25, s3
	v_cmp_ne_u32_e64 s[2:3], 0, v1
	v_writelane_b32 v95, s1, 45
	v_mov_b32_e32 v1, 0
	scratch_store_dword off, v0, off offset:192 ; 4-byte Folded Spill
	v_mov_b32_e32 v0, v22
	s_lshl_b64 s[0:1], s[84:85], 2
	scratch_store_dword off, v2, off offset:348 ; 4-byte Folded Spill
	v_or_b32_e32 v2, 14, v21
	scratch_store_dword off, v3, off offset:52 ; 4-byte Folded Spill
	scratch_store_dwordx2 off, v[0:1], off offset:204 ; 8-byte Folded Spill
	v_lshlrev_b32_e32 v0, 2, v22
	s_add_u32 s0, s22, s0
	scratch_store_dword off, v2, off offset:352 ; 4-byte Folded Spill
	scratch_store_dword off, v21, off offset:296 ; 4-byte Folded Spill
	v_or_b32_e32 v2, 15, v21
	s_addc_u32 s1, s23, s1
	s_add_i32 s4, 0, 0x2108
	scratch_store_dword off, v2, off offset:356 ; 4-byte Folded Spill
	v_lshl_add_u64 v[2:3], s[18:19], 0, v[0:1]
	v_writelane_b32 v95, s4, 46
	scratch_store_dwordx2 off, v[2:3], off offset:272 ; 8-byte Folded Spill
	v_lshl_add_u64 v[2:3], s[20:21], 0, v[0:1]
	v_add_u32_e32 v23, 0, v16
	v_cmp_lt_u32_e64 s[16:17], 31, v22
	s_mov_b32 s33, 0xc2fc0000
	s_mov_b32 s7, 0
	v_mov_b32_e32 v56, 0x7f800000
	v_mov_b32_e32 v68, 0x42800000
	;; [unrolled: 1-line block ×3, first 2 shown]
	scratch_store_dwordx2 off, v[2:3], off offset:280 ; 8-byte Folded Spill
	v_lshl_add_u64 v[2:3], s[0:1], 0, v[0:1]
	v_mov_b32_e32 v0, 0x3f317218
	v_writelane_b32 v95, s56, 47
	scratch_store_dwordx2 off, v[2:3], off offset:288 ; 8-byte Folded Spill
	scratch_store_dwordx2 off, v[0:1], off offset:196 ; 8-byte Folded Spill
	s_branch .LBB144_13
.LBB144_12:                             ;   in Loop: Header=BB144_13 Depth=1
	s_or_b64 exec, exec, s[18:19]
	v_readlane_b32 s0, v95, 3
	v_readlane_b32 s1, v95, 4
	s_add_u32 s0, s0, 0x1000
	s_addc_u32 s1, s1, 0
	v_writelane_b32 v95, s0, 3
	s_nop 1
	v_writelane_b32 v95, s1, 4
	s_nop 0
	v_readlane_b32 s30, v95, 50
	v_readlane_b32 s31, v95, 51
	s_add_u32 s30, s30, 0x1000
	s_addc_u32 s31, s31, 0
	s_add_u32 s58, s58, 0x1000
	s_addc_u32 s59, s59, 0
	;; [unrolled: 2-line block ×3, first 2 shown]
	s_add_i32 s7, s7, 1
	v_readlane_b32 s0, v95, 25
	s_cmp_lg_u32 s7, s0
	s_cbranch_scc0 .LBB144_298
.LBB144_13:                             ; =>This Loop Header: Depth=1
                                        ;     Child Loop BB144_110 Depth 2
	s_waitcnt lgkmcnt(0)
	; wave barrier
	s_waitcnt vmcnt(63) expcnt(7) lgkmcnt(15)
	scratch_load_dwordx2 v[2:3], off, off offset:204 ; 8-byte Folded Reload
	s_lshl_b32 s6, s7, 10
	s_mov_b32 s4, s6
	v_readlane_b32 s0, v95, 22
	v_writelane_b32 v95, s4, 48
	s_sub_i32 s82, s0, s6
	s_waitcnt vmcnt(0) lgkmcnt(1)
	v_mov_b32_e32 v4, v2
	v_writelane_b32 v95, s5, 49
	s_waitcnt lgkmcnt(0)
	v_lshlrev_b32_e32 v0, 2, v4
	v_writelane_b32 v95, s30, 50
	v_cmp_gt_u32_e64 s[18:19], s82, v4
	v_mov_b32_e32 v4, 0
	v_writelane_b32 v95, s31, 51
	v_lshl_add_u64 v[2:3], s[30:31], 0, v[0:1]
	s_and_saveexec_b64 s[20:21], s[18:19]
	s_cbranch_execz .LBB144_15
; %bb.14:                               ;   in Loop: Header=BB144_13 Depth=1
	global_load_dword v4, v[2:3], off
.LBB144_15:                             ;   in Loop: Header=BB144_13 Depth=1
	s_or_b64 exec, exec, s[20:21]
	scratch_load_dword v5, off, off offset:212 ; 4-byte Folded Reload
	v_mov_b32_e32 v6, 0
	s_waitcnt vmcnt(0)
	v_cmp_gt_u32_e64 s[20:21], s82, v5
	v_mov_b32_e32 v5, 0
	s_and_saveexec_b64 s[22:23], s[20:21]
	s_cbranch_execz .LBB144_17
; %bb.16:                               ;   in Loop: Header=BB144_13 Depth=1
	global_load_dword v6, v[2:3], off offset:256
.LBB144_17:                             ;   in Loop: Header=BB144_13 Depth=1
	s_or_b64 exec, exec, s[22:23]
	scratch_load_dword v7, off, off offset:216 ; 4-byte Folded Reload
	s_waitcnt vmcnt(0)
	v_cmp_gt_u32_e64 s[22:23], s82, v7
	s_and_saveexec_b64 s[24:25], s[22:23]
	s_cbranch_execz .LBB144_19
; %bb.18:                               ;   in Loop: Header=BB144_13 Depth=1
	global_load_dword v5, v[2:3], off offset:512
.LBB144_19:                             ;   in Loop: Header=BB144_13 Depth=1
	s_or_b64 exec, exec, s[24:25]
	scratch_load_dword v7, off, off offset:220 ; 4-byte Folded Reload
	v_mov_b32_e32 v8, 0
	s_waitcnt vmcnt(0)
	v_cmp_gt_u32_e64 s[24:25], s82, v7
	v_mov_b32_e32 v7, 0
	s_and_saveexec_b64 s[26:27], s[24:25]
	s_cbranch_execz .LBB144_21
; %bb.20:                               ;   in Loop: Header=BB144_13 Depth=1
	global_load_dword v8, v[2:3], off offset:768
.LBB144_21:                             ;   in Loop: Header=BB144_13 Depth=1
	s_or_b64 exec, exec, s[26:27]
	scratch_load_dword v9, off, off offset:224 ; 4-byte Folded Reload
	s_waitcnt vmcnt(0)
	v_cmp_gt_u32_e64 s[26:27], s82, v9
	s_and_saveexec_b64 s[28:29], s[26:27]
	s_cbranch_execz .LBB144_23
; %bb.22:                               ;   in Loop: Header=BB144_13 Depth=1
	global_load_dword v7, v[2:3], off offset:1024
.LBB144_23:                             ;   in Loop: Header=BB144_13 Depth=1
	;; [unrolled: 20-line block ×7, first 2 shown]
	s_or_b64 exec, exec, s[50:51]
	scratch_load_dword v18, off, off offset:268 ; 4-byte Folded Reload
	v_mov_b32_e32 v20, 0
	s_waitcnt vmcnt(0)
	v_cmp_gt_u32_e64 s[50:51], s82, v18
	v_mov_b32_e32 v18, 0
	s_and_saveexec_b64 s[52:53], s[50:51]
	s_cbranch_execz .LBB144_45
; %bb.44:                               ;   in Loop: Header=BB144_13 Depth=1
	global_load_dword v20, v[2:3], off offset:3840
.LBB144_45:                             ;   in Loop: Header=BB144_13 Depth=1
	s_or_b64 exec, exec, s[52:53]
	scratch_load_dword v2, off, off         ; 4-byte Folded Reload
	v_readlane_b32 s0, v95, 3
	v_readlane_b32 s1, v95, 4
	s_waitcnt vmcnt(0)
	ds_write_b32 v2, v4
	scratch_load_dword v2, off, off offset:4 ; 4-byte Folded Reload
	v_lshl_add_u64 v[28:29], s[0:1], 0, v[0:1]
	s_waitcnt vmcnt(0)
	ds_write_b32 v2, v6 offset:256
	scratch_load_dword v2, off, off offset:8 ; 4-byte Folded Reload
	s_waitcnt vmcnt(0)
	ds_write_b32 v2, v5 offset:512
	scratch_load_dword v2, off, off offset:12 ; 4-byte Folded Reload
	;; [unrolled: 3-line block ×14, first 2 shown]
	s_waitcnt vmcnt(0)
	ds_write_b32 v2, v20 offset:3840
	; wave barrier
	ds_read2_b32 v[2:3], v23 offset1:1
	ds_read2_b32 v[4:5], v23 offset0:2 offset1:3
	ds_read2_b32 v[6:7], v23 offset0:4 offset1:5
	;; [unrolled: 1-line block ×7, first 2 shown]
	s_waitcnt lgkmcnt(0)
	; wave barrier
	s_waitcnt lgkmcnt(0)
	s_and_saveexec_b64 s[52:53], s[18:19]
	s_cbranch_execz .LBB144_47
; %bb.46:                               ;   in Loop: Header=BB144_13 Depth=1
	global_load_dword v18, v[28:29], off
.LBB144_47:                             ;   in Loop: Header=BB144_13 Depth=1
	s_or_b64 exec, exec, s[52:53]
	v_mov_b32_e32 v19, 0
	v_mov_b32_e32 v20, 0
	s_and_saveexec_b64 s[52:53], s[20:21]
	s_cbranch_execz .LBB144_49
; %bb.48:                               ;   in Loop: Header=BB144_13 Depth=1
	global_load_dword v20, v[28:29], off offset:256
.LBB144_49:                             ;   in Loop: Header=BB144_13 Depth=1
	s_or_b64 exec, exec, s[52:53]
	s_and_saveexec_b64 s[52:53], s[22:23]
	s_cbranch_execz .LBB144_51
; %bb.50:                               ;   in Loop: Header=BB144_13 Depth=1
	global_load_dword v19, v[28:29], off offset:512
.LBB144_51:                             ;   in Loop: Header=BB144_13 Depth=1
	s_or_b64 exec, exec, s[52:53]
	v_mov_b32_e32 v21, 0
	v_mov_b32_e32 v22, 0
	s_and_saveexec_b64 s[52:53], s[24:25]
	s_cbranch_execz .LBB144_53
; %bb.52:                               ;   in Loop: Header=BB144_13 Depth=1
	global_load_dword v22, v[28:29], off offset:768
.LBB144_53:                             ;   in Loop: Header=BB144_13 Depth=1
	s_or_b64 exec, exec, s[52:53]
	s_and_saveexec_b64 s[52:53], s[26:27]
	s_cbranch_execz .LBB144_55
; %bb.54:                               ;   in Loop: Header=BB144_13 Depth=1
	global_load_dword v21, v[28:29], off offset:1024
.LBB144_55:                             ;   in Loop: Header=BB144_13 Depth=1
	;; [unrolled: 14-line block ×6, first 2 shown]
	s_or_b64 exec, exec, s[52:53]
	v_mov_b32_e32 v35, 0
	v_mov_b32_e32 v36, 0
	s_and_saveexec_b64 s[52:53], s[46:47]
	s_cbranch_execnz .LBB144_250
; %bb.72:                               ;   in Loop: Header=BB144_13 Depth=1
	s_or_b64 exec, exec, s[52:53]
	s_and_saveexec_b64 s[52:53], s[48:49]
	s_cbranch_execnz .LBB144_251
.LBB144_73:                             ;   in Loop: Header=BB144_13 Depth=1
	s_or_b64 exec, exec, s[52:53]
	v_mov_b32_e32 v37, 0
	s_and_saveexec_b64 s[52:53], s[50:51]
	s_cbranch_execz .LBB144_75
.LBB144_74:                             ;   in Loop: Header=BB144_13 Depth=1
	global_load_dword v37, v[28:29], off offset:3840
.LBB144_75:                             ;   in Loop: Header=BB144_13 Depth=1
	s_or_b64 exec, exec, s[52:53]
	scratch_load_dword v24, off, off        ; 4-byte Folded Reload
	s_mov_b32 s0, 0x41a00000
	s_waitcnt vmcnt(0)
	ds_write_b32 v24, v18
	scratch_load_dword v18, off, off offset:4 ; 4-byte Folded Reload
	s_waitcnt vmcnt(0)
	ds_write_b32 v18, v20 offset:256
	scratch_load_dword v18, off, off offset:8 ; 4-byte Folded Reload
	s_waitcnt vmcnt(0)
	ds_write_b32 v18, v19 offset:512
	;; [unrolled: 3-line block ×15, first 2 shown]
	; wave barrier
	ds_read2_b32 v[42:43], v23 offset1:1
	ds_read2_b32 v[40:41], v23 offset0:2 offset1:3
	ds_read2_b32 v[38:39], v23 offset0:4 offset1:5
	;; [unrolled: 1-line block ×7, first 2 shown]
	s_waitcnt lgkmcnt(7)
	v_add_f32_e32 v70, s56, v42
	v_cmp_ge_f32_e32 vcc, s0, v70
	v_readlane_b32 s0, v95, 17
	v_readlane_b32 s1, v95, 18
	s_and_b64 s[0:1], s[0:1], vcc
	s_and_saveexec_b64 s[54:55], s[0:1]
	s_cbranch_execz .LBB144_77
; %bb.76:                               ;   in Loop: Header=BB144_13 Depth=1
	v_mul_f32_e32 v18, 0x3fb8aa3b, v70
	v_rndne_f32_e32 v19, v18
	s_mov_b32 s0, 0x3fb8aa3b
	v_sub_f32_e32 v20, v18, v19
	v_fma_f32 v18, v70, s0, -v18
	v_fmac_f32_e32 v18, 0x32a5705f, v70
	v_add_f32_e32 v18, v20, v18
	v_cvt_i32_f32_e32 v19, v19
	v_exp_f32_e32 v18, v18
	s_mov_b32 s0, 0xc2ce8ed0
	v_cmp_ngt_f32_e32 vcc, s0, v70
	s_mov_b32 s0, 0x42b17218
	v_ldexp_f32 v18, v18, v19
	v_cndmask_b32_e32 v18, 0, v18, vcc
	v_cmp_nlt_f32_e32 vcc, s0, v70
	s_mov_b32 s0, 0x3f2aaaab
	s_nop 0
	v_cndmask_b32_e32 v42, v56, v18, vcc
	v_add_f32_e32 v20, 1.0, v42
	v_add_f32_e32 v18, -1.0, v20
	v_sub_f32_e32 v19, v18, v20
	v_add_f32_e32 v19, 1.0, v19
	v_sub_f32_e32 v18, v42, v18
	v_add_f32_e32 v21, v18, v19
	v_frexp_mant_f32_e32 v22, v20
	v_cvt_f64_f32_e32 v[18:19], v20
	v_frexp_exp_i32_f64_e32 v18, v[18:19]
	v_cmp_gt_f32_e32 vcc, s0, v22
	s_mov_b32 s0, 0x3f317218
	s_nop 0
	v_subbrev_co_u32_e32 v22, vcc, 0, v18, vcc
	v_sub_u32_e32 v18, 0, v22
	v_ldexp_f32 v19, v20, v18
	v_add_f32_e32 v20, -1.0, v19
	v_add_f32_e32 v25, 1.0, v19
	v_ldexp_f32 v18, v21, v18
	v_add_f32_e32 v21, 1.0, v20
	v_add_f32_e32 v26, -1.0, v25
	v_sub_f32_e32 v21, v19, v21
	v_sub_f32_e32 v19, v19, v26
	v_add_f32_e32 v21, v18, v21
	v_add_f32_e32 v18, v18, v19
	;; [unrolled: 1-line block ×3, first 2 shown]
	v_rcp_f32_e32 v47, v46
	v_sub_f32_e32 v19, v25, v46
	v_add_f32_e32 v25, v18, v19
	v_add_f32_e32 v19, v20, v21
	v_mul_f32_e32 v49, v19, v47
	v_sub_f32_e32 v18, v20, v19
	v_mul_f32_e32 v20, v46, v49
	v_fma_f32 v26, v49, v46, -v20
	v_fmac_f32_e32 v26, v49, v25
	v_add_f32_e32 v48, v21, v18
	v_add_f32_e32 v18, v20, v26
	v_sub_f32_e32 v21, v19, v18
	v_pk_add_f32 v[44:45], v[18:19], v[20:21] neg_lo:[0,1] neg_hi:[0,1]
	v_mov_b32_e32 v27, v18
	v_pk_add_f32 v[18:19], v[44:45], v[26:27] neg_lo:[0,1] neg_hi:[0,1]
	s_nop 0
	v_add_f32_e32 v19, v48, v19
	v_add_f32_e32 v18, v18, v19
	;; [unrolled: 1-line block ×3, first 2 shown]
	v_mul_f32_e32 v48, v47, v19
	v_mul_f32_e32 v20, v46, v48
	v_fma_f32 v26, v48, v46, -v20
	v_fmac_f32_e32 v26, v48, v25
	v_sub_f32_e32 v21, v21, v19
	v_add_f32_e32 v25, v18, v21
	v_add_f32_e32 v18, v20, v26
	v_sub_f32_e32 v21, v19, v18
	v_pk_add_f32 v[44:45], v[18:19], v[20:21] neg_lo:[0,1] neg_hi:[0,1]
	v_mov_b32_e32 v27, v18
	v_pk_add_f32 v[18:19], v[44:45], v[26:27] neg_lo:[0,1] neg_hi:[0,1]
	scratch_load_dwordx2 v[44:45], off, off offset:196 ; 8-byte Folded Reload
	v_add_f32_e32 v19, v25, v19
	v_add_f32_e32 v18, v18, v19
	v_add_f32_e32 v19, v49, v48
	v_add_f32_e32 v18, v21, v18
	v_sub_f32_e32 v20, v19, v49
	v_mul_f32_e32 v18, v47, v18
	v_sub_f32_e32 v20, v48, v20
	v_add_f32_e32 v20, v20, v18
	v_add_f32_e32 v25, v19, v20
	v_mul_f32_e32 v26, v25, v25
	v_mov_b32_e32 v18, 0x3ecc95a3
	v_fmamk_f32 v18, v26, 0x3e9b6dac, v18
	s_waitcnt vmcnt(0)
	v_fmaak_f32 v45, v26, v18, 0x3f2aaada
	v_cvt_f32_i32_e32 v18, v22
	v_sub_f32_e32 v19, v25, v19
	v_sub_f32_e32 v19, v20, v19
	v_ldexp_f32 v22, v19, 1
	v_mul_f32_e32 v19, v25, v26
	v_ldexp_f32 v21, v25, 1
	v_mov_b32_e32 v20, v44
	v_pk_mul_f32 v[26:27], v[18:19], v[44:45]
	scratch_store_dwordx2 off, v[20:21], off offset:196 ; 8-byte Folded Spill
	v_fma_f32 v20, v18, s0, -v26
	v_fmac_f32_e32 v20, 0xb102e308, v18
	v_pk_add_f32 v[18:19], v[26:27], v[20:21]
	v_mov_b32_e32 v44, v26
	v_sub_f32_e32 v21, v19, v21
	v_sub_f32_e32 v21, v27, v21
	v_add_f32_e32 v45, v22, v21
	v_pk_add_f32 v[26:27], v[18:19], v[26:27] neg_lo:[0,1] neg_hi:[0,1]
	v_pk_add_f32 v[46:47], v[18:19], v[44:45]
	v_mov_b32_e32 v21, v18
	v_mov_b32_e32 v27, v47
	v_pk_add_f32 v[48:49], v[20:21], v[26:27] neg_lo:[0,1] neg_hi:[0,1]
	v_pk_add_f32 v[20:21], v[20:21], v[26:27]
	s_mov_b32 s0, 0x7f800000
	v_mov_b32_e32 v22, v21
	v_pk_add_f32 v[26:27], v[22:23], v[18:19] neg_lo:[0,1] neg_hi:[0,1]
	v_mov_b32_e32 v20, v47
	v_mov_b32_e32 v25, v26
	v_pk_add_f32 v[50:51], v[46:47], v[24:25] neg_lo:[0,1] neg_hi:[0,1]
	v_mov_b32_e32 v46, v19
	v_mov_b32_e32 v47, v26
	;; [unrolled: 1-line block ×3, first 2 shown]
	v_pk_add_f32 v[20:21], v[20:21], v[46:47] neg_lo:[0,1] neg_hi:[0,1]
	v_mov_b32_e32 v26, v45
	v_mov_b32_e32 v27, v18
	v_pk_add_f32 v[18:19], v[26:27], v[20:21] neg_lo:[0,1] neg_hi:[0,1]
	v_mov_b32_e32 v50, v48
	v_pk_add_f32 v[20:21], v[50:51], v[18:19]
	v_cmp_eq_f32_e32 vcc, s0, v42
	v_mov_b32_e32 v26, v21
	v_pk_add_f32 v[26:27], v[20:21], v[26:27]
	s_mov_b32 s0, 0x33800000
	v_pk_add_f32 v[44:45], v[22:23], v[26:27]
	v_mov_b32_e32 v19, v26
	v_mov_b32_e32 v21, v44
	v_pk_add_f32 v[46:47], v[20:21], v[48:49] neg_lo:[0,1] neg_hi:[0,1]
	v_cmp_gt_f32_e64 s[52:53], s0, v42
	v_sub_f32_e32 v20, v20, v46
	v_pk_add_f32 v[18:19], v[18:19], v[46:47] neg_lo:[0,1] neg_hi:[0,1]
	v_sub_f32_e32 v20, v48, v20
	v_add_f32_e32 v18, v18, v20
	v_add_f32_e32 v18, v18, v19
	;; [unrolled: 1-line block ×3, first 2 shown]
	s_or_b64 vcc, s[52:53], vcc
	v_cndmask_b32_e32 v70, v18, v42, vcc
.LBB144_77:                             ;   in Loop: Header=BB144_13 Depth=1
	s_or_b64 exec, exec, s[54:55]
	v_add_f32_e32 v71, s56, v43
	s_mov_b32 s0, 0x41a00000
	v_cmp_ge_f32_e32 vcc, s0, v71
	v_readlane_b32 s0, v95, 17
	v_readlane_b32 s1, v95, 18
	s_and_b64 s[0:1], s[0:1], vcc
	s_and_saveexec_b64 s[54:55], s[0:1]
	s_cbranch_execz .LBB144_79
; %bb.78:                               ;   in Loop: Header=BB144_13 Depth=1
	v_mul_f32_e32 v18, 0x3fb8aa3b, v71
	v_rndne_f32_e32 v19, v18
	s_mov_b32 s0, 0x3fb8aa3b
	v_sub_f32_e32 v20, v18, v19
	v_fma_f32 v18, v71, s0, -v18
	v_fmac_f32_e32 v18, 0x32a5705f, v71
	v_add_f32_e32 v18, v20, v18
	v_cvt_i32_f32_e32 v19, v19
	v_exp_f32_e32 v18, v18
	s_mov_b32 s0, 0xc2ce8ed0
	v_cmp_ngt_f32_e32 vcc, s0, v71
	s_mov_b32 s0, 0x42b17218
	v_ldexp_f32 v18, v18, v19
	v_cndmask_b32_e32 v18, 0, v18, vcc
	v_cmp_nlt_f32_e32 vcc, s0, v71
	s_mov_b32 s0, 0x3f2aaaab
	s_nop 0
	v_cndmask_b32_e32 v50, v56, v18, vcc
	v_add_f32_e32 v20, 1.0, v50
	v_add_f32_e32 v18, -1.0, v20
	v_sub_f32_e32 v19, v18, v20
	v_add_f32_e32 v19, 1.0, v19
	v_sub_f32_e32 v18, v50, v18
	v_add_f32_e32 v21, v18, v19
	v_frexp_mant_f32_e32 v22, v20
	v_cvt_f64_f32_e32 v[18:19], v20
	v_frexp_exp_i32_f64_e32 v18, v[18:19]
	v_cmp_gt_f32_e32 vcc, s0, v22
	s_mov_b32 s0, 0x3f317218
	s_nop 0
	v_subbrev_co_u32_e32 v22, vcc, 0, v18, vcc
	v_sub_u32_e32 v18, 0, v22
	v_ldexp_f32 v19, v20, v18
	v_add_f32_e32 v20, -1.0, v19
	v_add_f32_e32 v25, 1.0, v19
	v_ldexp_f32 v18, v21, v18
	v_add_f32_e32 v21, 1.0, v20
	v_add_f32_e32 v26, -1.0, v25
	v_sub_f32_e32 v21, v19, v21
	v_sub_f32_e32 v19, v19, v26
	v_add_f32_e32 v21, v18, v21
	v_add_f32_e32 v18, v18, v19
	;; [unrolled: 1-line block ×3, first 2 shown]
	v_rcp_f32_e32 v45, v44
	v_sub_f32_e32 v19, v25, v44
	v_add_f32_e32 v25, v18, v19
	v_add_f32_e32 v19, v20, v21
	v_mul_f32_e32 v47, v19, v45
	v_sub_f32_e32 v18, v20, v19
	v_mul_f32_e32 v20, v44, v47
	v_fma_f32 v26, v47, v44, -v20
	v_fmac_f32_e32 v26, v47, v25
	v_add_f32_e32 v46, v21, v18
	v_add_f32_e32 v18, v20, v26
	v_sub_f32_e32 v21, v19, v18
	v_pk_add_f32 v[42:43], v[18:19], v[20:21] neg_lo:[0,1] neg_hi:[0,1]
	v_mov_b32_e32 v27, v18
	v_pk_add_f32 v[18:19], v[42:43], v[26:27] neg_lo:[0,1] neg_hi:[0,1]
	s_nop 0
	v_add_f32_e32 v19, v46, v19
	v_add_f32_e32 v18, v18, v19
	;; [unrolled: 1-line block ×3, first 2 shown]
	v_mul_f32_e32 v46, v45, v19
	v_mul_f32_e32 v20, v44, v46
	v_fma_f32 v26, v46, v44, -v20
	v_fmac_f32_e32 v26, v46, v25
	v_sub_f32_e32 v21, v21, v19
	v_add_f32_e32 v25, v18, v21
	v_add_f32_e32 v18, v20, v26
	v_sub_f32_e32 v21, v19, v18
	v_pk_add_f32 v[42:43], v[18:19], v[20:21] neg_lo:[0,1] neg_hi:[0,1]
	v_mov_b32_e32 v27, v18
	v_pk_add_f32 v[18:19], v[42:43], v[26:27] neg_lo:[0,1] neg_hi:[0,1]
	scratch_load_dwordx2 v[42:43], off, off offset:196 ; 8-byte Folded Reload
	v_add_f32_e32 v19, v25, v19
	v_add_f32_e32 v18, v18, v19
	;; [unrolled: 1-line block ×4, first 2 shown]
	v_sub_f32_e32 v20, v19, v47
	v_mul_f32_e32 v18, v45, v18
	v_sub_f32_e32 v20, v46, v20
	v_add_f32_e32 v20, v20, v18
	v_add_f32_e32 v25, v19, v20
	v_mul_f32_e32 v26, v25, v25
	v_mov_b32_e32 v18, 0x3ecc95a3
	v_fmamk_f32 v18, v26, 0x3e9b6dac, v18
	s_waitcnt vmcnt(0)
	v_fmaak_f32 v43, v26, v18, 0x3f2aaada
	v_cvt_f32_i32_e32 v18, v22
	v_sub_f32_e32 v19, v25, v19
	v_sub_f32_e32 v19, v20, v19
	v_ldexp_f32 v22, v19, 1
	v_mul_f32_e32 v19, v25, v26
	v_ldexp_f32 v21, v25, 1
	v_mov_b32_e32 v20, v42
	v_pk_mul_f32 v[26:27], v[18:19], v[42:43]
	scratch_store_dwordx2 off, v[20:21], off offset:196 ; 8-byte Folded Spill
	v_fma_f32 v20, v18, s0, -v26
	v_fmac_f32_e32 v20, 0xb102e308, v18
	v_pk_add_f32 v[18:19], v[26:27], v[20:21]
	v_mov_b32_e32 v42, v26
	v_sub_f32_e32 v21, v19, v21
	v_sub_f32_e32 v21, v27, v21
	v_add_f32_e32 v43, v22, v21
	v_pk_add_f32 v[26:27], v[18:19], v[26:27] neg_lo:[0,1] neg_hi:[0,1]
	v_pk_add_f32 v[44:45], v[18:19], v[42:43]
	v_mov_b32_e32 v21, v18
	v_mov_b32_e32 v27, v45
	v_pk_add_f32 v[46:47], v[20:21], v[26:27] neg_lo:[0,1] neg_hi:[0,1]
	v_pk_add_f32 v[20:21], v[20:21], v[26:27]
	s_mov_b32 s0, 0x7f800000
	v_mov_b32_e32 v22, v21
	v_pk_add_f32 v[26:27], v[22:23], v[18:19] neg_lo:[0,1] neg_hi:[0,1]
	v_mov_b32_e32 v20, v45
	v_mov_b32_e32 v25, v26
	v_pk_add_f32 v[48:49], v[44:45], v[24:25] neg_lo:[0,1] neg_hi:[0,1]
	v_mov_b32_e32 v44, v19
	v_mov_b32_e32 v45, v26
	;; [unrolled: 1-line block ×3, first 2 shown]
	v_pk_add_f32 v[20:21], v[20:21], v[44:45] neg_lo:[0,1] neg_hi:[0,1]
	v_mov_b32_e32 v26, v43
	v_mov_b32_e32 v27, v18
	v_pk_add_f32 v[18:19], v[26:27], v[20:21] neg_lo:[0,1] neg_hi:[0,1]
	v_mov_b32_e32 v48, v46
	v_pk_add_f32 v[20:21], v[48:49], v[18:19]
	v_cmp_eq_f32_e32 vcc, s0, v50
	v_mov_b32_e32 v26, v21
	v_pk_add_f32 v[26:27], v[20:21], v[26:27]
	s_mov_b32 s0, 0x33800000
	v_pk_add_f32 v[42:43], v[22:23], v[26:27]
	v_mov_b32_e32 v19, v26
	v_mov_b32_e32 v21, v42
	v_pk_add_f32 v[44:45], v[20:21], v[46:47] neg_lo:[0,1] neg_hi:[0,1]
	v_cmp_gt_f32_e64 s[52:53], s0, v50
	v_sub_f32_e32 v20, v20, v44
	v_pk_add_f32 v[18:19], v[18:19], v[44:45] neg_lo:[0,1] neg_hi:[0,1]
	v_sub_f32_e32 v20, v46, v20
	v_add_f32_e32 v18, v18, v20
	v_add_f32_e32 v18, v18, v19
	;; [unrolled: 1-line block ×3, first 2 shown]
	s_or_b64 vcc, s[52:53], vcc
	v_cndmask_b32_e32 v71, v18, v50, vcc
.LBB144_79:                             ;   in Loop: Header=BB144_13 Depth=1
	s_or_b64 exec, exec, s[54:55]
	s_waitcnt lgkmcnt(6)
	v_add_f32_e32 v72, s56, v40
	s_mov_b32 s0, 0x41a00000
	v_cmp_ge_f32_e32 vcc, s0, v72
	v_readlane_b32 s0, v95, 17
	v_readlane_b32 s1, v95, 18
	s_and_b64 s[0:1], s[0:1], vcc
	s_and_saveexec_b64 s[54:55], s[0:1]
	s_cbranch_execz .LBB144_81
; %bb.80:                               ;   in Loop: Header=BB144_13 Depth=1
	v_mul_f32_e32 v18, 0x3fb8aa3b, v72
	v_rndne_f32_e32 v19, v18
	s_mov_b32 s0, 0x3fb8aa3b
	v_sub_f32_e32 v20, v18, v19
	v_fma_f32 v18, v72, s0, -v18
	v_fmac_f32_e32 v18, 0x32a5705f, v72
	v_add_f32_e32 v18, v20, v18
	v_cvt_i32_f32_e32 v19, v19
	v_exp_f32_e32 v18, v18
	s_mov_b32 s0, 0xc2ce8ed0
	v_cmp_ngt_f32_e32 vcc, s0, v72
	s_mov_b32 s0, 0x42b17218
	v_ldexp_f32 v18, v18, v19
	v_cndmask_b32_e32 v18, 0, v18, vcc
	v_cmp_nlt_f32_e32 vcc, s0, v72
	s_mov_b32 s0, 0x3f2aaaab
	s_nop 0
	v_cndmask_b32_e32 v40, v56, v18, vcc
	v_add_f32_e32 v20, 1.0, v40
	v_add_f32_e32 v18, -1.0, v20
	v_sub_f32_e32 v19, v18, v20
	v_add_f32_e32 v19, 1.0, v19
	v_sub_f32_e32 v18, v40, v18
	v_add_f32_e32 v21, v18, v19
	v_frexp_mant_f32_e32 v22, v20
	v_cvt_f64_f32_e32 v[18:19], v20
	v_frexp_exp_i32_f64_e32 v18, v[18:19]
	v_cmp_gt_f32_e32 vcc, s0, v22
	s_mov_b32 s0, 0x3f317218
	s_nop 0
	v_subbrev_co_u32_e32 v22, vcc, 0, v18, vcc
	v_sub_u32_e32 v18, 0, v22
	v_ldexp_f32 v19, v20, v18
	v_add_f32_e32 v20, -1.0, v19
	v_add_f32_e32 v25, 1.0, v19
	v_ldexp_f32 v18, v21, v18
	v_add_f32_e32 v21, 1.0, v20
	v_add_f32_e32 v26, -1.0, v25
	v_sub_f32_e32 v21, v19, v21
	v_sub_f32_e32 v19, v19, v26
	v_add_f32_e32 v21, v18, v21
	v_add_f32_e32 v18, v18, v19
	;; [unrolled: 1-line block ×3, first 2 shown]
	v_rcp_f32_e32 v45, v44
	v_sub_f32_e32 v19, v25, v44
	v_add_f32_e32 v25, v18, v19
	v_add_f32_e32 v19, v20, v21
	v_mul_f32_e32 v47, v19, v45
	v_sub_f32_e32 v18, v20, v19
	v_mul_f32_e32 v20, v44, v47
	v_fma_f32 v26, v47, v44, -v20
	v_fmac_f32_e32 v26, v47, v25
	v_add_f32_e32 v46, v21, v18
	v_add_f32_e32 v18, v20, v26
	v_sub_f32_e32 v21, v19, v18
	v_pk_add_f32 v[42:43], v[18:19], v[20:21] neg_lo:[0,1] neg_hi:[0,1]
	v_mov_b32_e32 v27, v18
	v_pk_add_f32 v[18:19], v[42:43], v[26:27] neg_lo:[0,1] neg_hi:[0,1]
	s_nop 0
	v_add_f32_e32 v19, v46, v19
	v_add_f32_e32 v18, v18, v19
	;; [unrolled: 1-line block ×3, first 2 shown]
	v_mul_f32_e32 v46, v45, v19
	v_mul_f32_e32 v20, v44, v46
	v_fma_f32 v26, v46, v44, -v20
	v_fmac_f32_e32 v26, v46, v25
	v_sub_f32_e32 v21, v21, v19
	v_add_f32_e32 v25, v18, v21
	v_add_f32_e32 v18, v20, v26
	v_sub_f32_e32 v21, v19, v18
	v_pk_add_f32 v[42:43], v[18:19], v[20:21] neg_lo:[0,1] neg_hi:[0,1]
	v_mov_b32_e32 v27, v18
	v_pk_add_f32 v[18:19], v[42:43], v[26:27] neg_lo:[0,1] neg_hi:[0,1]
	scratch_load_dwordx2 v[42:43], off, off offset:196 ; 8-byte Folded Reload
	v_add_f32_e32 v19, v25, v19
	v_add_f32_e32 v18, v18, v19
	;; [unrolled: 1-line block ×4, first 2 shown]
	v_sub_f32_e32 v20, v19, v47
	v_mul_f32_e32 v18, v45, v18
	v_sub_f32_e32 v20, v46, v20
	v_add_f32_e32 v20, v20, v18
	v_add_f32_e32 v25, v19, v20
	v_mul_f32_e32 v26, v25, v25
	v_mov_b32_e32 v18, 0x3ecc95a3
	v_fmamk_f32 v18, v26, 0x3e9b6dac, v18
	s_waitcnt vmcnt(0)
	v_fmaak_f32 v43, v26, v18, 0x3f2aaada
	v_cvt_f32_i32_e32 v18, v22
	v_sub_f32_e32 v19, v25, v19
	v_sub_f32_e32 v19, v20, v19
	v_ldexp_f32 v22, v19, 1
	v_mul_f32_e32 v19, v25, v26
	v_ldexp_f32 v21, v25, 1
	v_mov_b32_e32 v20, v42
	v_pk_mul_f32 v[26:27], v[18:19], v[42:43]
	scratch_store_dwordx2 off, v[20:21], off offset:196 ; 8-byte Folded Spill
	v_fma_f32 v20, v18, s0, -v26
	v_fmac_f32_e32 v20, 0xb102e308, v18
	v_pk_add_f32 v[18:19], v[26:27], v[20:21]
	v_mov_b32_e32 v42, v26
	v_sub_f32_e32 v21, v19, v21
	v_sub_f32_e32 v21, v27, v21
	v_add_f32_e32 v43, v22, v21
	v_pk_add_f32 v[26:27], v[18:19], v[26:27] neg_lo:[0,1] neg_hi:[0,1]
	v_pk_add_f32 v[44:45], v[18:19], v[42:43]
	v_mov_b32_e32 v21, v18
	v_mov_b32_e32 v27, v45
	v_pk_add_f32 v[46:47], v[20:21], v[26:27] neg_lo:[0,1] neg_hi:[0,1]
	v_pk_add_f32 v[20:21], v[20:21], v[26:27]
	s_mov_b32 s0, 0x7f800000
	v_mov_b32_e32 v22, v21
	v_pk_add_f32 v[26:27], v[22:23], v[18:19] neg_lo:[0,1] neg_hi:[0,1]
	v_mov_b32_e32 v20, v45
	v_mov_b32_e32 v25, v26
	v_pk_add_f32 v[48:49], v[44:45], v[24:25] neg_lo:[0,1] neg_hi:[0,1]
	v_mov_b32_e32 v44, v19
	v_mov_b32_e32 v45, v26
	;; [unrolled: 1-line block ×3, first 2 shown]
	v_pk_add_f32 v[20:21], v[20:21], v[44:45] neg_lo:[0,1] neg_hi:[0,1]
	v_mov_b32_e32 v26, v43
	v_mov_b32_e32 v27, v18
	v_pk_add_f32 v[18:19], v[26:27], v[20:21] neg_lo:[0,1] neg_hi:[0,1]
	v_mov_b32_e32 v48, v46
	v_pk_add_f32 v[20:21], v[48:49], v[18:19]
	v_cmp_eq_f32_e32 vcc, s0, v40
	v_mov_b32_e32 v26, v21
	v_pk_add_f32 v[26:27], v[20:21], v[26:27]
	s_mov_b32 s0, 0x33800000
	v_pk_add_f32 v[42:43], v[22:23], v[26:27]
	v_mov_b32_e32 v19, v26
	v_mov_b32_e32 v21, v42
	v_pk_add_f32 v[44:45], v[20:21], v[46:47] neg_lo:[0,1] neg_hi:[0,1]
	v_cmp_gt_f32_e64 s[52:53], s0, v40
	v_sub_f32_e32 v20, v20, v44
	v_pk_add_f32 v[18:19], v[18:19], v[44:45] neg_lo:[0,1] neg_hi:[0,1]
	v_sub_f32_e32 v20, v46, v20
	v_add_f32_e32 v18, v18, v20
	v_add_f32_e32 v18, v18, v19
	;; [unrolled: 1-line block ×3, first 2 shown]
	s_or_b64 vcc, s[52:53], vcc
	v_cndmask_b32_e32 v72, v18, v40, vcc
.LBB144_81:                             ;   in Loop: Header=BB144_13 Depth=1
	s_or_b64 exec, exec, s[54:55]
	v_add_f32_e32 v73, s56, v41
	s_mov_b32 s0, 0x41a00000
	v_cmp_ge_f32_e32 vcc, s0, v73
	v_readlane_b32 s0, v95, 17
	v_readlane_b32 s1, v95, 18
	s_and_b64 s[0:1], s[0:1], vcc
	s_and_saveexec_b64 s[54:55], s[0:1]
	s_cbranch_execz .LBB144_83
; %bb.82:                               ;   in Loop: Header=BB144_13 Depth=1
	v_mul_f32_e32 v18, 0x3fb8aa3b, v73
	v_rndne_f32_e32 v19, v18
	s_mov_b32 s0, 0x3fb8aa3b
	v_sub_f32_e32 v20, v18, v19
	v_fma_f32 v18, v73, s0, -v18
	v_fmac_f32_e32 v18, 0x32a5705f, v73
	v_add_f32_e32 v18, v20, v18
	v_cvt_i32_f32_e32 v19, v19
	v_exp_f32_e32 v18, v18
	s_mov_b32 s0, 0xc2ce8ed0
	v_cmp_ngt_f32_e32 vcc, s0, v73
	s_mov_b32 s0, 0x42b17218
	v_ldexp_f32 v18, v18, v19
	v_cndmask_b32_e32 v18, 0, v18, vcc
	v_cmp_nlt_f32_e32 vcc, s0, v73
	s_mov_b32 s0, 0x3f2aaaab
	s_nop 0
	v_cndmask_b32_e32 v48, v56, v18, vcc
	v_add_f32_e32 v20, 1.0, v48
	v_add_f32_e32 v18, -1.0, v20
	v_sub_f32_e32 v19, v18, v20
	v_add_f32_e32 v19, 1.0, v19
	v_sub_f32_e32 v18, v48, v18
	v_add_f32_e32 v21, v18, v19
	v_frexp_mant_f32_e32 v22, v20
	v_cvt_f64_f32_e32 v[18:19], v20
	v_frexp_exp_i32_f64_e32 v18, v[18:19]
	v_cmp_gt_f32_e32 vcc, s0, v22
	s_mov_b32 s0, 0x3f317218
	s_nop 0
	v_subbrev_co_u32_e32 v22, vcc, 0, v18, vcc
	v_sub_u32_e32 v18, 0, v22
	v_ldexp_f32 v19, v20, v18
	v_add_f32_e32 v20, -1.0, v19
	v_add_f32_e32 v25, 1.0, v19
	v_ldexp_f32 v18, v21, v18
	v_add_f32_e32 v21, 1.0, v20
	v_add_f32_e32 v26, -1.0, v25
	v_sub_f32_e32 v21, v19, v21
	v_sub_f32_e32 v19, v19, v26
	v_add_f32_e32 v21, v18, v21
	v_add_f32_e32 v18, v18, v19
	;; [unrolled: 1-line block ×3, first 2 shown]
	v_rcp_f32_e32 v43, v42
	v_sub_f32_e32 v19, v25, v42
	v_add_f32_e32 v25, v18, v19
	v_add_f32_e32 v19, v20, v21
	v_mul_f32_e32 v45, v19, v43
	v_sub_f32_e32 v18, v20, v19
	v_mul_f32_e32 v20, v42, v45
	v_fma_f32 v26, v45, v42, -v20
	v_fmac_f32_e32 v26, v45, v25
	v_add_f32_e32 v44, v21, v18
	v_add_f32_e32 v18, v20, v26
	v_sub_f32_e32 v21, v19, v18
	v_pk_add_f32 v[40:41], v[18:19], v[20:21] neg_lo:[0,1] neg_hi:[0,1]
	v_mov_b32_e32 v27, v18
	v_pk_add_f32 v[18:19], v[40:41], v[26:27] neg_lo:[0,1] neg_hi:[0,1]
	s_nop 0
	v_add_f32_e32 v19, v44, v19
	v_add_f32_e32 v18, v18, v19
	;; [unrolled: 1-line block ×3, first 2 shown]
	v_mul_f32_e32 v44, v43, v19
	v_mul_f32_e32 v20, v42, v44
	v_fma_f32 v26, v44, v42, -v20
	v_fmac_f32_e32 v26, v44, v25
	v_sub_f32_e32 v21, v21, v19
	v_add_f32_e32 v25, v18, v21
	v_add_f32_e32 v18, v20, v26
	v_sub_f32_e32 v21, v19, v18
	v_pk_add_f32 v[40:41], v[18:19], v[20:21] neg_lo:[0,1] neg_hi:[0,1]
	v_mov_b32_e32 v27, v18
	v_pk_add_f32 v[18:19], v[40:41], v[26:27] neg_lo:[0,1] neg_hi:[0,1]
	scratch_load_dwordx2 v[40:41], off, off offset:196 ; 8-byte Folded Reload
	v_add_f32_e32 v19, v25, v19
	v_add_f32_e32 v18, v18, v19
	;; [unrolled: 1-line block ×4, first 2 shown]
	v_sub_f32_e32 v20, v19, v45
	v_mul_f32_e32 v18, v43, v18
	v_sub_f32_e32 v20, v44, v20
	v_add_f32_e32 v20, v20, v18
	v_add_f32_e32 v25, v19, v20
	v_mul_f32_e32 v26, v25, v25
	v_mov_b32_e32 v18, 0x3ecc95a3
	v_fmamk_f32 v18, v26, 0x3e9b6dac, v18
	s_waitcnt vmcnt(0)
	v_fmaak_f32 v41, v26, v18, 0x3f2aaada
	v_cvt_f32_i32_e32 v18, v22
	v_sub_f32_e32 v19, v25, v19
	v_sub_f32_e32 v19, v20, v19
	v_ldexp_f32 v22, v19, 1
	v_mul_f32_e32 v19, v25, v26
	v_ldexp_f32 v21, v25, 1
	v_mov_b32_e32 v20, v40
	v_pk_mul_f32 v[26:27], v[18:19], v[40:41]
	scratch_store_dwordx2 off, v[20:21], off offset:196 ; 8-byte Folded Spill
	v_fma_f32 v20, v18, s0, -v26
	v_fmac_f32_e32 v20, 0xb102e308, v18
	v_pk_add_f32 v[18:19], v[26:27], v[20:21]
	v_mov_b32_e32 v40, v26
	v_sub_f32_e32 v21, v19, v21
	v_sub_f32_e32 v21, v27, v21
	v_add_f32_e32 v41, v22, v21
	v_pk_add_f32 v[26:27], v[18:19], v[26:27] neg_lo:[0,1] neg_hi:[0,1]
	v_pk_add_f32 v[42:43], v[18:19], v[40:41]
	v_mov_b32_e32 v21, v18
	v_mov_b32_e32 v27, v43
	v_pk_add_f32 v[44:45], v[20:21], v[26:27] neg_lo:[0,1] neg_hi:[0,1]
	v_pk_add_f32 v[20:21], v[20:21], v[26:27]
	s_mov_b32 s0, 0x7f800000
	v_mov_b32_e32 v22, v21
	v_pk_add_f32 v[26:27], v[22:23], v[18:19] neg_lo:[0,1] neg_hi:[0,1]
	v_mov_b32_e32 v20, v43
	v_mov_b32_e32 v25, v26
	v_pk_add_f32 v[46:47], v[42:43], v[24:25] neg_lo:[0,1] neg_hi:[0,1]
	v_mov_b32_e32 v42, v19
	v_mov_b32_e32 v43, v26
	;; [unrolled: 1-line block ×3, first 2 shown]
	v_pk_add_f32 v[20:21], v[20:21], v[42:43] neg_lo:[0,1] neg_hi:[0,1]
	v_mov_b32_e32 v26, v41
	v_mov_b32_e32 v27, v18
	v_pk_add_f32 v[18:19], v[26:27], v[20:21] neg_lo:[0,1] neg_hi:[0,1]
	v_mov_b32_e32 v46, v44
	v_pk_add_f32 v[20:21], v[46:47], v[18:19]
	v_cmp_eq_f32_e32 vcc, s0, v48
	v_mov_b32_e32 v26, v21
	v_pk_add_f32 v[26:27], v[20:21], v[26:27]
	s_mov_b32 s0, 0x33800000
	v_pk_add_f32 v[40:41], v[22:23], v[26:27]
	v_mov_b32_e32 v19, v26
	v_mov_b32_e32 v21, v40
	v_pk_add_f32 v[42:43], v[20:21], v[44:45] neg_lo:[0,1] neg_hi:[0,1]
	v_cmp_gt_f32_e64 s[52:53], s0, v48
	v_sub_f32_e32 v20, v20, v42
	v_pk_add_f32 v[18:19], v[18:19], v[42:43] neg_lo:[0,1] neg_hi:[0,1]
	v_sub_f32_e32 v20, v44, v20
	v_add_f32_e32 v18, v18, v20
	v_add_f32_e32 v18, v18, v19
	;; [unrolled: 1-line block ×3, first 2 shown]
	s_or_b64 vcc, s[52:53], vcc
	v_cndmask_b32_e32 v73, v18, v48, vcc
.LBB144_83:                             ;   in Loop: Header=BB144_13 Depth=1
	s_or_b64 exec, exec, s[54:55]
	s_waitcnt lgkmcnt(5)
	v_add_f32_e32 v74, s56, v38
	s_mov_b32 s0, 0x41a00000
	v_cmp_ge_f32_e32 vcc, s0, v74
	v_readlane_b32 s0, v95, 17
	v_readlane_b32 s1, v95, 18
	s_and_b64 s[0:1], s[0:1], vcc
	s_and_saveexec_b64 s[54:55], s[0:1]
	s_cbranch_execz .LBB144_85
; %bb.84:                               ;   in Loop: Header=BB144_13 Depth=1
	v_mul_f32_e32 v18, 0x3fb8aa3b, v74
	v_rndne_f32_e32 v19, v18
	s_mov_b32 s0, 0x3fb8aa3b
	v_sub_f32_e32 v20, v18, v19
	v_fma_f32 v18, v74, s0, -v18
	v_fmac_f32_e32 v18, 0x32a5705f, v74
	v_add_f32_e32 v18, v20, v18
	v_cvt_i32_f32_e32 v19, v19
	v_exp_f32_e32 v18, v18
	s_mov_b32 s0, 0xc2ce8ed0
	v_cmp_ngt_f32_e32 vcc, s0, v74
	s_mov_b32 s0, 0x42b17218
	v_ldexp_f32 v18, v18, v19
	v_cndmask_b32_e32 v18, 0, v18, vcc
	v_cmp_nlt_f32_e32 vcc, s0, v74
	s_mov_b32 s0, 0x3f2aaaab
	s_nop 0
	v_cndmask_b32_e32 v38, v56, v18, vcc
	v_add_f32_e32 v20, 1.0, v38
	v_add_f32_e32 v18, -1.0, v20
	v_sub_f32_e32 v19, v18, v20
	v_add_f32_e32 v19, 1.0, v19
	v_sub_f32_e32 v18, v38, v18
	v_add_f32_e32 v21, v18, v19
	v_frexp_mant_f32_e32 v22, v20
	v_cvt_f64_f32_e32 v[18:19], v20
	v_frexp_exp_i32_f64_e32 v18, v[18:19]
	v_cmp_gt_f32_e32 vcc, s0, v22
	s_mov_b32 s0, 0x3f317218
	s_nop 0
	v_subbrev_co_u32_e32 v22, vcc, 0, v18, vcc
	v_sub_u32_e32 v18, 0, v22
	v_ldexp_f32 v19, v20, v18
	v_add_f32_e32 v20, -1.0, v19
	v_add_f32_e32 v25, 1.0, v19
	v_ldexp_f32 v18, v21, v18
	v_add_f32_e32 v21, 1.0, v20
	v_add_f32_e32 v26, -1.0, v25
	v_sub_f32_e32 v21, v19, v21
	v_sub_f32_e32 v19, v19, v26
	v_add_f32_e32 v21, v18, v21
	v_add_f32_e32 v18, v18, v19
	;; [unrolled: 1-line block ×3, first 2 shown]
	v_rcp_f32_e32 v43, v42
	v_sub_f32_e32 v19, v25, v42
	v_add_f32_e32 v25, v18, v19
	v_add_f32_e32 v19, v20, v21
	v_mul_f32_e32 v45, v19, v43
	v_sub_f32_e32 v18, v20, v19
	v_mul_f32_e32 v20, v42, v45
	v_fma_f32 v26, v45, v42, -v20
	v_fmac_f32_e32 v26, v45, v25
	v_add_f32_e32 v44, v21, v18
	v_add_f32_e32 v18, v20, v26
	v_sub_f32_e32 v21, v19, v18
	v_pk_add_f32 v[40:41], v[18:19], v[20:21] neg_lo:[0,1] neg_hi:[0,1]
	v_mov_b32_e32 v27, v18
	v_pk_add_f32 v[18:19], v[40:41], v[26:27] neg_lo:[0,1] neg_hi:[0,1]
	s_nop 0
	v_add_f32_e32 v19, v44, v19
	v_add_f32_e32 v18, v18, v19
	;; [unrolled: 1-line block ×3, first 2 shown]
	v_mul_f32_e32 v44, v43, v19
	v_mul_f32_e32 v20, v42, v44
	v_fma_f32 v26, v44, v42, -v20
	v_fmac_f32_e32 v26, v44, v25
	v_sub_f32_e32 v21, v21, v19
	v_add_f32_e32 v25, v18, v21
	v_add_f32_e32 v18, v20, v26
	v_sub_f32_e32 v21, v19, v18
	v_pk_add_f32 v[40:41], v[18:19], v[20:21] neg_lo:[0,1] neg_hi:[0,1]
	v_mov_b32_e32 v27, v18
	v_pk_add_f32 v[18:19], v[40:41], v[26:27] neg_lo:[0,1] neg_hi:[0,1]
	scratch_load_dwordx2 v[40:41], off, off offset:196 ; 8-byte Folded Reload
	v_add_f32_e32 v19, v25, v19
	v_add_f32_e32 v18, v18, v19
	;; [unrolled: 1-line block ×4, first 2 shown]
	v_sub_f32_e32 v20, v19, v45
	v_mul_f32_e32 v18, v43, v18
	v_sub_f32_e32 v20, v44, v20
	v_add_f32_e32 v20, v20, v18
	v_add_f32_e32 v25, v19, v20
	v_mul_f32_e32 v26, v25, v25
	v_mov_b32_e32 v18, 0x3ecc95a3
	v_fmamk_f32 v18, v26, 0x3e9b6dac, v18
	s_waitcnt vmcnt(0)
	v_fmaak_f32 v41, v26, v18, 0x3f2aaada
	v_cvt_f32_i32_e32 v18, v22
	v_sub_f32_e32 v19, v25, v19
	v_sub_f32_e32 v19, v20, v19
	v_ldexp_f32 v22, v19, 1
	v_mul_f32_e32 v19, v25, v26
	v_ldexp_f32 v21, v25, 1
	v_mov_b32_e32 v20, v40
	v_pk_mul_f32 v[26:27], v[18:19], v[40:41]
	scratch_store_dwordx2 off, v[20:21], off offset:196 ; 8-byte Folded Spill
	v_fma_f32 v20, v18, s0, -v26
	v_fmac_f32_e32 v20, 0xb102e308, v18
	v_pk_add_f32 v[18:19], v[26:27], v[20:21]
	v_mov_b32_e32 v40, v26
	v_sub_f32_e32 v21, v19, v21
	v_sub_f32_e32 v21, v27, v21
	v_add_f32_e32 v41, v22, v21
	v_pk_add_f32 v[26:27], v[18:19], v[26:27] neg_lo:[0,1] neg_hi:[0,1]
	v_pk_add_f32 v[42:43], v[18:19], v[40:41]
	v_mov_b32_e32 v21, v18
	v_mov_b32_e32 v27, v43
	v_pk_add_f32 v[44:45], v[20:21], v[26:27] neg_lo:[0,1] neg_hi:[0,1]
	v_pk_add_f32 v[20:21], v[20:21], v[26:27]
	s_mov_b32 s0, 0x7f800000
	v_mov_b32_e32 v22, v21
	v_pk_add_f32 v[26:27], v[22:23], v[18:19] neg_lo:[0,1] neg_hi:[0,1]
	v_mov_b32_e32 v20, v43
	v_mov_b32_e32 v25, v26
	v_pk_add_f32 v[46:47], v[42:43], v[24:25] neg_lo:[0,1] neg_hi:[0,1]
	v_mov_b32_e32 v42, v19
	v_mov_b32_e32 v43, v26
	;; [unrolled: 1-line block ×3, first 2 shown]
	v_pk_add_f32 v[20:21], v[20:21], v[42:43] neg_lo:[0,1] neg_hi:[0,1]
	v_mov_b32_e32 v26, v41
	v_mov_b32_e32 v27, v18
	v_pk_add_f32 v[18:19], v[26:27], v[20:21] neg_lo:[0,1] neg_hi:[0,1]
	v_mov_b32_e32 v46, v44
	v_pk_add_f32 v[20:21], v[46:47], v[18:19]
	v_cmp_eq_f32_e32 vcc, s0, v38
	v_mov_b32_e32 v26, v21
	v_pk_add_f32 v[26:27], v[20:21], v[26:27]
	s_mov_b32 s0, 0x33800000
	v_pk_add_f32 v[40:41], v[22:23], v[26:27]
	v_mov_b32_e32 v19, v26
	v_mov_b32_e32 v21, v40
	v_pk_add_f32 v[42:43], v[20:21], v[44:45] neg_lo:[0,1] neg_hi:[0,1]
	v_cmp_gt_f32_e64 s[52:53], s0, v38
	v_sub_f32_e32 v20, v20, v42
	v_pk_add_f32 v[18:19], v[18:19], v[42:43] neg_lo:[0,1] neg_hi:[0,1]
	v_sub_f32_e32 v20, v44, v20
	v_add_f32_e32 v18, v18, v20
	v_add_f32_e32 v18, v18, v19
	v_add_f32_e32 v18, v40, v18
	s_or_b64 vcc, s[52:53], vcc
	v_cndmask_b32_e32 v74, v18, v38, vcc
.LBB144_85:                             ;   in Loop: Header=BB144_13 Depth=1
	s_or_b64 exec, exec, s[54:55]
	v_add_f32_e32 v75, s56, v39
	s_mov_b32 s0, 0x41a00000
	v_cmp_ge_f32_e32 vcc, s0, v75
	v_readlane_b32 s0, v95, 17
	v_readlane_b32 s1, v95, 18
	s_and_b64 s[0:1], s[0:1], vcc
	s_and_saveexec_b64 s[54:55], s[0:1]
	s_cbranch_execz .LBB144_87
; %bb.86:                               ;   in Loop: Header=BB144_13 Depth=1
	v_mul_f32_e32 v18, 0x3fb8aa3b, v75
	v_rndne_f32_e32 v19, v18
	s_mov_b32 s0, 0x3fb8aa3b
	v_sub_f32_e32 v20, v18, v19
	v_fma_f32 v18, v75, s0, -v18
	v_fmac_f32_e32 v18, 0x32a5705f, v75
	v_add_f32_e32 v18, v20, v18
	v_cvt_i32_f32_e32 v19, v19
	v_exp_f32_e32 v18, v18
	s_mov_b32 s0, 0xc2ce8ed0
	v_cmp_ngt_f32_e32 vcc, s0, v75
	s_mov_b32 s0, 0x42b17218
	v_ldexp_f32 v18, v18, v19
	v_cndmask_b32_e32 v18, 0, v18, vcc
	v_cmp_nlt_f32_e32 vcc, s0, v75
	s_mov_b32 s0, 0x3f2aaaab
	s_nop 0
	v_cndmask_b32_e32 v46, v56, v18, vcc
	v_add_f32_e32 v20, 1.0, v46
	v_add_f32_e32 v18, -1.0, v20
	v_sub_f32_e32 v19, v18, v20
	v_add_f32_e32 v19, 1.0, v19
	v_sub_f32_e32 v18, v46, v18
	v_add_f32_e32 v21, v18, v19
	v_frexp_mant_f32_e32 v22, v20
	v_cvt_f64_f32_e32 v[18:19], v20
	v_frexp_exp_i32_f64_e32 v18, v[18:19]
	v_cmp_gt_f32_e32 vcc, s0, v22
	s_mov_b32 s0, 0x3f317218
	s_nop 0
	v_subbrev_co_u32_e32 v22, vcc, 0, v18, vcc
	v_sub_u32_e32 v18, 0, v22
	v_ldexp_f32 v19, v20, v18
	v_add_f32_e32 v20, -1.0, v19
	v_add_f32_e32 v25, 1.0, v19
	v_ldexp_f32 v18, v21, v18
	v_add_f32_e32 v21, 1.0, v20
	v_add_f32_e32 v26, -1.0, v25
	v_sub_f32_e32 v21, v19, v21
	v_sub_f32_e32 v19, v19, v26
	v_add_f32_e32 v21, v18, v21
	v_add_f32_e32 v18, v18, v19
	;; [unrolled: 1-line block ×3, first 2 shown]
	v_rcp_f32_e32 v41, v40
	v_sub_f32_e32 v19, v25, v40
	v_add_f32_e32 v25, v18, v19
	v_add_f32_e32 v19, v20, v21
	v_mul_f32_e32 v43, v19, v41
	v_sub_f32_e32 v18, v20, v19
	v_mul_f32_e32 v20, v40, v43
	v_fma_f32 v26, v43, v40, -v20
	v_fmac_f32_e32 v26, v43, v25
	v_add_f32_e32 v42, v21, v18
	v_add_f32_e32 v18, v20, v26
	v_sub_f32_e32 v21, v19, v18
	v_pk_add_f32 v[38:39], v[18:19], v[20:21] neg_lo:[0,1] neg_hi:[0,1]
	v_mov_b32_e32 v27, v18
	v_pk_add_f32 v[18:19], v[38:39], v[26:27] neg_lo:[0,1] neg_hi:[0,1]
	s_nop 0
	v_add_f32_e32 v19, v42, v19
	v_add_f32_e32 v18, v18, v19
	;; [unrolled: 1-line block ×3, first 2 shown]
	v_mul_f32_e32 v42, v41, v19
	v_mul_f32_e32 v20, v40, v42
	v_fma_f32 v26, v42, v40, -v20
	v_fmac_f32_e32 v26, v42, v25
	v_sub_f32_e32 v21, v21, v19
	v_add_f32_e32 v25, v18, v21
	v_add_f32_e32 v18, v20, v26
	v_sub_f32_e32 v21, v19, v18
	v_pk_add_f32 v[38:39], v[18:19], v[20:21] neg_lo:[0,1] neg_hi:[0,1]
	v_mov_b32_e32 v27, v18
	v_pk_add_f32 v[18:19], v[38:39], v[26:27] neg_lo:[0,1] neg_hi:[0,1]
	scratch_load_dwordx2 v[38:39], off, off offset:196 ; 8-byte Folded Reload
	v_add_f32_e32 v19, v25, v19
	v_add_f32_e32 v18, v18, v19
	;; [unrolled: 1-line block ×4, first 2 shown]
	v_sub_f32_e32 v20, v19, v43
	v_mul_f32_e32 v18, v41, v18
	v_sub_f32_e32 v20, v42, v20
	v_add_f32_e32 v20, v20, v18
	v_add_f32_e32 v25, v19, v20
	v_mul_f32_e32 v26, v25, v25
	v_mov_b32_e32 v18, 0x3ecc95a3
	v_fmamk_f32 v18, v26, 0x3e9b6dac, v18
	s_waitcnt vmcnt(0)
	v_fmaak_f32 v39, v26, v18, 0x3f2aaada
	v_cvt_f32_i32_e32 v18, v22
	v_sub_f32_e32 v19, v25, v19
	v_sub_f32_e32 v19, v20, v19
	v_ldexp_f32 v22, v19, 1
	v_mul_f32_e32 v19, v25, v26
	v_ldexp_f32 v21, v25, 1
	v_mov_b32_e32 v20, v38
	v_pk_mul_f32 v[26:27], v[18:19], v[38:39]
	scratch_store_dwordx2 off, v[20:21], off offset:196 ; 8-byte Folded Spill
	v_fma_f32 v20, v18, s0, -v26
	v_fmac_f32_e32 v20, 0xb102e308, v18
	v_pk_add_f32 v[18:19], v[26:27], v[20:21]
	v_mov_b32_e32 v38, v26
	v_sub_f32_e32 v21, v19, v21
	v_sub_f32_e32 v21, v27, v21
	v_add_f32_e32 v39, v22, v21
	v_pk_add_f32 v[26:27], v[18:19], v[26:27] neg_lo:[0,1] neg_hi:[0,1]
	v_pk_add_f32 v[40:41], v[18:19], v[38:39]
	v_mov_b32_e32 v21, v18
	v_mov_b32_e32 v27, v41
	v_pk_add_f32 v[42:43], v[20:21], v[26:27] neg_lo:[0,1] neg_hi:[0,1]
	v_pk_add_f32 v[20:21], v[20:21], v[26:27]
	s_mov_b32 s0, 0x7f800000
	v_mov_b32_e32 v22, v21
	v_pk_add_f32 v[26:27], v[22:23], v[18:19] neg_lo:[0,1] neg_hi:[0,1]
	v_mov_b32_e32 v20, v41
	v_mov_b32_e32 v25, v26
	v_pk_add_f32 v[44:45], v[40:41], v[24:25] neg_lo:[0,1] neg_hi:[0,1]
	v_mov_b32_e32 v40, v19
	v_mov_b32_e32 v41, v26
	;; [unrolled: 1-line block ×3, first 2 shown]
	v_pk_add_f32 v[20:21], v[20:21], v[40:41] neg_lo:[0,1] neg_hi:[0,1]
	v_mov_b32_e32 v26, v39
	v_mov_b32_e32 v27, v18
	v_pk_add_f32 v[18:19], v[26:27], v[20:21] neg_lo:[0,1] neg_hi:[0,1]
	v_mov_b32_e32 v44, v42
	v_pk_add_f32 v[20:21], v[44:45], v[18:19]
	v_cmp_eq_f32_e32 vcc, s0, v46
	v_mov_b32_e32 v26, v21
	v_pk_add_f32 v[26:27], v[20:21], v[26:27]
	s_mov_b32 s0, 0x33800000
	v_pk_add_f32 v[38:39], v[22:23], v[26:27]
	v_mov_b32_e32 v19, v26
	v_mov_b32_e32 v21, v38
	v_pk_add_f32 v[40:41], v[20:21], v[42:43] neg_lo:[0,1] neg_hi:[0,1]
	v_cmp_gt_f32_e64 s[52:53], s0, v46
	v_sub_f32_e32 v20, v20, v40
	v_pk_add_f32 v[18:19], v[18:19], v[40:41] neg_lo:[0,1] neg_hi:[0,1]
	v_sub_f32_e32 v20, v42, v20
	v_add_f32_e32 v18, v18, v20
	v_add_f32_e32 v18, v18, v19
	;; [unrolled: 1-line block ×3, first 2 shown]
	s_or_b64 vcc, s[52:53], vcc
	v_cndmask_b32_e32 v75, v18, v46, vcc
.LBB144_87:                             ;   in Loop: Header=BB144_13 Depth=1
	s_or_b64 exec, exec, s[54:55]
	s_waitcnt lgkmcnt(4)
	v_add_f32_e32 v76, s56, v36
	s_mov_b32 s0, 0x41a00000
	v_cmp_ge_f32_e32 vcc, s0, v76
	v_readlane_b32 s0, v95, 17
	v_readlane_b32 s1, v95, 18
	s_and_b64 s[0:1], s[0:1], vcc
	s_and_saveexec_b64 s[54:55], s[0:1]
	s_cbranch_execz .LBB144_89
; %bb.88:                               ;   in Loop: Header=BB144_13 Depth=1
	v_mul_f32_e32 v18, 0x3fb8aa3b, v76
	v_rndne_f32_e32 v19, v18
	s_mov_b32 s0, 0x3fb8aa3b
	v_sub_f32_e32 v20, v18, v19
	v_fma_f32 v18, v76, s0, -v18
	v_fmac_f32_e32 v18, 0x32a5705f, v76
	v_add_f32_e32 v18, v20, v18
	v_cvt_i32_f32_e32 v19, v19
	v_exp_f32_e32 v18, v18
	s_mov_b32 s0, 0xc2ce8ed0
	v_cmp_ngt_f32_e32 vcc, s0, v76
	s_mov_b32 s0, 0x42b17218
	v_ldexp_f32 v18, v18, v19
	v_cndmask_b32_e32 v18, 0, v18, vcc
	v_cmp_nlt_f32_e32 vcc, s0, v76
	s_mov_b32 s0, 0x3f2aaaab
	s_nop 0
	v_cndmask_b32_e32 v36, v56, v18, vcc
	v_add_f32_e32 v20, 1.0, v36
	v_add_f32_e32 v18, -1.0, v20
	v_sub_f32_e32 v19, v18, v20
	v_add_f32_e32 v19, 1.0, v19
	v_sub_f32_e32 v18, v36, v18
	v_add_f32_e32 v21, v18, v19
	v_frexp_mant_f32_e32 v22, v20
	v_cvt_f64_f32_e32 v[18:19], v20
	v_frexp_exp_i32_f64_e32 v18, v[18:19]
	v_cmp_gt_f32_e32 vcc, s0, v22
	s_mov_b32 s0, 0x3f317218
	s_nop 0
	v_subbrev_co_u32_e32 v22, vcc, 0, v18, vcc
	v_sub_u32_e32 v18, 0, v22
	v_ldexp_f32 v19, v20, v18
	v_add_f32_e32 v20, -1.0, v19
	v_add_f32_e32 v25, 1.0, v19
	v_ldexp_f32 v18, v21, v18
	v_add_f32_e32 v21, 1.0, v20
	v_add_f32_e32 v26, -1.0, v25
	v_sub_f32_e32 v21, v19, v21
	v_sub_f32_e32 v19, v19, v26
	v_add_f32_e32 v21, v18, v21
	v_add_f32_e32 v18, v18, v19
	;; [unrolled: 1-line block ×3, first 2 shown]
	v_rcp_f32_e32 v41, v40
	v_sub_f32_e32 v19, v25, v40
	v_add_f32_e32 v25, v18, v19
	v_add_f32_e32 v19, v20, v21
	v_mul_f32_e32 v43, v19, v41
	v_sub_f32_e32 v18, v20, v19
	v_mul_f32_e32 v20, v40, v43
	v_fma_f32 v26, v43, v40, -v20
	v_fmac_f32_e32 v26, v43, v25
	v_add_f32_e32 v42, v21, v18
	v_add_f32_e32 v18, v20, v26
	v_sub_f32_e32 v21, v19, v18
	v_pk_add_f32 v[38:39], v[18:19], v[20:21] neg_lo:[0,1] neg_hi:[0,1]
	v_mov_b32_e32 v27, v18
	v_pk_add_f32 v[18:19], v[38:39], v[26:27] neg_lo:[0,1] neg_hi:[0,1]
	s_nop 0
	v_add_f32_e32 v19, v42, v19
	v_add_f32_e32 v18, v18, v19
	;; [unrolled: 1-line block ×3, first 2 shown]
	v_mul_f32_e32 v42, v41, v19
	v_mul_f32_e32 v20, v40, v42
	v_fma_f32 v26, v42, v40, -v20
	v_fmac_f32_e32 v26, v42, v25
	v_sub_f32_e32 v21, v21, v19
	v_add_f32_e32 v25, v18, v21
	v_add_f32_e32 v18, v20, v26
	v_sub_f32_e32 v21, v19, v18
	v_pk_add_f32 v[38:39], v[18:19], v[20:21] neg_lo:[0,1] neg_hi:[0,1]
	v_mov_b32_e32 v27, v18
	v_pk_add_f32 v[18:19], v[38:39], v[26:27] neg_lo:[0,1] neg_hi:[0,1]
	scratch_load_dwordx2 v[38:39], off, off offset:196 ; 8-byte Folded Reload
	v_add_f32_e32 v19, v25, v19
	v_add_f32_e32 v18, v18, v19
	;; [unrolled: 1-line block ×4, first 2 shown]
	v_sub_f32_e32 v20, v19, v43
	v_mul_f32_e32 v18, v41, v18
	v_sub_f32_e32 v20, v42, v20
	v_add_f32_e32 v20, v20, v18
	v_add_f32_e32 v25, v19, v20
	v_mul_f32_e32 v26, v25, v25
	v_mov_b32_e32 v18, 0x3ecc95a3
	v_fmamk_f32 v18, v26, 0x3e9b6dac, v18
	s_waitcnt vmcnt(0)
	v_fmaak_f32 v39, v26, v18, 0x3f2aaada
	v_cvt_f32_i32_e32 v18, v22
	v_sub_f32_e32 v19, v25, v19
	v_sub_f32_e32 v19, v20, v19
	v_ldexp_f32 v22, v19, 1
	v_mul_f32_e32 v19, v25, v26
	v_ldexp_f32 v21, v25, 1
	v_mov_b32_e32 v20, v38
	v_pk_mul_f32 v[26:27], v[18:19], v[38:39]
	scratch_store_dwordx2 off, v[20:21], off offset:196 ; 8-byte Folded Spill
	v_fma_f32 v20, v18, s0, -v26
	v_fmac_f32_e32 v20, 0xb102e308, v18
	v_pk_add_f32 v[18:19], v[26:27], v[20:21]
	v_mov_b32_e32 v38, v26
	v_sub_f32_e32 v21, v19, v21
	v_sub_f32_e32 v21, v27, v21
	v_add_f32_e32 v39, v22, v21
	v_pk_add_f32 v[26:27], v[18:19], v[26:27] neg_lo:[0,1] neg_hi:[0,1]
	v_pk_add_f32 v[40:41], v[18:19], v[38:39]
	v_mov_b32_e32 v21, v18
	v_mov_b32_e32 v27, v41
	v_pk_add_f32 v[42:43], v[20:21], v[26:27] neg_lo:[0,1] neg_hi:[0,1]
	v_pk_add_f32 v[20:21], v[20:21], v[26:27]
	s_mov_b32 s0, 0x7f800000
	v_mov_b32_e32 v22, v21
	v_pk_add_f32 v[26:27], v[22:23], v[18:19] neg_lo:[0,1] neg_hi:[0,1]
	v_mov_b32_e32 v20, v41
	v_mov_b32_e32 v25, v26
	v_pk_add_f32 v[44:45], v[40:41], v[24:25] neg_lo:[0,1] neg_hi:[0,1]
	v_mov_b32_e32 v40, v19
	v_mov_b32_e32 v41, v26
	;; [unrolled: 1-line block ×3, first 2 shown]
	v_pk_add_f32 v[20:21], v[20:21], v[40:41] neg_lo:[0,1] neg_hi:[0,1]
	v_mov_b32_e32 v26, v39
	v_mov_b32_e32 v27, v18
	v_pk_add_f32 v[18:19], v[26:27], v[20:21] neg_lo:[0,1] neg_hi:[0,1]
	v_mov_b32_e32 v44, v42
	v_pk_add_f32 v[20:21], v[44:45], v[18:19]
	v_cmp_eq_f32_e32 vcc, s0, v36
	v_mov_b32_e32 v26, v21
	v_pk_add_f32 v[26:27], v[20:21], v[26:27]
	s_mov_b32 s0, 0x33800000
	v_pk_add_f32 v[38:39], v[22:23], v[26:27]
	v_mov_b32_e32 v19, v26
	v_mov_b32_e32 v21, v38
	v_pk_add_f32 v[40:41], v[20:21], v[42:43] neg_lo:[0,1] neg_hi:[0,1]
	v_cmp_gt_f32_e64 s[52:53], s0, v36
	v_sub_f32_e32 v20, v20, v40
	v_pk_add_f32 v[18:19], v[18:19], v[40:41] neg_lo:[0,1] neg_hi:[0,1]
	v_sub_f32_e32 v20, v42, v20
	v_add_f32_e32 v18, v18, v20
	v_add_f32_e32 v18, v18, v19
	;; [unrolled: 1-line block ×3, first 2 shown]
	s_or_b64 vcc, s[52:53], vcc
	v_cndmask_b32_e32 v76, v18, v36, vcc
.LBB144_89:                             ;   in Loop: Header=BB144_13 Depth=1
	s_or_b64 exec, exec, s[54:55]
	v_add_f32_e32 v77, s56, v37
	s_mov_b32 s0, 0x41a00000
	v_cmp_ge_f32_e32 vcc, s0, v77
	v_readlane_b32 s0, v95, 17
	v_readlane_b32 s1, v95, 18
	s_and_b64 s[0:1], s[0:1], vcc
	s_and_saveexec_b64 s[54:55], s[0:1]
	s_cbranch_execz .LBB144_91
; %bb.90:                               ;   in Loop: Header=BB144_13 Depth=1
	v_mul_f32_e32 v18, 0x3fb8aa3b, v77
	v_rndne_f32_e32 v19, v18
	s_mov_b32 s0, 0x3fb8aa3b
	v_sub_f32_e32 v20, v18, v19
	v_fma_f32 v18, v77, s0, -v18
	v_fmac_f32_e32 v18, 0x32a5705f, v77
	v_add_f32_e32 v18, v20, v18
	v_cvt_i32_f32_e32 v19, v19
	v_exp_f32_e32 v18, v18
	s_mov_b32 s0, 0xc2ce8ed0
	v_cmp_ngt_f32_e32 vcc, s0, v77
	s_mov_b32 s0, 0x42b17218
	v_ldexp_f32 v18, v18, v19
	v_cndmask_b32_e32 v18, 0, v18, vcc
	v_cmp_nlt_f32_e32 vcc, s0, v77
	s_mov_b32 s0, 0x3f2aaaab
	s_nop 0
	v_cndmask_b32_e32 v44, v56, v18, vcc
	v_add_f32_e32 v20, 1.0, v44
	v_add_f32_e32 v18, -1.0, v20
	v_sub_f32_e32 v19, v18, v20
	v_add_f32_e32 v19, 1.0, v19
	v_sub_f32_e32 v18, v44, v18
	v_add_f32_e32 v21, v18, v19
	v_frexp_mant_f32_e32 v22, v20
	v_cvt_f64_f32_e32 v[18:19], v20
	v_frexp_exp_i32_f64_e32 v18, v[18:19]
	v_cmp_gt_f32_e32 vcc, s0, v22
	s_mov_b32 s0, 0x3f317218
	s_nop 0
	v_subbrev_co_u32_e32 v22, vcc, 0, v18, vcc
	v_sub_u32_e32 v18, 0, v22
	v_ldexp_f32 v19, v20, v18
	v_add_f32_e32 v20, -1.0, v19
	v_add_f32_e32 v25, 1.0, v19
	v_ldexp_f32 v18, v21, v18
	v_add_f32_e32 v21, 1.0, v20
	v_add_f32_e32 v26, -1.0, v25
	v_sub_f32_e32 v21, v19, v21
	v_sub_f32_e32 v19, v19, v26
	v_add_f32_e32 v21, v18, v21
	v_add_f32_e32 v18, v18, v19
	;; [unrolled: 1-line block ×3, first 2 shown]
	v_rcp_f32_e32 v39, v38
	v_sub_f32_e32 v19, v25, v38
	v_add_f32_e32 v25, v18, v19
	v_add_f32_e32 v19, v20, v21
	v_mul_f32_e32 v41, v19, v39
	v_sub_f32_e32 v18, v20, v19
	v_mul_f32_e32 v20, v38, v41
	v_fma_f32 v26, v41, v38, -v20
	v_fmac_f32_e32 v26, v41, v25
	v_add_f32_e32 v40, v21, v18
	v_add_f32_e32 v18, v20, v26
	v_sub_f32_e32 v21, v19, v18
	v_pk_add_f32 v[36:37], v[18:19], v[20:21] neg_lo:[0,1] neg_hi:[0,1]
	v_mov_b32_e32 v27, v18
	v_pk_add_f32 v[18:19], v[36:37], v[26:27] neg_lo:[0,1] neg_hi:[0,1]
	s_nop 0
	v_add_f32_e32 v19, v40, v19
	v_add_f32_e32 v18, v18, v19
	;; [unrolled: 1-line block ×3, first 2 shown]
	v_mul_f32_e32 v40, v39, v19
	v_mul_f32_e32 v20, v38, v40
	v_fma_f32 v26, v40, v38, -v20
	v_fmac_f32_e32 v26, v40, v25
	v_sub_f32_e32 v21, v21, v19
	v_add_f32_e32 v25, v18, v21
	v_add_f32_e32 v18, v20, v26
	v_sub_f32_e32 v21, v19, v18
	v_pk_add_f32 v[36:37], v[18:19], v[20:21] neg_lo:[0,1] neg_hi:[0,1]
	v_mov_b32_e32 v27, v18
	v_pk_add_f32 v[18:19], v[36:37], v[26:27] neg_lo:[0,1] neg_hi:[0,1]
	scratch_load_dwordx2 v[36:37], off, off offset:196 ; 8-byte Folded Reload
	v_add_f32_e32 v19, v25, v19
	v_add_f32_e32 v18, v18, v19
	;; [unrolled: 1-line block ×4, first 2 shown]
	v_sub_f32_e32 v20, v19, v41
	v_mul_f32_e32 v18, v39, v18
	v_sub_f32_e32 v20, v40, v20
	v_add_f32_e32 v20, v20, v18
	v_add_f32_e32 v25, v19, v20
	v_mul_f32_e32 v26, v25, v25
	v_mov_b32_e32 v18, 0x3ecc95a3
	v_fmamk_f32 v18, v26, 0x3e9b6dac, v18
	s_waitcnt vmcnt(0)
	v_fmaak_f32 v37, v26, v18, 0x3f2aaada
	v_cvt_f32_i32_e32 v18, v22
	v_sub_f32_e32 v19, v25, v19
	v_sub_f32_e32 v19, v20, v19
	v_ldexp_f32 v22, v19, 1
	v_mul_f32_e32 v19, v25, v26
	v_ldexp_f32 v21, v25, 1
	v_mov_b32_e32 v20, v36
	v_pk_mul_f32 v[26:27], v[18:19], v[36:37]
	scratch_store_dwordx2 off, v[20:21], off offset:196 ; 8-byte Folded Spill
	v_fma_f32 v20, v18, s0, -v26
	v_fmac_f32_e32 v20, 0xb102e308, v18
	v_pk_add_f32 v[18:19], v[26:27], v[20:21]
	v_mov_b32_e32 v36, v26
	v_sub_f32_e32 v21, v19, v21
	v_sub_f32_e32 v21, v27, v21
	v_add_f32_e32 v37, v22, v21
	v_pk_add_f32 v[26:27], v[18:19], v[26:27] neg_lo:[0,1] neg_hi:[0,1]
	v_pk_add_f32 v[38:39], v[18:19], v[36:37]
	v_mov_b32_e32 v21, v18
	v_mov_b32_e32 v27, v39
	v_pk_add_f32 v[40:41], v[20:21], v[26:27] neg_lo:[0,1] neg_hi:[0,1]
	v_pk_add_f32 v[20:21], v[20:21], v[26:27]
	s_mov_b32 s0, 0x7f800000
	v_mov_b32_e32 v22, v21
	v_pk_add_f32 v[26:27], v[22:23], v[18:19] neg_lo:[0,1] neg_hi:[0,1]
	v_mov_b32_e32 v20, v39
	v_mov_b32_e32 v25, v26
	v_pk_add_f32 v[42:43], v[38:39], v[24:25] neg_lo:[0,1] neg_hi:[0,1]
	v_mov_b32_e32 v38, v19
	v_mov_b32_e32 v39, v26
	;; [unrolled: 1-line block ×3, first 2 shown]
	v_pk_add_f32 v[20:21], v[20:21], v[38:39] neg_lo:[0,1] neg_hi:[0,1]
	v_mov_b32_e32 v26, v37
	v_mov_b32_e32 v27, v18
	v_pk_add_f32 v[18:19], v[26:27], v[20:21] neg_lo:[0,1] neg_hi:[0,1]
	v_mov_b32_e32 v42, v40
	v_pk_add_f32 v[20:21], v[42:43], v[18:19]
	v_cmp_eq_f32_e32 vcc, s0, v44
	v_mov_b32_e32 v26, v21
	v_pk_add_f32 v[26:27], v[20:21], v[26:27]
	s_mov_b32 s0, 0x33800000
	v_pk_add_f32 v[36:37], v[22:23], v[26:27]
	v_mov_b32_e32 v19, v26
	v_mov_b32_e32 v21, v36
	v_pk_add_f32 v[38:39], v[20:21], v[40:41] neg_lo:[0,1] neg_hi:[0,1]
	v_cmp_gt_f32_e64 s[52:53], s0, v44
	v_sub_f32_e32 v20, v20, v38
	v_pk_add_f32 v[18:19], v[18:19], v[38:39] neg_lo:[0,1] neg_hi:[0,1]
	v_sub_f32_e32 v20, v40, v20
	v_add_f32_e32 v18, v18, v20
	v_add_f32_e32 v18, v18, v19
	v_add_f32_e32 v18, v36, v18
	s_or_b64 vcc, s[52:53], vcc
	v_cndmask_b32_e32 v77, v18, v44, vcc
.LBB144_91:                             ;   in Loop: Header=BB144_13 Depth=1
	s_or_b64 exec, exec, s[54:55]
	s_waitcnt lgkmcnt(3)
	v_add_f32_e32 v78, s56, v34
	s_mov_b32 s0, 0x41a00000
	v_cmp_ge_f32_e32 vcc, s0, v78
	v_readlane_b32 s0, v95, 17
	v_readlane_b32 s1, v95, 18
	s_and_b64 s[0:1], s[0:1], vcc
	s_and_saveexec_b64 s[54:55], s[0:1]
	s_cbranch_execz .LBB144_93
; %bb.92:                               ;   in Loop: Header=BB144_13 Depth=1
	v_mul_f32_e32 v18, 0x3fb8aa3b, v78
	v_rndne_f32_e32 v19, v18
	s_mov_b32 s0, 0x3fb8aa3b
	v_sub_f32_e32 v20, v18, v19
	v_fma_f32 v18, v78, s0, -v18
	v_fmac_f32_e32 v18, 0x32a5705f, v78
	v_add_f32_e32 v18, v20, v18
	v_cvt_i32_f32_e32 v19, v19
	v_exp_f32_e32 v18, v18
	s_mov_b32 s0, 0xc2ce8ed0
	v_cmp_ngt_f32_e32 vcc, s0, v78
	s_mov_b32 s0, 0x42b17218
	v_ldexp_f32 v18, v18, v19
	v_cndmask_b32_e32 v18, 0, v18, vcc
	v_cmp_nlt_f32_e32 vcc, s0, v78
	s_mov_b32 s0, 0x3f2aaaab
	s_nop 0
	v_cndmask_b32_e32 v34, v56, v18, vcc
	v_add_f32_e32 v20, 1.0, v34
	v_add_f32_e32 v18, -1.0, v20
	v_sub_f32_e32 v19, v18, v20
	v_add_f32_e32 v19, 1.0, v19
	v_sub_f32_e32 v18, v34, v18
	v_add_f32_e32 v21, v18, v19
	v_frexp_mant_f32_e32 v22, v20
	v_cvt_f64_f32_e32 v[18:19], v20
	v_frexp_exp_i32_f64_e32 v18, v[18:19]
	v_cmp_gt_f32_e32 vcc, s0, v22
	s_mov_b32 s0, 0x3f317218
	s_nop 0
	v_subbrev_co_u32_e32 v22, vcc, 0, v18, vcc
	v_sub_u32_e32 v18, 0, v22
	v_ldexp_f32 v19, v20, v18
	v_add_f32_e32 v20, -1.0, v19
	v_add_f32_e32 v25, 1.0, v19
	v_ldexp_f32 v18, v21, v18
	v_add_f32_e32 v21, 1.0, v20
	v_add_f32_e32 v26, -1.0, v25
	v_sub_f32_e32 v21, v19, v21
	v_sub_f32_e32 v19, v19, v26
	v_add_f32_e32 v21, v18, v21
	v_add_f32_e32 v18, v18, v19
	;; [unrolled: 1-line block ×3, first 2 shown]
	v_rcp_f32_e32 v39, v38
	v_sub_f32_e32 v19, v25, v38
	v_add_f32_e32 v25, v18, v19
	v_add_f32_e32 v19, v20, v21
	v_mul_f32_e32 v41, v19, v39
	v_sub_f32_e32 v18, v20, v19
	v_mul_f32_e32 v20, v38, v41
	v_fma_f32 v26, v41, v38, -v20
	v_fmac_f32_e32 v26, v41, v25
	v_add_f32_e32 v40, v21, v18
	v_add_f32_e32 v18, v20, v26
	v_sub_f32_e32 v21, v19, v18
	v_pk_add_f32 v[36:37], v[18:19], v[20:21] neg_lo:[0,1] neg_hi:[0,1]
	v_mov_b32_e32 v27, v18
	v_pk_add_f32 v[18:19], v[36:37], v[26:27] neg_lo:[0,1] neg_hi:[0,1]
	s_nop 0
	v_add_f32_e32 v19, v40, v19
	v_add_f32_e32 v18, v18, v19
	;; [unrolled: 1-line block ×3, first 2 shown]
	v_mul_f32_e32 v40, v39, v19
	v_mul_f32_e32 v20, v38, v40
	v_fma_f32 v26, v40, v38, -v20
	v_fmac_f32_e32 v26, v40, v25
	v_sub_f32_e32 v21, v21, v19
	v_add_f32_e32 v25, v18, v21
	v_add_f32_e32 v18, v20, v26
	v_sub_f32_e32 v21, v19, v18
	v_pk_add_f32 v[36:37], v[18:19], v[20:21] neg_lo:[0,1] neg_hi:[0,1]
	v_mov_b32_e32 v27, v18
	v_pk_add_f32 v[18:19], v[36:37], v[26:27] neg_lo:[0,1] neg_hi:[0,1]
	scratch_load_dwordx2 v[36:37], off, off offset:196 ; 8-byte Folded Reload
	v_add_f32_e32 v19, v25, v19
	v_add_f32_e32 v18, v18, v19
	;; [unrolled: 1-line block ×4, first 2 shown]
	v_sub_f32_e32 v20, v19, v41
	v_mul_f32_e32 v18, v39, v18
	v_sub_f32_e32 v20, v40, v20
	v_add_f32_e32 v20, v20, v18
	v_add_f32_e32 v25, v19, v20
	v_mul_f32_e32 v26, v25, v25
	v_mov_b32_e32 v18, 0x3ecc95a3
	v_fmamk_f32 v18, v26, 0x3e9b6dac, v18
	s_waitcnt vmcnt(0)
	v_fmaak_f32 v37, v26, v18, 0x3f2aaada
	v_cvt_f32_i32_e32 v18, v22
	v_sub_f32_e32 v19, v25, v19
	v_sub_f32_e32 v19, v20, v19
	v_ldexp_f32 v22, v19, 1
	v_mul_f32_e32 v19, v25, v26
	v_ldexp_f32 v21, v25, 1
	v_mov_b32_e32 v20, v36
	v_pk_mul_f32 v[26:27], v[18:19], v[36:37]
	scratch_store_dwordx2 off, v[20:21], off offset:196 ; 8-byte Folded Spill
	v_fma_f32 v20, v18, s0, -v26
	v_fmac_f32_e32 v20, 0xb102e308, v18
	v_pk_add_f32 v[18:19], v[26:27], v[20:21]
	v_mov_b32_e32 v36, v26
	v_sub_f32_e32 v21, v19, v21
	v_sub_f32_e32 v21, v27, v21
	v_add_f32_e32 v37, v22, v21
	v_pk_add_f32 v[26:27], v[18:19], v[26:27] neg_lo:[0,1] neg_hi:[0,1]
	v_pk_add_f32 v[38:39], v[18:19], v[36:37]
	v_mov_b32_e32 v21, v18
	v_mov_b32_e32 v27, v39
	v_pk_add_f32 v[40:41], v[20:21], v[26:27] neg_lo:[0,1] neg_hi:[0,1]
	v_pk_add_f32 v[20:21], v[20:21], v[26:27]
	s_mov_b32 s0, 0x7f800000
	v_mov_b32_e32 v22, v21
	v_pk_add_f32 v[26:27], v[22:23], v[18:19] neg_lo:[0,1] neg_hi:[0,1]
	v_mov_b32_e32 v20, v39
	v_mov_b32_e32 v25, v26
	v_pk_add_f32 v[42:43], v[38:39], v[24:25] neg_lo:[0,1] neg_hi:[0,1]
	v_mov_b32_e32 v38, v19
	v_mov_b32_e32 v39, v26
	;; [unrolled: 1-line block ×3, first 2 shown]
	v_pk_add_f32 v[20:21], v[20:21], v[38:39] neg_lo:[0,1] neg_hi:[0,1]
	v_mov_b32_e32 v26, v37
	v_mov_b32_e32 v27, v18
	v_pk_add_f32 v[18:19], v[26:27], v[20:21] neg_lo:[0,1] neg_hi:[0,1]
	v_mov_b32_e32 v42, v40
	v_pk_add_f32 v[20:21], v[42:43], v[18:19]
	v_cmp_eq_f32_e32 vcc, s0, v34
	v_mov_b32_e32 v26, v21
	v_pk_add_f32 v[26:27], v[20:21], v[26:27]
	s_mov_b32 s0, 0x33800000
	v_pk_add_f32 v[36:37], v[22:23], v[26:27]
	v_mov_b32_e32 v19, v26
	v_mov_b32_e32 v21, v36
	v_pk_add_f32 v[38:39], v[20:21], v[40:41] neg_lo:[0,1] neg_hi:[0,1]
	v_cmp_gt_f32_e64 s[52:53], s0, v34
	v_sub_f32_e32 v20, v20, v38
	v_pk_add_f32 v[18:19], v[18:19], v[38:39] neg_lo:[0,1] neg_hi:[0,1]
	v_sub_f32_e32 v20, v40, v20
	v_add_f32_e32 v18, v18, v20
	v_add_f32_e32 v18, v18, v19
	;; [unrolled: 1-line block ×3, first 2 shown]
	s_or_b64 vcc, s[52:53], vcc
	v_cndmask_b32_e32 v78, v18, v34, vcc
.LBB144_93:                             ;   in Loop: Header=BB144_13 Depth=1
	s_or_b64 exec, exec, s[54:55]
	v_add_f32_e32 v79, s56, v35
	s_mov_b32 s0, 0x41a00000
	v_cmp_ge_f32_e32 vcc, s0, v79
	v_readlane_b32 s0, v95, 17
	v_readlane_b32 s1, v95, 18
	s_and_b64 s[0:1], s[0:1], vcc
	s_and_saveexec_b64 s[54:55], s[0:1]
	s_cbranch_execz .LBB144_95
; %bb.94:                               ;   in Loop: Header=BB144_13 Depth=1
	v_mul_f32_e32 v18, 0x3fb8aa3b, v79
	v_rndne_f32_e32 v19, v18
	s_mov_b32 s0, 0x3fb8aa3b
	v_sub_f32_e32 v20, v18, v19
	v_fma_f32 v18, v79, s0, -v18
	v_fmac_f32_e32 v18, 0x32a5705f, v79
	v_add_f32_e32 v18, v20, v18
	v_cvt_i32_f32_e32 v19, v19
	v_exp_f32_e32 v18, v18
	s_mov_b32 s0, 0xc2ce8ed0
	v_cmp_ngt_f32_e32 vcc, s0, v79
	s_mov_b32 s0, 0x42b17218
	v_ldexp_f32 v18, v18, v19
	v_cndmask_b32_e32 v18, 0, v18, vcc
	v_cmp_nlt_f32_e32 vcc, s0, v79
	s_mov_b32 s0, 0x3f2aaaab
	s_nop 0
	v_cndmask_b32_e32 v42, v56, v18, vcc
	v_add_f32_e32 v20, 1.0, v42
	v_add_f32_e32 v18, -1.0, v20
	v_sub_f32_e32 v19, v18, v20
	v_add_f32_e32 v19, 1.0, v19
	v_sub_f32_e32 v18, v42, v18
	v_add_f32_e32 v21, v18, v19
	v_frexp_mant_f32_e32 v22, v20
	v_cvt_f64_f32_e32 v[18:19], v20
	v_frexp_exp_i32_f64_e32 v18, v[18:19]
	v_cmp_gt_f32_e32 vcc, s0, v22
	s_mov_b32 s0, 0x3f317218
	s_nop 0
	v_subbrev_co_u32_e32 v22, vcc, 0, v18, vcc
	v_sub_u32_e32 v18, 0, v22
	v_ldexp_f32 v19, v20, v18
	v_add_f32_e32 v20, -1.0, v19
	v_add_f32_e32 v25, 1.0, v19
	v_ldexp_f32 v18, v21, v18
	v_add_f32_e32 v21, 1.0, v20
	v_add_f32_e32 v26, -1.0, v25
	v_sub_f32_e32 v21, v19, v21
	v_sub_f32_e32 v19, v19, v26
	v_add_f32_e32 v21, v18, v21
	v_add_f32_e32 v18, v18, v19
	;; [unrolled: 1-line block ×3, first 2 shown]
	v_rcp_f32_e32 v37, v36
	v_sub_f32_e32 v19, v25, v36
	v_add_f32_e32 v25, v18, v19
	v_add_f32_e32 v19, v20, v21
	v_mul_f32_e32 v39, v19, v37
	v_sub_f32_e32 v18, v20, v19
	v_mul_f32_e32 v20, v36, v39
	v_fma_f32 v26, v39, v36, -v20
	v_fmac_f32_e32 v26, v39, v25
	v_add_f32_e32 v38, v21, v18
	v_add_f32_e32 v18, v20, v26
	v_sub_f32_e32 v21, v19, v18
	v_pk_add_f32 v[34:35], v[18:19], v[20:21] neg_lo:[0,1] neg_hi:[0,1]
	v_mov_b32_e32 v27, v18
	v_pk_add_f32 v[18:19], v[34:35], v[26:27] neg_lo:[0,1] neg_hi:[0,1]
	s_nop 0
	v_add_f32_e32 v19, v38, v19
	v_add_f32_e32 v18, v18, v19
	;; [unrolled: 1-line block ×3, first 2 shown]
	v_mul_f32_e32 v38, v37, v19
	v_mul_f32_e32 v20, v36, v38
	v_fma_f32 v26, v38, v36, -v20
	v_fmac_f32_e32 v26, v38, v25
	v_sub_f32_e32 v21, v21, v19
	v_add_f32_e32 v25, v18, v21
	v_add_f32_e32 v18, v20, v26
	v_sub_f32_e32 v21, v19, v18
	v_pk_add_f32 v[34:35], v[18:19], v[20:21] neg_lo:[0,1] neg_hi:[0,1]
	v_mov_b32_e32 v27, v18
	v_pk_add_f32 v[18:19], v[34:35], v[26:27] neg_lo:[0,1] neg_hi:[0,1]
	scratch_load_dwordx2 v[34:35], off, off offset:196 ; 8-byte Folded Reload
	v_add_f32_e32 v19, v25, v19
	v_add_f32_e32 v18, v18, v19
	;; [unrolled: 1-line block ×4, first 2 shown]
	v_sub_f32_e32 v20, v19, v39
	v_mul_f32_e32 v18, v37, v18
	v_sub_f32_e32 v20, v38, v20
	v_add_f32_e32 v20, v20, v18
	v_add_f32_e32 v25, v19, v20
	v_mul_f32_e32 v26, v25, v25
	v_mov_b32_e32 v18, 0x3ecc95a3
	v_fmamk_f32 v18, v26, 0x3e9b6dac, v18
	s_waitcnt vmcnt(0)
	v_fmaak_f32 v35, v26, v18, 0x3f2aaada
	v_cvt_f32_i32_e32 v18, v22
	v_sub_f32_e32 v19, v25, v19
	v_sub_f32_e32 v19, v20, v19
	v_ldexp_f32 v22, v19, 1
	v_mul_f32_e32 v19, v25, v26
	v_ldexp_f32 v21, v25, 1
	v_mov_b32_e32 v20, v34
	v_pk_mul_f32 v[26:27], v[18:19], v[34:35]
	scratch_store_dwordx2 off, v[20:21], off offset:196 ; 8-byte Folded Spill
	v_fma_f32 v20, v18, s0, -v26
	v_fmac_f32_e32 v20, 0xb102e308, v18
	v_pk_add_f32 v[18:19], v[26:27], v[20:21]
	v_mov_b32_e32 v34, v26
	v_sub_f32_e32 v21, v19, v21
	v_sub_f32_e32 v21, v27, v21
	v_add_f32_e32 v35, v22, v21
	v_pk_add_f32 v[26:27], v[18:19], v[26:27] neg_lo:[0,1] neg_hi:[0,1]
	v_pk_add_f32 v[36:37], v[18:19], v[34:35]
	v_mov_b32_e32 v21, v18
	v_mov_b32_e32 v27, v37
	v_pk_add_f32 v[38:39], v[20:21], v[26:27] neg_lo:[0,1] neg_hi:[0,1]
	v_pk_add_f32 v[20:21], v[20:21], v[26:27]
	s_mov_b32 s0, 0x7f800000
	v_mov_b32_e32 v22, v21
	v_pk_add_f32 v[26:27], v[22:23], v[18:19] neg_lo:[0,1] neg_hi:[0,1]
	v_mov_b32_e32 v20, v37
	v_mov_b32_e32 v25, v26
	v_pk_add_f32 v[40:41], v[36:37], v[24:25] neg_lo:[0,1] neg_hi:[0,1]
	v_mov_b32_e32 v36, v19
	v_mov_b32_e32 v37, v26
	;; [unrolled: 1-line block ×3, first 2 shown]
	v_pk_add_f32 v[20:21], v[20:21], v[36:37] neg_lo:[0,1] neg_hi:[0,1]
	v_mov_b32_e32 v26, v35
	v_mov_b32_e32 v27, v18
	v_pk_add_f32 v[18:19], v[26:27], v[20:21] neg_lo:[0,1] neg_hi:[0,1]
	v_mov_b32_e32 v40, v38
	v_pk_add_f32 v[20:21], v[40:41], v[18:19]
	v_cmp_eq_f32_e32 vcc, s0, v42
	v_mov_b32_e32 v26, v21
	v_pk_add_f32 v[26:27], v[20:21], v[26:27]
	s_mov_b32 s0, 0x33800000
	v_pk_add_f32 v[34:35], v[22:23], v[26:27]
	v_mov_b32_e32 v19, v26
	v_mov_b32_e32 v21, v34
	v_pk_add_f32 v[36:37], v[20:21], v[38:39] neg_lo:[0,1] neg_hi:[0,1]
	v_cmp_gt_f32_e64 s[52:53], s0, v42
	v_sub_f32_e32 v20, v20, v36
	v_pk_add_f32 v[18:19], v[18:19], v[36:37] neg_lo:[0,1] neg_hi:[0,1]
	v_sub_f32_e32 v20, v38, v20
	v_add_f32_e32 v18, v18, v20
	v_add_f32_e32 v18, v18, v19
	;; [unrolled: 1-line block ×3, first 2 shown]
	s_or_b64 vcc, s[52:53], vcc
	v_cndmask_b32_e32 v79, v18, v42, vcc
.LBB144_95:                             ;   in Loop: Header=BB144_13 Depth=1
	s_or_b64 exec, exec, s[54:55]
	s_waitcnt lgkmcnt(2)
	v_add_f32_e32 v81, s56, v32
	s_mov_b32 s0, 0x41a00000
	v_cmp_ge_f32_e32 vcc, s0, v81
	v_readlane_b32 s0, v95, 17
	v_readlane_b32 s1, v95, 18
	s_and_b64 s[0:1], s[0:1], vcc
	s_and_saveexec_b64 s[54:55], s[0:1]
	s_cbranch_execz .LBB144_97
; %bb.96:                               ;   in Loop: Header=BB144_13 Depth=1
	v_mul_f32_e32 v18, 0x3fb8aa3b, v81
	v_rndne_f32_e32 v19, v18
	s_mov_b32 s0, 0x3fb8aa3b
	v_sub_f32_e32 v20, v18, v19
	v_fma_f32 v18, v81, s0, -v18
	v_fmac_f32_e32 v18, 0x32a5705f, v81
	v_add_f32_e32 v18, v20, v18
	v_cvt_i32_f32_e32 v19, v19
	v_exp_f32_e32 v18, v18
	s_mov_b32 s0, 0xc2ce8ed0
	v_cmp_ngt_f32_e32 vcc, s0, v81
	s_mov_b32 s0, 0x42b17218
	v_ldexp_f32 v18, v18, v19
	v_cndmask_b32_e32 v18, 0, v18, vcc
	v_cmp_nlt_f32_e32 vcc, s0, v81
	s_mov_b32 s0, 0x3f2aaaab
	s_nop 0
	v_cndmask_b32_e32 v32, v56, v18, vcc
	v_add_f32_e32 v20, 1.0, v32
	v_add_f32_e32 v18, -1.0, v20
	v_sub_f32_e32 v19, v18, v20
	v_add_f32_e32 v19, 1.0, v19
	v_sub_f32_e32 v18, v32, v18
	v_add_f32_e32 v21, v18, v19
	v_frexp_mant_f32_e32 v22, v20
	v_cvt_f64_f32_e32 v[18:19], v20
	v_frexp_exp_i32_f64_e32 v18, v[18:19]
	v_cmp_gt_f32_e32 vcc, s0, v22
	s_mov_b32 s0, 0x3f317218
	s_nop 0
	v_subbrev_co_u32_e32 v22, vcc, 0, v18, vcc
	v_sub_u32_e32 v18, 0, v22
	v_ldexp_f32 v19, v20, v18
	v_add_f32_e32 v20, -1.0, v19
	v_add_f32_e32 v25, 1.0, v19
	v_ldexp_f32 v18, v21, v18
	v_add_f32_e32 v21, 1.0, v20
	v_add_f32_e32 v26, -1.0, v25
	v_sub_f32_e32 v21, v19, v21
	v_sub_f32_e32 v19, v19, v26
	v_add_f32_e32 v21, v18, v21
	v_add_f32_e32 v18, v18, v19
	;; [unrolled: 1-line block ×3, first 2 shown]
	v_rcp_f32_e32 v37, v36
	v_sub_f32_e32 v19, v25, v36
	v_add_f32_e32 v25, v18, v19
	v_add_f32_e32 v19, v20, v21
	v_mul_f32_e32 v39, v19, v37
	v_sub_f32_e32 v18, v20, v19
	v_mul_f32_e32 v20, v36, v39
	v_fma_f32 v26, v39, v36, -v20
	v_fmac_f32_e32 v26, v39, v25
	v_add_f32_e32 v38, v21, v18
	v_add_f32_e32 v18, v20, v26
	v_sub_f32_e32 v21, v19, v18
	v_pk_add_f32 v[34:35], v[18:19], v[20:21] neg_lo:[0,1] neg_hi:[0,1]
	v_mov_b32_e32 v27, v18
	v_pk_add_f32 v[18:19], v[34:35], v[26:27] neg_lo:[0,1] neg_hi:[0,1]
	s_nop 0
	v_add_f32_e32 v19, v38, v19
	v_add_f32_e32 v18, v18, v19
	;; [unrolled: 1-line block ×3, first 2 shown]
	v_mul_f32_e32 v38, v37, v19
	v_mul_f32_e32 v20, v36, v38
	v_fma_f32 v26, v38, v36, -v20
	v_fmac_f32_e32 v26, v38, v25
	v_sub_f32_e32 v21, v21, v19
	v_add_f32_e32 v25, v18, v21
	v_add_f32_e32 v18, v20, v26
	v_sub_f32_e32 v21, v19, v18
	v_pk_add_f32 v[34:35], v[18:19], v[20:21] neg_lo:[0,1] neg_hi:[0,1]
	v_mov_b32_e32 v27, v18
	v_pk_add_f32 v[18:19], v[34:35], v[26:27] neg_lo:[0,1] neg_hi:[0,1]
	scratch_load_dwordx2 v[34:35], off, off offset:196 ; 8-byte Folded Reload
	v_add_f32_e32 v19, v25, v19
	v_add_f32_e32 v18, v18, v19
	;; [unrolled: 1-line block ×4, first 2 shown]
	v_sub_f32_e32 v20, v19, v39
	v_mul_f32_e32 v18, v37, v18
	v_sub_f32_e32 v20, v38, v20
	v_add_f32_e32 v20, v20, v18
	v_add_f32_e32 v25, v19, v20
	v_mul_f32_e32 v26, v25, v25
	v_mov_b32_e32 v18, 0x3ecc95a3
	v_fmamk_f32 v18, v26, 0x3e9b6dac, v18
	s_waitcnt vmcnt(0)
	v_fmaak_f32 v35, v26, v18, 0x3f2aaada
	v_cvt_f32_i32_e32 v18, v22
	v_sub_f32_e32 v19, v25, v19
	v_sub_f32_e32 v19, v20, v19
	v_ldexp_f32 v22, v19, 1
	v_mul_f32_e32 v19, v25, v26
	v_ldexp_f32 v21, v25, 1
	v_mov_b32_e32 v20, v34
	v_pk_mul_f32 v[26:27], v[18:19], v[34:35]
	scratch_store_dwordx2 off, v[20:21], off offset:196 ; 8-byte Folded Spill
	v_fma_f32 v20, v18, s0, -v26
	v_fmac_f32_e32 v20, 0xb102e308, v18
	v_pk_add_f32 v[18:19], v[26:27], v[20:21]
	v_mov_b32_e32 v34, v26
	v_sub_f32_e32 v21, v19, v21
	v_sub_f32_e32 v21, v27, v21
	v_add_f32_e32 v35, v22, v21
	v_pk_add_f32 v[26:27], v[18:19], v[26:27] neg_lo:[0,1] neg_hi:[0,1]
	v_pk_add_f32 v[36:37], v[18:19], v[34:35]
	v_mov_b32_e32 v21, v18
	v_mov_b32_e32 v27, v37
	v_pk_add_f32 v[38:39], v[20:21], v[26:27] neg_lo:[0,1] neg_hi:[0,1]
	v_pk_add_f32 v[20:21], v[20:21], v[26:27]
	s_mov_b32 s0, 0x7f800000
	v_mov_b32_e32 v22, v21
	v_pk_add_f32 v[26:27], v[22:23], v[18:19] neg_lo:[0,1] neg_hi:[0,1]
	v_mov_b32_e32 v20, v37
	v_mov_b32_e32 v25, v26
	v_pk_add_f32 v[40:41], v[36:37], v[24:25] neg_lo:[0,1] neg_hi:[0,1]
	v_mov_b32_e32 v36, v19
	v_mov_b32_e32 v37, v26
	;; [unrolled: 1-line block ×3, first 2 shown]
	v_pk_add_f32 v[20:21], v[20:21], v[36:37] neg_lo:[0,1] neg_hi:[0,1]
	v_mov_b32_e32 v26, v35
	v_mov_b32_e32 v27, v18
	v_pk_add_f32 v[18:19], v[26:27], v[20:21] neg_lo:[0,1] neg_hi:[0,1]
	v_mov_b32_e32 v40, v38
	v_pk_add_f32 v[20:21], v[40:41], v[18:19]
	v_cmp_eq_f32_e32 vcc, s0, v32
	v_mov_b32_e32 v26, v21
	v_pk_add_f32 v[26:27], v[20:21], v[26:27]
	s_mov_b32 s0, 0x33800000
	v_pk_add_f32 v[34:35], v[22:23], v[26:27]
	v_mov_b32_e32 v19, v26
	v_mov_b32_e32 v21, v34
	v_pk_add_f32 v[36:37], v[20:21], v[38:39] neg_lo:[0,1] neg_hi:[0,1]
	v_cmp_gt_f32_e64 s[52:53], s0, v32
	v_sub_f32_e32 v20, v20, v36
	v_pk_add_f32 v[18:19], v[18:19], v[36:37] neg_lo:[0,1] neg_hi:[0,1]
	v_sub_f32_e32 v20, v38, v20
	v_add_f32_e32 v18, v18, v20
	v_add_f32_e32 v18, v18, v19
	;; [unrolled: 1-line block ×3, first 2 shown]
	s_or_b64 vcc, s[52:53], vcc
	v_cndmask_b32_e32 v81, v18, v32, vcc
.LBB144_97:                             ;   in Loop: Header=BB144_13 Depth=1
	s_or_b64 exec, exec, s[54:55]
	v_add_f32_e32 v20, s56, v33
	s_mov_b32 s0, 0x41a00000
	v_cmp_ge_f32_e32 vcc, s0, v20
	v_readlane_b32 s0, v95, 17
	v_readlane_b32 s1, v95, 18
	s_and_b64 s[0:1], s[0:1], vcc
	s_and_saveexec_b64 s[54:55], s[0:1]
	s_cbranch_execz .LBB144_99
; %bb.98:                               ;   in Loop: Header=BB144_13 Depth=1
	v_mul_f32_e32 v18, 0x3fb8aa3b, v20
	v_rndne_f32_e32 v19, v18
	s_mov_b32 s0, 0x3fb8aa3b
	v_sub_f32_e32 v21, v18, v19
	v_fma_f32 v18, v20, s0, -v18
	v_fmac_f32_e32 v18, 0x32a5705f, v20
	v_add_f32_e32 v18, v21, v18
	v_cvt_i32_f32_e32 v19, v19
	v_exp_f32_e32 v18, v18
	s_mov_b32 s0, 0xc2ce8ed0
	v_cmp_ngt_f32_e32 vcc, s0, v20
	s_mov_b32 s0, 0x42b17218
	v_ldexp_f32 v18, v18, v19
	v_cndmask_b32_e32 v18, 0, v18, vcc
	v_cmp_nlt_f32_e32 vcc, s0, v20
	s_mov_b32 s0, 0x3f2aaaab
	s_nop 0
	v_cndmask_b32_e32 v40, v56, v18, vcc
	v_add_f32_e32 v20, 1.0, v40
	v_add_f32_e32 v18, -1.0, v20
	v_sub_f32_e32 v19, v18, v20
	v_add_f32_e32 v19, 1.0, v19
	v_sub_f32_e32 v18, v40, v18
	v_add_f32_e32 v21, v18, v19
	v_frexp_mant_f32_e32 v22, v20
	v_cvt_f64_f32_e32 v[18:19], v20
	v_frexp_exp_i32_f64_e32 v18, v[18:19]
	v_cmp_gt_f32_e32 vcc, s0, v22
	s_mov_b32 s0, 0x3f317218
	s_nop 0
	v_subbrev_co_u32_e32 v22, vcc, 0, v18, vcc
	v_sub_u32_e32 v18, 0, v22
	v_ldexp_f32 v19, v20, v18
	v_add_f32_e32 v20, -1.0, v19
	v_add_f32_e32 v25, 1.0, v19
	v_ldexp_f32 v18, v21, v18
	v_add_f32_e32 v21, 1.0, v20
	v_add_f32_e32 v26, -1.0, v25
	v_sub_f32_e32 v21, v19, v21
	v_sub_f32_e32 v19, v19, v26
	v_add_f32_e32 v21, v18, v21
	v_add_f32_e32 v18, v18, v19
	;; [unrolled: 1-line block ×3, first 2 shown]
	v_rcp_f32_e32 v35, v34
	v_sub_f32_e32 v19, v25, v34
	v_add_f32_e32 v25, v18, v19
	v_add_f32_e32 v19, v20, v21
	v_mul_f32_e32 v37, v19, v35
	v_sub_f32_e32 v18, v20, v19
	v_mul_f32_e32 v20, v34, v37
	v_fma_f32 v26, v37, v34, -v20
	v_fmac_f32_e32 v26, v37, v25
	v_add_f32_e32 v36, v21, v18
	v_add_f32_e32 v18, v20, v26
	v_sub_f32_e32 v21, v19, v18
	v_pk_add_f32 v[32:33], v[18:19], v[20:21] neg_lo:[0,1] neg_hi:[0,1]
	v_mov_b32_e32 v27, v18
	v_pk_add_f32 v[18:19], v[32:33], v[26:27] neg_lo:[0,1] neg_hi:[0,1]
	s_nop 0
	v_add_f32_e32 v19, v36, v19
	v_add_f32_e32 v18, v18, v19
	;; [unrolled: 1-line block ×3, first 2 shown]
	v_mul_f32_e32 v36, v35, v19
	v_mul_f32_e32 v20, v34, v36
	v_fma_f32 v26, v36, v34, -v20
	v_fmac_f32_e32 v26, v36, v25
	v_sub_f32_e32 v21, v21, v19
	v_add_f32_e32 v25, v18, v21
	v_add_f32_e32 v18, v20, v26
	v_sub_f32_e32 v21, v19, v18
	v_pk_add_f32 v[32:33], v[18:19], v[20:21] neg_lo:[0,1] neg_hi:[0,1]
	v_mov_b32_e32 v27, v18
	v_pk_add_f32 v[18:19], v[32:33], v[26:27] neg_lo:[0,1] neg_hi:[0,1]
	scratch_load_dwordx2 v[32:33], off, off offset:196 ; 8-byte Folded Reload
	v_add_f32_e32 v19, v25, v19
	v_add_f32_e32 v18, v18, v19
	;; [unrolled: 1-line block ×4, first 2 shown]
	v_sub_f32_e32 v20, v19, v37
	v_mul_f32_e32 v18, v35, v18
	v_sub_f32_e32 v20, v36, v20
	v_add_f32_e32 v20, v20, v18
	v_add_f32_e32 v25, v19, v20
	v_mul_f32_e32 v26, v25, v25
	v_mov_b32_e32 v18, 0x3ecc95a3
	v_fmamk_f32 v18, v26, 0x3e9b6dac, v18
	s_waitcnt vmcnt(0)
	v_fmaak_f32 v33, v26, v18, 0x3f2aaada
	v_cvt_f32_i32_e32 v18, v22
	v_sub_f32_e32 v19, v25, v19
	v_sub_f32_e32 v19, v20, v19
	v_ldexp_f32 v22, v19, 1
	v_mul_f32_e32 v19, v25, v26
	v_ldexp_f32 v21, v25, 1
	v_mov_b32_e32 v20, v32
	v_pk_mul_f32 v[26:27], v[18:19], v[32:33]
	scratch_store_dwordx2 off, v[20:21], off offset:196 ; 8-byte Folded Spill
	v_fma_f32 v20, v18, s0, -v26
	v_fmac_f32_e32 v20, 0xb102e308, v18
	v_pk_add_f32 v[18:19], v[26:27], v[20:21]
	v_mov_b32_e32 v32, v26
	v_sub_f32_e32 v21, v19, v21
	v_sub_f32_e32 v21, v27, v21
	v_add_f32_e32 v33, v22, v21
	v_pk_add_f32 v[26:27], v[18:19], v[26:27] neg_lo:[0,1] neg_hi:[0,1]
	v_pk_add_f32 v[34:35], v[18:19], v[32:33]
	v_mov_b32_e32 v21, v18
	v_mov_b32_e32 v27, v35
	v_pk_add_f32 v[36:37], v[20:21], v[26:27] neg_lo:[0,1] neg_hi:[0,1]
	v_pk_add_f32 v[20:21], v[20:21], v[26:27]
	s_mov_b32 s0, 0x7f800000
	v_mov_b32_e32 v22, v21
	v_pk_add_f32 v[26:27], v[22:23], v[18:19] neg_lo:[0,1] neg_hi:[0,1]
	v_mov_b32_e32 v20, v35
	v_mov_b32_e32 v25, v26
	v_pk_add_f32 v[38:39], v[34:35], v[24:25] neg_lo:[0,1] neg_hi:[0,1]
	v_mov_b32_e32 v34, v19
	v_mov_b32_e32 v35, v26
	;; [unrolled: 1-line block ×3, first 2 shown]
	v_pk_add_f32 v[20:21], v[20:21], v[34:35] neg_lo:[0,1] neg_hi:[0,1]
	v_mov_b32_e32 v26, v33
	v_mov_b32_e32 v27, v18
	v_pk_add_f32 v[18:19], v[26:27], v[20:21] neg_lo:[0,1] neg_hi:[0,1]
	v_mov_b32_e32 v38, v36
	v_pk_add_f32 v[20:21], v[38:39], v[18:19]
	v_cmp_eq_f32_e32 vcc, s0, v40
	v_mov_b32_e32 v26, v21
	v_pk_add_f32 v[26:27], v[20:21], v[26:27]
	s_mov_b32 s0, 0x33800000
	v_pk_add_f32 v[32:33], v[22:23], v[26:27]
	v_mov_b32_e32 v19, v26
	v_mov_b32_e32 v21, v32
	v_pk_add_f32 v[34:35], v[20:21], v[36:37] neg_lo:[0,1] neg_hi:[0,1]
	v_cmp_gt_f32_e64 s[52:53], s0, v40
	v_sub_f32_e32 v20, v20, v34
	v_pk_add_f32 v[18:19], v[18:19], v[34:35] neg_lo:[0,1] neg_hi:[0,1]
	v_sub_f32_e32 v20, v36, v20
	v_add_f32_e32 v18, v18, v20
	v_add_f32_e32 v18, v18, v19
	;; [unrolled: 1-line block ×3, first 2 shown]
	s_or_b64 vcc, s[52:53], vcc
	v_cndmask_b32_e32 v20, v18, v40, vcc
.LBB144_99:                             ;   in Loop: Header=BB144_13 Depth=1
	s_or_b64 exec, exec, s[54:55]
	s_waitcnt lgkmcnt(1)
	v_add_f32_e32 v22, s56, v30
	s_mov_b32 s0, 0x41a00000
	v_cmp_ge_f32_e32 vcc, s0, v22
	v_readlane_b32 s0, v95, 17
	v_readlane_b32 s1, v95, 18
	s_and_b64 s[0:1], s[0:1], vcc
	s_and_saveexec_b64 s[54:55], s[0:1]
	s_cbranch_execz .LBB144_101
; %bb.100:                              ;   in Loop: Header=BB144_13 Depth=1
	v_mul_f32_e32 v18, 0x3fb8aa3b, v22
	v_rndne_f32_e32 v19, v18
	s_mov_b32 s0, 0x3fb8aa3b
	v_sub_f32_e32 v21, v18, v19
	v_fma_f32 v18, v22, s0, -v18
	v_fmac_f32_e32 v18, 0x32a5705f, v22
	v_add_f32_e32 v18, v21, v18
	v_cvt_i32_f32_e32 v19, v19
	v_exp_f32_e32 v18, v18
	s_mov_b32 s0, 0xc2ce8ed0
	v_cmp_ngt_f32_e32 vcc, s0, v22
	s_mov_b32 s0, 0x42b17218
	v_ldexp_f32 v18, v18, v19
	v_cndmask_b32_e32 v18, 0, v18, vcc
	v_cmp_nlt_f32_e32 vcc, s0, v22
	s_mov_b32 s0, 0x3f2aaaab
	s_nop 0
	v_cndmask_b32_e32 v25, v56, v18, vcc
	v_add_f32_e32 v21, 1.0, v25
	v_add_f32_e32 v18, -1.0, v21
	v_sub_f32_e32 v19, v18, v21
	v_add_f32_e32 v19, 1.0, v19
	v_sub_f32_e32 v18, v25, v18
	v_add_f32_e32 v22, v18, v19
	v_frexp_mant_f32_e32 v26, v21
	v_cvt_f64_f32_e32 v[18:19], v21
	v_frexp_exp_i32_f64_e32 v18, v[18:19]
	v_cmp_gt_f32_e32 vcc, s0, v26
	s_mov_b32 s0, 0x3f317218
	s_nop 0
	v_subbrev_co_u32_e32 v30, vcc, 0, v18, vcc
	v_sub_u32_e32 v18, 0, v30
	v_ldexp_f32 v19, v21, v18
	v_add_f32_e32 v21, -1.0, v19
	v_add_f32_e32 v26, 1.0, v19
	v_ldexp_f32 v18, v22, v18
	v_add_f32_e32 v22, 1.0, v21
	v_add_f32_e32 v27, -1.0, v26
	v_sub_f32_e32 v22, v19, v22
	v_sub_f32_e32 v19, v19, v27
	v_add_f32_e32 v22, v18, v22
	v_add_f32_e32 v18, v18, v19
	;; [unrolled: 1-line block ×3, first 2 shown]
	v_rcp_f32_e32 v38, v36
	v_sub_f32_e32 v19, v26, v36
	v_add_f32_e32 v37, v18, v19
	v_add_f32_e32 v19, v21, v22
	v_sub_f32_e32 v18, v21, v19
	v_add_f32_e32 v21, v22, v18
	v_mul_f32_e32 v22, v19, v38
	v_mul_f32_e32 v26, v36, v22
	v_fma_f32 v32, v22, v36, -v26
	v_fmac_f32_e32 v32, v22, v37
	v_add_f32_e32 v18, v26, v32
	v_sub_f32_e32 v27, v19, v18
	v_pk_add_f32 v[34:35], v[18:19], v[26:27] neg_lo:[0,1] neg_hi:[0,1]
	v_mov_b32_e32 v33, v18
	v_pk_add_f32 v[18:19], v[34:35], v[32:33] neg_lo:[0,1] neg_hi:[0,1]
	s_nop 0
	v_add_f32_e32 v19, v21, v19
	v_add_f32_e32 v18, v18, v19
	;; [unrolled: 1-line block ×3, first 2 shown]
	v_mul_f32_e32 v21, v38, v19
	v_mul_f32_e32 v26, v36, v21
	v_fma_f32 v32, v21, v36, -v26
	v_fmac_f32_e32 v32, v21, v37
	v_sub_f32_e32 v27, v27, v19
	v_add_f32_e32 v36, v18, v27
	v_add_f32_e32 v18, v26, v32
	v_sub_f32_e32 v27, v19, v18
	v_pk_add_f32 v[34:35], v[18:19], v[26:27] neg_lo:[0,1] neg_hi:[0,1]
	v_mov_b32_e32 v33, v18
	v_pk_add_f32 v[18:19], v[34:35], v[32:33] neg_lo:[0,1] neg_hi:[0,1]
	scratch_load_dwordx2 v[32:33], off, off offset:196 ; 8-byte Folded Reload
	v_add_f32_e32 v19, v36, v19
	v_add_f32_e32 v18, v18, v19
	;; [unrolled: 1-line block ×4, first 2 shown]
	v_sub_f32_e32 v22, v19, v22
	v_mul_f32_e32 v18, v38, v18
	v_sub_f32_e32 v21, v21, v22
	v_add_f32_e32 v21, v21, v18
	v_add_f32_e32 v22, v19, v21
	v_mul_f32_e32 v26, v22, v22
	v_mov_b32_e32 v18, 0x3ecc95a3
	v_fmamk_f32 v18, v26, 0x3e9b6dac, v18
	s_waitcnt vmcnt(0)
	v_fmaak_f32 v33, v26, v18, 0x3f2aaada
	v_cvt_f32_i32_e32 v18, v30
	v_sub_f32_e32 v19, v22, v19
	v_sub_f32_e32 v19, v21, v19
	v_ldexp_f32 v21, v19, 1
	v_mul_f32_e32 v19, v22, v26
	v_ldexp_f32 v27, v22, 1
	v_mov_b32_e32 v22, v32
	v_pk_mul_f32 v[32:33], v[18:19], v[32:33]
	scratch_store_dwordx2 off, v[22:23], off offset:196 ; 8-byte Folded Spill
	v_fma_f32 v26, v18, s0, -v32
	v_fmac_f32_e32 v26, 0xb102e308, v18
	v_pk_add_f32 v[18:19], v[32:33], v[26:27]
	v_mov_b32_e32 v34, v32
	v_sub_f32_e32 v22, v19, v27
	v_sub_f32_e32 v22, v33, v22
	v_add_f32_e32 v35, v21, v22
	v_pk_add_f32 v[32:33], v[18:19], v[32:33] neg_lo:[0,1] neg_hi:[0,1]
	v_pk_add_f32 v[36:37], v[18:19], v[34:35]
	v_mov_b32_e32 v27, v18
	v_mov_b32_e32 v33, v37
	v_pk_add_f32 v[38:39], v[26:27], v[32:33] neg_lo:[0,1] neg_hi:[0,1]
	v_pk_add_f32 v[26:27], v[26:27], v[32:33]
	s_mov_b32 s0, 0x7f800000
	v_mov_b32_e32 v22, v27
	v_pk_add_f32 v[32:33], v[22:23], v[18:19] neg_lo:[0,1] neg_hi:[0,1]
	v_mov_b32_e32 v26, v37
	v_mov_b32_e32 v21, v32
	v_pk_add_f32 v[40:41], v[36:37], v[20:21] neg_lo:[0,1] neg_hi:[0,1]
	v_mov_b32_e32 v36, v19
	v_mov_b32_e32 v37, v32
	;; [unrolled: 1-line block ×3, first 2 shown]
	v_pk_add_f32 v[26:27], v[26:27], v[36:37] neg_lo:[0,1] neg_hi:[0,1]
	v_mov_b32_e32 v32, v35
	v_mov_b32_e32 v33, v18
	v_pk_add_f32 v[18:19], v[32:33], v[26:27] neg_lo:[0,1] neg_hi:[0,1]
	v_mov_b32_e32 v40, v38
	v_pk_add_f32 v[26:27], v[40:41], v[18:19]
	v_cmp_eq_f32_e32 vcc, s0, v25
	v_mov_b32_e32 v30, v27
	v_pk_add_f32 v[32:33], v[26:27], v[30:31]
	s_mov_b32 s0, 0x33800000
	v_pk_add_f32 v[34:35], v[22:23], v[32:33]
	v_mov_b32_e32 v19, v32
	v_mov_b32_e32 v27, v34
	v_pk_add_f32 v[36:37], v[26:27], v[38:39] neg_lo:[0,1] neg_hi:[0,1]
	v_cmp_gt_f32_e64 s[52:53], s0, v25
	v_sub_f32_e32 v21, v26, v36
	v_pk_add_f32 v[18:19], v[18:19], v[36:37] neg_lo:[0,1] neg_hi:[0,1]
	v_sub_f32_e32 v21, v38, v21
	v_add_f32_e32 v18, v18, v21
	v_add_f32_e32 v18, v18, v19
	;; [unrolled: 1-line block ×3, first 2 shown]
	s_or_b64 vcc, s[52:53], vcc
	v_cndmask_b32_e32 v22, v18, v25, vcc
.LBB144_101:                            ;   in Loop: Header=BB144_13 Depth=1
	s_or_b64 exec, exec, s[54:55]
	v_add_f32_e32 v18, s56, v31
	s_mov_b32 s0, 0x41a00000
	v_cmp_ge_f32_e32 vcc, s0, v18
	v_readlane_b32 s0, v95, 17
	v_readlane_b32 s1, v95, 18
	s_and_b64 s[0:1], s[0:1], vcc
	s_and_saveexec_b64 s[54:55], s[0:1]
	s_cbranch_execz .LBB144_103
; %bb.102:                              ;   in Loop: Header=BB144_13 Depth=1
	v_mul_f32_e32 v19, 0x3fb8aa3b, v18
	v_rndne_f32_e32 v21, v19
	s_mov_b32 s0, 0x3fb8aa3b
	v_sub_f32_e32 v25, v19, v21
	v_fma_f32 v19, v18, s0, -v19
	v_fmac_f32_e32 v19, 0x32a5705f, v18
	v_add_f32_e32 v19, v25, v19
	v_cvt_i32_f32_e32 v21, v21
	v_exp_f32_e32 v19, v19
	s_mov_b32 s0, 0xc2ce8ed0
	v_cmp_ngt_f32_e32 vcc, s0, v18
	s_mov_b32 s0, 0x42b17218
	v_ldexp_f32 v19, v19, v21
	v_cndmask_b32_e32 v19, 0, v19, vcc
	v_cmp_nlt_f32_e32 vcc, s0, v18
	s_mov_b32 s0, 0x3f2aaaab
	s_nop 0
	v_cndmask_b32_e32 v25, v56, v19, vcc
	v_add_f32_e32 v21, 1.0, v25
	v_add_f32_e32 v18, -1.0, v21
	v_sub_f32_e32 v19, v18, v21
	v_add_f32_e32 v19, 1.0, v19
	v_sub_f32_e32 v18, v25, v18
	v_add_f32_e32 v26, v18, v19
	v_frexp_mant_f32_e32 v27, v21
	v_cvt_f64_f32_e32 v[18:19], v21
	v_frexp_exp_i32_f64_e32 v18, v[18:19]
	v_cmp_gt_f32_e32 vcc, s0, v27
	s_mov_b32 s0, 0x3f317218
	s_nop 0
	v_subbrev_co_u32_e32 v34, vcc, 0, v18, vcc
	v_sub_u32_e32 v18, 0, v34
	v_ldexp_f32 v19, v21, v18
	v_add_f32_e32 v21, -1.0, v19
	v_add_f32_e32 v27, 1.0, v19
	v_ldexp_f32 v18, v26, v18
	v_add_f32_e32 v26, 1.0, v21
	v_add_f32_e32 v30, -1.0, v27
	v_sub_f32_e32 v26, v19, v26
	v_sub_f32_e32 v19, v19, v30
	v_add_f32_e32 v26, v18, v26
	v_add_f32_e32 v18, v18, v19
	;; [unrolled: 1-line block ×3, first 2 shown]
	v_rcp_f32_e32 v37, v35
	v_sub_f32_e32 v19, v27, v35
	v_add_f32_e32 v36, v18, v19
	v_add_f32_e32 v19, v21, v26
	v_sub_f32_e32 v18, v21, v19
	v_mul_f32_e32 v38, v19, v37
	v_add_f32_e32 v21, v26, v18
	v_mul_f32_e32 v26, v35, v38
	v_fma_f32 v30, v38, v35, -v26
	v_fmac_f32_e32 v30, v38, v36
	v_add_f32_e32 v18, v26, v30
	v_sub_f32_e32 v27, v19, v18
	v_pk_add_f32 v[32:33], v[18:19], v[26:27] neg_lo:[0,1] neg_hi:[0,1]
	v_mov_b32_e32 v31, v18
	v_pk_add_f32 v[18:19], v[32:33], v[30:31] neg_lo:[0,1] neg_hi:[0,1]
	s_nop 0
	v_add_f32_e32 v19, v21, v19
	v_add_f32_e32 v18, v18, v19
	v_add_f32_e32 v19, v27, v18
	v_mul_f32_e32 v21, v37, v19
	v_mul_f32_e32 v26, v35, v21
	v_fma_f32 v30, v21, v35, -v26
	v_fmac_f32_e32 v30, v21, v36
	v_sub_f32_e32 v27, v27, v19
	v_add_f32_e32 v35, v18, v27
	v_add_f32_e32 v18, v26, v30
	v_sub_f32_e32 v27, v19, v18
	v_pk_add_f32 v[32:33], v[18:19], v[26:27] neg_lo:[0,1] neg_hi:[0,1]
	v_mov_b32_e32 v31, v18
	v_pk_add_f32 v[18:19], v[32:33], v[30:31] neg_lo:[0,1] neg_hi:[0,1]
	scratch_load_dwordx2 v[32:33], off, off offset:196 ; 8-byte Folded Reload
	v_add_f32_e32 v19, v35, v19
	v_add_f32_e32 v18, v18, v19
	;; [unrolled: 1-line block ×4, first 2 shown]
	v_sub_f32_e32 v26, v19, v38
	v_mul_f32_e32 v18, v37, v18
	v_sub_f32_e32 v21, v21, v26
	v_add_f32_e32 v21, v21, v18
	v_add_f32_e32 v26, v19, v21
	v_mul_f32_e32 v30, v26, v26
	v_mov_b32_e32 v18, 0x3ecc95a3
	v_fmamk_f32 v18, v30, 0x3e9b6dac, v18
	s_waitcnt vmcnt(0)
	v_fmaak_f32 v33, v30, v18, 0x3f2aaada
	v_cvt_f32_i32_e32 v18, v34
	v_sub_f32_e32 v19, v26, v19
	v_sub_f32_e32 v19, v21, v19
	v_ldexp_f32 v21, v19, 1
	v_mul_f32_e32 v19, v26, v30
	v_ldexp_f32 v27, v26, 1
	v_pk_mul_f32 v[30:31], v[18:19], v[32:33]
	s_nop 0
	v_fma_f32 v26, v18, s0, -v30
	v_fmac_f32_e32 v26, 0xb102e308, v18
	v_pk_add_f32 v[18:19], v[30:31], v[26:27]
	v_mov_b32_e32 v24, v32
	v_sub_f32_e32 v27, v19, v27
	v_sub_f32_e32 v27, v31, v27
	v_add_f32_e32 v33, v21, v27
	v_mov_b32_e32 v32, v30
	v_pk_add_f32 v[30:31], v[18:19], v[30:31] neg_lo:[0,1] neg_hi:[0,1]
	v_pk_add_f32 v[34:35], v[18:19], v[32:33]
	v_mov_b32_e32 v27, v18
	v_mov_b32_e32 v31, v35
	v_pk_add_f32 v[36:37], v[26:27], v[30:31] neg_lo:[0,1] neg_hi:[0,1]
	v_pk_add_f32 v[26:27], v[26:27], v[30:31]
	v_mov_b32_e32 v32, v33
	v_mov_b32_e32 v30, v27
	v_pk_add_f32 v[38:39], v[30:31], v[18:19] neg_lo:[0,1] neg_hi:[0,1]
	v_mov_b32_e32 v26, v35
	v_mov_b32_e32 v21, v38
	v_pk_add_f32 v[40:41], v[34:35], v[20:21] neg_lo:[0,1] neg_hi:[0,1]
	v_mov_b32_e32 v34, v19
	v_mov_b32_e32 v35, v38
	;; [unrolled: 1-line block ×3, first 2 shown]
	v_pk_add_f32 v[26:27], v[26:27], v[34:35] neg_lo:[0,1] neg_hi:[0,1]
	v_mov_b32_e32 v33, v18
	v_pk_add_f32 v[18:19], v[32:33], v[26:27] neg_lo:[0,1] neg_hi:[0,1]
	v_mov_b32_e32 v40, v36
	v_pk_add_f32 v[26:27], v[40:41], v[18:19]
	s_mov_b32 s0, 0x7f800000
	v_mov_b32_e32 v32, v27
	v_pk_add_f32 v[32:33], v[26:27], v[32:33]
	v_cmp_eq_f32_e32 vcc, s0, v25
	v_pk_add_f32 v[30:31], v[30:31], v[32:33]
	v_mov_b32_e32 v19, v32
	v_mov_b32_e32 v27, v30
	v_pk_add_f32 v[34:35], v[26:27], v[36:37] neg_lo:[0,1] neg_hi:[0,1]
	s_mov_b32 s0, 0x33800000
	v_sub_f32_e32 v21, v26, v34
	v_pk_add_f32 v[18:19], v[18:19], v[34:35] neg_lo:[0,1] neg_hi:[0,1]
	v_sub_f32_e32 v21, v36, v21
	v_add_f32_e32 v18, v18, v21
	v_add_f32_e32 v18, v18, v19
	v_cmp_gt_f32_e64 s[52:53], s0, v25
	v_add_f32_e32 v18, v30, v18
	s_or_b64 vcc, s[52:53], vcc
	v_cndmask_b32_e32 v18, v18, v25, vcc
	scratch_store_dwordx2 off, v[24:25], off offset:196 ; 8-byte Folded Spill
.LBB144_103:                            ;   in Loop: Header=BB144_13 Depth=1
	s_or_b64 exec, exec, s[54:55]
	s_waitcnt lgkmcnt(0)
	v_add_f32_e32 v82, s56, v28
	s_mov_b32 s0, 0x41a00000
	v_cmp_ge_f32_e32 vcc, s0, v82
	v_readlane_b32 s0, v95, 17
	v_readlane_b32 s1, v95, 18
	s_and_b64 s[0:1], s[0:1], vcc
	s_and_saveexec_b64 s[54:55], s[0:1]
	s_cbranch_execz .LBB144_105
; %bb.104:                              ;   in Loop: Header=BB144_13 Depth=1
	v_mul_f32_e32 v19, 0x3fb8aa3b, v82
	v_rndne_f32_e32 v21, v19
	s_mov_b32 s0, 0x3fb8aa3b
	v_sub_f32_e32 v25, v19, v21
	v_fma_f32 v19, v82, s0, -v19
	v_fmac_f32_e32 v19, 0x32a5705f, v82
	v_add_f32_e32 v19, v25, v19
	v_cvt_i32_f32_e32 v21, v21
	v_exp_f32_e32 v19, v19
	s_mov_b32 s0, 0xc2ce8ed0
	v_cmp_ngt_f32_e32 vcc, s0, v82
	s_mov_b32 s0, 0x42b17218
	v_ldexp_f32 v19, v19, v21
	v_cndmask_b32_e32 v19, 0, v19, vcc
	v_cmp_nlt_f32_e32 vcc, s0, v82
	s_mov_b32 s0, 0x3f2aaaab
	v_mov_b32_e32 v24, 0x3ecc95a3
	v_cndmask_b32_e32 v21, v56, v19, vcc
	v_add_f32_e32 v19, 1.0, v21
	v_add_f32_e32 v25, -1.0, v19
	v_sub_f32_e32 v26, v25, v19
	v_add_f32_e32 v26, 1.0, v26
	v_sub_f32_e32 v25, v21, v25
	v_add_f32_e32 v25, v25, v26
	v_frexp_mant_f32_e32 v28, v19
	v_cvt_f64_f32_e32 v[26:27], v19
	v_frexp_exp_i32_f64_e32 v26, v[26:27]
	v_cmp_gt_f32_e32 vcc, s0, v28
	s_mov_b32 s0, 0x3f317218
	s_nop 0
	v_subbrev_co_u32_e32 v28, vcc, 0, v26, vcc
	v_sub_u32_e32 v26, 0, v28
	v_ldexp_f32 v19, v19, v26
	v_ldexp_f32 v25, v25, v26
	v_add_f32_e32 v26, -1.0, v19
	v_add_f32_e32 v27, 1.0, v26
	v_sub_f32_e32 v27, v19, v27
	v_add_f32_e32 v30, v25, v27
	v_add_f32_e32 v27, 1.0, v19
	v_add_f32_e32 v31, -1.0, v27
	v_sub_f32_e32 v19, v19, v31
	v_add_f32_e32 v19, v25, v19
	v_add_f32_e32 v25, v27, v19
	v_rcp_f32_e32 v36, v25
	v_sub_f32_e32 v27, v27, v25
	v_add_f32_e32 v19, v19, v27
	v_add_f32_e32 v27, v26, v30
	v_sub_f32_e32 v26, v26, v27
	v_mul_f32_e32 v38, v27, v36
	v_add_f32_e32 v37, v30, v26
	v_mul_f32_e32 v30, v25, v38
	v_fma_f32 v32, v38, v25, -v30
	v_fmac_f32_e32 v32, v38, v19
	v_add_f32_e32 v26, v30, v32
	v_sub_f32_e32 v31, v27, v26
	v_pk_add_f32 v[34:35], v[26:27], v[30:31] neg_lo:[0,1] neg_hi:[0,1]
	v_mov_b32_e32 v33, v26
	v_pk_add_f32 v[26:27], v[34:35], v[32:33] neg_lo:[0,1] neg_hi:[0,1]
	s_nop 0
	v_add_f32_e32 v27, v37, v27
	v_add_f32_e32 v26, v26, v27
	;; [unrolled: 1-line block ×3, first 2 shown]
	v_mul_f32_e32 v37, v36, v27
	v_mul_f32_e32 v30, v25, v37
	v_fma_f32 v32, v37, v25, -v30
	v_fmac_f32_e32 v32, v37, v19
	v_sub_f32_e32 v19, v31, v27
	v_add_f32_e32 v19, v26, v19
	v_add_f32_e32 v26, v30, v32
	v_sub_f32_e32 v31, v27, v26
	v_pk_add_f32 v[34:35], v[26:27], v[30:31] neg_lo:[0,1] neg_hi:[0,1]
	v_mov_b32_e32 v33, v26
	v_pk_add_f32 v[26:27], v[34:35], v[32:33] neg_lo:[0,1] neg_hi:[0,1]
	scratch_load_dwordx2 v[32:33], off, off offset:196 ; 8-byte Folded Reload
	v_add_f32_e32 v19, v19, v27
	v_add_f32_e32 v19, v26, v19
	;; [unrolled: 1-line block ×4, first 2 shown]
	v_sub_f32_e32 v26, v25, v38
	v_mul_f32_e32 v19, v36, v19
	v_sub_f32_e32 v26, v37, v26
	v_add_f32_e32 v19, v26, v19
	v_add_f32_e32 v27, v25, v19
	v_mul_f32_e32 v30, v27, v27
	v_fmamk_f32 v26, v30, 0x3e9b6dac, v24
	s_waitcnt vmcnt(0)
	v_fmaak_f32 v33, v30, v26, 0x3f2aaada
	v_cvt_f32_i32_e32 v26, v28
	v_sub_f32_e32 v25, v27, v25
	v_ldexp_f32 v31, v27, 1
	v_mul_f32_e32 v27, v27, v30
	v_sub_f32_e32 v19, v19, v25
	v_ldexp_f32 v19, v19, 1
	v_mov_b32_e32 v24, v32
	v_pk_mul_f32 v[32:33], v[26:27], v[32:33]
	scratch_store_dwordx2 off, v[24:25], off offset:196 ; 8-byte Folded Spill
	v_fma_f32 v30, v26, s0, -v32
	v_fmac_f32_e32 v30, 0xb102e308, v26
	v_pk_add_f32 v[26:27], v[32:33], v[30:31]
	v_mov_b32_e32 v34, v32
	v_sub_f32_e32 v25, v27, v31
	v_sub_f32_e32 v25, v33, v25
	v_add_f32_e32 v35, v19, v25
	v_pk_add_f32 v[32:33], v[26:27], v[32:33] neg_lo:[0,1] neg_hi:[0,1]
	v_pk_add_f32 v[36:37], v[26:27], v[34:35]
	v_mov_b32_e32 v31, v26
	v_mov_b32_e32 v33, v37
	v_pk_add_f32 v[38:39], v[30:31], v[32:33] neg_lo:[0,1] neg_hi:[0,1]
	v_pk_add_f32 v[30:31], v[30:31], v[32:33]
	s_mov_b32 s0, 0x7f800000
	v_mov_b32_e32 v28, v31
	v_pk_add_f32 v[32:33], v[28:29], v[26:27] neg_lo:[0,1] neg_hi:[0,1]
	v_mov_b32_e32 v30, v37
	v_mov_b32_e32 v19, v32
	v_pk_add_f32 v[40:41], v[36:37], v[18:19] neg_lo:[0,1] neg_hi:[0,1]
	v_mov_b32_e32 v36, v27
	v_mov_b32_e32 v37, v32
	;; [unrolled: 1-line block ×3, first 2 shown]
	v_pk_add_f32 v[30:31], v[30:31], v[36:37] neg_lo:[0,1] neg_hi:[0,1]
	v_mov_b32_e32 v32, v35
	v_mov_b32_e32 v33, v26
	v_pk_add_f32 v[26:27], v[32:33], v[30:31] neg_lo:[0,1] neg_hi:[0,1]
	v_mov_b32_e32 v40, v38
	v_pk_add_f32 v[30:31], v[40:41], v[26:27]
	v_cmp_eq_f32_e32 vcc, s0, v21
	v_mov_b32_e32 v32, v31
	v_pk_add_f32 v[32:33], v[30:31], v[32:33]
	s_mov_b32 s0, 0x33800000
	v_pk_add_f32 v[34:35], v[28:29], v[32:33]
	v_mov_b32_e32 v27, v32
	v_mov_b32_e32 v31, v34
	v_pk_add_f32 v[36:37], v[30:31], v[38:39] neg_lo:[0,1] neg_hi:[0,1]
	v_cmp_gt_f32_e64 s[52:53], s0, v21
	v_sub_f32_e32 v19, v30, v36
	v_pk_add_f32 v[26:27], v[26:27], v[36:37] neg_lo:[0,1] neg_hi:[0,1]
	v_sub_f32_e32 v19, v38, v19
	v_add_f32_e32 v19, v26, v19
	v_add_f32_e32 v19, v19, v27
	;; [unrolled: 1-line block ×3, first 2 shown]
	s_or_b64 vcc, s[52:53], vcc
	v_cndmask_b32_e32 v82, v19, v21, vcc
.LBB144_105:                            ;   in Loop: Header=BB144_13 Depth=1
	s_or_b64 exec, exec, s[54:55]
	v_add_f32_e32 v27, s56, v29
	s_mov_b32 s0, 0x41a00000
	v_cmp_ge_f32_e32 vcc, s0, v27
	v_readlane_b32 s0, v95, 17
	v_readlane_b32 s1, v95, 18
	s_and_b64 s[0:1], s[0:1], vcc
	s_and_saveexec_b64 s[54:55], s[0:1]
	s_cbranch_execz .LBB144_107
; %bb.106:                              ;   in Loop: Header=BB144_13 Depth=1
	v_mul_f32_e32 v19, 0x3fb8aa3b, v27
	v_rndne_f32_e32 v21, v19
	s_mov_b32 s0, 0x3fb8aa3b
	v_sub_f32_e32 v25, v19, v21
	v_fma_f32 v19, v27, s0, -v19
	v_fmac_f32_e32 v19, 0x32a5705f, v27
	v_add_f32_e32 v19, v25, v19
	v_cvt_i32_f32_e32 v21, v21
	v_exp_f32_e32 v19, v19
	s_mov_b32 s0, 0xc2ce8ed0
	v_cmp_ngt_f32_e32 vcc, s0, v27
	s_mov_b32 s0, 0x42b17218
	v_ldexp_f32 v19, v19, v21
	v_cndmask_b32_e32 v19, 0, v19, vcc
	v_cmp_nlt_f32_e32 vcc, s0, v27
	s_mov_b32 s0, 0x3f2aaaab
	v_mov_b32_e32 v24, 0x3ecc95a3
	v_cndmask_b32_e32 v21, v56, v19, vcc
	v_add_f32_e32 v19, 1.0, v21
	v_add_f32_e32 v25, -1.0, v19
	v_sub_f32_e32 v26, v25, v19
	v_add_f32_e32 v26, 1.0, v26
	v_sub_f32_e32 v25, v21, v25
	v_add_f32_e32 v25, v25, v26
	v_frexp_mant_f32_e32 v28, v19
	v_cvt_f64_f32_e32 v[26:27], v19
	v_frexp_exp_i32_f64_e32 v26, v[26:27]
	v_cmp_gt_f32_e32 vcc, s0, v28
	s_mov_b32 s0, 0x3f317218
	s_nop 0
	v_subbrev_co_u32_e32 v34, vcc, 0, v26, vcc
	v_sub_u32_e32 v26, 0, v34
	v_ldexp_f32 v19, v19, v26
	v_ldexp_f32 v25, v25, v26
	v_add_f32_e32 v26, -1.0, v19
	v_add_f32_e32 v27, 1.0, v26
	v_sub_f32_e32 v27, v19, v27
	v_add_f32_e32 v28, v25, v27
	v_add_f32_e32 v27, 1.0, v19
	v_add_f32_e32 v29, -1.0, v27
	v_sub_f32_e32 v19, v19, v29
	v_add_f32_e32 v19, v25, v19
	v_add_f32_e32 v25, v27, v19
	v_rcp_f32_e32 v35, v25
	v_sub_f32_e32 v27, v27, v25
	v_add_f32_e32 v19, v19, v27
	v_add_f32_e32 v27, v26, v28
	v_sub_f32_e32 v26, v26, v27
	v_mul_f32_e32 v37, v27, v35
	v_add_f32_e32 v36, v28, v26
	v_mul_f32_e32 v28, v25, v37
	v_fma_f32 v30, v37, v25, -v28
	v_fmac_f32_e32 v30, v37, v19
	v_add_f32_e32 v26, v28, v30
	v_sub_f32_e32 v29, v27, v26
	v_pk_add_f32 v[32:33], v[26:27], v[28:29] neg_lo:[0,1] neg_hi:[0,1]
	v_mov_b32_e32 v31, v26
	v_pk_add_f32 v[26:27], v[32:33], v[30:31] neg_lo:[0,1] neg_hi:[0,1]
	s_nop 0
	v_add_f32_e32 v27, v36, v27
	v_add_f32_e32 v26, v26, v27
	;; [unrolled: 1-line block ×3, first 2 shown]
	v_mul_f32_e32 v36, v35, v27
	v_mul_f32_e32 v28, v25, v36
	v_fma_f32 v30, v36, v25, -v28
	v_fmac_f32_e32 v30, v36, v19
	v_sub_f32_e32 v19, v29, v27
	v_add_f32_e32 v19, v26, v19
	v_add_f32_e32 v26, v28, v30
	v_sub_f32_e32 v29, v27, v26
	v_pk_add_f32 v[32:33], v[26:27], v[28:29] neg_lo:[0,1] neg_hi:[0,1]
	v_mov_b32_e32 v31, v26
	v_pk_add_f32 v[26:27], v[32:33], v[30:31] neg_lo:[0,1] neg_hi:[0,1]
	scratch_load_dwordx2 v[30:31], off, off offset:196 ; 8-byte Folded Reload
	v_add_f32_e32 v19, v19, v27
	v_add_f32_e32 v19, v26, v19
	;; [unrolled: 1-line block ×4, first 2 shown]
	v_sub_f32_e32 v26, v25, v37
	v_mul_f32_e32 v19, v35, v19
	v_sub_f32_e32 v26, v36, v26
	v_add_f32_e32 v19, v26, v19
	v_add_f32_e32 v27, v25, v19
	v_mul_f32_e32 v28, v27, v27
	v_fmamk_f32 v26, v28, 0x3e9b6dac, v24
	s_waitcnt vmcnt(0)
	v_fmaak_f32 v31, v28, v26, 0x3f2aaada
	v_cvt_f32_i32_e32 v26, v34
	v_sub_f32_e32 v25, v27, v25
	v_ldexp_f32 v29, v27, 1
	v_mul_f32_e32 v27, v27, v28
	v_sub_f32_e32 v19, v19, v25
	v_ldexp_f32 v19, v19, 1
	v_mov_b32_e32 v24, v30
	v_pk_mul_f32 v[30:31], v[26:27], v[30:31]
	scratch_store_dwordx2 off, v[24:25], off offset:196 ; 8-byte Folded Spill
	v_fma_f32 v28, v26, s0, -v30
	v_fmac_f32_e32 v28, 0xb102e308, v26
	v_pk_add_f32 v[26:27], v[30:31], v[28:29]
	v_mov_b32_e32 v32, v30
	v_sub_f32_e32 v25, v27, v29
	v_sub_f32_e32 v25, v31, v25
	v_add_f32_e32 v33, v19, v25
	v_pk_add_f32 v[30:31], v[26:27], v[30:31] neg_lo:[0,1] neg_hi:[0,1]
	v_pk_add_f32 v[34:35], v[26:27], v[32:33]
	v_mov_b32_e32 v29, v26
	v_mov_b32_e32 v31, v35
	v_pk_add_f32 v[36:37], v[28:29], v[30:31] neg_lo:[0,1] neg_hi:[0,1]
	v_pk_add_f32 v[28:29], v[28:29], v[30:31]
	v_mov_b32_e32 v32, v33
	v_mov_b32_e32 v30, v29
	v_pk_add_f32 v[38:39], v[30:31], v[26:27] neg_lo:[0,1] neg_hi:[0,1]
	v_mov_b32_e32 v28, v35
	v_mov_b32_e32 v19, v38
	v_pk_add_f32 v[40:41], v[34:35], v[18:19] neg_lo:[0,1] neg_hi:[0,1]
	v_mov_b32_e32 v34, v27
	v_mov_b32_e32 v35, v38
	;; [unrolled: 1-line block ×3, first 2 shown]
	v_pk_add_f32 v[28:29], v[28:29], v[34:35] neg_lo:[0,1] neg_hi:[0,1]
	v_mov_b32_e32 v33, v26
	v_pk_add_f32 v[26:27], v[32:33], v[28:29] neg_lo:[0,1] neg_hi:[0,1]
	v_mov_b32_e32 v40, v36
	v_pk_add_f32 v[28:29], v[40:41], v[26:27]
	s_mov_b32 s0, 0x7f800000
	v_mov_b32_e32 v32, v29
	v_pk_add_f32 v[32:33], v[28:29], v[32:33]
	v_cmp_eq_f32_e32 vcc, s0, v21
	v_pk_add_f32 v[30:31], v[30:31], v[32:33]
	v_mov_b32_e32 v27, v32
	v_mov_b32_e32 v29, v30
	v_pk_add_f32 v[34:35], v[28:29], v[36:37] neg_lo:[0,1] neg_hi:[0,1]
	s_mov_b32 s0, 0x33800000
	v_sub_f32_e32 v19, v28, v34
	v_pk_add_f32 v[26:27], v[26:27], v[34:35] neg_lo:[0,1] neg_hi:[0,1]
	v_sub_f32_e32 v19, v36, v19
	v_add_f32_e32 v19, v26, v19
	v_add_f32_e32 v19, v19, v27
	v_cmp_gt_f32_e64 s[52:53], s0, v21
	v_add_f32_e32 v19, v30, v19
	s_or_b64 vcc, s[52:53], vcc
	v_cndmask_b32_e32 v27, v19, v21, vcc
.LBB144_107:                            ;   in Loop: Header=BB144_13 Depth=1
	s_or_b64 exec, exec, s[54:55]
	v_readlane_b32 s0, v95, 2
	s_waitcnt lgkmcnt(0)
	; wave barrier
	s_nop 0
	v_mul_f32_e32 v28, s0, v16
	v_mul_f32_e32 v31, s0, v15
	;; [unrolled: 1-line block ×16, first 2 shown]
	v_readlane_b32 s0, v95, 20
	v_readlane_b32 s1, v95, 21
	s_and_b64 vcc, exec, s[0:1]
	s_cbranch_vccz .LBB144_200
; %bb.108:                              ;   in Loop: Header=BB144_13 Depth=1
	v_writelane_b32 v95, s58, 52
	s_cmp_lg_u32 s7, 0
	s_cselect_b64 s[86:87], -1, 0
	v_writelane_b32 v95, s59, 53
	v_lshl_add_u64 v[44:45], s[58:59], 0, v[0:1]
	v_writelane_b32 v95, s8, 54
	s_mov_b32 s84, 0
	v_mul_f32_e32 v17, v17, v27
	v_lshl_add_u64 v[46:47], s[8:9], 0, v[0:1]
	v_mul_f32_e32 v0, v16, v82
	scratch_store_dword off, v0, off offset:68 ; 4-byte Folded Spill
	v_mul_f32_e32 v0, v15, v18
	scratch_store_dword off, v0, off offset:72 ; 4-byte Folded Spill
	;; [unrolled: 2-line block ×15, first 2 shown]
	scratch_load_dword v0, off, off offset:296 ; 4-byte Folded Reload
	v_writelane_b32 v95, s9, 55
	s_mov_b32 s90, s84
	v_readlane_b32 s0, v95, 26
	v_writelane_b32 v95, s7, 56
	s_cmp_eq_u32 s7, s0
	v_readlane_b32 s0, v95, 23
	v_readlane_b32 s1, v95, 24
	s_cselect_b64 s[88:89], -1, 0
	s_mov_b32 s92, s84
	s_mov_b32 s94, s84
	scratch_store_dword off, v17, off offset:64 ; 4-byte Folded Spill
	s_waitcnt vmcnt(1)
	v_cmp_gt_u32_e32 vcc, s82, v0
	scratch_load_dword v0, off, off offset:300 ; 4-byte Folded Reload
	s_or_b64 s[52:53], s[0:1], vcc
	s_waitcnt vmcnt(0)
	v_cmp_gt_u32_e32 vcc, s82, v0
	scratch_load_dword v0, off, off offset:304 ; 4-byte Folded Reload
	s_or_b64 s[54:55], s[0:1], vcc
	;; [unrolled: 4-line block ×15, first 2 shown]
	s_waitcnt vmcnt(0)
	v_cmp_gt_u32_e32 vcc, s82, v0
	s_or_b64 s[82:83], s[0:1], vcc
	v_readlane_b32 s0, v95, 19
	v_readlane_b32 s1, v95, 46
	s_branch .LBB144_110
.LBB144_109:                            ;   in Loop: Header=BB144_110 Depth=2
	s_or_b64 exec, exec, s[96:97]
	v_mul_f32_e32 v21, v19, v21
	v_fma_f32 v24, v19, v25, v50
	v_cndmask_b32_e64 v50, v24, v50, s[14:15]
	v_cndmask_b32_e64 v19, v21, v19, s[14:15]
	s_waitcnt lgkmcnt(0)
	v_fmac_f32_e32 v50, v66, v19
	v_fmac_f32_e32 v51, v50, v26
	;; [unrolled: 1-line block ×11, first 2 shown]
	v_readlane_b32 s4, v95, 35
	v_fmac_f32_e32 v61, v60, v91
	s_add_i32 s94, s94, s4
	v_readlane_b32 s4, v95, 27
	v_fmac_f32_e32 v56, v61, v92
	v_readlane_b32 s5, v95, 28
	v_readlane_b32 s6, v95, 29
	;; [unrolled: 1-line block ×7, first 2 shown]
	v_fmac_f32_e32 v57, v56, v93
	s_add_i32 s92, s92, s4
	v_readlane_b32 s4, v95, 7
	v_fmac_f32_e32 v48, v57, v80
	v_readlane_b32 s5, v95, 8
	v_readlane_b32 s8, v95, 11
	v_fmac_f32_e32 v49, v48, v94
	s_add_i32 s1, s1, 8
	s_add_i32 s0, s0, -1
	s_add_i32 s90, s90, s8
	s_add_i32 s84, s84, s5
	v_pk_fma_f32 v[42:43], v[16:17], v[50:51], v[42:43]
	v_pk_fma_f32 v[40:41], v[14:15], v[54:55], v[40:41]
	v_pk_fma_f32 v[38:39], v[12:13], v[58:59], v[38:39]
	v_pk_fma_f32 v[36:37], v[10:11], v[62:63], v[36:37]
	v_pk_fma_f32 v[34:35], v[8:9], v[64:65], v[34:35]
	v_pk_fma_f32 v[32:33], v[6:7], v[60:61], v[32:33]
	v_pk_fma_f32 v[30:31], v[4:5], v[56:57], v[30:31]
	s_cmp_eq_u32 s0, 0
	v_pk_fma_f32 v[28:29], v[2:3], v[48:49], v[28:29]
	v_readlane_b32 s6, v95, 9
	v_readlane_b32 s7, v95, 10
	;; [unrolled: 1-line block ×5, first 2 shown]
	s_mov_b32 s93, s5
	s_mov_b32 s96, s8
	s_cbranch_scc1 .LBB144_199
.LBB144_110:                            ;   Parent Loop BB144_13 Depth=1
                                        ; =>  This Inner Loop Header: Depth=2
	s_lshl_b64 s[96:97], s[84:85], 2
	v_readlane_b32 s4, v95, 5
	s_add_u32 s96, s4, s96
	v_readlane_b32 s4, v95, 6
	s_addc_u32 s97, s4, s97
	global_load_dword v66, v1, s[96:97]
	s_mov_b32 s91, s85
	v_lshl_add_u64 v[2:3], s[90:91], 2, v[44:45]
	v_mov_b32_e32 v0, 0
	v_mov_b32_e32 v4, 0
	s_and_saveexec_b64 s[96:97], s[18:19]
	s_cbranch_execz .LBB144_112
; %bb.111:                              ;   in Loop: Header=BB144_110 Depth=2
	global_load_dword v4, v[2:3], off
.LBB144_112:                            ;   in Loop: Header=BB144_110 Depth=2
	s_or_b64 exec, exec, s[96:97]
	s_and_saveexec_b64 s[96:97], s[20:21]
	s_cbranch_execz .LBB144_114
; %bb.113:                              ;   in Loop: Header=BB144_110 Depth=2
	global_load_dword v0, v[2:3], off offset:256
.LBB144_114:                            ;   in Loop: Header=BB144_110 Depth=2
	s_or_b64 exec, exec, s[96:97]
	v_mov_b32_e32 v5, 0
	v_mov_b32_e32 v6, 0
	s_and_saveexec_b64 s[96:97], s[22:23]
	s_cbranch_execz .LBB144_116
; %bb.115:                              ;   in Loop: Header=BB144_110 Depth=2
	global_load_dword v6, v[2:3], off offset:512
.LBB144_116:                            ;   in Loop: Header=BB144_110 Depth=2
	s_or_b64 exec, exec, s[96:97]
	s_and_saveexec_b64 s[96:97], s[24:25]
	s_cbranch_execz .LBB144_118
; %bb.117:                              ;   in Loop: Header=BB144_110 Depth=2
	global_load_dword v5, v[2:3], off offset:768
.LBB144_118:                            ;   in Loop: Header=BB144_110 Depth=2
	s_or_b64 exec, exec, s[96:97]
	v_mov_b32_e32 v7, 0
	v_mov_b32_e32 v8, 0
	s_and_saveexec_b64 s[96:97], s[26:27]
	s_cbranch_execz .LBB144_120
; %bb.119:                              ;   in Loop: Header=BB144_110 Depth=2
	global_load_dword v8, v[2:3], off offset:1024
.LBB144_120:                            ;   in Loop: Header=BB144_110 Depth=2
	;; [unrolled: 14-line block ×7, first 2 shown]
	s_or_b64 exec, exec, s[96:97]
	s_and_saveexec_b64 s[96:97], s[50:51]
	s_cbranch_execz .LBB144_142
; %bb.141:                              ;   in Loop: Header=BB144_110 Depth=2
	global_load_dword v17, v[2:3], off offset:3840
.LBB144_142:                            ;   in Loop: Header=BB144_110 Depth=2
	s_or_b64 exec, exec, s[96:97]
	scratch_load_dword v2, off, off         ; 4-byte Folded Reload
	s_mov_b32 s93, s85
	s_waitcnt vmcnt(0)
	ds_write_b32 v2, v4
	scratch_load_dword v2, off, off offset:4 ; 4-byte Folded Reload
	v_mov_b32_e32 v4, 0
	s_waitcnt vmcnt(0)
	ds_write_b32 v2, v0 offset:256
	scratch_load_dword v0, off, off offset:8 ; 4-byte Folded Reload
	v_lshl_add_u64 v[2:3], s[92:93], 2, v[46:47]
	s_waitcnt vmcnt(0)
	ds_write_b32 v0, v6 offset:512
	scratch_load_dword v0, off, off offset:12 ; 4-byte Folded Reload
	s_waitcnt vmcnt(0)
	ds_write_b32 v0, v5 offset:768
	scratch_load_dword v0, off, off offset:16 ; 4-byte Folded Reload
	;; [unrolled: 3-line block ×13, first 2 shown]
	s_waitcnt vmcnt(0)
	ds_write_b32 v0, v17 offset:3840
	; wave barrier
	ds_read2_b32 v[50:51], v23 offset1:1
	ds_read2_b32 v[54:55], v23 offset0:2 offset1:3
	ds_read2_b32 v[58:59], v23 offset0:4 offset1:5
	;; [unrolled: 1-line block ×7, first 2 shown]
	v_mov_b32_e32 v0, 0
	s_and_saveexec_b64 s[96:97], s[18:19]
	s_cbranch_execz .LBB144_144
; %bb.143:                              ;   in Loop: Header=BB144_110 Depth=2
	global_load_dword v4, v[2:3], off
.LBB144_144:                            ;   in Loop: Header=BB144_110 Depth=2
	s_or_b64 exec, exec, s[96:97]
	s_and_saveexec_b64 s[96:97], s[20:21]
	s_cbranch_execz .LBB144_146
; %bb.145:                              ;   in Loop: Header=BB144_110 Depth=2
	global_load_dword v0, v[2:3], off offset:256
.LBB144_146:                            ;   in Loop: Header=BB144_110 Depth=2
	s_or_b64 exec, exec, s[96:97]
	v_mov_b32_e32 v5, 0
	v_mov_b32_e32 v6, 0
	s_and_saveexec_b64 s[96:97], s[22:23]
	s_cbranch_execz .LBB144_148
; %bb.147:                              ;   in Loop: Header=BB144_110 Depth=2
	global_load_dword v6, v[2:3], off offset:512
.LBB144_148:                            ;   in Loop: Header=BB144_110 Depth=2
	s_or_b64 exec, exec, s[96:97]
	s_and_saveexec_b64 s[96:97], s[24:25]
	s_cbranch_execz .LBB144_150
; %bb.149:                              ;   in Loop: Header=BB144_110 Depth=2
	global_load_dword v5, v[2:3], off offset:768
.LBB144_150:                            ;   in Loop: Header=BB144_110 Depth=2
	s_or_b64 exec, exec, s[96:97]
	v_mov_b32_e32 v7, 0
	v_mov_b32_e32 v8, 0
	s_and_saveexec_b64 s[96:97], s[26:27]
	s_cbranch_execz .LBB144_152
; %bb.151:                              ;   in Loop: Header=BB144_110 Depth=2
	global_load_dword v8, v[2:3], off offset:1024
.LBB144_152:                            ;   in Loop: Header=BB144_110 Depth=2
	;; [unrolled: 14-line block ×7, first 2 shown]
	s_or_b64 exec, exec, s[96:97]
	s_and_saveexec_b64 s[96:97], s[50:51]
	s_cbranch_execz .LBB144_174
; %bb.173:                              ;   in Loop: Header=BB144_110 Depth=2
	global_load_dword v17, v[2:3], off offset:3840
.LBB144_174:                            ;   in Loop: Header=BB144_110 Depth=2
	s_or_b64 exec, exec, s[96:97]
	scratch_load_dword v2, off, off         ; 4-byte Folded Reload
	s_andn2_b64 vcc, exec, s[86:87]
	s_waitcnt vmcnt(0)
	ds_write_b32 v2, v4 offset:4224
	scratch_load_dword v2, off, off offset:128 ; 4-byte Folded Reload
	s_waitcnt vmcnt(0)
	ds_write_b32 v2, v0 offset:256
	scratch_load_dword v0, off, off offset:132 ; 4-byte Folded Reload
	;; [unrolled: 3-line block ×15, first 2 shown]
	s_waitcnt vmcnt(0)
	ds_write_b32 v0, v17 offset:3840
	; wave barrier
	scratch_load_dword v2, off, off offset:188 ; 4-byte Folded Reload
	v_add_u32_e32 v0, 0x1080, v23
	s_waitcnt vmcnt(0)
	ds_read2_b32 v[14:15], v2 offset0:2 offset1:3
	ds_read2_b32 v[12:13], v2 offset0:4 offset1:5
	;; [unrolled: 1-line block ×6, first 2 shown]
	ds_read2_b32 v[16:17], v0 offset1:1
	ds_read2_b32 v[2:3], v2 offset0:14 offset1:15
	s_cbranch_vccnz .LBB144_176
; %bb.175:                              ;   in Loop: Header=BB144_110 Depth=2
	v_mov_b32_e32 v0, s1
	ds_read_b64 v[52:53], v0
	s_cbranch_execz .LBB144_177
	s_branch .LBB144_180
.LBB144_176:                            ;   in Loop: Header=BB144_110 Depth=2
                                        ; implicit-def: $vgpr53
.LBB144_177:                            ;   in Loop: Header=BB144_110 Depth=2
	v_readlane_b32 s96, v95, 0
	v_readlane_b32 s97, v95, 1
	s_andn2_b64 vcc, exec, s[96:97]
	s_waitcnt lgkmcnt(0)
	v_mov_b32_e32 v53, 0
	s_cbranch_vccnz .LBB144_179
; %bb.178:                              ;   in Loop: Header=BB144_110 Depth=2
	s_mov_b32 s95, s85
	s_lshl_b64 s[96:97], s[94:95], 2
	v_readlane_b32 s4, v95, 15
	s_add_u32 s96, s4, s96
	v_readlane_b32 s4, v95, 16
	s_addc_u32 s97, s4, s97
	global_load_dword v53, v1, s[96:97]
.LBB144_179:                            ;   in Loop: Header=BB144_110 Depth=2
	v_mov_b32_e32 v52, 1.0
.LBB144_180:                            ;   in Loop: Header=BB144_110 Depth=2
	scratch_load_dword v19, off, off offset:124 ; 4-byte Folded Reload
	v_mul_f32_e32 v66, 0x3fb8aa3b, v66
	v_mul_f32_e32 v0, v66, v70
	v_cmp_gt_f32_e32 vcc, s33, v0
	v_mul_f32_e32 v25, v66, v72
	v_readlane_b32 s4, v95, 36
	v_cndmask_b32_e32 v0, 0, v68, vcc
	v_fmac_f32_e32 v0, v66, v70
	v_exp_f32_e32 v0, v0
	v_cndmask_b32_e32 v21, 1.0, v69, vcc
	v_readlane_b32 s5, v95, 37
	scratch_load_dword v24, off, off offset:108 ; 4-byte Folded Reload
	v_mul_f32_e32 v0, v0, v21
	v_mul_f32_e32 v21, v66, v71
	v_cmp_gt_f32_e32 vcc, s33, v21
	s_waitcnt vmcnt(1) lgkmcnt(14)
	v_mul_f32_e32 v19, v50, v19
	v_cndmask_b32_e32 v21, 0, v68, vcc
	v_fmac_f32_e32 v21, v66, v71
	v_exp_f32_e32 v21, v21
	v_cndmask_b32_e64 v50, 0, v19, s[52:53]
	v_cndmask_b32_e64 v19, 1.0, v0, s[52:53]
	v_cndmask_b32_e32 v0, 1.0, v69, vcc
	v_mul_f32_e32 v0, v21, v0
	scratch_load_dword v21, off, off offset:120 ; 4-byte Folded Reload
	v_cmp_gt_f32_e32 vcc, s33, v25
	v_cndmask_b32_e64 v26, 1.0, v0, s[54:55]
	s_waitcnt vmcnt(0)
	v_mul_f32_e32 v21, v51, v21
	v_cndmask_b32_e64 v51, 0, v21, s[54:55]
	scratch_load_dword v21, off, off offset:116 ; 4-byte Folded Reload
	v_cndmask_b32_e32 v25, 0, v68, vcc
	v_fmac_f32_e32 v25, v66, v72
	v_exp_f32_e32 v25, v25
	v_cndmask_b32_e32 v0, 1.0, v69, vcc
	v_mul_f32_e32 v0, v25, v0
	v_mul_f32_e32 v25, v66, v73
	v_cmp_gt_f32_e32 vcc, s33, v25
	v_cndmask_b32_e64 v83, 1.0, v0, s[56:57]
	s_waitcnt vmcnt(0)
	v_mul_f32_e32 v21, v54, v21
	v_cndmask_b32_e64 v54, 0, v21, s[56:57]
	scratch_load_dword v21, off, off offset:112 ; 4-byte Folded Reload
	v_cndmask_b32_e32 v25, 0, v68, vcc
	v_fmac_f32_e32 v25, v66, v73
	v_exp_f32_e32 v25, v25
	v_cndmask_b32_e32 v0, 1.0, v69, vcc
	v_mul_f32_e32 v0, v25, v0
	v_mul_f32_e32 v25, v66, v74
	v_cmp_gt_f32_e32 vcc, s33, v25
	v_cndmask_b32_e64 v0, 1.0, v0, s[58:59]
	s_waitcnt vmcnt(0)
	v_mul_f32_e32 v21, v55, v21
	v_cndmask_b32_e32 v25, 0, v68, vcc
	v_fmac_f32_e32 v25, v66, v74
	v_exp_f32_e32 v25, v25
	v_cndmask_b32_e64 v55, 0, v21, s[58:59]
	v_cndmask_b32_e32 v21, 1.0, v69, vcc
	v_mul_f32_e32 v21, v25, v21
	v_mul_f32_e32 v25, v58, v24
	scratch_load_dword v24, off, off offset:104 ; 4-byte Folded Reload
	v_mul_f32_e32 v58, v66, v75
	v_cmp_gt_f32_e32 vcc, s33, v58
	v_cndmask_b32_e64 v84, 1.0, v21, s[60:61]
	s_nop 0
	v_cndmask_b32_e32 v58, 0, v68, vcc
	v_fmac_f32_e32 v58, v66, v75
	v_exp_f32_e32 v67, v58
	v_cndmask_b32_e64 v58, 0, v25, s[60:61]
	v_cndmask_b32_e32 v21, 1.0, v69, vcc
	v_mul_f32_e32 v21, v67, v21
	v_cndmask_b32_e64 v85, 1.0, v21, s[62:63]
	s_waitcnt vmcnt(0)
	v_mul_f32_e32 v25, v59, v24
	scratch_load_dword v24, off, off offset:100 ; 4-byte Folded Reload
	v_mul_f32_e32 v59, v66, v76
	v_cmp_gt_f32_e32 vcc, s33, v59
	s_nop 1
	v_cndmask_b32_e32 v59, 0, v68, vcc
	v_fmac_f32_e32 v59, v66, v76
	v_exp_f32_e32 v67, v59
	v_cndmask_b32_e64 v59, 0, v25, s[62:63]
	v_cndmask_b32_e32 v21, 1.0, v69, vcc
	v_mul_f32_e32 v21, v67, v21
	v_cndmask_b32_e64 v86, 1.0, v21, s[64:65]
	s_waitcnt vmcnt(0)
	v_mul_f32_e32 v25, v62, v24
	scratch_load_dword v24, off, off offset:96 ; 4-byte Folded Reload
	v_mul_f32_e32 v62, v66, v77
	v_cmp_gt_f32_e32 vcc, s33, v62
	;; [unrolled: 13-line block ×10, first 2 shown]
	s_nop 1
	v_cndmask_b32_e32 v48, 0, v68, vcc
	v_fmac_f32_e32 v48, v66, v27
	v_exp_f32_e32 v66, v48
	v_cndmask_b32_e32 v21, 1.0, v69, vcc
	v_cndmask_b32_e64 v48, 0, v25, s[80:81]
	v_mul_f32_e32 v21, v66, v21
	v_cndmask_b32_e64 v94, 1.0, v21, s[82:83]
	v_mul_f32_e32 v21, v26, v19
	v_mul_f32_e32 v21, v21, v83
	;; [unrolled: 1-line block ×15, first 2 shown]
	s_waitcnt vmcnt(0)
	v_mul_f32_e32 v25, v49, v24
	v_cndmask_b32_e64 v49, 0, v25, s[82:83]
	v_fma_f32 v25, v26, v50, v51
	v_fma_f32 v25, v25, v83, v54
	;; [unrolled: 1-line block ×15, first 2 shown]
	s_nop 0
	v_mov_b32_dpp v25, v66 row_shr:1 row_mask:0xf bank_mask:0xf
	v_mov_b32_dpp v21, v24 row_shr:1 row_mask:0xf bank_mask:0xf
	s_and_saveexec_b64 s[96:97], s[4:5]
; %bb.181:                              ;   in Loop: Header=BB144_110 Depth=2
	v_mul_f32_e32 v25, v66, v25
	v_fmac_f32_e32 v24, v66, v21
	v_mov_b32_e32 v66, v25
; %bb.182:                              ;   in Loop: Header=BB144_110 Depth=2
	s_or_b64 exec, exec, s[96:97]
	v_readlane_b32 s4, v95, 38
	v_mov_b32_dpp v21, v66 row_shr:2 row_mask:0xf bank_mask:0xf
	v_mov_b32_dpp v25, v24 row_shr:2 row_mask:0xf bank_mask:0xf
	v_readlane_b32 s5, v95, 39
	s_and_saveexec_b64 s[96:97], s[4:5]
; %bb.183:                              ;   in Loop: Header=BB144_110 Depth=2
	v_fmac_f32_e32 v24, v66, v25
	v_mul_f32_e32 v66, v66, v21
; %bb.184:                              ;   in Loop: Header=BB144_110 Depth=2
	s_or_b64 exec, exec, s[96:97]
	v_readlane_b32 s4, v95, 40
	v_mov_b32_dpp v21, v66 row_shr:4 row_mask:0xf bank_mask:0xf
	v_mov_b32_dpp v25, v24 row_shr:4 row_mask:0xf bank_mask:0xf
	v_readlane_b32 s5, v95, 41
	s_and_saveexec_b64 s[96:97], s[4:5]
; %bb.185:                              ;   in Loop: Header=BB144_110 Depth=2
	v_fmac_f32_e32 v24, v66, v25
	v_mul_f32_e32 v66, v66, v21
	;; [unrolled: 10-line block ×3, first 2 shown]
; %bb.188:                              ;   in Loop: Header=BB144_110 Depth=2
	s_or_b64 exec, exec, s[96:97]
	s_nop 0
	v_mov_b32_dpp v21, v66 row_bcast:15 row_mask:0xf bank_mask:0xf
	v_mov_b32_dpp v25, v24 row_bcast:15 row_mask:0xf bank_mask:0xf
	s_and_saveexec_b64 s[96:97], s[2:3]
; %bb.189:                              ;   in Loop: Header=BB144_110 Depth=2
	v_fmac_f32_e32 v24, v66, v25
	v_mul_f32_e32 v66, v66, v21
; %bb.190:                              ;   in Loop: Header=BB144_110 Depth=2
	s_or_b64 exec, exec, s[96:97]
	s_nop 0
	v_mov_b32_dpp v21, v66 row_bcast:31 row_mask:0xf bank_mask:0xf
	v_mov_b32_dpp v25, v24 row_bcast:31 row_mask:0xf bank_mask:0xf
	v_mov_b32_e32 v67, v24
	v_mul_f32_e32 v21, v66, v21
	v_fmac_f32_e32 v67, v66, v25
	v_readlane_b32 s4, v95, 44
	v_cndmask_b32_e64 v66, v66, v21, s[16:17]
	v_cndmask_b32_e64 v67, v24, v67, s[16:17]
	v_readlane_b32 s5, v95, 45
	s_and_saveexec_b64 s[96:97], s[4:5]
	s_cbranch_execz .LBB144_192
; %bb.191:                              ;   in Loop: Header=BB144_110 Depth=2
	ds_write_b64 v1, v[66:67] offset:8448
.LBB144_192:                            ;   in Loop: Header=BB144_110 Depth=2
	s_or_b64 exec, exec, s[96:97]
	scratch_load_dword v24, off, off offset:192 ; 4-byte Folded Reload
	s_waitcnt lgkmcnt(0)
	; wave barrier
	s_waitcnt vmcnt(0) lgkmcnt(0)
	ds_bpermute_b32 v21, v24, v66
	ds_bpermute_b32 v25, v24, v67
	v_mov_b32_e32 v67, v53
	s_and_saveexec_b64 s[96:97], s[12:13]
	s_cbranch_execz .LBB144_196
; %bb.193:                              ;   in Loop: Header=BB144_110 Depth=2
	ds_read_b64 v[66:67], v1 offset:8448
	s_and_saveexec_b64 s[98:99], s[14:15]
	s_cbranch_execz .LBB144_195
; %bb.194:                              ;   in Loop: Header=BB144_110 Depth=2
	ds_write_b64 v1, v[52:53] offset:8448
.LBB144_195:                            ;   in Loop: Header=BB144_110 Depth=2
	s_or_b64 exec, exec, s[98:99]
	s_waitcnt lgkmcnt(0)
	v_fmac_f32_e32 v67, v53, v66
	v_mul_f32_e32 v52, v52, v66
	v_mov_b32_e32 v53, v67
.LBB144_196:                            ;   in Loop: Header=BB144_110 Depth=2
	s_or_b64 exec, exec, s[96:97]
	s_waitcnt lgkmcnt(0)
	; wave barrier
	s_waitcnt lgkmcnt(0)
	ds_read_b32 v66, v1 offset:8452
	s_and_saveexec_b64 s[96:97], s[14:15]
	s_cbranch_execz .LBB144_109
; %bb.197:                              ;   in Loop: Header=BB144_110 Depth=2
	v_mov_b32_e32 v24, s1
	s_andn2_b64 vcc, exec, s[88:89]
	ds_write_b64 v24, v[52:53]
	s_cbranch_vccnz .LBB144_109
; %bb.198:                              ;   in Loop: Header=BB144_110 Depth=2
	s_mov_b32 s95, s85
	s_lshl_b64 s[98:99], s[94:95], 2
	v_readlane_b32 s4, v95, 15
	s_add_u32 s98, s4, s98
	v_readlane_b32 s4, v95, 16
	s_addc_u32 s99, s4, s99
	global_store_dword v1, v67, s[98:99]
	s_branch .LBB144_109
.LBB144_199:                            ;   in Loop: Header=BB144_13 Depth=1
	v_readlane_b32 s58, v95, 52
	v_readlane_b32 s8, v95, 54
	;; [unrolled: 1-line block ×6, first 2 shown]
.LBB144_200:                            ;   in Loop: Header=BB144_13 Depth=1
	s_waitcnt lgkmcnt(0)
	; wave barrier
	ds_write2_b32 v23, v42, v43 offset1:1
	ds_write2_b32 v23, v40, v41 offset0:2 offset1:3
	ds_write2_b32 v23, v38, v39 offset0:4 offset1:5
	;; [unrolled: 1-line block ×7, first 2 shown]
	; wave barrier
	scratch_load_dword v0, off, off offset:4 ; 4-byte Folded Reload
	scratch_load_dwordx2 v[2:3], off, off offset:272 ; 8-byte Folded Reload
	v_readlane_b32 s0, v95, 48
	v_readlane_b32 s1, v95, 49
	s_mov_b32 s1, s85
	s_mov_b64 s[10:11], s[0:1]
	s_waitcnt vmcnt(1)
	ds_read_b32 v17, v0 offset:256
	scratch_load_dword v0, off, off offset:8 ; 4-byte Folded Reload
	s_waitcnt vmcnt(1)
	v_lshl_add_u64 v[2:3], s[0:1], 2, v[2:3]
	s_waitcnt vmcnt(0)
	ds_read_b32 v16, v0 offset:512
	scratch_load_dword v0, off, off offset:12 ; 4-byte Folded Reload
	s_waitcnt vmcnt(0)
	ds_read_b32 v15, v0 offset:768
	scratch_load_dword v0, off, off offset:16 ; 4-byte Folded Reload
	;; [unrolled: 3-line block ×13, first 2 shown]
	s_waitcnt vmcnt(0)
	ds_read_b32 v0, v0 offset:3840
	s_and_saveexec_b64 s[52:53], s[18:19]
	s_cbranch_execnz .LBB144_252
; %bb.201:                              ;   in Loop: Header=BB144_13 Depth=1
	s_or_b64 exec, exec, s[52:53]
	s_and_saveexec_b64 s[52:53], s[20:21]
	s_cbranch_execnz .LBB144_253
.LBB144_202:                            ;   in Loop: Header=BB144_13 Depth=1
	s_or_b64 exec, exec, s[52:53]
	s_and_saveexec_b64 s[52:53], s[22:23]
	s_cbranch_execnz .LBB144_254
.LBB144_203:                            ;   in Loop: Header=BB144_13 Depth=1
	s_or_b64 exec, exec, s[52:53]
	s_and_saveexec_b64 s[52:53], s[24:25]
	s_cbranch_execnz .LBB144_255
.LBB144_204:                            ;   in Loop: Header=BB144_13 Depth=1
	s_or_b64 exec, exec, s[52:53]
	s_and_saveexec_b64 s[52:53], s[26:27]
	s_cbranch_execnz .LBB144_256
.LBB144_205:                            ;   in Loop: Header=BB144_13 Depth=1
	s_or_b64 exec, exec, s[52:53]
	s_and_saveexec_b64 s[52:53], s[28:29]
	s_cbranch_execnz .LBB144_257
.LBB144_206:                            ;   in Loop: Header=BB144_13 Depth=1
	s_or_b64 exec, exec, s[52:53]
	s_and_saveexec_b64 s[52:53], s[30:31]
	s_cbranch_execnz .LBB144_258
.LBB144_207:                            ;   in Loop: Header=BB144_13 Depth=1
	s_or_b64 exec, exec, s[52:53]
	s_and_saveexec_b64 s[52:53], s[34:35]
	s_cbranch_execnz .LBB144_259
.LBB144_208:                            ;   in Loop: Header=BB144_13 Depth=1
	s_or_b64 exec, exec, s[52:53]
	s_and_saveexec_b64 s[52:53], s[36:37]
	s_cbranch_execnz .LBB144_260
.LBB144_209:                            ;   in Loop: Header=BB144_13 Depth=1
	s_or_b64 exec, exec, s[52:53]
	s_and_saveexec_b64 s[52:53], s[38:39]
	s_cbranch_execnz .LBB144_261
.LBB144_210:                            ;   in Loop: Header=BB144_13 Depth=1
	s_or_b64 exec, exec, s[52:53]
	s_and_saveexec_b64 s[52:53], s[40:41]
	s_cbranch_execnz .LBB144_262
.LBB144_211:                            ;   in Loop: Header=BB144_13 Depth=1
	s_or_b64 exec, exec, s[52:53]
	s_and_saveexec_b64 s[52:53], s[42:43]
	s_cbranch_execnz .LBB144_263
.LBB144_212:                            ;   in Loop: Header=BB144_13 Depth=1
	s_or_b64 exec, exec, s[52:53]
	s_and_saveexec_b64 s[52:53], s[44:45]
	s_cbranch_execnz .LBB144_264
.LBB144_213:                            ;   in Loop: Header=BB144_13 Depth=1
	s_or_b64 exec, exec, s[52:53]
	s_and_saveexec_b64 s[52:53], s[46:47]
	s_cbranch_execnz .LBB144_265
.LBB144_214:                            ;   in Loop: Header=BB144_13 Depth=1
	s_or_b64 exec, exec, s[52:53]
	s_and_saveexec_b64 s[52:53], s[48:49]
	s_cbranch_execnz .LBB144_266
.LBB144_215:                            ;   in Loop: Header=BB144_13 Depth=1
	s_or_b64 exec, exec, s[52:53]
	s_and_saveexec_b64 s[52:53], s[50:51]
	s_cbranch_execz .LBB144_217
.LBB144_216:                            ;   in Loop: Header=BB144_13 Depth=1
	s_waitcnt lgkmcnt(0)
	global_store_dword v[2:3], v0, off offset:3840
.LBB144_217:                            ;   in Loop: Header=BB144_13 Depth=1
	s_or_b64 exec, exec, s[52:53]
	s_waitcnt lgkmcnt(0)
	; wave barrier
	s_waitcnt lgkmcnt(0)
	scratch_load_dwordx2 v[2:3], off, off offset:280 ; 8-byte Folded Reload
	s_mov_b32 s84, s85
	s_mov_b32 s86, s85
	;; [unrolled: 1-line block ×15, first 2 shown]
	v_mov_b32_e32 v0, 0
	s_waitcnt vmcnt(0)
	v_lshl_add_u64 v[44:45], s[10:11], 2, v[2:3]
	v_mov_b64_e32 v[2:3], s[84:85]
	v_mov_b64_e32 v[4:5], s[86:87]
	;; [unrolled: 1-line block ×8, first 2 shown]
	s_and_saveexec_b64 s[52:53], s[18:19]
	s_cbranch_execnz .LBB144_267
; %bb.218:                              ;   in Loop: Header=BB144_13 Depth=1
	s_or_b64 exec, exec, s[52:53]
	s_and_saveexec_b64 s[52:53], s[20:21]
	s_cbranch_execnz .LBB144_268
.LBB144_219:                            ;   in Loop: Header=BB144_13 Depth=1
	s_or_b64 exec, exec, s[52:53]
	s_and_saveexec_b64 s[52:53], s[22:23]
	s_cbranch_execnz .LBB144_269
.LBB144_220:                            ;   in Loop: Header=BB144_13 Depth=1
	s_or_b64 exec, exec, s[52:53]
	s_and_saveexec_b64 s[52:53], s[24:25]
	s_cbranch_execnz .LBB144_270
.LBB144_221:                            ;   in Loop: Header=BB144_13 Depth=1
	s_or_b64 exec, exec, s[52:53]
	s_and_saveexec_b64 s[52:53], s[26:27]
	s_cbranch_execnz .LBB144_271
.LBB144_222:                            ;   in Loop: Header=BB144_13 Depth=1
	s_or_b64 exec, exec, s[52:53]
	s_and_saveexec_b64 s[52:53], s[28:29]
	s_cbranch_execnz .LBB144_272
.LBB144_223:                            ;   in Loop: Header=BB144_13 Depth=1
	s_or_b64 exec, exec, s[52:53]
	s_and_saveexec_b64 s[52:53], s[30:31]
	s_cbranch_execnz .LBB144_273
.LBB144_224:                            ;   in Loop: Header=BB144_13 Depth=1
	s_or_b64 exec, exec, s[52:53]
	s_and_saveexec_b64 s[52:53], s[34:35]
	s_cbranch_execnz .LBB144_274
.LBB144_225:                            ;   in Loop: Header=BB144_13 Depth=1
	s_or_b64 exec, exec, s[52:53]
	s_and_saveexec_b64 s[52:53], s[36:37]
	s_cbranch_execnz .LBB144_275
.LBB144_226:                            ;   in Loop: Header=BB144_13 Depth=1
	s_or_b64 exec, exec, s[52:53]
	s_and_saveexec_b64 s[52:53], s[38:39]
	s_cbranch_execnz .LBB144_276
.LBB144_227:                            ;   in Loop: Header=BB144_13 Depth=1
	s_or_b64 exec, exec, s[52:53]
	s_and_saveexec_b64 s[52:53], s[40:41]
	s_cbranch_execnz .LBB144_277
.LBB144_228:                            ;   in Loop: Header=BB144_13 Depth=1
	s_or_b64 exec, exec, s[52:53]
	s_and_saveexec_b64 s[52:53], s[42:43]
	s_cbranch_execnz .LBB144_278
.LBB144_229:                            ;   in Loop: Header=BB144_13 Depth=1
	s_or_b64 exec, exec, s[52:53]
	s_and_saveexec_b64 s[52:53], s[44:45]
	s_cbranch_execnz .LBB144_279
.LBB144_230:                            ;   in Loop: Header=BB144_13 Depth=1
	s_or_b64 exec, exec, s[52:53]
	s_and_saveexec_b64 s[52:53], s[46:47]
	s_cbranch_execnz .LBB144_280
.LBB144_231:                            ;   in Loop: Header=BB144_13 Depth=1
	s_or_b64 exec, exec, s[52:53]
	s_and_saveexec_b64 s[52:53], s[48:49]
	s_cbranch_execnz .LBB144_281
.LBB144_232:                            ;   in Loop: Header=BB144_13 Depth=1
	s_or_b64 exec, exec, s[52:53]
	s_and_saveexec_b64 s[52:53], s[50:51]
	s_cbranch_execz .LBB144_234
.LBB144_233:                            ;   in Loop: Header=BB144_13 Depth=1
	global_load_dword v17, v[44:45], off offset:3840
.LBB144_234:                            ;   in Loop: Header=BB144_13 Depth=1
	s_or_b64 exec, exec, s[52:53]
	scratch_load_dword v2, off, off         ; 4-byte Folded Reload
	scratch_load_dword v24, off, off offset:4 ; 4-byte Folded Reload
	scratch_load_dword v26, off, off offset:8 ; 4-byte Folded Reload
	;; [unrolled: 1-line block ×15, first 2 shown]
	s_mov_b32 s4, 0xbfb8aa3b
	s_mov_b32 s5, 0x42ce8ed0
	;; [unrolled: 1-line block ×3, first 2 shown]
	v_mov_b32_e32 v22, 0x7f800000
	v_mov_b32_e32 v56, 0x7f800000
	s_waitcnt vmcnt(15)
	ds_write_b32 v2, v0
	s_waitcnt vmcnt(14)
	ds_write_b32 v24, v3 offset:256
	s_waitcnt vmcnt(13)
	ds_write_b32 v26, v4 offset:512
	;; [unrolled: 2-line block ×15, first 2 shown]
	; wave barrier
	ds_read2_b32 v[2:3], v23 offset1:1
	s_waitcnt lgkmcnt(0)
	v_mul_f32_e32 v0, 0xbfb8aa3b, v3
	v_rndne_f32_e32 v4, v0
	v_sub_f32_e32 v5, v0, v4
	v_fma_f32 v0, v3, s4, -v0
	v_fmac_f32_e32 v0, 0xb2a5705f, v3
	v_add_f32_e32 v0, v5, v0
	v_exp_f32_e32 v0, v0
	v_cvt_i32_f32_e32 v4, v4
	v_cmp_nlt_f32_e32 vcc, s5, v3
	v_ldexp_f32 v0, v0, v4
	s_nop 0
	v_cndmask_b32_e32 v0, 0, v0, vcc
	v_cmp_ngt_f32_e32 vcc, s6, v3
	s_nop 1
	v_cndmask_b32_e32 v5, v22, v0, vcc
	v_mul_f32_e32 v0, 0xbfb8aa3b, v2
	v_rndne_f32_e32 v4, v0
	v_sub_f32_e32 v6, v0, v4
	v_fma_f32 v0, v2, s4, -v0
	v_fmac_f32_e32 v0, 0xb2a5705f, v2
	v_add_f32_e32 v0, v6, v0
	v_exp_f32_e32 v0, v0
	v_cvt_i32_f32_e32 v4, v4
	v_cmp_nlt_f32_e32 vcc, s5, v2
	v_ldexp_f32 v0, v0, v4
	s_nop 0
	v_cndmask_b32_e32 v0, 0, v0, vcc
	v_cmp_ngt_f32_e32 vcc, s6, v2
	s_nop 1
	v_cndmask_b32_e32 v4, v22, v0, vcc
	v_pk_add_f32 v[4:5], v[4:5], 1.0 op_sel_hi:[1,0]
	s_nop 0
	v_div_scale_f32 v0, s[0:1], v5, v5, v3
	v_rcp_f32_e32 v6, v0
	s_nop 0
	v_fma_f32 v7, -v0, v6, 1.0
	v_fmac_f32_e32 v6, v7, v6
	v_div_scale_f32 v7, vcc, v3, v5, v3
	v_mul_f32_e32 v8, v7, v6
	v_fma_f32 v9, -v0, v8, v7
	v_fmac_f32_e32 v8, v9, v6
	v_fma_f32 v0, -v0, v8, v7
	v_div_fmas_f32 v0, v0, v6, v8
	v_div_fixup_f32 v3, v0, v5, v3
	v_div_scale_f32 v0, s[0:1], v4, v4, v2
	v_rcp_f32_e32 v5, v0
	s_nop 0
	v_fma_f32 v6, -v0, v5, 1.0
	v_fmac_f32_e32 v5, v6, v5
	v_div_scale_f32 v6, vcc, v2, v4, v2
	v_mul_f32_e32 v7, v6, v5
	v_fma_f32 v8, -v0, v7, v6
	v_fmac_f32_e32 v7, v8, v5
	v_fma_f32 v0, -v0, v7, v6
	v_div_fmas_f32 v0, v0, v5, v7
	v_div_fixup_f32 v2, v0, v4, v2
	ds_read2_b32 v[4:5], v23 offset0:2 offset1:3
	v_pk_mul_f32 v[2:3], v[2:3], v[42:43]
	s_waitcnt lgkmcnt(0)
	v_mul_f32_e32 v0, 0xbfb8aa3b, v5
	v_rndne_f32_e32 v6, v0
	v_sub_f32_e32 v7, v0, v6
	v_fma_f32 v0, v5, s4, -v0
	v_fmac_f32_e32 v0, 0xb2a5705f, v5
	v_add_f32_e32 v0, v7, v0
	v_exp_f32_e32 v0, v0
	v_cvt_i32_f32_e32 v6, v6
	v_cmp_nlt_f32_e32 vcc, s5, v5
	v_ldexp_f32 v0, v0, v6
	s_nop 0
	v_cndmask_b32_e32 v0, 0, v0, vcc
	v_cmp_ngt_f32_e32 vcc, s6, v5
	s_nop 1
	v_cndmask_b32_e32 v7, v22, v0, vcc
	v_mul_f32_e32 v0, 0xbfb8aa3b, v4
	v_rndne_f32_e32 v6, v0
	v_sub_f32_e32 v8, v0, v6
	v_fma_f32 v0, v4, s4, -v0
	v_fmac_f32_e32 v0, 0xb2a5705f, v4
	v_add_f32_e32 v0, v8, v0
	v_exp_f32_e32 v0, v0
	v_cvt_i32_f32_e32 v6, v6
	v_cmp_nlt_f32_e32 vcc, s5, v4
	v_ldexp_f32 v0, v0, v6
	s_nop 0
	v_cndmask_b32_e32 v0, 0, v0, vcc
	v_cmp_ngt_f32_e32 vcc, s6, v4
	s_nop 1
	v_cndmask_b32_e32 v6, v22, v0, vcc
	v_pk_add_f32 v[6:7], v[6:7], 1.0 op_sel_hi:[1,0]
	s_nop 0
	v_div_scale_f32 v0, s[0:1], v7, v7, v5
	v_rcp_f32_e32 v8, v0
	s_nop 0
	v_fma_f32 v9, -v0, v8, 1.0
	v_fmac_f32_e32 v8, v9, v8
	v_div_scale_f32 v9, vcc, v5, v7, v5
	v_mul_f32_e32 v10, v9, v8
	v_fma_f32 v11, -v0, v10, v9
	v_fmac_f32_e32 v10, v11, v8
	v_fma_f32 v0, -v0, v10, v9
	v_div_fmas_f32 v0, v0, v8, v10
	v_div_fixup_f32 v5, v0, v7, v5
	v_div_scale_f32 v0, s[0:1], v6, v6, v4
	v_rcp_f32_e32 v7, v0
	s_nop 0
	v_fma_f32 v8, -v0, v7, 1.0
	v_fmac_f32_e32 v7, v8, v7
	v_div_scale_f32 v8, vcc, v4, v6, v4
	v_mul_f32_e32 v9, v8, v7
	v_fma_f32 v10, -v0, v9, v8
	v_fmac_f32_e32 v9, v10, v7
	v_fma_f32 v0, -v0, v9, v8
	v_div_fmas_f32 v0, v0, v7, v9
	v_div_fixup_f32 v4, v0, v6, v4
	ds_read2_b32 v[6:7], v23 offset0:4 offset1:5
	v_pk_mul_f32 v[4:5], v[4:5], v[40:41]
	;; [unrolled: 59-line block ×7, first 2 shown]
	s_waitcnt lgkmcnt(0)
	; wave barrier
	s_waitcnt lgkmcnt(0)
	v_mul_f32_e32 v0, 0xbfb8aa3b, v17
	v_rndne_f32_e32 v18, v0
	v_sub_f32_e32 v19, v0, v18
	v_fma_f32 v0, v17, s4, -v0
	v_fmac_f32_e32 v0, 0xb2a5705f, v17
	v_add_f32_e32 v0, v19, v0
	v_exp_f32_e32 v0, v0
	v_cvt_i32_f32_e32 v18, v18
	v_cmp_nlt_f32_e32 vcc, s5, v17
	v_ldexp_f32 v0, v0, v18
	s_nop 0
	v_cndmask_b32_e32 v0, 0, v0, vcc
	v_cmp_ngt_f32_e32 vcc, s6, v17
	s_nop 1
	v_cndmask_b32_e32 v19, v22, v0, vcc
	v_mul_f32_e32 v0, 0xbfb8aa3b, v16
	v_rndne_f32_e32 v18, v0
	v_sub_f32_e32 v20, v0, v18
	v_fma_f32 v0, v16, s4, -v0
	v_fmac_f32_e32 v0, 0xb2a5705f, v16
	v_add_f32_e32 v0, v20, v0
	v_exp_f32_e32 v0, v0
	v_cvt_i32_f32_e32 v18, v18
	v_cmp_nlt_f32_e32 vcc, s5, v16
	v_ldexp_f32 v0, v0, v18
	s_nop 0
	v_cndmask_b32_e32 v0, 0, v0, vcc
	v_cmp_ngt_f32_e32 vcc, s6, v16
	s_nop 1
	v_cndmask_b32_e32 v18, v22, v0, vcc
	v_pk_add_f32 v[18:19], v[18:19], 1.0 op_sel_hi:[1,0]
	s_nop 0
	v_div_scale_f32 v0, s[0:1], v19, v19, v17
	v_rcp_f32_e32 v20, v0
	s_nop 0
	v_fma_f32 v21, -v0, v20, 1.0
	v_fmac_f32_e32 v20, v21, v20
	v_div_scale_f32 v21, vcc, v17, v19, v17
	v_mul_f32_e32 v22, v21, v20
	v_fma_f32 v25, -v0, v22, v21
	v_fmac_f32_e32 v22, v25, v20
	v_fma_f32 v0, -v0, v22, v21
	v_div_fmas_f32 v0, v0, v20, v22
	v_div_fixup_f32 v17, v0, v19, v17
	v_div_scale_f32 v0, s[0:1], v18, v18, v16
	v_rcp_f32_e32 v19, v0
	s_nop 0
	v_fma_f32 v20, -v0, v19, 1.0
	v_fmac_f32_e32 v19, v20, v19
	v_div_scale_f32 v20, vcc, v16, v18, v16
	v_mul_f32_e32 v21, v20, v19
	v_fma_f32 v22, -v0, v21, v20
	v_fmac_f32_e32 v21, v22, v19
	v_fma_f32 v0, -v0, v21, v20
	v_div_fmas_f32 v0, v0, v19, v21
	v_div_fixup_f32 v16, v0, v18, v16
	v_pk_mul_f32 v[16:17], v[16:17], v[28:29]
	ds_write2_b32 v23, v2, v3 offset1:1
	ds_write2_b32 v23, v4, v5 offset0:2 offset1:3
	ds_write2_b32 v23, v6, v7 offset0:4 offset1:5
	;; [unrolled: 1-line block ×7, first 2 shown]
	; wave barrier
	ds_read_b32 v17, v24 offset:256
	ds_read_b32 v16, v26 offset:512
	;; [unrolled: 1-line block ×15, first 2 shown]
	scratch_load_dwordx2 v[2:3], off, off offset:288 ; 8-byte Folded Reload
	s_waitcnt vmcnt(0)
	v_lshl_add_u64 v[2:3], s[10:11], 2, v[2:3]
	s_and_saveexec_b64 s[52:53], s[18:19]
	s_cbranch_execnz .LBB144_282
; %bb.235:                              ;   in Loop: Header=BB144_13 Depth=1
	s_or_b64 exec, exec, s[52:53]
	s_and_saveexec_b64 s[18:19], s[20:21]
	s_cbranch_execnz .LBB144_283
.LBB144_236:                            ;   in Loop: Header=BB144_13 Depth=1
	s_or_b64 exec, exec, s[18:19]
	s_and_saveexec_b64 s[18:19], s[22:23]
	s_cbranch_execnz .LBB144_284
.LBB144_237:                            ;   in Loop: Header=BB144_13 Depth=1
	s_or_b64 exec, exec, s[18:19]
	s_and_saveexec_b64 s[18:19], s[24:25]
	s_cbranch_execnz .LBB144_285
.LBB144_238:                            ;   in Loop: Header=BB144_13 Depth=1
	s_or_b64 exec, exec, s[18:19]
	s_and_saveexec_b64 s[18:19], s[26:27]
	s_cbranch_execnz .LBB144_286
.LBB144_239:                            ;   in Loop: Header=BB144_13 Depth=1
	s_or_b64 exec, exec, s[18:19]
	s_and_saveexec_b64 s[18:19], s[28:29]
	s_cbranch_execnz .LBB144_287
.LBB144_240:                            ;   in Loop: Header=BB144_13 Depth=1
	s_or_b64 exec, exec, s[18:19]
	s_and_saveexec_b64 s[18:19], s[30:31]
	s_cbranch_execnz .LBB144_288
.LBB144_241:                            ;   in Loop: Header=BB144_13 Depth=1
	s_or_b64 exec, exec, s[18:19]
	s_and_saveexec_b64 s[18:19], s[34:35]
	s_cbranch_execnz .LBB144_289
.LBB144_242:                            ;   in Loop: Header=BB144_13 Depth=1
	s_or_b64 exec, exec, s[18:19]
	s_and_saveexec_b64 s[18:19], s[36:37]
	s_cbranch_execnz .LBB144_290
.LBB144_243:                            ;   in Loop: Header=BB144_13 Depth=1
	s_or_b64 exec, exec, s[18:19]
	s_and_saveexec_b64 s[18:19], s[38:39]
	s_cbranch_execnz .LBB144_291
.LBB144_244:                            ;   in Loop: Header=BB144_13 Depth=1
	s_or_b64 exec, exec, s[18:19]
	s_and_saveexec_b64 s[18:19], s[40:41]
	s_cbranch_execnz .LBB144_292
.LBB144_245:                            ;   in Loop: Header=BB144_13 Depth=1
	s_or_b64 exec, exec, s[18:19]
	s_and_saveexec_b64 s[18:19], s[42:43]
	s_cbranch_execnz .LBB144_293
.LBB144_246:                            ;   in Loop: Header=BB144_13 Depth=1
	s_or_b64 exec, exec, s[18:19]
	s_and_saveexec_b64 s[18:19], s[44:45]
	s_cbranch_execnz .LBB144_294
.LBB144_247:                            ;   in Loop: Header=BB144_13 Depth=1
	s_or_b64 exec, exec, s[18:19]
	s_and_saveexec_b64 s[18:19], s[46:47]
	s_cbranch_execnz .LBB144_295
.LBB144_248:                            ;   in Loop: Header=BB144_13 Depth=1
	s_or_b64 exec, exec, s[18:19]
	s_and_saveexec_b64 s[18:19], s[48:49]
	s_cbranch_execnz .LBB144_296
.LBB144_249:                            ;   in Loop: Header=BB144_13 Depth=1
	s_or_b64 exec, exec, s[18:19]
	s_and_saveexec_b64 s[18:19], s[50:51]
	s_cbranch_execz .LBB144_12
	s_branch .LBB144_297
.LBB144_250:                            ;   in Loop: Header=BB144_13 Depth=1
	global_load_dword v36, v[28:29], off offset:3328
	s_or_b64 exec, exec, s[52:53]
	s_and_saveexec_b64 s[52:53], s[48:49]
	s_cbranch_execz .LBB144_73
.LBB144_251:                            ;   in Loop: Header=BB144_13 Depth=1
	global_load_dword v35, v[28:29], off offset:3584
	s_or_b64 exec, exec, s[52:53]
	v_mov_b32_e32 v37, 0
	s_and_saveexec_b64 s[52:53], s[50:51]
	s_cbranch_execnz .LBB144_74
	s_branch .LBB144_75
.LBB144_252:                            ;   in Loop: Header=BB144_13 Depth=1
	scratch_load_dword v18, off, off        ; 4-byte Folded Reload
	s_waitcnt vmcnt(0)
	ds_read_b32 v18, v18
	s_waitcnt lgkmcnt(0)
	global_store_dword v[2:3], v18, off
	s_or_b64 exec, exec, s[52:53]
	s_and_saveexec_b64 s[52:53], s[20:21]
	s_cbranch_execz .LBB144_202
.LBB144_253:                            ;   in Loop: Header=BB144_13 Depth=1
	s_waitcnt lgkmcnt(14)
	global_store_dword v[2:3], v17, off offset:256
	s_or_b64 exec, exec, s[52:53]
	s_and_saveexec_b64 s[52:53], s[22:23]
	s_cbranch_execz .LBB144_203
.LBB144_254:                            ;   in Loop: Header=BB144_13 Depth=1
	s_waitcnt lgkmcnt(13)
	global_store_dword v[2:3], v16, off offset:512
	s_or_b64 exec, exec, s[52:53]
	s_and_saveexec_b64 s[52:53], s[24:25]
	s_cbranch_execz .LBB144_204
.LBB144_255:                            ;   in Loop: Header=BB144_13 Depth=1
	s_waitcnt lgkmcnt(12)
	global_store_dword v[2:3], v15, off offset:768
	s_or_b64 exec, exec, s[52:53]
	s_and_saveexec_b64 s[52:53], s[26:27]
	s_cbranch_execz .LBB144_205
.LBB144_256:                            ;   in Loop: Header=BB144_13 Depth=1
	s_waitcnt lgkmcnt(11)
	global_store_dword v[2:3], v14, off offset:1024
	s_or_b64 exec, exec, s[52:53]
	s_and_saveexec_b64 s[52:53], s[28:29]
	s_cbranch_execz .LBB144_206
.LBB144_257:                            ;   in Loop: Header=BB144_13 Depth=1
	s_waitcnt lgkmcnt(10)
	global_store_dword v[2:3], v13, off offset:1280
	s_or_b64 exec, exec, s[52:53]
	s_and_saveexec_b64 s[52:53], s[30:31]
	s_cbranch_execz .LBB144_207
.LBB144_258:                            ;   in Loop: Header=BB144_13 Depth=1
	s_waitcnt lgkmcnt(9)
	global_store_dword v[2:3], v12, off offset:1536
	s_or_b64 exec, exec, s[52:53]
	s_and_saveexec_b64 s[52:53], s[34:35]
	s_cbranch_execz .LBB144_208
.LBB144_259:                            ;   in Loop: Header=BB144_13 Depth=1
	s_waitcnt lgkmcnt(8)
	global_store_dword v[2:3], v11, off offset:1792
	s_or_b64 exec, exec, s[52:53]
	s_and_saveexec_b64 s[52:53], s[36:37]
	s_cbranch_execz .LBB144_209
.LBB144_260:                            ;   in Loop: Header=BB144_13 Depth=1
	s_waitcnt lgkmcnt(7)
	global_store_dword v[2:3], v10, off offset:2048
	s_or_b64 exec, exec, s[52:53]
	s_and_saveexec_b64 s[52:53], s[38:39]
	s_cbranch_execz .LBB144_210
.LBB144_261:                            ;   in Loop: Header=BB144_13 Depth=1
	s_waitcnt lgkmcnt(6)
	global_store_dword v[2:3], v9, off offset:2304
	s_or_b64 exec, exec, s[52:53]
	s_and_saveexec_b64 s[52:53], s[40:41]
	s_cbranch_execz .LBB144_211
.LBB144_262:                            ;   in Loop: Header=BB144_13 Depth=1
	s_waitcnt lgkmcnt(5)
	global_store_dword v[2:3], v8, off offset:2560
	s_or_b64 exec, exec, s[52:53]
	s_and_saveexec_b64 s[52:53], s[42:43]
	s_cbranch_execz .LBB144_212
.LBB144_263:                            ;   in Loop: Header=BB144_13 Depth=1
	s_waitcnt lgkmcnt(4)
	global_store_dword v[2:3], v7, off offset:2816
	s_or_b64 exec, exec, s[52:53]
	s_and_saveexec_b64 s[52:53], s[44:45]
	s_cbranch_execz .LBB144_213
.LBB144_264:                            ;   in Loop: Header=BB144_13 Depth=1
	s_waitcnt lgkmcnt(3)
	global_store_dword v[2:3], v6, off offset:3072
	s_or_b64 exec, exec, s[52:53]
	s_and_saveexec_b64 s[52:53], s[46:47]
	s_cbranch_execz .LBB144_214
.LBB144_265:                            ;   in Loop: Header=BB144_13 Depth=1
	s_waitcnt lgkmcnt(2)
	global_store_dword v[2:3], v5, off offset:3328
	s_or_b64 exec, exec, s[52:53]
	s_and_saveexec_b64 s[52:53], s[48:49]
	s_cbranch_execz .LBB144_215
.LBB144_266:                            ;   in Loop: Header=BB144_13 Depth=1
	s_waitcnt lgkmcnt(1)
	global_store_dword v[2:3], v4, off offset:3584
	s_or_b64 exec, exec, s[52:53]
	s_and_saveexec_b64 s[52:53], s[50:51]
	s_cbranch_execnz .LBB144_216
	s_branch .LBB144_217
.LBB144_267:                            ;   in Loop: Header=BB144_13 Depth=1
	global_load_dword v0, v[44:45], off
	v_mov_b32_e32 v2, v1
	v_mov_b32_e32 v3, v1
	;; [unrolled: 1-line block ×14, first 2 shown]
	s_waitcnt vmcnt(0)
	v_mov_b64_e32 v[16:17], v[14:15]
	v_mov_b64_e32 v[14:15], v[12:13]
	;; [unrolled: 1-line block ×8, first 2 shown]
	s_or_b64 exec, exec, s[52:53]
	s_and_saveexec_b64 s[52:53], s[20:21]
	s_cbranch_execz .LBB144_219
.LBB144_268:                            ;   in Loop: Header=BB144_13 Depth=1
	global_load_dword v3, v[44:45], off offset:256
	s_or_b64 exec, exec, s[52:53]
	s_and_saveexec_b64 s[52:53], s[22:23]
	s_cbranch_execz .LBB144_220
.LBB144_269:                            ;   in Loop: Header=BB144_13 Depth=1
	global_load_dword v4, v[44:45], off offset:512
	s_or_b64 exec, exec, s[52:53]
	s_and_saveexec_b64 s[52:53], s[24:25]
	s_cbranch_execz .LBB144_221
.LBB144_270:                            ;   in Loop: Header=BB144_13 Depth=1
	global_load_dword v5, v[44:45], off offset:768
	s_or_b64 exec, exec, s[52:53]
	s_and_saveexec_b64 s[52:53], s[26:27]
	s_cbranch_execz .LBB144_222
.LBB144_271:                            ;   in Loop: Header=BB144_13 Depth=1
	global_load_dword v6, v[44:45], off offset:1024
	s_or_b64 exec, exec, s[52:53]
	s_and_saveexec_b64 s[52:53], s[28:29]
	s_cbranch_execz .LBB144_223
.LBB144_272:                            ;   in Loop: Header=BB144_13 Depth=1
	global_load_dword v7, v[44:45], off offset:1280
	s_or_b64 exec, exec, s[52:53]
	s_and_saveexec_b64 s[52:53], s[30:31]
	s_cbranch_execz .LBB144_224
.LBB144_273:                            ;   in Loop: Header=BB144_13 Depth=1
	global_load_dword v8, v[44:45], off offset:1536
	s_or_b64 exec, exec, s[52:53]
	s_and_saveexec_b64 s[52:53], s[34:35]
	s_cbranch_execz .LBB144_225
.LBB144_274:                            ;   in Loop: Header=BB144_13 Depth=1
	global_load_dword v9, v[44:45], off offset:1792
	s_or_b64 exec, exec, s[52:53]
	s_and_saveexec_b64 s[52:53], s[36:37]
	s_cbranch_execz .LBB144_226
.LBB144_275:                            ;   in Loop: Header=BB144_13 Depth=1
	global_load_dword v10, v[44:45], off offset:2048
	s_or_b64 exec, exec, s[52:53]
	s_and_saveexec_b64 s[52:53], s[38:39]
	s_cbranch_execz .LBB144_227
.LBB144_276:                            ;   in Loop: Header=BB144_13 Depth=1
	global_load_dword v11, v[44:45], off offset:2304
	s_or_b64 exec, exec, s[52:53]
	s_and_saveexec_b64 s[52:53], s[40:41]
	s_cbranch_execz .LBB144_228
.LBB144_277:                            ;   in Loop: Header=BB144_13 Depth=1
	global_load_dword v12, v[44:45], off offset:2560
	s_or_b64 exec, exec, s[52:53]
	s_and_saveexec_b64 s[52:53], s[42:43]
	s_cbranch_execz .LBB144_229
.LBB144_278:                            ;   in Loop: Header=BB144_13 Depth=1
	global_load_dword v13, v[44:45], off offset:2816
	s_or_b64 exec, exec, s[52:53]
	s_and_saveexec_b64 s[52:53], s[44:45]
	s_cbranch_execz .LBB144_230
.LBB144_279:                            ;   in Loop: Header=BB144_13 Depth=1
	global_load_dword v14, v[44:45], off offset:3072
	s_or_b64 exec, exec, s[52:53]
	s_and_saveexec_b64 s[52:53], s[46:47]
	s_cbranch_execz .LBB144_231
.LBB144_280:                            ;   in Loop: Header=BB144_13 Depth=1
	global_load_dword v15, v[44:45], off offset:3328
	s_or_b64 exec, exec, s[52:53]
	s_and_saveexec_b64 s[52:53], s[48:49]
	s_cbranch_execz .LBB144_232
.LBB144_281:                            ;   in Loop: Header=BB144_13 Depth=1
	global_load_dword v16, v[44:45], off offset:3584
	s_or_b64 exec, exec, s[52:53]
	s_and_saveexec_b64 s[52:53], s[50:51]
	s_cbranch_execnz .LBB144_233
	s_branch .LBB144_234
.LBB144_282:                            ;   in Loop: Header=BB144_13 Depth=1
	scratch_load_dword v18, off, off        ; 4-byte Folded Reload
	s_waitcnt vmcnt(0)
	ds_read_b32 v18, v18
	s_waitcnt lgkmcnt(0)
	global_store_dword v[2:3], v18, off
	s_or_b64 exec, exec, s[52:53]
	s_and_saveexec_b64 s[18:19], s[20:21]
	s_cbranch_execz .LBB144_236
.LBB144_283:                            ;   in Loop: Header=BB144_13 Depth=1
	s_waitcnt lgkmcnt(14)
	global_store_dword v[2:3], v17, off offset:256
	s_or_b64 exec, exec, s[18:19]
	s_and_saveexec_b64 s[18:19], s[22:23]
	s_cbranch_execz .LBB144_237
.LBB144_284:                            ;   in Loop: Header=BB144_13 Depth=1
	s_waitcnt lgkmcnt(13)
	global_store_dword v[2:3], v16, off offset:512
	s_or_b64 exec, exec, s[18:19]
	s_and_saveexec_b64 s[18:19], s[24:25]
	s_cbranch_execz .LBB144_238
.LBB144_285:                            ;   in Loop: Header=BB144_13 Depth=1
	s_waitcnt lgkmcnt(12)
	global_store_dword v[2:3], v15, off offset:768
	s_or_b64 exec, exec, s[18:19]
	s_and_saveexec_b64 s[18:19], s[26:27]
	s_cbranch_execz .LBB144_239
.LBB144_286:                            ;   in Loop: Header=BB144_13 Depth=1
	s_waitcnt lgkmcnt(11)
	global_store_dword v[2:3], v14, off offset:1024
	s_or_b64 exec, exec, s[18:19]
	s_and_saveexec_b64 s[18:19], s[28:29]
	s_cbranch_execz .LBB144_240
.LBB144_287:                            ;   in Loop: Header=BB144_13 Depth=1
	s_waitcnt lgkmcnt(10)
	global_store_dword v[2:3], v13, off offset:1280
	s_or_b64 exec, exec, s[18:19]
	s_and_saveexec_b64 s[18:19], s[30:31]
	s_cbranch_execz .LBB144_241
.LBB144_288:                            ;   in Loop: Header=BB144_13 Depth=1
	s_waitcnt lgkmcnt(9)
	global_store_dword v[2:3], v12, off offset:1536
	s_or_b64 exec, exec, s[18:19]
	s_and_saveexec_b64 s[18:19], s[34:35]
	s_cbranch_execz .LBB144_242
.LBB144_289:                            ;   in Loop: Header=BB144_13 Depth=1
	s_waitcnt lgkmcnt(8)
	global_store_dword v[2:3], v11, off offset:1792
	s_or_b64 exec, exec, s[18:19]
	s_and_saveexec_b64 s[18:19], s[36:37]
	s_cbranch_execz .LBB144_243
.LBB144_290:                            ;   in Loop: Header=BB144_13 Depth=1
	s_waitcnt lgkmcnt(7)
	global_store_dword v[2:3], v10, off offset:2048
	s_or_b64 exec, exec, s[18:19]
	s_and_saveexec_b64 s[18:19], s[38:39]
	s_cbranch_execz .LBB144_244
.LBB144_291:                            ;   in Loop: Header=BB144_13 Depth=1
	s_waitcnt lgkmcnt(6)
	global_store_dword v[2:3], v9, off offset:2304
	s_or_b64 exec, exec, s[18:19]
	s_and_saveexec_b64 s[18:19], s[40:41]
	s_cbranch_execz .LBB144_245
.LBB144_292:                            ;   in Loop: Header=BB144_13 Depth=1
	s_waitcnt lgkmcnt(5)
	global_store_dword v[2:3], v8, off offset:2560
	s_or_b64 exec, exec, s[18:19]
	s_and_saveexec_b64 s[18:19], s[42:43]
	s_cbranch_execz .LBB144_246
.LBB144_293:                            ;   in Loop: Header=BB144_13 Depth=1
	s_waitcnt lgkmcnt(4)
	global_store_dword v[2:3], v7, off offset:2816
	s_or_b64 exec, exec, s[18:19]
	s_and_saveexec_b64 s[18:19], s[44:45]
	s_cbranch_execz .LBB144_247
.LBB144_294:                            ;   in Loop: Header=BB144_13 Depth=1
	s_waitcnt lgkmcnt(3)
	global_store_dword v[2:3], v6, off offset:3072
	s_or_b64 exec, exec, s[18:19]
	s_and_saveexec_b64 s[18:19], s[46:47]
	s_cbranch_execz .LBB144_248
.LBB144_295:                            ;   in Loop: Header=BB144_13 Depth=1
	s_waitcnt lgkmcnt(2)
	global_store_dword v[2:3], v5, off offset:3328
	s_or_b64 exec, exec, s[18:19]
	s_and_saveexec_b64 s[18:19], s[48:49]
	s_cbranch_execz .LBB144_249
.LBB144_296:                            ;   in Loop: Header=BB144_13 Depth=1
	s_waitcnt lgkmcnt(1)
	global_store_dword v[2:3], v4, off offset:3584
	s_or_b64 exec, exec, s[18:19]
	s_and_saveexec_b64 s[18:19], s[50:51]
	s_cbranch_execz .LBB144_12
.LBB144_297:                            ;   in Loop: Header=BB144_13 Depth=1
	s_waitcnt lgkmcnt(0)
	global_store_dword v[2:3], v0, off offset:3840
	s_branch .LBB144_12
.LBB144_298:
	s_endpgm
	.section	.rodata,"a",@progbits
	.p2align	6, 0x0
	.amdhsa_kernel _Z25selective_scan_fwd_kernelI32Selective_Scan_fwd_kernel_traitsILi64ELi16ELi1ELb1ELb1ELb1ELb1ELb1EfffEEv13SSMParamsBase
		.amdhsa_group_segment_fixed_size 0
		.amdhsa_private_segment_fixed_size 364
		.amdhsa_kernarg_size 248
		.amdhsa_user_sgpr_count 2
		.amdhsa_user_sgpr_dispatch_ptr 0
		.amdhsa_user_sgpr_queue_ptr 0
		.amdhsa_user_sgpr_kernarg_segment_ptr 1
		.amdhsa_user_sgpr_dispatch_id 0
		.amdhsa_user_sgpr_kernarg_preload_length 0
		.amdhsa_user_sgpr_kernarg_preload_offset 0
		.amdhsa_user_sgpr_private_segment_size 0
		.amdhsa_uses_dynamic_stack 0
		.amdhsa_enable_private_segment 1
		.amdhsa_system_sgpr_workgroup_id_x 1
		.amdhsa_system_sgpr_workgroup_id_y 1
		.amdhsa_system_sgpr_workgroup_id_z 0
		.amdhsa_system_sgpr_workgroup_info 0
		.amdhsa_system_vgpr_workitem_id 0
		.amdhsa_next_free_vgpr 96
		.amdhsa_next_free_sgpr 100
		.amdhsa_accum_offset 96
		.amdhsa_reserve_vcc 1
		.amdhsa_float_round_mode_32 0
		.amdhsa_float_round_mode_16_64 0
		.amdhsa_float_denorm_mode_32 3
		.amdhsa_float_denorm_mode_16_64 3
		.amdhsa_dx10_clamp 1
		.amdhsa_ieee_mode 1
		.amdhsa_fp16_overflow 0
		.amdhsa_tg_split 0
		.amdhsa_exception_fp_ieee_invalid_op 0
		.amdhsa_exception_fp_denorm_src 0
		.amdhsa_exception_fp_ieee_div_zero 0
		.amdhsa_exception_fp_ieee_overflow 0
		.amdhsa_exception_fp_ieee_underflow 0
		.amdhsa_exception_fp_ieee_inexact 0
		.amdhsa_exception_int_div_zero 0
	.end_amdhsa_kernel
	.section	.text._Z25selective_scan_fwd_kernelI32Selective_Scan_fwd_kernel_traitsILi64ELi16ELi1ELb1ELb1ELb1ELb1ELb1EfffEEv13SSMParamsBase,"axG",@progbits,_Z25selective_scan_fwd_kernelI32Selective_Scan_fwd_kernel_traitsILi64ELi16ELi1ELb1ELb1ELb1ELb1ELb1EfffEEv13SSMParamsBase,comdat
.Lfunc_end144:
	.size	_Z25selective_scan_fwd_kernelI32Selective_Scan_fwd_kernel_traitsILi64ELi16ELi1ELb1ELb1ELb1ELb1ELb1EfffEEv13SSMParamsBase, .Lfunc_end144-_Z25selective_scan_fwd_kernelI32Selective_Scan_fwd_kernel_traitsILi64ELi16ELi1ELb1ELb1ELb1ELb1ELb1EfffEEv13SSMParamsBase
                                        ; -- End function
	.section	.AMDGPU.csdata,"",@progbits
; Kernel info:
; codeLenInByte = 27408
; NumSgprs: 106
; NumVgprs: 96
; NumAgprs: 0
; TotalNumVgprs: 96
; ScratchSize: 364
; MemoryBound: 0
; FloatMode: 240
; IeeeMode: 1
; LDSByteSize: 0 bytes/workgroup (compile time only)
; SGPRBlocks: 13
; VGPRBlocks: 11
; NumSGPRsForWavesPerEU: 106
; NumVGPRsForWavesPerEU: 96
; AccumOffset: 96
; Occupancy: 5
; WaveLimiterHint : 1
; COMPUTE_PGM_RSRC2:SCRATCH_EN: 1
; COMPUTE_PGM_RSRC2:USER_SGPR: 2
; COMPUTE_PGM_RSRC2:TRAP_HANDLER: 0
; COMPUTE_PGM_RSRC2:TGID_X_EN: 1
; COMPUTE_PGM_RSRC2:TGID_Y_EN: 1
; COMPUTE_PGM_RSRC2:TGID_Z_EN: 0
; COMPUTE_PGM_RSRC2:TIDIG_COMP_CNT: 0
; COMPUTE_PGM_RSRC3_GFX90A:ACCUM_OFFSET: 23
; COMPUTE_PGM_RSRC3_GFX90A:TG_SPLIT: 0
	.section	.text._Z25selective_scan_fwd_kernelI32Selective_Scan_fwd_kernel_traitsILi64ELi16ELi1ELb1ELb1ELb1ELb1ELb0EfffEEv13SSMParamsBase,"axG",@progbits,_Z25selective_scan_fwd_kernelI32Selective_Scan_fwd_kernel_traitsILi64ELi16ELi1ELb1ELb1ELb1ELb1ELb0EfffEEv13SSMParamsBase,comdat
	.protected	_Z25selective_scan_fwd_kernelI32Selective_Scan_fwd_kernel_traitsILi64ELi16ELi1ELb1ELb1ELb1ELb1ELb0EfffEEv13SSMParamsBase ; -- Begin function _Z25selective_scan_fwd_kernelI32Selective_Scan_fwd_kernel_traitsILi64ELi16ELi1ELb1ELb1ELb1ELb1ELb0EfffEEv13SSMParamsBase
	.globl	_Z25selective_scan_fwd_kernelI32Selective_Scan_fwd_kernel_traitsILi64ELi16ELi1ELb1ELb1ELb1ELb1ELb0EfffEEv13SSMParamsBase
	.p2align	8
	.type	_Z25selective_scan_fwd_kernelI32Selective_Scan_fwd_kernel_traitsILi64ELi16ELi1ELb1ELb1ELb1ELb1ELb0EfffEEv13SSMParamsBase,@function
_Z25selective_scan_fwd_kernelI32Selective_Scan_fwd_kernel_traitsILi64ELi16ELi1ELb1ELb1ELb1ELb1ELb0EfffEEv13SSMParamsBase: ; @_Z25selective_scan_fwd_kernelI32Selective_Scan_fwd_kernel_traitsILi64ELi16ELi1ELb1ELb1ELb1ELb1ELb0EfffEEv13SSMParamsBase
; %bb.0:
	s_load_dword s37, s[0:1], 0x18
	s_load_dwordx4 s[4:7], s[0:1], 0xe8
	s_mov_b32 s28, s3
	s_waitcnt lgkmcnt(0)
	s_abs_i32 s36, s37
	v_cvt_f32_u32_e32 v1, s36
	s_cmp_eq_u64 s[6:7], 0
	v_rcp_iflag_f32_e32 v1, v1
	s_nop 0
	v_mul_f32_e32 v1, 0x4f7ffffe, v1
	v_cvt_u32_f32_e32 v1, v1
	s_nop 0
	v_readfirstlane_b32 s24, v1
	s_cbranch_scc1 .LBB145_3
; %bb.1:
	s_ashr_i32 s3, s2, 31
	s_add_u32 s6, s6, s2
	s_addc_u32 s7, s7, s3
	v_mov_b32_e32 v1, 0
	global_load_ubyte v1, v1, s[6:7]
	s_waitcnt vmcnt(0)
	v_and_b32_e32 v1, 1, v1
	v_cmp_eq_u32_e64 s[62:63], 1, v1
	s_load_dwordx2 s[6:7], s[0:1], 0x20
	s_cmp_eq_u64 s[4:5], 0
	s_cbranch_scc1 .LBB145_4
.LBB145_2:
	s_ashr_i32 s3, s2, 31
	s_lshl_b64 s[8:9], s[2:3], 2
	s_add_u32 s4, s4, s8
	s_addc_u32 s5, s5, s9
	s_load_dword s34, s[4:5], 0x0
	s_waitcnt lgkmcnt(0)
	s_ashr_i32 s35, s34, 31
	s_cmp_eq_u64 s[6:7], s[34:35]
	s_cbranch_scc0 .LBB145_5
	s_branch .LBB145_97
.LBB145_3:
	s_mov_b64 s[62:63], 0
	s_load_dwordx2 s[6:7], s[0:1], 0x20
	s_cmp_eq_u64 s[4:5], 0
	s_cbranch_scc0 .LBB145_2
.LBB145_4:
	s_mov_b32 s34, s2
	s_ashr_i32 s35, s34, 31
	s_waitcnt lgkmcnt(0)
	s_cmp_eq_u64 s[6:7], s[34:35]
	s_cbranch_scc1 .LBB145_97
.LBB145_5:
	s_load_dwordx16 s[4:19], s[0:1], 0x88
	s_load_dwordx2 s[38:39], s[0:1], 0x8
	s_mov_b32 s33, 0
	s_mov_b32 s80, 0
	s_waitcnt lgkmcnt(0)
	s_cmp_eq_u64 s[10:11], 0
	s_cbranch_scc1 .LBB145_7
; %bb.6:
	s_ashr_i32 s29, s28, 31
	s_lshl_b64 s[20:21], s[28:29], 2
	s_add_u32 s10, s10, s20
	s_addc_u32 s11, s11, s21
	s_load_dword s80, s[10:11], 0x0
.LBB145_7:
	s_cmp_eq_u64 s[16:17], 0
	s_cbranch_scc1 .LBB145_9
; %bb.8:
	s_ashr_i32 s29, s28, 31
	s_lshl_b64 s[10:11], s[28:29], 2
	s_add_u32 s10, s16, s10
	s_addc_u32 s11, s17, s11
	s_load_dword s33, s[10:11], 0x0
.LBB145_9:
	s_cmp_lt_i32 s38, 1
	s_cbranch_scc1 .LBB145_97
; %bb.10:
	s_sub_i32 s3, 0, s36
	s_mul_i32 s3, s3, s24
	s_mul_hi_u32 s3, s24, s3
	s_abs_i32 s16, s28
	s_add_i32 s3, s24, s3
	s_load_dwordx8 s[64:71], s[0:1], 0x2c
	s_load_dwordx2 s[10:11], s[0:1], 0x7c
	s_load_dwordx4 s[20:23], s[0:1], 0x6c
	s_load_dwordx8 s[72:79], s[0:1], 0x4c
	s_load_dwordx2 s[30:31], s[0:1], 0xd8
	s_load_dwordx4 s[24:27], s[0:1], 0xc8
	s_load_dword s81, s[0:1], 0x84
	s_mul_hi_u32 s3, s16, s3
	s_load_dword s17, s[0:1], 0x28
	s_ashr_i32 s0, s28, 31
	s_ashr_i32 s1, s37, 31
	s_xor_b32 s0, s0, s1
	s_mul_i32 s1, s3, s36
	s_sub_i32 s1, s16, s1
	s_add_i32 s16, s3, 1
	s_sub_i32 s29, s1, s36
	s_cmp_ge_u32 s1, s36
	s_cselect_b32 s3, s16, s3
	s_cselect_b32 s1, s29, s1
	s_add_i32 s16, s3, 1
	s_cmp_ge_u32 s1, s36
	s_cselect_b32 s1, s16, s3
	s_xor_b32 s1, s1, s0
	s_waitcnt lgkmcnt(0)
	s_mul_i32 s82, s74, s2
	s_mov_b32 s83, 0
	s_sub_i32 s3, s1, s0
	s_lshl_b64 s[0:1], s[82:83], 2
	s_add_u32 s12, s12, s0
	s_mul_i32 s82, s75, s28
	s_addc_u32 s13, s13, s1
	s_lshl_b64 s[0:1], s[82:83], 2
	s_add_u32 s74, s12, s0
	s_mul_i32 s82, s76, s2
	s_addc_u32 s75, s13, s1
	;; [unrolled: 4-line block ×10, first 2 shown]
	s_lshl_b64 s[0:1], s[82:83], 2
	s_add_u32 s69, s3, s0
	s_addc_u32 s73, s4, s1
	s_add_i32 s0, s38, 0x7ff
	s_lshr_b32 s1, s0, 11
	s_bitcmp1_b32 s17, 0
	s_cselect_b64 s[84:85], -1, 0
	s_cmp_gt_i32 s39, 0
	s_cselect_b64 s[4:5], -1, 0
                                        ; implicit-def: $vgpr95 : SGPR spill to VGPR lane
	s_mul_i32 s82, s20, s2
	v_writelane_b32 v95, s4, 0
	v_mbcnt_lo_u32_b32 v1, -1, 0
	v_mbcnt_hi_u32_b32 v2, -1, v1
	v_writelane_b32 v95, s5, 1
	s_add_i32 s4, 0, 0x1080
	v_writelane_b32 v95, s38, 2
	s_and_b32 s0, s38, 0x3ff
	s_cmp_eq_u32 s0, 0
	v_writelane_b32 v95, s39, 3
	s_cselect_b64 s[88:89], -1, 0
	v_writelane_b32 v95, s1, 4
	s_add_i32 s0, s1, -1
	v_writelane_b32 v95, s0, 5
	s_lshl_b64 s[0:1], s[82:83], 2
	s_movk_i32 s3, 0x100
	s_add_u32 s5, s18, s0
	s_addc_u32 s6, s19, s1
	v_cmp_gt_u32_e64 s[0:1], s3, v2
	v_add_u32_e32 v1, 64, v2
	v_or_b32_e32 v3, 0x80, v2
	v_writelane_b32 v95, s0, 6
	v_lshrrev_b32_e32 v5, 5, v2
	v_add_u32_e32 v5, v5, v2
	v_writelane_b32 v95, s1, 7
	v_cmp_gt_u32_e64 s[0:1], s3, v1
	v_lshrrev_b32_e32 v1, 5, v1
	v_add_u32_e32 v4, 0xc0, v2
	v_writelane_b32 v95, s0, 8
	v_lshl_add_u32 v5, v5, 4, 0
	v_add_lshl_u32 v1, v1, v2, 4
	v_writelane_b32 v95, s1, 9
	v_cmp_gt_u32_e64 s[0:1], s3, v3
	v_lshrrev_b32_e32 v3, 5, v3
	scratch_store_dword off, v5, off        ; 4-byte Folded Spill
	v_writelane_b32 v95, s0, 10
	v_add_u32_e32 v5, 0, v1
	v_add_lshl_u32 v3, v3, v2, 4
	v_writelane_b32 v95, s1, 11
	v_cmp_gt_u32_e64 s[0:1], s3, v4
	v_lshrrev_b32_e32 v4, 5, v4
	scratch_store_dword off, v5, off offset:4 ; 4-byte Folded Spill
	v_add_u32_e32 v5, 0, v3
	v_add_lshl_u32 v4, v4, v2, 4
	scratch_store_dword off, v5, off offset:8 ; 4-byte Folded Spill
	v_add_u32_e32 v5, 0, v4
	v_add_u32_e32 v1, s4, v1
	v_writelane_b32 v95, s0, 12
	scratch_store_dword off, v5, off offset:12 ; 4-byte Folded Spill
	v_lshlrev_b32_e32 v5, 2, v2
	v_bfe_u32 v6, v2, 3, 27
	scratch_store_dword off, v1, off offset:84 ; 4-byte Folded Spill
	v_add_u32_e32 v1, s4, v3
	s_mul_i32 s82, s21, s28
	v_writelane_b32 v95, s1, 13
	v_add_lshl_u32 v5, v6, v5, 4
	scratch_store_dword off, v1, off offset:88 ; 4-byte Folded Spill
	v_add_u32_e32 v1, s4, v4
	s_lshl_b64 s[0:1], s[82:83], 2
	scratch_store_dword off, v1, off offset:92 ; 4-byte Folded Spill
	v_add_u32_e32 v1, s4, v5
	s_add_u32 s0, s5, s0
	s_mul_i32 s82, s78, s2
	scratch_store_dword off, v1, off offset:96 ; 4-byte Folded Spill
	v_and_b32_e32 v1, 15, v2
	s_addc_u32 s1, s6, s1
	s_lshl_b64 s[4:5], s[82:83], 2
	v_cmp_ne_u32_e64 s[8:9], 0, v1
	v_cmp_lt_u32_e64 s[10:11], 1, v1
	v_cmp_lt_u32_e64 s[12:13], 3, v1
	;; [unrolled: 1-line block ×3, first 2 shown]
	v_and_b32_e32 v1, 16, v2
	s_add_u32 s3, s26, s4
	s_mul_i32 s82, s79, s28
	s_addc_u32 s6, s27, s5
	v_cmp_ne_u32_e64 s[16:17], 0, v1
	s_lshl_b64 s[4:5], s[82:83], 2
	v_add_u32_e32 v1, -1, v2
	v_and_b32_e32 v3, 64, v2
	s_add_u32 s4, s3, s4
	s_mul_i32 s82, s22, s2
	v_cmp_lt_i32_e32 vcc, v1, v3
	s_addc_u32 s5, s6, s5
	s_lshl_b64 s[2:3], s[82:83], 2
	v_cndmask_b32_e32 v1, v1, v2, vcc
	v_mov_b32_e32 v93, 0
	s_mul_i32 s82, s23, s28
	v_lshlrev_b32_e32 v1, 2, v1
	v_lshlrev_b32_e32 v92, 4, v2
	s_add_u32 s2, s30, s2
	v_lshlrev_b32_e32 v4, 4, v0
	v_cmp_eq_u32_e64 s[20:21], 63, v0
	scratch_store_dword off, v1, off offset:100 ; 4-byte Folded Spill
	v_cmp_gt_u32_e64 s[22:23], 64, v0
	v_cmp_eq_u32_e64 s[24:25], 0, v0
	v_lshl_add_u64 v[0:1], s[0:1], 0, v[92:93]
	s_addc_u32 s3, s31, s3
	s_lshl_b64 s[0:1], s[82:83], 2
	s_add_u32 s0, s2, s0
	scratch_store_dwordx2 off, v[0:1], off offset:304 ; 8-byte Folded Spill
	s_addc_u32 s1, s3, s1
	v_lshl_add_u64 v[0:1], s[4:5], 0, v[92:93]
	scratch_store_dwordx2 off, v[0:1], off offset:312 ; 8-byte Folded Spill
	v_lshl_add_u64 v[0:1], s[0:1], 0, v[92:93]
	scratch_store_dwordx2 off, v[0:1], off offset:320 ; 8-byte Folded Spill
	v_or_b32_e32 v0, 1, v4
	scratch_store_dword off, v0, off offset:332 ; 4-byte Folded Spill
	v_or_b32_e32 v0, 2, v4
	scratch_store_dword off, v0, off offset:336 ; 4-byte Folded Spill
	;; [unrolled: 2-line block ×14, first 2 shown]
                                        ; implicit-def: $vgpr0
	v_add_u32_e32 v6, 0, v5
                                        ; implicit-def: $vgpr0_vgpr1
	scratch_store_dword off, v6, off offset:16 ; 4-byte Folded Spill
	scratch_store_dwordx4 off, v[0:3], off offset:272 ; 16-byte Folded Spill
                                        ; implicit-def: $vgpr0_vgpr1
	scratch_store_dwordx4 off, v[0:3], off offset:240 ; 16-byte Folded Spill
                                        ; implicit-def: $vgpr0_vgpr1
	;; [unrolled: 2-line block ×6, first 2 shown]
	scratch_store_dwordx4 off, v[0:3], off offset:112 ; 16-byte Folded Spill
	s_add_i32 s0, 0, 0x2108
	v_cmp_lt_u32_e64 s[18:19], 31, v2
	v_or_b32_e32 v0, 15, v4
	s_mov_b32 s87, 0x41a00000
	s_mov_b32 s4, 0x3fb8aa3b
	;; [unrolled: 1-line block ×8, first 2 shown]
	v_writelane_b32 v95, s0, 14
	v_lshlrev_b32_e32 v92, 4, v2
	s_mov_b32 s7, 0xc2fc0000
	scratch_store_dword off, v0, off offset:388 ; 4-byte Folded Spill
	s_mov_b32 s5, 0xbfb8aa3b
	v_mov_b32_e32 v22, 0x3ecc95a3
	s_mov_b32 s6, 0x42ce8ed0
	v_mov_b32_e32 v23, 0x7f800000
	;; [unrolled: 2-line block ×4, first 2 shown]
	v_mov_b32_e32 v0, 0x3f317218
	scratch_store_dword off, v4, off offset:328 ; 4-byte Folded Spill
	scratch_store_dwordx2 off, v[0:1], off offset:104 ; 8-byte Folded Spill
                                        ; implicit-def: $vgpr0_vgpr1
	scratch_store_dwordx4 off, v[0:3], off offset:128 ; 16-byte Folded Spill
                                        ; implicit-def: $vgpr0_vgpr1
	scratch_store_dwordx4 off, v[0:3], off offset:192 ; 16-byte Folded Spill
	;; [unrolled: 2-line block ×5, first 2 shown]
	s_branch .LBB145_12
.LBB145_11:                             ;   in Loop: Header=BB145_12 Depth=1
	s_or_b64 exec, exec, s[26:27]
	scratch_load_dword v7, off, off         ; 4-byte Folded Reload
	scratch_load_dwordx4 v[8:11], off, off offset:272 ; 16-byte Folded Reload
	s_add_u32 s76, s76, 0x1000
	s_addc_u32 s77, s77, 0
	s_add_u32 s74, s74, 0x1000
	s_addc_u32 s75, s75, 0
	;; [unrolled: 2-line block ×4, first 2 shown]
	s_add_i32 s61, s61, 1
	v_readlane_b32 s0, v95, 4
	s_cmp_eq_u32 s61, s0
	s_waitcnt vmcnt(0)
	ds_write_b128 v7, v[8:11]
	scratch_load_dword v10, off, off offset:4 ; 4-byte Folded Reload
	scratch_load_dwordx4 v[12:15], off, off offset:240 ; 16-byte Folded Reload
	scratch_load_dword v11, off, off offset:8 ; 4-byte Folded Reload
	s_waitcnt vmcnt(1)
	ds_write_b128 v10, v[12:15] offset:1024
	scratch_load_dwordx4 v[12:15], off, off offset:256 ; 16-byte Folded Reload
	s_waitcnt vmcnt(1)
	v_add_u32_e32 v0, 0x800, v11
	s_waitcnt vmcnt(0)
	ds_write2_b64 v0, v[12:13], v[14:15] offset1:1
	scratch_load_dword v12, off, off offset:12 ; 4-byte Folded Reload
	s_waitcnt vmcnt(0)
	ds_write_b128 v12, v[2:5] offset:3072
	; wave barrier
	scratch_load_dword v8, off, off offset:16 ; 4-byte Folded Reload
	s_waitcnt vmcnt(0)
	ds_read_b128 v[28:31], v8
	ds_read_b128 v[14:17], v8 offset:16
	ds_read_b128 v[24:27], v8 offset:32
	;; [unrolled: 1-line block ×3, first 2 shown]
	s_waitcnt lgkmcnt(3)
	v_mul_f32_e32 v0, 0xbfb8aa3b, v29
	v_rndne_f32_e32 v1, v0
	v_sub_f32_e32 v2, v0, v1
	v_fma_f32 v0, v29, s5, -v0
	v_fmac_f32_e32 v0, 0xb2a5705f, v29
	v_add_f32_e32 v0, v2, v0
	v_exp_f32_e32 v0, v0
	v_cvt_i32_f32_e32 v1, v1
	v_cmp_nlt_f32_e32 vcc, s6, v29
	s_waitcnt lgkmcnt(2)
	scratch_store_dwordx4 off, v[14:17], off offset:240 ; 16-byte Folded Spill
	scratch_store_dwordx4 off, v[28:31], off offset:272 ; 16-byte Folded Spill
	v_ldexp_f32 v0, v0, v1
	v_cndmask_b32_e32 v0, 0, v0, vcc
	v_cmp_ngt_f32_e32 vcc, s60, v29
	s_waitcnt lgkmcnt(1)
	scratch_store_dwordx4 off, v[24:27], off offset:256 ; 16-byte Folded Spill
	s_waitcnt lgkmcnt(0)
	scratch_store_dwordx4 off, v[18:21], off offset:288 ; 16-byte Folded Spill
	v_cndmask_b32_e32 v1, v23, v0, vcc
	v_mul_f32_e32 v0, 0xbfb8aa3b, v28
	v_rndne_f32_e32 v2, v0
	v_sub_f32_e32 v3, v0, v2
	v_fma_f32 v0, v28, s5, -v0
	v_fmac_f32_e32 v0, 0xb2a5705f, v28
	v_add_f32_e32 v0, v3, v0
	v_exp_f32_e32 v0, v0
	v_cvt_i32_f32_e32 v2, v2
	v_cmp_nlt_f32_e32 vcc, s6, v28
	s_waitcnt lgkmcnt(0)
	; wave barrier
	v_ldexp_f32 v0, v0, v2
	v_cndmask_b32_e32 v0, 0, v0, vcc
	v_cmp_ngt_f32_e32 vcc, s60, v28
	s_nop 1
	v_cndmask_b32_e32 v0, v23, v0, vcc
	v_pk_add_f32 v[0:1], v[0:1], 1.0 op_sel_hi:[1,0]
	s_nop 0
	v_div_scale_f32 v2, s[26:27], v1, v1, v29
	v_rcp_f32_e32 v3, v2
	s_nop 0
	v_fma_f32 v4, -v2, v3, 1.0
	v_fmac_f32_e32 v3, v4, v3
	v_div_scale_f32 v4, vcc, v29, v1, v29
	v_mul_f32_e32 v5, v4, v3
	v_fma_f32 v6, -v2, v5, v4
	v_fmac_f32_e32 v5, v6, v3
	v_fma_f32 v2, -v2, v5, v4
	v_div_fmas_f32 v2, v2, v3, v5
	v_div_fixup_f32 v1, v2, v1, v29
	v_div_scale_f32 v2, s[26:27], v0, v0, v28
	v_rcp_f32_e32 v3, v2
	s_nop 0
	v_fma_f32 v4, -v2, v3, 1.0
	v_fmac_f32_e32 v3, v4, v3
	v_div_scale_f32 v4, vcc, v28, v0, v28
	v_mul_f32_e32 v5, v4, v3
	v_fma_f32 v6, -v2, v5, v4
	v_fmac_f32_e32 v5, v6, v3
	v_fma_f32 v2, -v2, v5, v4
	v_div_fmas_f32 v2, v2, v3, v5
	v_div_fixup_f32 v0, v2, v0, v28
	v_pk_mul_f32 v[60:61], v[60:61], v[0:1]
	v_mul_f32_e32 v0, 0xbfb8aa3b, v31
	v_rndne_f32_e32 v1, v0
	v_sub_f32_e32 v2, v0, v1
	v_fma_f32 v0, v31, s5, -v0
	v_fmac_f32_e32 v0, 0xb2a5705f, v31
	v_add_f32_e32 v0, v2, v0
	v_exp_f32_e32 v0, v0
	v_cvt_i32_f32_e32 v1, v1
	v_cmp_nlt_f32_e32 vcc, s6, v31
	v_ldexp_f32 v0, v0, v1
	s_nop 0
	v_cndmask_b32_e32 v0, 0, v0, vcc
	v_cmp_ngt_f32_e32 vcc, s60, v31
	s_nop 1
	v_cndmask_b32_e32 v1, v23, v0, vcc
	v_mul_f32_e32 v0, 0xbfb8aa3b, v30
	v_rndne_f32_e32 v2, v0
	v_sub_f32_e32 v3, v0, v2
	v_fma_f32 v0, v30, s5, -v0
	v_fmac_f32_e32 v0, 0xb2a5705f, v30
	v_add_f32_e32 v0, v3, v0
	v_exp_f32_e32 v0, v0
	v_cvt_i32_f32_e32 v2, v2
	v_cmp_nlt_f32_e32 vcc, s6, v30
	v_ldexp_f32 v0, v0, v2
	s_nop 0
	v_cndmask_b32_e32 v0, 0, v0, vcc
	v_cmp_ngt_f32_e32 vcc, s60, v30
	s_nop 1
	v_cndmask_b32_e32 v0, v23, v0, vcc
	v_pk_add_f32 v[0:1], v[0:1], 1.0 op_sel_hi:[1,0]
	s_nop 0
	v_div_scale_f32 v2, s[26:27], v1, v1, v31
	v_rcp_f32_e32 v3, v2
	s_nop 0
	v_fma_f32 v4, -v2, v3, 1.0
	v_fmac_f32_e32 v3, v4, v3
	v_div_scale_f32 v4, vcc, v31, v1, v31
	v_mul_f32_e32 v5, v4, v3
	v_fma_f32 v6, -v2, v5, v4
	v_fmac_f32_e32 v5, v6, v3
	v_fma_f32 v2, -v2, v5, v4
	v_div_fmas_f32 v2, v2, v3, v5
	v_div_fixup_f32 v1, v2, v1, v31
	v_div_scale_f32 v2, s[26:27], v0, v0, v30
	v_rcp_f32_e32 v3, v2
	s_nop 0
	v_fma_f32 v4, -v2, v3, 1.0
	v_fmac_f32_e32 v3, v4, v3
	v_div_scale_f32 v4, vcc, v30, v0, v30
	v_mul_f32_e32 v5, v4, v3
	v_fma_f32 v6, -v2, v5, v4
	v_fmac_f32_e32 v5, v6, v3
	v_fma_f32 v2, -v2, v5, v4
	v_div_fmas_f32 v2, v2, v3, v5
	v_div_fixup_f32 v0, v2, v0, v30
	v_pk_mul_f32 v[62:63], v[62:63], v[0:1]
	v_mul_f32_e32 v0, 0xbfb8aa3b, v15
	v_rndne_f32_e32 v1, v0
	v_sub_f32_e32 v2, v0, v1
	v_fma_f32 v0, v15, s5, -v0
	v_fmac_f32_e32 v0, 0xb2a5705f, v15
	v_add_f32_e32 v0, v2, v0
	v_exp_f32_e32 v0, v0
	v_cvt_i32_f32_e32 v1, v1
	v_cmp_nlt_f32_e32 vcc, s6, v15
	v_ldexp_f32 v0, v0, v1
	s_nop 0
	v_cndmask_b32_e32 v0, 0, v0, vcc
	v_cmp_ngt_f32_e32 vcc, s60, v15
	s_nop 1
	v_cndmask_b32_e32 v1, v23, v0, vcc
	v_mul_f32_e32 v0, 0xbfb8aa3b, v14
	v_rndne_f32_e32 v2, v0
	v_sub_f32_e32 v3, v0, v2
	v_fma_f32 v0, v14, s5, -v0
	v_fmac_f32_e32 v0, 0xb2a5705f, v14
	v_add_f32_e32 v0, v3, v0
	v_exp_f32_e32 v0, v0
	v_cvt_i32_f32_e32 v2, v2
	v_cmp_nlt_f32_e32 vcc, s6, v14
	v_ldexp_f32 v0, v0, v2
	s_nop 0
	;; [unrolled: 57-line block ×7, first 2 shown]
	v_cndmask_b32_e32 v0, 0, v0, vcc
	v_cmp_ngt_f32_e32 vcc, s60, v20
	s_nop 1
	v_cndmask_b32_e32 v0, v23, v0, vcc
	v_pk_add_f32 v[0:1], v[0:1], 1.0 op_sel_hi:[1,0]
	s_nop 0
	v_div_scale_f32 v2, s[26:27], v1, v1, v21
	v_rcp_f32_e32 v3, v2
	s_nop 0
	v_fma_f32 v4, -v2, v3, 1.0
	v_fmac_f32_e32 v3, v4, v3
	v_div_scale_f32 v4, vcc, v21, v1, v21
	v_mul_f32_e32 v5, v4, v3
	v_fma_f32 v6, -v2, v5, v4
	v_fmac_f32_e32 v5, v6, v3
	v_fma_f32 v2, -v2, v5, v4
	v_div_fmas_f32 v2, v2, v3, v5
	v_div_fixup_f32 v1, v2, v1, v21
	v_div_scale_f32 v2, s[26:27], v0, v0, v20
	v_rcp_f32_e32 v3, v2
	s_nop 0
	v_fma_f32 v4, -v2, v3, 1.0
	v_fmac_f32_e32 v3, v4, v3
	v_div_scale_f32 v4, vcc, v20, v0, v20
	v_mul_f32_e32 v5, v4, v3
	v_fma_f32 v6, -v2, v5, v4
	v_fmac_f32_e32 v5, v6, v3
	v_fma_f32 v2, -v2, v5, v4
	v_div_fmas_f32 v2, v2, v3, v5
	v_div_fixup_f32 v0, v2, v0, v20
	v_pk_mul_f32 v[18:19], v[50:51], v[0:1]
	ds_write_b128 v8, v[60:63]
	ds_write_b128 v8, v[56:59] offset:16
	ds_write_b128 v8, v[52:55] offset:32
	;; [unrolled: 1-line block ×3, first 2 shown]
	; wave barrier
	scratch_load_dwordx2 v[4:5], off, off offset:320 ; 8-byte Folded Reload
	ds_read_b128 v[0:3], v7
	s_waitcnt lgkmcnt(0)
	v_mov_b32_e32 v6, v3
	s_waitcnt vmcnt(0)
	v_lshl_add_u64 v[8:9], s[2:3], 2, v[4:5]
	v_mov_b32_e32 v4, v1
	v_mov_b32_e32 v5, v2
	;; [unrolled: 1-line block ×5, first 2 shown]
	global_store_dwordx4 v[8:9], v[0:3], off
	ds_read_b128 v[0:3], v10 offset:1024
	s_waitcnt lgkmcnt(0)
	global_store_dwordx4 v[8:9], v[0:3], off offset:1024
	ds_read_b128 v[0:3], v11 offset:2048
	s_waitcnt lgkmcnt(0)
	global_store_dwordx4 v[8:9], v[0:3], off offset:2048
	;; [unrolled: 3-line block ×3, first 2 shown]
	s_cbranch_scc1 .LBB145_97
.LBB145_12:                             ; =>This Loop Header: Depth=1
                                        ;     Child Loop BB145_63 Depth 2
	v_readlane_b32 s0, v95, 6
	v_lshl_add_u64 v[16:17], s[74:75], 0, v[92:93]
	v_readlane_b32 s1, v95, 7
	s_waitcnt lgkmcnt(0)
	; wave barrier
	s_and_saveexec_b64 s[2:3], s[0:1]
	s_cbranch_execz .LBB145_14
; %bb.13:                               ;   in Loop: Header=BB145_12 Depth=1
	global_load_dwordx4 v[0:3], v[16:17], off
	s_waitcnt vmcnt(0)
	scratch_store_dwordx4 off, v[0:3], off offset:192 ; 16-byte Folded Spill
.LBB145_14:                             ;   in Loop: Header=BB145_12 Depth=1
	s_or_b64 exec, exec, s[2:3]
	s_mov_b64 s[2:3], exec
	scratch_load_dwordx4 v[4:7], off, off offset:208 ; 16-byte Folded Reload
	scratch_load_dwordx4 v[8:11], off, off offset:224 ; 16-byte Folded Reload
	v_readlane_b32 s0, v95, 8
	v_readlane_b32 s1, v95, 9
	s_and_b64 s[26:27], s[2:3], s[0:1]
	s_mov_b64 exec, s[26:27]
	s_cbranch_execz .LBB145_16
; %bb.15:                               ;   in Loop: Header=BB145_12 Depth=1
	global_load_dwordx4 v[8:11], v[16:17], off offset:1024
.LBB145_16:                             ;   in Loop: Header=BB145_12 Depth=1
	s_or_b64 exec, exec, s[2:3]
	v_readlane_b32 s0, v95, 10
	v_readlane_b32 s1, v95, 11
	s_and_saveexec_b64 s[2:3], s[0:1]
	s_cbranch_execz .LBB145_18
; %bb.17:                               ;   in Loop: Header=BB145_12 Depth=1
	global_load_dwordx4 v[4:7], v[16:17], off offset:2048
.LBB145_18:                             ;   in Loop: Header=BB145_12 Depth=1
	s_or_b64 exec, exec, s[2:3]
	v_readlane_b32 s0, v95, 12
	v_readlane_b32 s1, v95, 13
	s_and_saveexec_b64 s[2:3], s[0:1]
	s_cbranch_execz .LBB145_20
; %bb.19:                               ;   in Loop: Header=BB145_12 Depth=1
	global_load_dwordx4 v[0:3], v[16:17], off offset:3072
	s_waitcnt vmcnt(0)
	scratch_store_dwordx4 off, v[0:3], off offset:176 ; 16-byte Folded Spill
.LBB145_20:                             ;   in Loop: Header=BB145_12 Depth=1
	s_or_b64 exec, exec, s[2:3]
	scratch_load_dword v0, off, off         ; 4-byte Folded Reload
	scratch_load_dwordx4 v[12:15], off, off offset:192 ; 16-byte Folded Reload
	v_readlane_b32 s0, v95, 6
	v_lshl_add_u64 v[16:17], s[76:77], 0, v[92:93]
	v_readlane_b32 s1, v95, 7
	s_waitcnt vmcnt(0)
	ds_write_b128 v0, v[12:15]
	scratch_load_dword v0, off, off offset:4 ; 4-byte Folded Reload
	s_waitcnt vmcnt(0)
	ds_write_b128 v0, v[8:11] offset:1024
	scratch_load_dword v0, off, off offset:8 ; 4-byte Folded Reload
	s_waitcnt vmcnt(0)
	ds_write_b128 v0, v[4:7] offset:2048
	scratch_load_dword v0, off, off offset:12 ; 4-byte Folded Reload
	scratch_load_dwordx4 v[2:5], off, off offset:176 ; 16-byte Folded Reload
	s_waitcnt vmcnt(0)
	ds_write_b128 v0, v[2:5] offset:3072
	; wave barrier
	scratch_load_dword v0, off, off offset:16 ; 4-byte Folded Reload
	s_waitcnt vmcnt(0)
	ds_read_b128 v[2:5], v0
	s_waitcnt lgkmcnt(0)
	scratch_store_dwordx4 off, v[2:5], off offset:192 ; 16-byte Folded Spill
	ds_read_b128 v[2:5], v0 offset:16
	s_waitcnt lgkmcnt(0)
	scratch_store_dwordx4 off, v[2:5], off offset:224 ; 16-byte Folded Spill
	ds_read_b128 v[2:5], v0 offset:32
	s_waitcnt lgkmcnt(0)
	scratch_store_dwordx4 off, v[2:5], off offset:208 ; 16-byte Folded Spill
	ds_read_b128 v[0:3], v0 offset:48
	s_waitcnt lgkmcnt(0)
	scratch_store_dwordx4 off, v[0:3], off offset:176 ; 16-byte Folded Spill
	s_waitcnt lgkmcnt(0)
	; wave barrier
	s_and_saveexec_b64 s[2:3], s[0:1]
	s_cbranch_execz .LBB145_22
; %bb.21:                               ;   in Loop: Header=BB145_12 Depth=1
	global_load_dwordx4 v[0:3], v[16:17], off
	s_waitcnt vmcnt(0)
	scratch_store_dwordx4 off, v[0:3], off offset:160 ; 16-byte Folded Spill
.LBB145_22:                             ;   in Loop: Header=BB145_12 Depth=1
	s_or_b64 exec, exec, s[2:3]
	v_readlane_b32 s0, v95, 8
	v_readlane_b32 s1, v95, 9
	s_and_saveexec_b64 s[2:3], s[0:1]
	s_cbranch_execz .LBB145_24
; %bb.23:                               ;   in Loop: Header=BB145_12 Depth=1
	global_load_dwordx4 v[0:3], v[16:17], off offset:1024
	s_waitcnt vmcnt(0)
	scratch_store_dwordx4 off, v[0:3], off offset:144 ; 16-byte Folded Spill
.LBB145_24:                             ;   in Loop: Header=BB145_12 Depth=1
	s_or_b64 exec, exec, s[2:3]
	v_readlane_b32 s0, v95, 10
	v_readlane_b32 s1, v95, 11
	s_and_saveexec_b64 s[2:3], s[0:1]
	s_cbranch_execz .LBB145_26
; %bb.25:                               ;   in Loop: Header=BB145_12 Depth=1
	global_load_dwordx4 v[0:3], v[16:17], off offset:2048
	s_waitcnt vmcnt(0)
	scratch_store_dwordx4 off, v[0:3], off offset:112 ; 16-byte Folded Spill
.LBB145_26:                             ;   in Loop: Header=BB145_12 Depth=1
	;; [unrolled: 10-line block ×3, first 2 shown]
	s_or_b64 exec, exec, s[2:3]
	scratch_load_dword v0, off, off         ; 4-byte Folded Reload
	scratch_load_dwordx4 v[2:5], off, off offset:160 ; 16-byte Folded Reload
	s_waitcnt vmcnt(0)
	ds_write_b128 v0, v[2:5]
	scratch_load_dword v0, off, off offset:4 ; 4-byte Folded Reload
	scratch_load_dwordx4 v[2:5], off, off offset:144 ; 16-byte Folded Reload
	s_waitcnt vmcnt(0)
	ds_write_b128 v0, v[2:5] offset:1024
	scratch_load_dword v0, off, off offset:8 ; 4-byte Folded Reload
	scratch_load_dwordx4 v[2:5], off, off offset:112 ; 16-byte Folded Reload
	s_waitcnt vmcnt(0)
	ds_write_b128 v0, v[2:5] offset:2048
	;; [unrolled: 4-line block ×3, first 2 shown]
	; wave barrier
	scratch_load_dword v0, off, off offset:16 ; 4-byte Folded Reload
	s_waitcnt vmcnt(0)
	ds_read_b128 v[6:9], v0
	ds_read_b128 v[2:5], v0 offset:16
	s_waitcnt lgkmcnt(1)
	v_add_f32_e32 v44, s33, v6
	s_waitcnt lgkmcnt(0)
	scratch_store_dwordx4 off, v[2:5], off offset:144 ; 16-byte Folded Spill
	ds_read_b128 v[2:5], v0 offset:32
	v_cmp_ge_f32_e32 vcc, s87, v44
	s_and_b64 s[2:3], s[84:85], vcc
	s_waitcnt lgkmcnt(0)
	scratch_store_dwordx4 off, v[2:5], off offset:112 ; 16-byte Folded Spill
	ds_read_b128 v[0:3], v0 offset:48
	s_waitcnt lgkmcnt(0)
	scratch_store_dwordx4 off, v[0:3], off offset:128 ; 16-byte Folded Spill
	scratch_store_dwordx4 off, v[6:9], off offset:160 ; 16-byte Folded Spill
	s_and_saveexec_b64 s[26:27], s[2:3]
	s_cbranch_execz .LBB145_30
; %bb.29:                               ;   in Loop: Header=BB145_12 Depth=1
	v_mul_f32_e32 v0, 0x3fb8aa3b, v44
	v_rndne_f32_e32 v1, v0
	v_sub_f32_e32 v2, v0, v1
	v_fma_f32 v0, v44, s4, -v0
	v_fmac_f32_e32 v0, 0x32a5705f, v44
	v_add_f32_e32 v0, v2, v0
	v_cvt_i32_f32_e32 v1, v1
	v_exp_f32_e32 v0, v0
	v_cmp_ngt_f32_e32 vcc, s30, v44
	v_ldexp_f32 v0, v0, v1
	s_nop 0
	v_cndmask_b32_e32 v0, 0, v0, vcc
	v_cmp_nlt_f32_e32 vcc, s31, v44
	s_nop 1
	v_cndmask_b32_e32 v16, v23, v0, vcc
	v_add_f32_e32 v2, 1.0, v16
	v_add_f32_e32 v0, -1.0, v2
	v_sub_f32_e32 v1, v0, v2
	v_add_f32_e32 v1, 1.0, v1
	v_sub_f32_e32 v0, v16, v0
	v_add_f32_e32 v3, v0, v1
	v_frexp_mant_f32_e32 v4, v2
	v_cvt_f64_f32_e32 v[0:1], v2
	v_frexp_exp_i32_f64_e32 v0, v[0:1]
	v_cmp_gt_f32_e32 vcc, s35, v4
	v_cmp_gt_f32_e64 s[2:3], s37, v16
	s_nop 0
	v_subbrev_co_u32_e32 v8, vcc, 0, v0, vcc
	v_sub_u32_e32 v0, 0, v8
	v_ldexp_f32 v1, v2, v0
	v_add_f32_e32 v2, -1.0, v1
	v_add_f32_e32 v4, 1.0, v1
	v_ldexp_f32 v0, v3, v0
	v_add_f32_e32 v3, 1.0, v2
	v_add_f32_e32 v5, -1.0, v4
	v_sub_f32_e32 v3, v1, v3
	v_sub_f32_e32 v1, v1, v5
	v_add_f32_e32 v3, v0, v3
	v_add_f32_e32 v0, v0, v1
	;; [unrolled: 1-line block ×3, first 2 shown]
	v_rcp_f32_e32 v11, v9
	v_sub_f32_e32 v1, v4, v9
	v_add_f32_e32 v10, v0, v1
	v_add_f32_e32 v1, v2, v3
	v_mul_f32_e32 v13, v1, v11
	v_sub_f32_e32 v0, v2, v1
	v_mul_f32_e32 v2, v9, v13
	v_fma_f32 v4, v13, v9, -v2
	v_fmac_f32_e32 v4, v13, v10
	v_add_f32_e32 v12, v3, v0
	v_add_f32_e32 v0, v2, v4
	v_sub_f32_e32 v3, v1, v0
	v_pk_add_f32 v[6:7], v[0:1], v[2:3] neg_lo:[0,1] neg_hi:[0,1]
	v_mov_b32_e32 v5, v0
	v_pk_add_f32 v[0:1], v[6:7], v[4:5] neg_lo:[0,1] neg_hi:[0,1]
	v_cmp_eq_f32_e32 vcc, s34, v16
	v_add_f32_e32 v1, v12, v1
	v_add_f32_e32 v0, v0, v1
	;; [unrolled: 1-line block ×3, first 2 shown]
	v_mul_f32_e32 v12, v11, v1
	v_mul_f32_e32 v2, v9, v12
	v_fma_f32 v4, v12, v9, -v2
	v_fmac_f32_e32 v4, v12, v10
	v_sub_f32_e32 v3, v3, v1
	v_add_f32_e32 v9, v0, v3
	v_add_f32_e32 v0, v2, v4
	v_sub_f32_e32 v3, v1, v0
	v_pk_add_f32 v[6:7], v[0:1], v[2:3] neg_lo:[0,1] neg_hi:[0,1]
	v_mov_b32_e32 v5, v0
	v_pk_add_f32 v[0:1], v[6:7], v[4:5] neg_lo:[0,1] neg_hi:[0,1]
	scratch_load_dwordx2 v[6:7], off, off offset:104 ; 8-byte Folded Reload
	v_add_f32_e32 v1, v9, v1
	v_add_f32_e32 v0, v0, v1
	;; [unrolled: 1-line block ×4, first 2 shown]
	v_sub_f32_e32 v2, v1, v13
	v_mul_f32_e32 v0, v11, v0
	v_sub_f32_e32 v2, v12, v2
	v_add_f32_e32 v2, v2, v0
	v_add_f32_e32 v4, v1, v2
	v_mul_f32_e32 v5, v4, v4
	v_fmamk_f32 v0, v5, 0x3e9b6dac, v22
	v_fmaak_f32 v11, v5, v0, 0x3f2aaada
	v_cvt_f32_i32_e32 v0, v8
	v_sub_f32_e32 v1, v4, v1
	v_sub_f32_e32 v1, v2, v1
	v_ldexp_f32 v3, v4, 1
	s_or_b64 vcc, s[2:3], vcc
	s_waitcnt vmcnt(0)
	v_mov_b32_e32 v10, v6
	v_ldexp_f32 v6, v1, 1
	v_mul_f32_e32 v1, v4, v5
	v_mov_b32_e32 v2, v10
	v_pk_mul_f32 v[4:5], v[0:1], v[10:11]
	scratch_store_dwordx2 off, v[2:3], off offset:104 ; 8-byte Folded Spill
	v_fma_f32 v2, v0, s36, -v4
	v_fmac_f32_e32 v2, 0xb102e308, v0
	v_pk_add_f32 v[0:1], v[4:5], v[2:3]
	s_nop 0
	v_sub_f32_e32 v3, v1, v3
	v_sub_f32_e32 v3, v5, v3
	v_add_f32_e32 v7, v6, v3
	v_mov_b32_e32 v6, v4
	v_pk_add_f32 v[4:5], v[0:1], v[4:5] neg_lo:[0,1] neg_hi:[0,1]
	v_pk_add_f32 v[8:9], v[0:1], v[6:7]
	v_mov_b32_e32 v3, v0
	v_mov_b32_e32 v5, v9
	v_pk_add_f32 v[10:11], v[2:3], v[4:5] neg_lo:[0,1] neg_hi:[0,1]
	v_pk_add_f32 v[2:3], v[2:3], v[4:5]
	v_mov_b32_e32 v6, v7
	v_mov_b32_e32 v4, v3
	v_pk_add_f32 v[12:13], v[4:5], v[0:1] neg_lo:[0,1] neg_hi:[0,1]
	v_mov_b32_e32 v2, v9
	v_mov_b32_e32 v5, v12
	v_pk_add_f32 v[14:15], v[8:9], v[4:5] neg_lo:[0,1] neg_hi:[0,1]
	v_mov_b32_e32 v8, v1
	v_mov_b32_e32 v9, v12
	;; [unrolled: 1-line block ×3, first 2 shown]
	v_pk_add_f32 v[2:3], v[2:3], v[8:9] neg_lo:[0,1] neg_hi:[0,1]
	v_mov_b32_e32 v7, v0
	v_pk_add_f32 v[0:1], v[6:7], v[2:3] neg_lo:[0,1] neg_hi:[0,1]
	v_mov_b32_e32 v14, v10
	v_pk_add_f32 v[2:3], v[14:15], v[0:1]
	s_nop 0
	v_mov_b32_e32 v6, v3
	v_pk_add_f32 v[6:7], v[2:3], v[6:7]
	s_nop 0
	v_pk_add_f32 v[4:5], v[4:5], v[6:7]
	v_mov_b32_e32 v1, v6
	v_mov_b32_e32 v3, v4
	v_pk_add_f32 v[8:9], v[2:3], v[10:11] neg_lo:[0,1] neg_hi:[0,1]
	s_nop 0
	v_sub_f32_e32 v2, v2, v8
	v_pk_add_f32 v[0:1], v[0:1], v[8:9] neg_lo:[0,1] neg_hi:[0,1]
	v_sub_f32_e32 v2, v10, v2
	v_add_f32_e32 v0, v0, v2
	v_add_f32_e32 v0, v0, v1
	v_add_f32_e32 v0, v4, v0
	v_cndmask_b32_e32 v44, v0, v16, vcc
.LBB145_30:                             ;   in Loop: Header=BB145_12 Depth=1
	s_or_b64 exec, exec, s[26:27]
	scratch_load_dwordx4 v[0:3], off, off offset:160 ; 16-byte Folded Reload
	s_waitcnt vmcnt(0)
	v_add_f32_e32 v45, s33, v1
	v_cmp_ge_f32_e32 vcc, s87, v45
	s_and_b64 s[2:3], s[84:85], vcc
	s_and_saveexec_b64 s[26:27], s[2:3]
	s_cbranch_execz .LBB145_32
; %bb.31:                               ;   in Loop: Header=BB145_12 Depth=1
	v_mul_f32_e32 v0, 0x3fb8aa3b, v45
	v_rndne_f32_e32 v1, v0
	v_sub_f32_e32 v2, v0, v1
	v_fma_f32 v0, v45, s4, -v0
	v_fmac_f32_e32 v0, 0x32a5705f, v45
	v_add_f32_e32 v0, v2, v0
	v_cvt_i32_f32_e32 v1, v1
	v_exp_f32_e32 v0, v0
	v_cmp_ngt_f32_e32 vcc, s30, v45
	v_ldexp_f32 v0, v0, v1
	s_nop 0
	v_cndmask_b32_e32 v0, 0, v0, vcc
	v_cmp_nlt_f32_e32 vcc, s31, v45
	s_nop 1
	v_cndmask_b32_e32 v16, v23, v0, vcc
	v_add_f32_e32 v2, 1.0, v16
	v_add_f32_e32 v0, -1.0, v2
	v_sub_f32_e32 v1, v0, v2
	v_add_f32_e32 v1, 1.0, v1
	v_sub_f32_e32 v0, v16, v0
	v_add_f32_e32 v3, v0, v1
	v_frexp_mant_f32_e32 v4, v2
	v_cvt_f64_f32_e32 v[0:1], v2
	v_frexp_exp_i32_f64_e32 v0, v[0:1]
	v_cmp_gt_f32_e32 vcc, s35, v4
	v_cmp_gt_f32_e64 s[2:3], s37, v16
	s_nop 0
	v_subbrev_co_u32_e32 v8, vcc, 0, v0, vcc
	v_sub_u32_e32 v0, 0, v8
	v_ldexp_f32 v1, v2, v0
	v_add_f32_e32 v2, -1.0, v1
	v_add_f32_e32 v4, 1.0, v1
	v_ldexp_f32 v0, v3, v0
	v_add_f32_e32 v3, 1.0, v2
	v_add_f32_e32 v5, -1.0, v4
	v_sub_f32_e32 v3, v1, v3
	v_sub_f32_e32 v1, v1, v5
	v_add_f32_e32 v3, v0, v3
	v_add_f32_e32 v0, v0, v1
	;; [unrolled: 1-line block ×3, first 2 shown]
	v_rcp_f32_e32 v11, v9
	v_sub_f32_e32 v1, v4, v9
	v_add_f32_e32 v10, v0, v1
	v_add_f32_e32 v1, v2, v3
	v_mul_f32_e32 v13, v1, v11
	v_sub_f32_e32 v0, v2, v1
	v_mul_f32_e32 v2, v9, v13
	v_fma_f32 v4, v13, v9, -v2
	v_fmac_f32_e32 v4, v13, v10
	v_add_f32_e32 v12, v3, v0
	v_add_f32_e32 v0, v2, v4
	v_sub_f32_e32 v3, v1, v0
	v_pk_add_f32 v[6:7], v[0:1], v[2:3] neg_lo:[0,1] neg_hi:[0,1]
	v_mov_b32_e32 v5, v0
	v_pk_add_f32 v[0:1], v[6:7], v[4:5] neg_lo:[0,1] neg_hi:[0,1]
	v_cmp_eq_f32_e32 vcc, s34, v16
	v_add_f32_e32 v1, v12, v1
	v_add_f32_e32 v0, v0, v1
	;; [unrolled: 1-line block ×3, first 2 shown]
	v_mul_f32_e32 v12, v11, v1
	v_mul_f32_e32 v2, v9, v12
	v_fma_f32 v4, v12, v9, -v2
	v_fmac_f32_e32 v4, v12, v10
	v_sub_f32_e32 v3, v3, v1
	v_add_f32_e32 v9, v0, v3
	v_add_f32_e32 v0, v2, v4
	v_sub_f32_e32 v3, v1, v0
	v_pk_add_f32 v[6:7], v[0:1], v[2:3] neg_lo:[0,1] neg_hi:[0,1]
	v_mov_b32_e32 v5, v0
	v_pk_add_f32 v[0:1], v[6:7], v[4:5] neg_lo:[0,1] neg_hi:[0,1]
	scratch_load_dwordx2 v[6:7], off, off offset:104 ; 8-byte Folded Reload
	v_add_f32_e32 v1, v9, v1
	v_add_f32_e32 v0, v0, v1
	;; [unrolled: 1-line block ×4, first 2 shown]
	v_sub_f32_e32 v2, v1, v13
	v_mul_f32_e32 v0, v11, v0
	v_sub_f32_e32 v2, v12, v2
	v_add_f32_e32 v2, v2, v0
	v_add_f32_e32 v4, v1, v2
	v_mul_f32_e32 v5, v4, v4
	v_fmamk_f32 v0, v5, 0x3e9b6dac, v22
	v_fmaak_f32 v11, v5, v0, 0x3f2aaada
	v_cvt_f32_i32_e32 v0, v8
	v_sub_f32_e32 v1, v4, v1
	v_sub_f32_e32 v1, v2, v1
	v_ldexp_f32 v3, v4, 1
	s_or_b64 vcc, s[2:3], vcc
	s_waitcnt vmcnt(0)
	v_mov_b32_e32 v10, v6
	v_ldexp_f32 v6, v1, 1
	v_mul_f32_e32 v1, v4, v5
	v_mov_b32_e32 v2, v10
	v_pk_mul_f32 v[4:5], v[0:1], v[10:11]
	scratch_store_dwordx2 off, v[2:3], off offset:104 ; 8-byte Folded Spill
	v_fma_f32 v2, v0, s36, -v4
	v_fmac_f32_e32 v2, 0xb102e308, v0
	v_pk_add_f32 v[0:1], v[4:5], v[2:3]
	s_nop 0
	v_sub_f32_e32 v3, v1, v3
	v_sub_f32_e32 v3, v5, v3
	v_add_f32_e32 v7, v6, v3
	v_mov_b32_e32 v6, v4
	v_pk_add_f32 v[4:5], v[0:1], v[4:5] neg_lo:[0,1] neg_hi:[0,1]
	v_pk_add_f32 v[8:9], v[0:1], v[6:7]
	v_mov_b32_e32 v3, v0
	v_mov_b32_e32 v5, v9
	v_pk_add_f32 v[10:11], v[2:3], v[4:5] neg_lo:[0,1] neg_hi:[0,1]
	v_pk_add_f32 v[2:3], v[2:3], v[4:5]
	v_mov_b32_e32 v6, v7
	v_mov_b32_e32 v4, v3
	v_pk_add_f32 v[12:13], v[4:5], v[0:1] neg_lo:[0,1] neg_hi:[0,1]
	v_mov_b32_e32 v2, v9
	v_mov_b32_e32 v5, v12
	v_pk_add_f32 v[14:15], v[8:9], v[4:5] neg_lo:[0,1] neg_hi:[0,1]
	v_mov_b32_e32 v8, v1
	v_mov_b32_e32 v9, v12
	;; [unrolled: 1-line block ×3, first 2 shown]
	v_pk_add_f32 v[2:3], v[2:3], v[8:9] neg_lo:[0,1] neg_hi:[0,1]
	v_mov_b32_e32 v7, v0
	v_pk_add_f32 v[0:1], v[6:7], v[2:3] neg_lo:[0,1] neg_hi:[0,1]
	v_mov_b32_e32 v14, v10
	v_pk_add_f32 v[2:3], v[14:15], v[0:1]
	s_nop 0
	v_mov_b32_e32 v6, v3
	v_pk_add_f32 v[6:7], v[2:3], v[6:7]
	s_nop 0
	v_pk_add_f32 v[4:5], v[4:5], v[6:7]
	v_mov_b32_e32 v1, v6
	v_mov_b32_e32 v3, v4
	v_pk_add_f32 v[8:9], v[2:3], v[10:11] neg_lo:[0,1] neg_hi:[0,1]
	s_nop 0
	v_sub_f32_e32 v2, v2, v8
	v_pk_add_f32 v[0:1], v[0:1], v[8:9] neg_lo:[0,1] neg_hi:[0,1]
	v_sub_f32_e32 v2, v10, v2
	v_add_f32_e32 v0, v0, v2
	v_add_f32_e32 v0, v0, v1
	v_add_f32_e32 v0, v4, v0
	v_cndmask_b32_e32 v45, v0, v16, vcc
.LBB145_32:                             ;   in Loop: Header=BB145_12 Depth=1
	s_or_b64 exec, exec, s[26:27]
	scratch_load_dwordx4 v[0:3], off, off offset:160 ; 16-byte Folded Reload
	s_waitcnt vmcnt(0)
	v_add_f32_e32 v46, s33, v2
	v_cmp_ge_f32_e32 vcc, s87, v46
	s_and_b64 s[2:3], s[84:85], vcc
	s_and_saveexec_b64 s[26:27], s[2:3]
	s_cbranch_execz .LBB145_34
; %bb.33:                               ;   in Loop: Header=BB145_12 Depth=1
	v_mul_f32_e32 v0, 0x3fb8aa3b, v46
	v_rndne_f32_e32 v1, v0
	v_sub_f32_e32 v2, v0, v1
	v_fma_f32 v0, v46, s4, -v0
	v_fmac_f32_e32 v0, 0x32a5705f, v46
	v_add_f32_e32 v0, v2, v0
	v_cvt_i32_f32_e32 v1, v1
	v_exp_f32_e32 v0, v0
	v_cmp_ngt_f32_e32 vcc, s30, v46
	v_ldexp_f32 v0, v0, v1
	s_nop 0
	v_cndmask_b32_e32 v0, 0, v0, vcc
	v_cmp_nlt_f32_e32 vcc, s31, v46
	s_nop 1
	v_cndmask_b32_e32 v16, v23, v0, vcc
	v_add_f32_e32 v2, 1.0, v16
	v_add_f32_e32 v0, -1.0, v2
	v_sub_f32_e32 v1, v0, v2
	v_add_f32_e32 v1, 1.0, v1
	v_sub_f32_e32 v0, v16, v0
	v_add_f32_e32 v3, v0, v1
	v_frexp_mant_f32_e32 v4, v2
	v_cvt_f64_f32_e32 v[0:1], v2
	v_frexp_exp_i32_f64_e32 v0, v[0:1]
	v_cmp_gt_f32_e32 vcc, s35, v4
	v_cmp_gt_f32_e64 s[2:3], s37, v16
	s_nop 0
	v_subbrev_co_u32_e32 v8, vcc, 0, v0, vcc
	v_sub_u32_e32 v0, 0, v8
	v_ldexp_f32 v1, v2, v0
	v_add_f32_e32 v2, -1.0, v1
	v_add_f32_e32 v4, 1.0, v1
	v_ldexp_f32 v0, v3, v0
	v_add_f32_e32 v3, 1.0, v2
	v_add_f32_e32 v5, -1.0, v4
	v_sub_f32_e32 v3, v1, v3
	v_sub_f32_e32 v1, v1, v5
	v_add_f32_e32 v3, v0, v3
	v_add_f32_e32 v0, v0, v1
	;; [unrolled: 1-line block ×3, first 2 shown]
	v_rcp_f32_e32 v11, v9
	v_sub_f32_e32 v1, v4, v9
	v_add_f32_e32 v10, v0, v1
	v_add_f32_e32 v1, v2, v3
	v_mul_f32_e32 v13, v1, v11
	v_sub_f32_e32 v0, v2, v1
	v_mul_f32_e32 v2, v9, v13
	v_fma_f32 v4, v13, v9, -v2
	v_fmac_f32_e32 v4, v13, v10
	v_add_f32_e32 v12, v3, v0
	v_add_f32_e32 v0, v2, v4
	v_sub_f32_e32 v3, v1, v0
	v_pk_add_f32 v[6:7], v[0:1], v[2:3] neg_lo:[0,1] neg_hi:[0,1]
	v_mov_b32_e32 v5, v0
	v_pk_add_f32 v[0:1], v[6:7], v[4:5] neg_lo:[0,1] neg_hi:[0,1]
	v_cmp_eq_f32_e32 vcc, s34, v16
	v_add_f32_e32 v1, v12, v1
	v_add_f32_e32 v0, v0, v1
	;; [unrolled: 1-line block ×3, first 2 shown]
	v_mul_f32_e32 v12, v11, v1
	v_mul_f32_e32 v2, v9, v12
	v_fma_f32 v4, v12, v9, -v2
	v_fmac_f32_e32 v4, v12, v10
	v_sub_f32_e32 v3, v3, v1
	v_add_f32_e32 v9, v0, v3
	v_add_f32_e32 v0, v2, v4
	v_sub_f32_e32 v3, v1, v0
	v_pk_add_f32 v[6:7], v[0:1], v[2:3] neg_lo:[0,1] neg_hi:[0,1]
	v_mov_b32_e32 v5, v0
	v_pk_add_f32 v[0:1], v[6:7], v[4:5] neg_lo:[0,1] neg_hi:[0,1]
	scratch_load_dwordx2 v[6:7], off, off offset:104 ; 8-byte Folded Reload
	v_add_f32_e32 v1, v9, v1
	v_add_f32_e32 v0, v0, v1
	;; [unrolled: 1-line block ×4, first 2 shown]
	v_sub_f32_e32 v2, v1, v13
	v_mul_f32_e32 v0, v11, v0
	v_sub_f32_e32 v2, v12, v2
	v_add_f32_e32 v2, v2, v0
	v_add_f32_e32 v4, v1, v2
	v_mul_f32_e32 v5, v4, v4
	v_fmamk_f32 v0, v5, 0x3e9b6dac, v22
	v_fmaak_f32 v11, v5, v0, 0x3f2aaada
	v_cvt_f32_i32_e32 v0, v8
	v_sub_f32_e32 v1, v4, v1
	v_sub_f32_e32 v1, v2, v1
	v_ldexp_f32 v3, v4, 1
	s_or_b64 vcc, s[2:3], vcc
	s_waitcnt vmcnt(0)
	v_mov_b32_e32 v10, v6
	v_ldexp_f32 v6, v1, 1
	v_mul_f32_e32 v1, v4, v5
	v_mov_b32_e32 v2, v10
	v_pk_mul_f32 v[4:5], v[0:1], v[10:11]
	scratch_store_dwordx2 off, v[2:3], off offset:104 ; 8-byte Folded Spill
	v_fma_f32 v2, v0, s36, -v4
	v_fmac_f32_e32 v2, 0xb102e308, v0
	v_pk_add_f32 v[0:1], v[4:5], v[2:3]
	s_nop 0
	v_sub_f32_e32 v3, v1, v3
	v_sub_f32_e32 v3, v5, v3
	v_add_f32_e32 v7, v6, v3
	v_mov_b32_e32 v6, v4
	v_pk_add_f32 v[4:5], v[0:1], v[4:5] neg_lo:[0,1] neg_hi:[0,1]
	v_pk_add_f32 v[8:9], v[0:1], v[6:7]
	v_mov_b32_e32 v3, v0
	v_mov_b32_e32 v5, v9
	v_pk_add_f32 v[10:11], v[2:3], v[4:5] neg_lo:[0,1] neg_hi:[0,1]
	v_pk_add_f32 v[2:3], v[2:3], v[4:5]
	v_mov_b32_e32 v6, v7
	v_mov_b32_e32 v4, v3
	v_pk_add_f32 v[12:13], v[4:5], v[0:1] neg_lo:[0,1] neg_hi:[0,1]
	v_mov_b32_e32 v2, v9
	v_mov_b32_e32 v5, v12
	v_pk_add_f32 v[14:15], v[8:9], v[4:5] neg_lo:[0,1] neg_hi:[0,1]
	v_mov_b32_e32 v8, v1
	v_mov_b32_e32 v9, v12
	v_mov_b32_e32 v11, v3
	v_pk_add_f32 v[2:3], v[2:3], v[8:9] neg_lo:[0,1] neg_hi:[0,1]
	v_mov_b32_e32 v7, v0
	v_pk_add_f32 v[0:1], v[6:7], v[2:3] neg_lo:[0,1] neg_hi:[0,1]
	v_mov_b32_e32 v14, v10
	v_pk_add_f32 v[2:3], v[14:15], v[0:1]
	s_nop 0
	v_mov_b32_e32 v6, v3
	v_pk_add_f32 v[6:7], v[2:3], v[6:7]
	s_nop 0
	v_pk_add_f32 v[4:5], v[4:5], v[6:7]
	v_mov_b32_e32 v1, v6
	v_mov_b32_e32 v3, v4
	v_pk_add_f32 v[8:9], v[2:3], v[10:11] neg_lo:[0,1] neg_hi:[0,1]
	s_nop 0
	v_sub_f32_e32 v2, v2, v8
	v_pk_add_f32 v[0:1], v[0:1], v[8:9] neg_lo:[0,1] neg_hi:[0,1]
	v_sub_f32_e32 v2, v10, v2
	v_add_f32_e32 v0, v0, v2
	v_add_f32_e32 v0, v0, v1
	;; [unrolled: 1-line block ×3, first 2 shown]
	v_cndmask_b32_e32 v46, v0, v16, vcc
.LBB145_34:                             ;   in Loop: Header=BB145_12 Depth=1
	s_or_b64 exec, exec, s[26:27]
	scratch_load_dwordx4 v[0:3], off, off offset:160 ; 16-byte Folded Reload
	s_waitcnt vmcnt(0)
	v_add_f32_e32 v47, s33, v3
	v_cmp_ge_f32_e32 vcc, s87, v47
	s_and_b64 s[2:3], s[84:85], vcc
	s_and_saveexec_b64 s[26:27], s[2:3]
	s_cbranch_execz .LBB145_36
; %bb.35:                               ;   in Loop: Header=BB145_12 Depth=1
	v_mul_f32_e32 v0, 0x3fb8aa3b, v47
	v_rndne_f32_e32 v1, v0
	v_sub_f32_e32 v2, v0, v1
	v_fma_f32 v0, v47, s4, -v0
	v_fmac_f32_e32 v0, 0x32a5705f, v47
	v_add_f32_e32 v0, v2, v0
	v_cvt_i32_f32_e32 v1, v1
	v_exp_f32_e32 v0, v0
	v_cmp_ngt_f32_e32 vcc, s30, v47
	v_ldexp_f32 v0, v0, v1
	s_nop 0
	v_cndmask_b32_e32 v0, 0, v0, vcc
	v_cmp_nlt_f32_e32 vcc, s31, v47
	s_nop 1
	v_cndmask_b32_e32 v16, v23, v0, vcc
	v_add_f32_e32 v2, 1.0, v16
	v_add_f32_e32 v0, -1.0, v2
	v_sub_f32_e32 v1, v0, v2
	v_add_f32_e32 v1, 1.0, v1
	v_sub_f32_e32 v0, v16, v0
	v_add_f32_e32 v3, v0, v1
	v_frexp_mant_f32_e32 v4, v2
	v_cvt_f64_f32_e32 v[0:1], v2
	v_frexp_exp_i32_f64_e32 v0, v[0:1]
	v_cmp_gt_f32_e32 vcc, s35, v4
	v_cmp_gt_f32_e64 s[2:3], s37, v16
	s_nop 0
	v_subbrev_co_u32_e32 v8, vcc, 0, v0, vcc
	v_sub_u32_e32 v0, 0, v8
	v_ldexp_f32 v1, v2, v0
	v_add_f32_e32 v2, -1.0, v1
	v_add_f32_e32 v4, 1.0, v1
	v_ldexp_f32 v0, v3, v0
	v_add_f32_e32 v3, 1.0, v2
	v_add_f32_e32 v5, -1.0, v4
	v_sub_f32_e32 v3, v1, v3
	v_sub_f32_e32 v1, v1, v5
	v_add_f32_e32 v3, v0, v3
	v_add_f32_e32 v0, v0, v1
	;; [unrolled: 1-line block ×3, first 2 shown]
	v_rcp_f32_e32 v11, v9
	v_sub_f32_e32 v1, v4, v9
	v_add_f32_e32 v10, v0, v1
	v_add_f32_e32 v1, v2, v3
	v_mul_f32_e32 v13, v1, v11
	v_sub_f32_e32 v0, v2, v1
	v_mul_f32_e32 v2, v9, v13
	v_fma_f32 v4, v13, v9, -v2
	v_fmac_f32_e32 v4, v13, v10
	v_add_f32_e32 v12, v3, v0
	v_add_f32_e32 v0, v2, v4
	v_sub_f32_e32 v3, v1, v0
	v_pk_add_f32 v[6:7], v[0:1], v[2:3] neg_lo:[0,1] neg_hi:[0,1]
	v_mov_b32_e32 v5, v0
	v_pk_add_f32 v[0:1], v[6:7], v[4:5] neg_lo:[0,1] neg_hi:[0,1]
	v_cmp_eq_f32_e32 vcc, s34, v16
	v_add_f32_e32 v1, v12, v1
	v_add_f32_e32 v0, v0, v1
	;; [unrolled: 1-line block ×3, first 2 shown]
	v_mul_f32_e32 v12, v11, v1
	v_mul_f32_e32 v2, v9, v12
	v_fma_f32 v4, v12, v9, -v2
	v_fmac_f32_e32 v4, v12, v10
	v_sub_f32_e32 v3, v3, v1
	v_add_f32_e32 v9, v0, v3
	v_add_f32_e32 v0, v2, v4
	v_sub_f32_e32 v3, v1, v0
	v_pk_add_f32 v[6:7], v[0:1], v[2:3] neg_lo:[0,1] neg_hi:[0,1]
	v_mov_b32_e32 v5, v0
	v_pk_add_f32 v[0:1], v[6:7], v[4:5] neg_lo:[0,1] neg_hi:[0,1]
	scratch_load_dwordx2 v[6:7], off, off offset:104 ; 8-byte Folded Reload
	v_add_f32_e32 v1, v9, v1
	v_add_f32_e32 v0, v0, v1
	;; [unrolled: 1-line block ×4, first 2 shown]
	v_sub_f32_e32 v2, v1, v13
	v_mul_f32_e32 v0, v11, v0
	v_sub_f32_e32 v2, v12, v2
	v_add_f32_e32 v2, v2, v0
	v_add_f32_e32 v4, v1, v2
	v_mul_f32_e32 v5, v4, v4
	v_fmamk_f32 v0, v5, 0x3e9b6dac, v22
	v_fmaak_f32 v11, v5, v0, 0x3f2aaada
	v_cvt_f32_i32_e32 v0, v8
	v_sub_f32_e32 v1, v4, v1
	v_sub_f32_e32 v1, v2, v1
	v_ldexp_f32 v3, v4, 1
	s_or_b64 vcc, s[2:3], vcc
	s_waitcnt vmcnt(0)
	v_mov_b32_e32 v10, v6
	v_ldexp_f32 v6, v1, 1
	v_mul_f32_e32 v1, v4, v5
	v_mov_b32_e32 v2, v10
	v_pk_mul_f32 v[4:5], v[0:1], v[10:11]
	scratch_store_dwordx2 off, v[2:3], off offset:104 ; 8-byte Folded Spill
	v_fma_f32 v2, v0, s36, -v4
	v_fmac_f32_e32 v2, 0xb102e308, v0
	v_pk_add_f32 v[0:1], v[4:5], v[2:3]
	s_nop 0
	v_sub_f32_e32 v3, v1, v3
	v_sub_f32_e32 v3, v5, v3
	v_add_f32_e32 v7, v6, v3
	v_mov_b32_e32 v6, v4
	v_pk_add_f32 v[4:5], v[0:1], v[4:5] neg_lo:[0,1] neg_hi:[0,1]
	v_pk_add_f32 v[8:9], v[0:1], v[6:7]
	v_mov_b32_e32 v3, v0
	v_mov_b32_e32 v5, v9
	v_pk_add_f32 v[10:11], v[2:3], v[4:5] neg_lo:[0,1] neg_hi:[0,1]
	v_pk_add_f32 v[2:3], v[2:3], v[4:5]
	v_mov_b32_e32 v6, v7
	v_mov_b32_e32 v4, v3
	v_pk_add_f32 v[12:13], v[4:5], v[0:1] neg_lo:[0,1] neg_hi:[0,1]
	v_mov_b32_e32 v2, v9
	v_mov_b32_e32 v5, v12
	v_pk_add_f32 v[14:15], v[8:9], v[4:5] neg_lo:[0,1] neg_hi:[0,1]
	v_mov_b32_e32 v8, v1
	v_mov_b32_e32 v9, v12
	;; [unrolled: 1-line block ×3, first 2 shown]
	v_pk_add_f32 v[2:3], v[2:3], v[8:9] neg_lo:[0,1] neg_hi:[0,1]
	v_mov_b32_e32 v7, v0
	v_pk_add_f32 v[0:1], v[6:7], v[2:3] neg_lo:[0,1] neg_hi:[0,1]
	v_mov_b32_e32 v14, v10
	v_pk_add_f32 v[2:3], v[14:15], v[0:1]
	s_nop 0
	v_mov_b32_e32 v6, v3
	v_pk_add_f32 v[6:7], v[2:3], v[6:7]
	s_nop 0
	v_pk_add_f32 v[4:5], v[4:5], v[6:7]
	v_mov_b32_e32 v1, v6
	v_mov_b32_e32 v3, v4
	v_pk_add_f32 v[8:9], v[2:3], v[10:11] neg_lo:[0,1] neg_hi:[0,1]
	s_nop 0
	v_sub_f32_e32 v2, v2, v8
	v_pk_add_f32 v[0:1], v[0:1], v[8:9] neg_lo:[0,1] neg_hi:[0,1]
	v_sub_f32_e32 v2, v10, v2
	v_add_f32_e32 v0, v0, v2
	v_add_f32_e32 v0, v0, v1
	;; [unrolled: 1-line block ×3, first 2 shown]
	v_cndmask_b32_e32 v47, v0, v16, vcc
.LBB145_36:                             ;   in Loop: Header=BB145_12 Depth=1
	s_or_b64 exec, exec, s[26:27]
	scratch_load_dwordx4 v[0:3], off, off offset:144 ; 16-byte Folded Reload
	s_waitcnt vmcnt(0)
	v_add_f32_e32 v36, s33, v0
	v_cmp_ge_f32_e32 vcc, s87, v36
	s_and_b64 s[2:3], s[84:85], vcc
	s_and_saveexec_b64 s[26:27], s[2:3]
	s_cbranch_execz .LBB145_38
; %bb.37:                               ;   in Loop: Header=BB145_12 Depth=1
	v_mul_f32_e32 v0, 0x3fb8aa3b, v36
	v_rndne_f32_e32 v1, v0
	v_sub_f32_e32 v2, v0, v1
	v_fma_f32 v0, v36, s4, -v0
	v_fmac_f32_e32 v0, 0x32a5705f, v36
	v_add_f32_e32 v0, v2, v0
	v_cvt_i32_f32_e32 v1, v1
	v_exp_f32_e32 v0, v0
	v_cmp_ngt_f32_e32 vcc, s30, v36
	v_ldexp_f32 v0, v0, v1
	s_nop 0
	v_cndmask_b32_e32 v0, 0, v0, vcc
	v_cmp_nlt_f32_e32 vcc, s31, v36
	s_nop 1
	v_cndmask_b32_e32 v16, v23, v0, vcc
	v_add_f32_e32 v2, 1.0, v16
	v_add_f32_e32 v0, -1.0, v2
	v_sub_f32_e32 v1, v0, v2
	v_add_f32_e32 v1, 1.0, v1
	v_sub_f32_e32 v0, v16, v0
	v_add_f32_e32 v3, v0, v1
	v_frexp_mant_f32_e32 v4, v2
	v_cvt_f64_f32_e32 v[0:1], v2
	v_frexp_exp_i32_f64_e32 v0, v[0:1]
	v_cmp_gt_f32_e32 vcc, s35, v4
	v_cmp_gt_f32_e64 s[2:3], s37, v16
	s_nop 0
	v_subbrev_co_u32_e32 v8, vcc, 0, v0, vcc
	v_sub_u32_e32 v0, 0, v8
	v_ldexp_f32 v1, v2, v0
	v_add_f32_e32 v2, -1.0, v1
	v_add_f32_e32 v4, 1.0, v1
	v_ldexp_f32 v0, v3, v0
	v_add_f32_e32 v3, 1.0, v2
	v_add_f32_e32 v5, -1.0, v4
	v_sub_f32_e32 v3, v1, v3
	v_sub_f32_e32 v1, v1, v5
	v_add_f32_e32 v3, v0, v3
	v_add_f32_e32 v0, v0, v1
	;; [unrolled: 1-line block ×3, first 2 shown]
	v_rcp_f32_e32 v11, v9
	v_sub_f32_e32 v1, v4, v9
	v_add_f32_e32 v10, v0, v1
	v_add_f32_e32 v1, v2, v3
	v_mul_f32_e32 v13, v1, v11
	v_sub_f32_e32 v0, v2, v1
	v_mul_f32_e32 v2, v9, v13
	v_fma_f32 v4, v13, v9, -v2
	v_fmac_f32_e32 v4, v13, v10
	v_add_f32_e32 v12, v3, v0
	v_add_f32_e32 v0, v2, v4
	v_sub_f32_e32 v3, v1, v0
	v_pk_add_f32 v[6:7], v[0:1], v[2:3] neg_lo:[0,1] neg_hi:[0,1]
	v_mov_b32_e32 v5, v0
	v_pk_add_f32 v[0:1], v[6:7], v[4:5] neg_lo:[0,1] neg_hi:[0,1]
	v_cmp_eq_f32_e32 vcc, s34, v16
	v_add_f32_e32 v1, v12, v1
	v_add_f32_e32 v0, v0, v1
	;; [unrolled: 1-line block ×3, first 2 shown]
	v_mul_f32_e32 v12, v11, v1
	v_mul_f32_e32 v2, v9, v12
	v_fma_f32 v4, v12, v9, -v2
	v_fmac_f32_e32 v4, v12, v10
	v_sub_f32_e32 v3, v3, v1
	v_add_f32_e32 v9, v0, v3
	v_add_f32_e32 v0, v2, v4
	v_sub_f32_e32 v3, v1, v0
	v_pk_add_f32 v[6:7], v[0:1], v[2:3] neg_lo:[0,1] neg_hi:[0,1]
	v_mov_b32_e32 v5, v0
	v_pk_add_f32 v[0:1], v[6:7], v[4:5] neg_lo:[0,1] neg_hi:[0,1]
	scratch_load_dwordx2 v[6:7], off, off offset:104 ; 8-byte Folded Reload
	v_add_f32_e32 v1, v9, v1
	v_add_f32_e32 v0, v0, v1
	;; [unrolled: 1-line block ×4, first 2 shown]
	v_sub_f32_e32 v2, v1, v13
	v_mul_f32_e32 v0, v11, v0
	v_sub_f32_e32 v2, v12, v2
	v_add_f32_e32 v2, v2, v0
	v_add_f32_e32 v4, v1, v2
	v_mul_f32_e32 v5, v4, v4
	v_fmamk_f32 v0, v5, 0x3e9b6dac, v22
	v_fmaak_f32 v11, v5, v0, 0x3f2aaada
	v_cvt_f32_i32_e32 v0, v8
	v_sub_f32_e32 v1, v4, v1
	v_sub_f32_e32 v1, v2, v1
	v_ldexp_f32 v3, v4, 1
	s_or_b64 vcc, s[2:3], vcc
	s_waitcnt vmcnt(0)
	v_mov_b32_e32 v10, v6
	v_ldexp_f32 v6, v1, 1
	v_mul_f32_e32 v1, v4, v5
	v_mov_b32_e32 v2, v10
	v_pk_mul_f32 v[4:5], v[0:1], v[10:11]
	scratch_store_dwordx2 off, v[2:3], off offset:104 ; 8-byte Folded Spill
	v_fma_f32 v2, v0, s36, -v4
	v_fmac_f32_e32 v2, 0xb102e308, v0
	v_pk_add_f32 v[0:1], v[4:5], v[2:3]
	s_nop 0
	v_sub_f32_e32 v3, v1, v3
	v_sub_f32_e32 v3, v5, v3
	v_add_f32_e32 v7, v6, v3
	v_mov_b32_e32 v6, v4
	v_pk_add_f32 v[4:5], v[0:1], v[4:5] neg_lo:[0,1] neg_hi:[0,1]
	v_pk_add_f32 v[8:9], v[0:1], v[6:7]
	v_mov_b32_e32 v3, v0
	v_mov_b32_e32 v5, v9
	v_pk_add_f32 v[10:11], v[2:3], v[4:5] neg_lo:[0,1] neg_hi:[0,1]
	v_pk_add_f32 v[2:3], v[2:3], v[4:5]
	v_mov_b32_e32 v6, v7
	v_mov_b32_e32 v4, v3
	v_pk_add_f32 v[12:13], v[4:5], v[0:1] neg_lo:[0,1] neg_hi:[0,1]
	v_mov_b32_e32 v2, v9
	v_mov_b32_e32 v5, v12
	v_pk_add_f32 v[14:15], v[8:9], v[4:5] neg_lo:[0,1] neg_hi:[0,1]
	v_mov_b32_e32 v8, v1
	v_mov_b32_e32 v9, v12
	;; [unrolled: 1-line block ×3, first 2 shown]
	v_pk_add_f32 v[2:3], v[2:3], v[8:9] neg_lo:[0,1] neg_hi:[0,1]
	v_mov_b32_e32 v7, v0
	v_pk_add_f32 v[0:1], v[6:7], v[2:3] neg_lo:[0,1] neg_hi:[0,1]
	v_mov_b32_e32 v14, v10
	v_pk_add_f32 v[2:3], v[14:15], v[0:1]
	s_nop 0
	v_mov_b32_e32 v6, v3
	v_pk_add_f32 v[6:7], v[2:3], v[6:7]
	s_nop 0
	v_pk_add_f32 v[4:5], v[4:5], v[6:7]
	v_mov_b32_e32 v1, v6
	v_mov_b32_e32 v3, v4
	v_pk_add_f32 v[8:9], v[2:3], v[10:11] neg_lo:[0,1] neg_hi:[0,1]
	s_nop 0
	v_sub_f32_e32 v2, v2, v8
	v_pk_add_f32 v[0:1], v[0:1], v[8:9] neg_lo:[0,1] neg_hi:[0,1]
	v_sub_f32_e32 v2, v10, v2
	v_add_f32_e32 v0, v0, v2
	v_add_f32_e32 v0, v0, v1
	;; [unrolled: 1-line block ×3, first 2 shown]
	v_cndmask_b32_e32 v36, v0, v16, vcc
.LBB145_38:                             ;   in Loop: Header=BB145_12 Depth=1
	s_or_b64 exec, exec, s[26:27]
	scratch_load_dwordx4 v[0:3], off, off offset:144 ; 16-byte Folded Reload
	s_waitcnt vmcnt(0)
	v_add_f32_e32 v37, s33, v1
	v_cmp_ge_f32_e32 vcc, s87, v37
	s_and_b64 s[2:3], s[84:85], vcc
	s_and_saveexec_b64 s[26:27], s[2:3]
	s_cbranch_execz .LBB145_40
; %bb.39:                               ;   in Loop: Header=BB145_12 Depth=1
	v_mul_f32_e32 v0, 0x3fb8aa3b, v37
	v_rndne_f32_e32 v1, v0
	v_sub_f32_e32 v2, v0, v1
	v_fma_f32 v0, v37, s4, -v0
	v_fmac_f32_e32 v0, 0x32a5705f, v37
	v_add_f32_e32 v0, v2, v0
	v_cvt_i32_f32_e32 v1, v1
	v_exp_f32_e32 v0, v0
	v_cmp_ngt_f32_e32 vcc, s30, v37
	v_ldexp_f32 v0, v0, v1
	s_nop 0
	v_cndmask_b32_e32 v0, 0, v0, vcc
	v_cmp_nlt_f32_e32 vcc, s31, v37
	s_nop 1
	v_cndmask_b32_e32 v16, v23, v0, vcc
	v_add_f32_e32 v2, 1.0, v16
	v_add_f32_e32 v0, -1.0, v2
	v_sub_f32_e32 v1, v0, v2
	v_add_f32_e32 v1, 1.0, v1
	v_sub_f32_e32 v0, v16, v0
	v_add_f32_e32 v3, v0, v1
	v_frexp_mant_f32_e32 v4, v2
	v_cvt_f64_f32_e32 v[0:1], v2
	v_frexp_exp_i32_f64_e32 v0, v[0:1]
	v_cmp_gt_f32_e32 vcc, s35, v4
	v_cmp_gt_f32_e64 s[2:3], s37, v16
	s_nop 0
	v_subbrev_co_u32_e32 v8, vcc, 0, v0, vcc
	v_sub_u32_e32 v0, 0, v8
	v_ldexp_f32 v1, v2, v0
	v_add_f32_e32 v2, -1.0, v1
	v_add_f32_e32 v4, 1.0, v1
	v_ldexp_f32 v0, v3, v0
	v_add_f32_e32 v3, 1.0, v2
	v_add_f32_e32 v5, -1.0, v4
	v_sub_f32_e32 v3, v1, v3
	v_sub_f32_e32 v1, v1, v5
	v_add_f32_e32 v3, v0, v3
	v_add_f32_e32 v0, v0, v1
	;; [unrolled: 1-line block ×3, first 2 shown]
	v_rcp_f32_e32 v11, v9
	v_sub_f32_e32 v1, v4, v9
	v_add_f32_e32 v10, v0, v1
	v_add_f32_e32 v1, v2, v3
	v_mul_f32_e32 v13, v1, v11
	v_sub_f32_e32 v0, v2, v1
	v_mul_f32_e32 v2, v9, v13
	v_fma_f32 v4, v13, v9, -v2
	v_fmac_f32_e32 v4, v13, v10
	v_add_f32_e32 v12, v3, v0
	v_add_f32_e32 v0, v2, v4
	v_sub_f32_e32 v3, v1, v0
	v_pk_add_f32 v[6:7], v[0:1], v[2:3] neg_lo:[0,1] neg_hi:[0,1]
	v_mov_b32_e32 v5, v0
	v_pk_add_f32 v[0:1], v[6:7], v[4:5] neg_lo:[0,1] neg_hi:[0,1]
	v_cmp_eq_f32_e32 vcc, s34, v16
	v_add_f32_e32 v1, v12, v1
	v_add_f32_e32 v0, v0, v1
	;; [unrolled: 1-line block ×3, first 2 shown]
	v_mul_f32_e32 v12, v11, v1
	v_mul_f32_e32 v2, v9, v12
	v_fma_f32 v4, v12, v9, -v2
	v_fmac_f32_e32 v4, v12, v10
	v_sub_f32_e32 v3, v3, v1
	v_add_f32_e32 v9, v0, v3
	v_add_f32_e32 v0, v2, v4
	v_sub_f32_e32 v3, v1, v0
	v_pk_add_f32 v[6:7], v[0:1], v[2:3] neg_lo:[0,1] neg_hi:[0,1]
	v_mov_b32_e32 v5, v0
	v_pk_add_f32 v[0:1], v[6:7], v[4:5] neg_lo:[0,1] neg_hi:[0,1]
	scratch_load_dwordx2 v[6:7], off, off offset:104 ; 8-byte Folded Reload
	v_add_f32_e32 v1, v9, v1
	v_add_f32_e32 v0, v0, v1
	;; [unrolled: 1-line block ×4, first 2 shown]
	v_sub_f32_e32 v2, v1, v13
	v_mul_f32_e32 v0, v11, v0
	v_sub_f32_e32 v2, v12, v2
	v_add_f32_e32 v2, v2, v0
	v_add_f32_e32 v4, v1, v2
	v_mul_f32_e32 v5, v4, v4
	v_fmamk_f32 v0, v5, 0x3e9b6dac, v22
	v_fmaak_f32 v11, v5, v0, 0x3f2aaada
	v_cvt_f32_i32_e32 v0, v8
	v_sub_f32_e32 v1, v4, v1
	v_sub_f32_e32 v1, v2, v1
	v_ldexp_f32 v3, v4, 1
	s_or_b64 vcc, s[2:3], vcc
	s_waitcnt vmcnt(0)
	v_mov_b32_e32 v10, v6
	v_ldexp_f32 v6, v1, 1
	v_mul_f32_e32 v1, v4, v5
	v_mov_b32_e32 v2, v10
	v_pk_mul_f32 v[4:5], v[0:1], v[10:11]
	scratch_store_dwordx2 off, v[2:3], off offset:104 ; 8-byte Folded Spill
	v_fma_f32 v2, v0, s36, -v4
	v_fmac_f32_e32 v2, 0xb102e308, v0
	v_pk_add_f32 v[0:1], v[4:5], v[2:3]
	s_nop 0
	v_sub_f32_e32 v3, v1, v3
	v_sub_f32_e32 v3, v5, v3
	v_add_f32_e32 v7, v6, v3
	v_mov_b32_e32 v6, v4
	v_pk_add_f32 v[4:5], v[0:1], v[4:5] neg_lo:[0,1] neg_hi:[0,1]
	v_pk_add_f32 v[8:9], v[0:1], v[6:7]
	v_mov_b32_e32 v3, v0
	v_mov_b32_e32 v5, v9
	v_pk_add_f32 v[10:11], v[2:3], v[4:5] neg_lo:[0,1] neg_hi:[0,1]
	v_pk_add_f32 v[2:3], v[2:3], v[4:5]
	v_mov_b32_e32 v6, v7
	v_mov_b32_e32 v4, v3
	v_pk_add_f32 v[12:13], v[4:5], v[0:1] neg_lo:[0,1] neg_hi:[0,1]
	v_mov_b32_e32 v2, v9
	v_mov_b32_e32 v5, v12
	v_pk_add_f32 v[14:15], v[8:9], v[4:5] neg_lo:[0,1] neg_hi:[0,1]
	v_mov_b32_e32 v8, v1
	v_mov_b32_e32 v9, v12
	;; [unrolled: 1-line block ×3, first 2 shown]
	v_pk_add_f32 v[2:3], v[2:3], v[8:9] neg_lo:[0,1] neg_hi:[0,1]
	v_mov_b32_e32 v7, v0
	v_pk_add_f32 v[0:1], v[6:7], v[2:3] neg_lo:[0,1] neg_hi:[0,1]
	v_mov_b32_e32 v14, v10
	v_pk_add_f32 v[2:3], v[14:15], v[0:1]
	s_nop 0
	v_mov_b32_e32 v6, v3
	v_pk_add_f32 v[6:7], v[2:3], v[6:7]
	s_nop 0
	v_pk_add_f32 v[4:5], v[4:5], v[6:7]
	v_mov_b32_e32 v1, v6
	v_mov_b32_e32 v3, v4
	v_pk_add_f32 v[8:9], v[2:3], v[10:11] neg_lo:[0,1] neg_hi:[0,1]
	s_nop 0
	v_sub_f32_e32 v2, v2, v8
	v_pk_add_f32 v[0:1], v[0:1], v[8:9] neg_lo:[0,1] neg_hi:[0,1]
	v_sub_f32_e32 v2, v10, v2
	v_add_f32_e32 v0, v0, v2
	v_add_f32_e32 v0, v0, v1
	;; [unrolled: 1-line block ×3, first 2 shown]
	v_cndmask_b32_e32 v37, v0, v16, vcc
.LBB145_40:                             ;   in Loop: Header=BB145_12 Depth=1
	s_or_b64 exec, exec, s[26:27]
	scratch_load_dwordx4 v[0:3], off, off offset:144 ; 16-byte Folded Reload
	s_waitcnt vmcnt(0)
	v_add_f32_e32 v38, s33, v2
	v_cmp_ge_f32_e32 vcc, s87, v38
	s_and_b64 s[2:3], s[84:85], vcc
	s_and_saveexec_b64 s[26:27], s[2:3]
	s_cbranch_execz .LBB145_42
; %bb.41:                               ;   in Loop: Header=BB145_12 Depth=1
	v_mul_f32_e32 v0, 0x3fb8aa3b, v38
	v_rndne_f32_e32 v1, v0
	v_sub_f32_e32 v2, v0, v1
	v_fma_f32 v0, v38, s4, -v0
	v_fmac_f32_e32 v0, 0x32a5705f, v38
	v_add_f32_e32 v0, v2, v0
	v_cvt_i32_f32_e32 v1, v1
	v_exp_f32_e32 v0, v0
	v_cmp_ngt_f32_e32 vcc, s30, v38
	v_ldexp_f32 v0, v0, v1
	s_nop 0
	v_cndmask_b32_e32 v0, 0, v0, vcc
	v_cmp_nlt_f32_e32 vcc, s31, v38
	s_nop 1
	v_cndmask_b32_e32 v16, v23, v0, vcc
	v_add_f32_e32 v2, 1.0, v16
	v_add_f32_e32 v0, -1.0, v2
	v_sub_f32_e32 v1, v0, v2
	v_add_f32_e32 v1, 1.0, v1
	v_sub_f32_e32 v0, v16, v0
	v_add_f32_e32 v3, v0, v1
	v_frexp_mant_f32_e32 v4, v2
	v_cvt_f64_f32_e32 v[0:1], v2
	v_frexp_exp_i32_f64_e32 v0, v[0:1]
	v_cmp_gt_f32_e32 vcc, s35, v4
	v_cmp_gt_f32_e64 s[2:3], s37, v16
	s_nop 0
	v_subbrev_co_u32_e32 v8, vcc, 0, v0, vcc
	v_sub_u32_e32 v0, 0, v8
	v_ldexp_f32 v1, v2, v0
	v_add_f32_e32 v2, -1.0, v1
	v_add_f32_e32 v4, 1.0, v1
	v_ldexp_f32 v0, v3, v0
	v_add_f32_e32 v3, 1.0, v2
	v_add_f32_e32 v5, -1.0, v4
	v_sub_f32_e32 v3, v1, v3
	v_sub_f32_e32 v1, v1, v5
	v_add_f32_e32 v3, v0, v3
	v_add_f32_e32 v0, v0, v1
	v_add_f32_e32 v9, v4, v0
	v_rcp_f32_e32 v11, v9
	v_sub_f32_e32 v1, v4, v9
	v_add_f32_e32 v10, v0, v1
	v_add_f32_e32 v1, v2, v3
	v_mul_f32_e32 v13, v1, v11
	v_sub_f32_e32 v0, v2, v1
	v_mul_f32_e32 v2, v9, v13
	v_fma_f32 v4, v13, v9, -v2
	v_fmac_f32_e32 v4, v13, v10
	v_add_f32_e32 v12, v3, v0
	v_add_f32_e32 v0, v2, v4
	v_sub_f32_e32 v3, v1, v0
	v_pk_add_f32 v[6:7], v[0:1], v[2:3] neg_lo:[0,1] neg_hi:[0,1]
	v_mov_b32_e32 v5, v0
	v_pk_add_f32 v[0:1], v[6:7], v[4:5] neg_lo:[0,1] neg_hi:[0,1]
	v_cmp_eq_f32_e32 vcc, s34, v16
	v_add_f32_e32 v1, v12, v1
	v_add_f32_e32 v0, v0, v1
	;; [unrolled: 1-line block ×3, first 2 shown]
	v_mul_f32_e32 v12, v11, v1
	v_mul_f32_e32 v2, v9, v12
	v_fma_f32 v4, v12, v9, -v2
	v_fmac_f32_e32 v4, v12, v10
	v_sub_f32_e32 v3, v3, v1
	v_add_f32_e32 v9, v0, v3
	v_add_f32_e32 v0, v2, v4
	v_sub_f32_e32 v3, v1, v0
	v_pk_add_f32 v[6:7], v[0:1], v[2:3] neg_lo:[0,1] neg_hi:[0,1]
	v_mov_b32_e32 v5, v0
	v_pk_add_f32 v[0:1], v[6:7], v[4:5] neg_lo:[0,1] neg_hi:[0,1]
	scratch_load_dwordx2 v[6:7], off, off offset:104 ; 8-byte Folded Reload
	v_add_f32_e32 v1, v9, v1
	v_add_f32_e32 v0, v0, v1
	;; [unrolled: 1-line block ×4, first 2 shown]
	v_sub_f32_e32 v2, v1, v13
	v_mul_f32_e32 v0, v11, v0
	v_sub_f32_e32 v2, v12, v2
	v_add_f32_e32 v2, v2, v0
	v_add_f32_e32 v4, v1, v2
	v_mul_f32_e32 v5, v4, v4
	v_fmamk_f32 v0, v5, 0x3e9b6dac, v22
	v_fmaak_f32 v11, v5, v0, 0x3f2aaada
	v_cvt_f32_i32_e32 v0, v8
	v_sub_f32_e32 v1, v4, v1
	v_sub_f32_e32 v1, v2, v1
	v_ldexp_f32 v3, v4, 1
	s_or_b64 vcc, s[2:3], vcc
	s_waitcnt vmcnt(0)
	v_mov_b32_e32 v10, v6
	v_ldexp_f32 v6, v1, 1
	v_mul_f32_e32 v1, v4, v5
	v_mov_b32_e32 v2, v10
	v_pk_mul_f32 v[4:5], v[0:1], v[10:11]
	scratch_store_dwordx2 off, v[2:3], off offset:104 ; 8-byte Folded Spill
	v_fma_f32 v2, v0, s36, -v4
	v_fmac_f32_e32 v2, 0xb102e308, v0
	v_pk_add_f32 v[0:1], v[4:5], v[2:3]
	s_nop 0
	v_sub_f32_e32 v3, v1, v3
	v_sub_f32_e32 v3, v5, v3
	v_add_f32_e32 v7, v6, v3
	v_mov_b32_e32 v6, v4
	v_pk_add_f32 v[4:5], v[0:1], v[4:5] neg_lo:[0,1] neg_hi:[0,1]
	v_pk_add_f32 v[8:9], v[0:1], v[6:7]
	v_mov_b32_e32 v3, v0
	v_mov_b32_e32 v5, v9
	v_pk_add_f32 v[10:11], v[2:3], v[4:5] neg_lo:[0,1] neg_hi:[0,1]
	v_pk_add_f32 v[2:3], v[2:3], v[4:5]
	v_mov_b32_e32 v6, v7
	v_mov_b32_e32 v4, v3
	v_pk_add_f32 v[12:13], v[4:5], v[0:1] neg_lo:[0,1] neg_hi:[0,1]
	v_mov_b32_e32 v2, v9
	v_mov_b32_e32 v5, v12
	v_pk_add_f32 v[14:15], v[8:9], v[4:5] neg_lo:[0,1] neg_hi:[0,1]
	v_mov_b32_e32 v8, v1
	v_mov_b32_e32 v9, v12
	;; [unrolled: 1-line block ×3, first 2 shown]
	v_pk_add_f32 v[2:3], v[2:3], v[8:9] neg_lo:[0,1] neg_hi:[0,1]
	v_mov_b32_e32 v7, v0
	v_pk_add_f32 v[0:1], v[6:7], v[2:3] neg_lo:[0,1] neg_hi:[0,1]
	v_mov_b32_e32 v14, v10
	v_pk_add_f32 v[2:3], v[14:15], v[0:1]
	s_nop 0
	v_mov_b32_e32 v6, v3
	v_pk_add_f32 v[6:7], v[2:3], v[6:7]
	s_nop 0
	v_pk_add_f32 v[4:5], v[4:5], v[6:7]
	v_mov_b32_e32 v1, v6
	v_mov_b32_e32 v3, v4
	v_pk_add_f32 v[8:9], v[2:3], v[10:11] neg_lo:[0,1] neg_hi:[0,1]
	s_nop 0
	v_sub_f32_e32 v2, v2, v8
	v_pk_add_f32 v[0:1], v[0:1], v[8:9] neg_lo:[0,1] neg_hi:[0,1]
	v_sub_f32_e32 v2, v10, v2
	v_add_f32_e32 v0, v0, v2
	v_add_f32_e32 v0, v0, v1
	;; [unrolled: 1-line block ×3, first 2 shown]
	v_cndmask_b32_e32 v38, v0, v16, vcc
.LBB145_42:                             ;   in Loop: Header=BB145_12 Depth=1
	s_or_b64 exec, exec, s[26:27]
	scratch_load_dwordx4 v[0:3], off, off offset:144 ; 16-byte Folded Reload
	s_waitcnt vmcnt(0)
	v_add_f32_e32 v42, s33, v3
	v_cmp_ge_f32_e32 vcc, s87, v42
	s_and_b64 s[2:3], s[84:85], vcc
	s_and_saveexec_b64 s[26:27], s[2:3]
	s_cbranch_execz .LBB145_44
; %bb.43:                               ;   in Loop: Header=BB145_12 Depth=1
	v_mul_f32_e32 v0, 0x3fb8aa3b, v42
	v_rndne_f32_e32 v1, v0
	v_sub_f32_e32 v2, v0, v1
	v_fma_f32 v0, v42, s4, -v0
	v_fmac_f32_e32 v0, 0x32a5705f, v42
	v_add_f32_e32 v0, v2, v0
	v_cvt_i32_f32_e32 v1, v1
	v_exp_f32_e32 v0, v0
	v_cmp_ngt_f32_e32 vcc, s30, v42
	v_ldexp_f32 v0, v0, v1
	s_nop 0
	v_cndmask_b32_e32 v0, 0, v0, vcc
	v_cmp_nlt_f32_e32 vcc, s31, v42
	s_nop 1
	v_cndmask_b32_e32 v16, v23, v0, vcc
	v_add_f32_e32 v2, 1.0, v16
	v_add_f32_e32 v0, -1.0, v2
	v_sub_f32_e32 v1, v0, v2
	v_add_f32_e32 v1, 1.0, v1
	v_sub_f32_e32 v0, v16, v0
	v_add_f32_e32 v3, v0, v1
	v_frexp_mant_f32_e32 v4, v2
	v_cvt_f64_f32_e32 v[0:1], v2
	v_frexp_exp_i32_f64_e32 v0, v[0:1]
	v_cmp_gt_f32_e32 vcc, s35, v4
	v_cmp_gt_f32_e64 s[2:3], s37, v16
	s_nop 0
	v_subbrev_co_u32_e32 v8, vcc, 0, v0, vcc
	v_sub_u32_e32 v0, 0, v8
	v_ldexp_f32 v1, v2, v0
	v_add_f32_e32 v2, -1.0, v1
	v_add_f32_e32 v4, 1.0, v1
	v_ldexp_f32 v0, v3, v0
	v_add_f32_e32 v3, 1.0, v2
	v_add_f32_e32 v5, -1.0, v4
	v_sub_f32_e32 v3, v1, v3
	v_sub_f32_e32 v1, v1, v5
	v_add_f32_e32 v3, v0, v3
	v_add_f32_e32 v0, v0, v1
	;; [unrolled: 1-line block ×3, first 2 shown]
	v_rcp_f32_e32 v11, v9
	v_sub_f32_e32 v1, v4, v9
	v_add_f32_e32 v10, v0, v1
	v_add_f32_e32 v1, v2, v3
	v_mul_f32_e32 v13, v1, v11
	v_sub_f32_e32 v0, v2, v1
	v_mul_f32_e32 v2, v9, v13
	v_fma_f32 v4, v13, v9, -v2
	v_fmac_f32_e32 v4, v13, v10
	v_add_f32_e32 v12, v3, v0
	v_add_f32_e32 v0, v2, v4
	v_sub_f32_e32 v3, v1, v0
	v_pk_add_f32 v[6:7], v[0:1], v[2:3] neg_lo:[0,1] neg_hi:[0,1]
	v_mov_b32_e32 v5, v0
	v_pk_add_f32 v[0:1], v[6:7], v[4:5] neg_lo:[0,1] neg_hi:[0,1]
	v_cmp_eq_f32_e32 vcc, s34, v16
	v_add_f32_e32 v1, v12, v1
	v_add_f32_e32 v0, v0, v1
	;; [unrolled: 1-line block ×3, first 2 shown]
	v_mul_f32_e32 v12, v11, v1
	v_mul_f32_e32 v2, v9, v12
	v_fma_f32 v4, v12, v9, -v2
	v_fmac_f32_e32 v4, v12, v10
	v_sub_f32_e32 v3, v3, v1
	v_add_f32_e32 v9, v0, v3
	v_add_f32_e32 v0, v2, v4
	v_sub_f32_e32 v3, v1, v0
	v_pk_add_f32 v[6:7], v[0:1], v[2:3] neg_lo:[0,1] neg_hi:[0,1]
	v_mov_b32_e32 v5, v0
	v_pk_add_f32 v[0:1], v[6:7], v[4:5] neg_lo:[0,1] neg_hi:[0,1]
	scratch_load_dwordx2 v[6:7], off, off offset:104 ; 8-byte Folded Reload
	v_add_f32_e32 v1, v9, v1
	v_add_f32_e32 v0, v0, v1
	;; [unrolled: 1-line block ×4, first 2 shown]
	v_sub_f32_e32 v2, v1, v13
	v_mul_f32_e32 v0, v11, v0
	v_sub_f32_e32 v2, v12, v2
	v_add_f32_e32 v2, v2, v0
	v_add_f32_e32 v4, v1, v2
	v_mul_f32_e32 v5, v4, v4
	v_fmamk_f32 v0, v5, 0x3e9b6dac, v22
	v_fmaak_f32 v11, v5, v0, 0x3f2aaada
	v_cvt_f32_i32_e32 v0, v8
	v_sub_f32_e32 v1, v4, v1
	v_sub_f32_e32 v1, v2, v1
	v_ldexp_f32 v3, v4, 1
	s_or_b64 vcc, s[2:3], vcc
	s_waitcnt vmcnt(0)
	v_mov_b32_e32 v10, v6
	v_ldexp_f32 v6, v1, 1
	v_mul_f32_e32 v1, v4, v5
	v_mov_b32_e32 v2, v10
	v_pk_mul_f32 v[4:5], v[0:1], v[10:11]
	scratch_store_dwordx2 off, v[2:3], off offset:104 ; 8-byte Folded Spill
	v_fma_f32 v2, v0, s36, -v4
	v_fmac_f32_e32 v2, 0xb102e308, v0
	v_pk_add_f32 v[0:1], v[4:5], v[2:3]
	s_nop 0
	v_sub_f32_e32 v3, v1, v3
	v_sub_f32_e32 v3, v5, v3
	v_add_f32_e32 v7, v6, v3
	v_mov_b32_e32 v6, v4
	v_pk_add_f32 v[4:5], v[0:1], v[4:5] neg_lo:[0,1] neg_hi:[0,1]
	v_pk_add_f32 v[8:9], v[0:1], v[6:7]
	v_mov_b32_e32 v3, v0
	v_mov_b32_e32 v5, v9
	v_pk_add_f32 v[10:11], v[2:3], v[4:5] neg_lo:[0,1] neg_hi:[0,1]
	v_pk_add_f32 v[2:3], v[2:3], v[4:5]
	v_mov_b32_e32 v6, v7
	v_mov_b32_e32 v4, v3
	v_pk_add_f32 v[12:13], v[4:5], v[0:1] neg_lo:[0,1] neg_hi:[0,1]
	v_mov_b32_e32 v2, v9
	v_mov_b32_e32 v5, v12
	v_pk_add_f32 v[14:15], v[8:9], v[4:5] neg_lo:[0,1] neg_hi:[0,1]
	v_mov_b32_e32 v8, v1
	v_mov_b32_e32 v9, v12
	;; [unrolled: 1-line block ×3, first 2 shown]
	v_pk_add_f32 v[2:3], v[2:3], v[8:9] neg_lo:[0,1] neg_hi:[0,1]
	v_mov_b32_e32 v7, v0
	v_pk_add_f32 v[0:1], v[6:7], v[2:3] neg_lo:[0,1] neg_hi:[0,1]
	v_mov_b32_e32 v14, v10
	v_pk_add_f32 v[2:3], v[14:15], v[0:1]
	s_nop 0
	v_mov_b32_e32 v6, v3
	v_pk_add_f32 v[6:7], v[2:3], v[6:7]
	s_nop 0
	v_pk_add_f32 v[4:5], v[4:5], v[6:7]
	v_mov_b32_e32 v1, v6
	v_mov_b32_e32 v3, v4
	v_pk_add_f32 v[8:9], v[2:3], v[10:11] neg_lo:[0,1] neg_hi:[0,1]
	s_nop 0
	v_sub_f32_e32 v2, v2, v8
	v_pk_add_f32 v[0:1], v[0:1], v[8:9] neg_lo:[0,1] neg_hi:[0,1]
	v_sub_f32_e32 v2, v10, v2
	v_add_f32_e32 v0, v0, v2
	v_add_f32_e32 v0, v0, v1
	;; [unrolled: 1-line block ×3, first 2 shown]
	v_cndmask_b32_e32 v42, v0, v16, vcc
.LBB145_44:                             ;   in Loop: Header=BB145_12 Depth=1
	s_or_b64 exec, exec, s[26:27]
	scratch_load_dwordx4 v[0:3], off, off offset:112 ; 16-byte Folded Reload
	s_waitcnt vmcnt(0)
	v_add_f32_e32 v32, s33, v0
	v_cmp_ge_f32_e32 vcc, s87, v32
	s_and_b64 s[2:3], s[84:85], vcc
	s_and_saveexec_b64 s[26:27], s[2:3]
	s_cbranch_execz .LBB145_46
; %bb.45:                               ;   in Loop: Header=BB145_12 Depth=1
	v_mul_f32_e32 v0, 0x3fb8aa3b, v32
	v_rndne_f32_e32 v1, v0
	v_sub_f32_e32 v2, v0, v1
	v_fma_f32 v0, v32, s4, -v0
	v_fmac_f32_e32 v0, 0x32a5705f, v32
	v_add_f32_e32 v0, v2, v0
	v_cvt_i32_f32_e32 v1, v1
	v_exp_f32_e32 v0, v0
	v_cmp_ngt_f32_e32 vcc, s30, v32
	v_ldexp_f32 v0, v0, v1
	s_nop 0
	v_cndmask_b32_e32 v0, 0, v0, vcc
	v_cmp_nlt_f32_e32 vcc, s31, v32
	s_nop 1
	v_cndmask_b32_e32 v16, v23, v0, vcc
	v_add_f32_e32 v2, 1.0, v16
	v_add_f32_e32 v0, -1.0, v2
	v_sub_f32_e32 v1, v0, v2
	v_add_f32_e32 v1, 1.0, v1
	v_sub_f32_e32 v0, v16, v0
	v_add_f32_e32 v3, v0, v1
	v_frexp_mant_f32_e32 v4, v2
	v_cvt_f64_f32_e32 v[0:1], v2
	v_frexp_exp_i32_f64_e32 v0, v[0:1]
	v_cmp_gt_f32_e32 vcc, s35, v4
	v_cmp_gt_f32_e64 s[2:3], s37, v16
	s_nop 0
	v_subbrev_co_u32_e32 v8, vcc, 0, v0, vcc
	v_sub_u32_e32 v0, 0, v8
	v_ldexp_f32 v1, v2, v0
	v_add_f32_e32 v2, -1.0, v1
	v_add_f32_e32 v4, 1.0, v1
	v_ldexp_f32 v0, v3, v0
	v_add_f32_e32 v3, 1.0, v2
	v_add_f32_e32 v5, -1.0, v4
	v_sub_f32_e32 v3, v1, v3
	v_sub_f32_e32 v1, v1, v5
	v_add_f32_e32 v3, v0, v3
	v_add_f32_e32 v0, v0, v1
	;; [unrolled: 1-line block ×3, first 2 shown]
	v_rcp_f32_e32 v11, v9
	v_sub_f32_e32 v1, v4, v9
	v_add_f32_e32 v10, v0, v1
	v_add_f32_e32 v1, v2, v3
	v_mul_f32_e32 v13, v1, v11
	v_sub_f32_e32 v0, v2, v1
	v_mul_f32_e32 v2, v9, v13
	v_fma_f32 v4, v13, v9, -v2
	v_fmac_f32_e32 v4, v13, v10
	v_add_f32_e32 v12, v3, v0
	v_add_f32_e32 v0, v2, v4
	v_sub_f32_e32 v3, v1, v0
	v_pk_add_f32 v[6:7], v[0:1], v[2:3] neg_lo:[0,1] neg_hi:[0,1]
	v_mov_b32_e32 v5, v0
	v_pk_add_f32 v[0:1], v[6:7], v[4:5] neg_lo:[0,1] neg_hi:[0,1]
	v_cmp_eq_f32_e32 vcc, s34, v16
	v_add_f32_e32 v1, v12, v1
	v_add_f32_e32 v0, v0, v1
	;; [unrolled: 1-line block ×3, first 2 shown]
	v_mul_f32_e32 v12, v11, v1
	v_mul_f32_e32 v2, v9, v12
	v_fma_f32 v4, v12, v9, -v2
	v_fmac_f32_e32 v4, v12, v10
	v_sub_f32_e32 v3, v3, v1
	v_add_f32_e32 v9, v0, v3
	v_add_f32_e32 v0, v2, v4
	v_sub_f32_e32 v3, v1, v0
	v_pk_add_f32 v[6:7], v[0:1], v[2:3] neg_lo:[0,1] neg_hi:[0,1]
	v_mov_b32_e32 v5, v0
	v_pk_add_f32 v[0:1], v[6:7], v[4:5] neg_lo:[0,1] neg_hi:[0,1]
	scratch_load_dwordx2 v[6:7], off, off offset:104 ; 8-byte Folded Reload
	v_add_f32_e32 v1, v9, v1
	v_add_f32_e32 v0, v0, v1
	;; [unrolled: 1-line block ×4, first 2 shown]
	v_sub_f32_e32 v2, v1, v13
	v_mul_f32_e32 v0, v11, v0
	v_sub_f32_e32 v2, v12, v2
	v_add_f32_e32 v2, v2, v0
	v_add_f32_e32 v4, v1, v2
	v_mul_f32_e32 v5, v4, v4
	v_fmamk_f32 v0, v5, 0x3e9b6dac, v22
	v_fmaak_f32 v11, v5, v0, 0x3f2aaada
	v_cvt_f32_i32_e32 v0, v8
	v_sub_f32_e32 v1, v4, v1
	v_sub_f32_e32 v1, v2, v1
	v_ldexp_f32 v3, v4, 1
	s_or_b64 vcc, s[2:3], vcc
	s_waitcnt vmcnt(0)
	v_mov_b32_e32 v10, v6
	v_ldexp_f32 v6, v1, 1
	v_mul_f32_e32 v1, v4, v5
	v_mov_b32_e32 v2, v10
	v_pk_mul_f32 v[4:5], v[0:1], v[10:11]
	scratch_store_dwordx2 off, v[2:3], off offset:104 ; 8-byte Folded Spill
	v_fma_f32 v2, v0, s36, -v4
	v_fmac_f32_e32 v2, 0xb102e308, v0
	v_pk_add_f32 v[0:1], v[4:5], v[2:3]
	s_nop 0
	v_sub_f32_e32 v3, v1, v3
	v_sub_f32_e32 v3, v5, v3
	v_add_f32_e32 v7, v6, v3
	v_mov_b32_e32 v6, v4
	v_pk_add_f32 v[4:5], v[0:1], v[4:5] neg_lo:[0,1] neg_hi:[0,1]
	v_pk_add_f32 v[8:9], v[0:1], v[6:7]
	v_mov_b32_e32 v3, v0
	v_mov_b32_e32 v5, v9
	v_pk_add_f32 v[10:11], v[2:3], v[4:5] neg_lo:[0,1] neg_hi:[0,1]
	v_pk_add_f32 v[2:3], v[2:3], v[4:5]
	v_mov_b32_e32 v6, v7
	v_mov_b32_e32 v4, v3
	v_pk_add_f32 v[12:13], v[4:5], v[0:1] neg_lo:[0,1] neg_hi:[0,1]
	v_mov_b32_e32 v2, v9
	v_mov_b32_e32 v5, v12
	v_pk_add_f32 v[14:15], v[8:9], v[4:5] neg_lo:[0,1] neg_hi:[0,1]
	v_mov_b32_e32 v8, v1
	v_mov_b32_e32 v9, v12
	;; [unrolled: 1-line block ×3, first 2 shown]
	v_pk_add_f32 v[2:3], v[2:3], v[8:9] neg_lo:[0,1] neg_hi:[0,1]
	v_mov_b32_e32 v7, v0
	v_pk_add_f32 v[0:1], v[6:7], v[2:3] neg_lo:[0,1] neg_hi:[0,1]
	v_mov_b32_e32 v14, v10
	v_pk_add_f32 v[2:3], v[14:15], v[0:1]
	s_nop 0
	v_mov_b32_e32 v6, v3
	v_pk_add_f32 v[6:7], v[2:3], v[6:7]
	s_nop 0
	v_pk_add_f32 v[4:5], v[4:5], v[6:7]
	v_mov_b32_e32 v1, v6
	v_mov_b32_e32 v3, v4
	v_pk_add_f32 v[8:9], v[2:3], v[10:11] neg_lo:[0,1] neg_hi:[0,1]
	s_nop 0
	v_sub_f32_e32 v2, v2, v8
	v_pk_add_f32 v[0:1], v[0:1], v[8:9] neg_lo:[0,1] neg_hi:[0,1]
	v_sub_f32_e32 v2, v10, v2
	v_add_f32_e32 v0, v0, v2
	v_add_f32_e32 v0, v0, v1
	;; [unrolled: 1-line block ×3, first 2 shown]
	v_cndmask_b32_e32 v32, v0, v16, vcc
.LBB145_46:                             ;   in Loop: Header=BB145_12 Depth=1
	s_or_b64 exec, exec, s[26:27]
	scratch_load_dwordx4 v[0:3], off, off offset:112 ; 16-byte Folded Reload
	s_waitcnt vmcnt(0)
	v_add_f32_e32 v33, s33, v1
	v_cmp_ge_f32_e32 vcc, s87, v33
	s_and_b64 s[2:3], s[84:85], vcc
	s_and_saveexec_b64 s[26:27], s[2:3]
	s_cbranch_execz .LBB145_48
; %bb.47:                               ;   in Loop: Header=BB145_12 Depth=1
	v_mul_f32_e32 v0, 0x3fb8aa3b, v33
	v_rndne_f32_e32 v1, v0
	v_sub_f32_e32 v2, v0, v1
	v_fma_f32 v0, v33, s4, -v0
	v_fmac_f32_e32 v0, 0x32a5705f, v33
	v_add_f32_e32 v0, v2, v0
	v_cvt_i32_f32_e32 v1, v1
	v_exp_f32_e32 v0, v0
	v_cmp_ngt_f32_e32 vcc, s30, v33
	v_ldexp_f32 v0, v0, v1
	s_nop 0
	v_cndmask_b32_e32 v0, 0, v0, vcc
	v_cmp_nlt_f32_e32 vcc, s31, v33
	s_nop 1
	v_cndmask_b32_e32 v16, v23, v0, vcc
	v_add_f32_e32 v2, 1.0, v16
	v_add_f32_e32 v0, -1.0, v2
	v_sub_f32_e32 v1, v0, v2
	v_add_f32_e32 v1, 1.0, v1
	v_sub_f32_e32 v0, v16, v0
	v_add_f32_e32 v3, v0, v1
	v_frexp_mant_f32_e32 v4, v2
	v_cvt_f64_f32_e32 v[0:1], v2
	v_frexp_exp_i32_f64_e32 v0, v[0:1]
	v_cmp_gt_f32_e32 vcc, s35, v4
	v_cmp_gt_f32_e64 s[2:3], s37, v16
	s_nop 0
	v_subbrev_co_u32_e32 v8, vcc, 0, v0, vcc
	v_sub_u32_e32 v0, 0, v8
	v_ldexp_f32 v1, v2, v0
	v_add_f32_e32 v2, -1.0, v1
	v_add_f32_e32 v4, 1.0, v1
	v_ldexp_f32 v0, v3, v0
	v_add_f32_e32 v3, 1.0, v2
	v_add_f32_e32 v5, -1.0, v4
	v_sub_f32_e32 v3, v1, v3
	v_sub_f32_e32 v1, v1, v5
	v_add_f32_e32 v3, v0, v3
	v_add_f32_e32 v0, v0, v1
	;; [unrolled: 1-line block ×3, first 2 shown]
	v_rcp_f32_e32 v11, v9
	v_sub_f32_e32 v1, v4, v9
	v_add_f32_e32 v10, v0, v1
	v_add_f32_e32 v1, v2, v3
	v_mul_f32_e32 v13, v1, v11
	v_sub_f32_e32 v0, v2, v1
	v_mul_f32_e32 v2, v9, v13
	v_fma_f32 v4, v13, v9, -v2
	v_fmac_f32_e32 v4, v13, v10
	v_add_f32_e32 v12, v3, v0
	v_add_f32_e32 v0, v2, v4
	v_sub_f32_e32 v3, v1, v0
	v_pk_add_f32 v[6:7], v[0:1], v[2:3] neg_lo:[0,1] neg_hi:[0,1]
	v_mov_b32_e32 v5, v0
	v_pk_add_f32 v[0:1], v[6:7], v[4:5] neg_lo:[0,1] neg_hi:[0,1]
	v_cmp_eq_f32_e32 vcc, s34, v16
	v_add_f32_e32 v1, v12, v1
	v_add_f32_e32 v0, v0, v1
	;; [unrolled: 1-line block ×3, first 2 shown]
	v_mul_f32_e32 v12, v11, v1
	v_mul_f32_e32 v2, v9, v12
	v_fma_f32 v4, v12, v9, -v2
	v_fmac_f32_e32 v4, v12, v10
	v_sub_f32_e32 v3, v3, v1
	v_add_f32_e32 v9, v0, v3
	v_add_f32_e32 v0, v2, v4
	v_sub_f32_e32 v3, v1, v0
	v_pk_add_f32 v[6:7], v[0:1], v[2:3] neg_lo:[0,1] neg_hi:[0,1]
	v_mov_b32_e32 v5, v0
	v_pk_add_f32 v[0:1], v[6:7], v[4:5] neg_lo:[0,1] neg_hi:[0,1]
	scratch_load_dwordx2 v[6:7], off, off offset:104 ; 8-byte Folded Reload
	v_add_f32_e32 v1, v9, v1
	v_add_f32_e32 v0, v0, v1
	;; [unrolled: 1-line block ×4, first 2 shown]
	v_sub_f32_e32 v2, v1, v13
	v_mul_f32_e32 v0, v11, v0
	v_sub_f32_e32 v2, v12, v2
	v_add_f32_e32 v2, v2, v0
	v_add_f32_e32 v4, v1, v2
	v_mul_f32_e32 v5, v4, v4
	v_fmamk_f32 v0, v5, 0x3e9b6dac, v22
	v_fmaak_f32 v11, v5, v0, 0x3f2aaada
	v_cvt_f32_i32_e32 v0, v8
	v_sub_f32_e32 v1, v4, v1
	v_sub_f32_e32 v1, v2, v1
	v_ldexp_f32 v3, v4, 1
	s_or_b64 vcc, s[2:3], vcc
	s_waitcnt vmcnt(0)
	v_mov_b32_e32 v10, v6
	v_ldexp_f32 v6, v1, 1
	v_mul_f32_e32 v1, v4, v5
	v_mov_b32_e32 v2, v10
	v_pk_mul_f32 v[4:5], v[0:1], v[10:11]
	scratch_store_dwordx2 off, v[2:3], off offset:104 ; 8-byte Folded Spill
	v_fma_f32 v2, v0, s36, -v4
	v_fmac_f32_e32 v2, 0xb102e308, v0
	v_pk_add_f32 v[0:1], v[4:5], v[2:3]
	s_nop 0
	v_sub_f32_e32 v3, v1, v3
	v_sub_f32_e32 v3, v5, v3
	v_add_f32_e32 v7, v6, v3
	v_mov_b32_e32 v6, v4
	v_pk_add_f32 v[4:5], v[0:1], v[4:5] neg_lo:[0,1] neg_hi:[0,1]
	v_pk_add_f32 v[8:9], v[0:1], v[6:7]
	v_mov_b32_e32 v3, v0
	v_mov_b32_e32 v5, v9
	v_pk_add_f32 v[10:11], v[2:3], v[4:5] neg_lo:[0,1] neg_hi:[0,1]
	v_pk_add_f32 v[2:3], v[2:3], v[4:5]
	v_mov_b32_e32 v6, v7
	v_mov_b32_e32 v4, v3
	v_pk_add_f32 v[12:13], v[4:5], v[0:1] neg_lo:[0,1] neg_hi:[0,1]
	v_mov_b32_e32 v2, v9
	v_mov_b32_e32 v5, v12
	v_pk_add_f32 v[14:15], v[8:9], v[4:5] neg_lo:[0,1] neg_hi:[0,1]
	v_mov_b32_e32 v8, v1
	v_mov_b32_e32 v9, v12
	;; [unrolled: 1-line block ×3, first 2 shown]
	v_pk_add_f32 v[2:3], v[2:3], v[8:9] neg_lo:[0,1] neg_hi:[0,1]
	v_mov_b32_e32 v7, v0
	v_pk_add_f32 v[0:1], v[6:7], v[2:3] neg_lo:[0,1] neg_hi:[0,1]
	v_mov_b32_e32 v14, v10
	v_pk_add_f32 v[2:3], v[14:15], v[0:1]
	s_nop 0
	v_mov_b32_e32 v6, v3
	v_pk_add_f32 v[6:7], v[2:3], v[6:7]
	s_nop 0
	v_pk_add_f32 v[4:5], v[4:5], v[6:7]
	v_mov_b32_e32 v1, v6
	v_mov_b32_e32 v3, v4
	v_pk_add_f32 v[8:9], v[2:3], v[10:11] neg_lo:[0,1] neg_hi:[0,1]
	s_nop 0
	v_sub_f32_e32 v2, v2, v8
	v_pk_add_f32 v[0:1], v[0:1], v[8:9] neg_lo:[0,1] neg_hi:[0,1]
	v_sub_f32_e32 v2, v10, v2
	v_add_f32_e32 v0, v0, v2
	v_add_f32_e32 v0, v0, v1
	;; [unrolled: 1-line block ×3, first 2 shown]
	v_cndmask_b32_e32 v33, v0, v16, vcc
.LBB145_48:                             ;   in Loop: Header=BB145_12 Depth=1
	s_or_b64 exec, exec, s[26:27]
	scratch_load_dwordx4 v[0:3], off, off offset:112 ; 16-byte Folded Reload
	s_waitcnt vmcnt(0)
	v_add_f32_e32 v34, s33, v2
	v_cmp_ge_f32_e32 vcc, s87, v34
	s_and_b64 s[2:3], s[84:85], vcc
	s_and_saveexec_b64 s[26:27], s[2:3]
	s_cbranch_execz .LBB145_50
; %bb.49:                               ;   in Loop: Header=BB145_12 Depth=1
	v_mul_f32_e32 v0, 0x3fb8aa3b, v34
	v_rndne_f32_e32 v1, v0
	v_sub_f32_e32 v2, v0, v1
	v_fma_f32 v0, v34, s4, -v0
	v_fmac_f32_e32 v0, 0x32a5705f, v34
	v_add_f32_e32 v0, v2, v0
	v_cvt_i32_f32_e32 v1, v1
	v_exp_f32_e32 v0, v0
	v_cmp_ngt_f32_e32 vcc, s30, v34
	v_ldexp_f32 v0, v0, v1
	s_nop 0
	v_cndmask_b32_e32 v0, 0, v0, vcc
	v_cmp_nlt_f32_e32 vcc, s31, v34
	s_nop 1
	v_cndmask_b32_e32 v16, v23, v0, vcc
	v_add_f32_e32 v2, 1.0, v16
	v_add_f32_e32 v0, -1.0, v2
	v_sub_f32_e32 v1, v0, v2
	v_add_f32_e32 v1, 1.0, v1
	v_sub_f32_e32 v0, v16, v0
	v_add_f32_e32 v3, v0, v1
	v_frexp_mant_f32_e32 v4, v2
	v_cvt_f64_f32_e32 v[0:1], v2
	v_frexp_exp_i32_f64_e32 v0, v[0:1]
	v_cmp_gt_f32_e32 vcc, s35, v4
	v_cmp_gt_f32_e64 s[2:3], s37, v16
	s_nop 0
	v_subbrev_co_u32_e32 v8, vcc, 0, v0, vcc
	v_sub_u32_e32 v0, 0, v8
	v_ldexp_f32 v1, v2, v0
	v_add_f32_e32 v2, -1.0, v1
	v_add_f32_e32 v4, 1.0, v1
	v_ldexp_f32 v0, v3, v0
	v_add_f32_e32 v3, 1.0, v2
	v_add_f32_e32 v5, -1.0, v4
	v_sub_f32_e32 v3, v1, v3
	v_sub_f32_e32 v1, v1, v5
	v_add_f32_e32 v3, v0, v3
	v_add_f32_e32 v0, v0, v1
	;; [unrolled: 1-line block ×3, first 2 shown]
	v_rcp_f32_e32 v11, v9
	v_sub_f32_e32 v1, v4, v9
	v_add_f32_e32 v10, v0, v1
	v_add_f32_e32 v1, v2, v3
	v_mul_f32_e32 v13, v1, v11
	v_sub_f32_e32 v0, v2, v1
	v_mul_f32_e32 v2, v9, v13
	v_fma_f32 v4, v13, v9, -v2
	v_fmac_f32_e32 v4, v13, v10
	v_add_f32_e32 v12, v3, v0
	v_add_f32_e32 v0, v2, v4
	v_sub_f32_e32 v3, v1, v0
	v_pk_add_f32 v[6:7], v[0:1], v[2:3] neg_lo:[0,1] neg_hi:[0,1]
	v_mov_b32_e32 v5, v0
	v_pk_add_f32 v[0:1], v[6:7], v[4:5] neg_lo:[0,1] neg_hi:[0,1]
	v_cmp_eq_f32_e32 vcc, s34, v16
	v_add_f32_e32 v1, v12, v1
	v_add_f32_e32 v0, v0, v1
	;; [unrolled: 1-line block ×3, first 2 shown]
	v_mul_f32_e32 v12, v11, v1
	v_mul_f32_e32 v2, v9, v12
	v_fma_f32 v4, v12, v9, -v2
	v_fmac_f32_e32 v4, v12, v10
	v_sub_f32_e32 v3, v3, v1
	v_add_f32_e32 v9, v0, v3
	v_add_f32_e32 v0, v2, v4
	v_sub_f32_e32 v3, v1, v0
	v_pk_add_f32 v[6:7], v[0:1], v[2:3] neg_lo:[0,1] neg_hi:[0,1]
	v_mov_b32_e32 v5, v0
	v_pk_add_f32 v[0:1], v[6:7], v[4:5] neg_lo:[0,1] neg_hi:[0,1]
	scratch_load_dwordx2 v[6:7], off, off offset:104 ; 8-byte Folded Reload
	v_add_f32_e32 v1, v9, v1
	v_add_f32_e32 v0, v0, v1
	;; [unrolled: 1-line block ×4, first 2 shown]
	v_sub_f32_e32 v2, v1, v13
	v_mul_f32_e32 v0, v11, v0
	v_sub_f32_e32 v2, v12, v2
	v_add_f32_e32 v2, v2, v0
	v_add_f32_e32 v4, v1, v2
	v_mul_f32_e32 v5, v4, v4
	v_fmamk_f32 v0, v5, 0x3e9b6dac, v22
	v_fmaak_f32 v11, v5, v0, 0x3f2aaada
	v_cvt_f32_i32_e32 v0, v8
	v_sub_f32_e32 v1, v4, v1
	v_sub_f32_e32 v1, v2, v1
	v_ldexp_f32 v3, v4, 1
	s_or_b64 vcc, s[2:3], vcc
	s_waitcnt vmcnt(0)
	v_mov_b32_e32 v10, v6
	v_ldexp_f32 v6, v1, 1
	v_mul_f32_e32 v1, v4, v5
	v_mov_b32_e32 v2, v10
	v_pk_mul_f32 v[4:5], v[0:1], v[10:11]
	scratch_store_dwordx2 off, v[2:3], off offset:104 ; 8-byte Folded Spill
	v_fma_f32 v2, v0, s36, -v4
	v_fmac_f32_e32 v2, 0xb102e308, v0
	v_pk_add_f32 v[0:1], v[4:5], v[2:3]
	s_nop 0
	v_sub_f32_e32 v3, v1, v3
	v_sub_f32_e32 v3, v5, v3
	v_add_f32_e32 v7, v6, v3
	v_mov_b32_e32 v6, v4
	v_pk_add_f32 v[4:5], v[0:1], v[4:5] neg_lo:[0,1] neg_hi:[0,1]
	v_pk_add_f32 v[8:9], v[0:1], v[6:7]
	v_mov_b32_e32 v3, v0
	v_mov_b32_e32 v5, v9
	v_pk_add_f32 v[10:11], v[2:3], v[4:5] neg_lo:[0,1] neg_hi:[0,1]
	v_pk_add_f32 v[2:3], v[2:3], v[4:5]
	v_mov_b32_e32 v6, v7
	v_mov_b32_e32 v4, v3
	v_pk_add_f32 v[12:13], v[4:5], v[0:1] neg_lo:[0,1] neg_hi:[0,1]
	v_mov_b32_e32 v2, v9
	v_mov_b32_e32 v5, v12
	v_pk_add_f32 v[14:15], v[8:9], v[4:5] neg_lo:[0,1] neg_hi:[0,1]
	v_mov_b32_e32 v8, v1
	v_mov_b32_e32 v9, v12
	;; [unrolled: 1-line block ×3, first 2 shown]
	v_pk_add_f32 v[2:3], v[2:3], v[8:9] neg_lo:[0,1] neg_hi:[0,1]
	v_mov_b32_e32 v7, v0
	v_pk_add_f32 v[0:1], v[6:7], v[2:3] neg_lo:[0,1] neg_hi:[0,1]
	v_mov_b32_e32 v14, v10
	v_pk_add_f32 v[2:3], v[14:15], v[0:1]
	s_nop 0
	v_mov_b32_e32 v6, v3
	v_pk_add_f32 v[6:7], v[2:3], v[6:7]
	s_nop 0
	v_pk_add_f32 v[4:5], v[4:5], v[6:7]
	v_mov_b32_e32 v1, v6
	v_mov_b32_e32 v3, v4
	v_pk_add_f32 v[8:9], v[2:3], v[10:11] neg_lo:[0,1] neg_hi:[0,1]
	s_nop 0
	v_sub_f32_e32 v2, v2, v8
	v_pk_add_f32 v[0:1], v[0:1], v[8:9] neg_lo:[0,1] neg_hi:[0,1]
	v_sub_f32_e32 v2, v10, v2
	v_add_f32_e32 v0, v0, v2
	v_add_f32_e32 v0, v0, v1
	;; [unrolled: 1-line block ×3, first 2 shown]
	v_cndmask_b32_e32 v34, v0, v16, vcc
.LBB145_50:                             ;   in Loop: Header=BB145_12 Depth=1
	s_or_b64 exec, exec, s[26:27]
	scratch_load_dwordx4 v[0:3], off, off offset:112 ; 16-byte Folded Reload
	s_waitcnt vmcnt(0)
	v_add_f32_e32 v40, s33, v3
	v_cmp_ge_f32_e32 vcc, s87, v40
	s_and_b64 s[2:3], s[84:85], vcc
	s_and_saveexec_b64 s[26:27], s[2:3]
	s_cbranch_execz .LBB145_52
; %bb.51:                               ;   in Loop: Header=BB145_12 Depth=1
	v_mul_f32_e32 v0, 0x3fb8aa3b, v40
	v_rndne_f32_e32 v1, v0
	v_sub_f32_e32 v2, v0, v1
	v_fma_f32 v0, v40, s4, -v0
	v_fmac_f32_e32 v0, 0x32a5705f, v40
	v_add_f32_e32 v0, v2, v0
	v_cvt_i32_f32_e32 v1, v1
	v_exp_f32_e32 v0, v0
	v_cmp_ngt_f32_e32 vcc, s30, v40
	v_ldexp_f32 v0, v0, v1
	s_nop 0
	v_cndmask_b32_e32 v0, 0, v0, vcc
	v_cmp_nlt_f32_e32 vcc, s31, v40
	s_nop 1
	v_cndmask_b32_e32 v16, v23, v0, vcc
	v_add_f32_e32 v2, 1.0, v16
	v_add_f32_e32 v0, -1.0, v2
	v_sub_f32_e32 v1, v0, v2
	v_add_f32_e32 v1, 1.0, v1
	v_sub_f32_e32 v0, v16, v0
	v_add_f32_e32 v3, v0, v1
	v_frexp_mant_f32_e32 v4, v2
	v_cvt_f64_f32_e32 v[0:1], v2
	v_frexp_exp_i32_f64_e32 v0, v[0:1]
	v_cmp_gt_f32_e32 vcc, s35, v4
	v_cmp_gt_f32_e64 s[2:3], s37, v16
	s_nop 0
	v_subbrev_co_u32_e32 v8, vcc, 0, v0, vcc
	v_sub_u32_e32 v0, 0, v8
	v_ldexp_f32 v1, v2, v0
	v_add_f32_e32 v2, -1.0, v1
	v_add_f32_e32 v4, 1.0, v1
	v_ldexp_f32 v0, v3, v0
	v_add_f32_e32 v3, 1.0, v2
	v_add_f32_e32 v5, -1.0, v4
	v_sub_f32_e32 v3, v1, v3
	v_sub_f32_e32 v1, v1, v5
	v_add_f32_e32 v3, v0, v3
	v_add_f32_e32 v0, v0, v1
	;; [unrolled: 1-line block ×3, first 2 shown]
	v_rcp_f32_e32 v11, v9
	v_sub_f32_e32 v1, v4, v9
	v_add_f32_e32 v10, v0, v1
	v_add_f32_e32 v1, v2, v3
	v_mul_f32_e32 v13, v1, v11
	v_sub_f32_e32 v0, v2, v1
	v_mul_f32_e32 v2, v9, v13
	v_fma_f32 v4, v13, v9, -v2
	v_fmac_f32_e32 v4, v13, v10
	v_add_f32_e32 v12, v3, v0
	v_add_f32_e32 v0, v2, v4
	v_sub_f32_e32 v3, v1, v0
	v_pk_add_f32 v[6:7], v[0:1], v[2:3] neg_lo:[0,1] neg_hi:[0,1]
	v_mov_b32_e32 v5, v0
	v_pk_add_f32 v[0:1], v[6:7], v[4:5] neg_lo:[0,1] neg_hi:[0,1]
	v_cmp_eq_f32_e32 vcc, s34, v16
	v_add_f32_e32 v1, v12, v1
	v_add_f32_e32 v0, v0, v1
	;; [unrolled: 1-line block ×3, first 2 shown]
	v_mul_f32_e32 v12, v11, v1
	v_mul_f32_e32 v2, v9, v12
	v_fma_f32 v4, v12, v9, -v2
	v_fmac_f32_e32 v4, v12, v10
	v_sub_f32_e32 v3, v3, v1
	v_add_f32_e32 v9, v0, v3
	v_add_f32_e32 v0, v2, v4
	v_sub_f32_e32 v3, v1, v0
	v_pk_add_f32 v[6:7], v[0:1], v[2:3] neg_lo:[0,1] neg_hi:[0,1]
	v_mov_b32_e32 v5, v0
	v_pk_add_f32 v[0:1], v[6:7], v[4:5] neg_lo:[0,1] neg_hi:[0,1]
	scratch_load_dwordx2 v[6:7], off, off offset:104 ; 8-byte Folded Reload
	v_add_f32_e32 v1, v9, v1
	v_add_f32_e32 v0, v0, v1
	;; [unrolled: 1-line block ×4, first 2 shown]
	v_sub_f32_e32 v2, v1, v13
	v_mul_f32_e32 v0, v11, v0
	v_sub_f32_e32 v2, v12, v2
	v_add_f32_e32 v2, v2, v0
	v_add_f32_e32 v4, v1, v2
	v_mul_f32_e32 v5, v4, v4
	v_fmamk_f32 v0, v5, 0x3e9b6dac, v22
	v_fmaak_f32 v11, v5, v0, 0x3f2aaada
	v_cvt_f32_i32_e32 v0, v8
	v_sub_f32_e32 v1, v4, v1
	v_sub_f32_e32 v1, v2, v1
	v_ldexp_f32 v3, v4, 1
	s_or_b64 vcc, s[2:3], vcc
	s_waitcnt vmcnt(0)
	v_mov_b32_e32 v10, v6
	v_ldexp_f32 v6, v1, 1
	v_mul_f32_e32 v1, v4, v5
	v_mov_b32_e32 v2, v10
	v_pk_mul_f32 v[4:5], v[0:1], v[10:11]
	scratch_store_dwordx2 off, v[2:3], off offset:104 ; 8-byte Folded Spill
	v_fma_f32 v2, v0, s36, -v4
	v_fmac_f32_e32 v2, 0xb102e308, v0
	v_pk_add_f32 v[0:1], v[4:5], v[2:3]
	s_nop 0
	v_sub_f32_e32 v3, v1, v3
	v_sub_f32_e32 v3, v5, v3
	v_add_f32_e32 v7, v6, v3
	v_mov_b32_e32 v6, v4
	v_pk_add_f32 v[4:5], v[0:1], v[4:5] neg_lo:[0,1] neg_hi:[0,1]
	v_pk_add_f32 v[8:9], v[0:1], v[6:7]
	v_mov_b32_e32 v3, v0
	v_mov_b32_e32 v5, v9
	v_pk_add_f32 v[10:11], v[2:3], v[4:5] neg_lo:[0,1] neg_hi:[0,1]
	v_pk_add_f32 v[2:3], v[2:3], v[4:5]
	v_mov_b32_e32 v6, v7
	v_mov_b32_e32 v4, v3
	v_pk_add_f32 v[12:13], v[4:5], v[0:1] neg_lo:[0,1] neg_hi:[0,1]
	v_mov_b32_e32 v2, v9
	v_mov_b32_e32 v5, v12
	v_pk_add_f32 v[14:15], v[8:9], v[4:5] neg_lo:[0,1] neg_hi:[0,1]
	v_mov_b32_e32 v8, v1
	v_mov_b32_e32 v9, v12
	v_mov_b32_e32 v11, v3
	v_pk_add_f32 v[2:3], v[2:3], v[8:9] neg_lo:[0,1] neg_hi:[0,1]
	v_mov_b32_e32 v7, v0
	v_pk_add_f32 v[0:1], v[6:7], v[2:3] neg_lo:[0,1] neg_hi:[0,1]
	v_mov_b32_e32 v14, v10
	v_pk_add_f32 v[2:3], v[14:15], v[0:1]
	s_nop 0
	v_mov_b32_e32 v6, v3
	v_pk_add_f32 v[6:7], v[2:3], v[6:7]
	s_nop 0
	v_pk_add_f32 v[4:5], v[4:5], v[6:7]
	v_mov_b32_e32 v1, v6
	v_mov_b32_e32 v3, v4
	v_pk_add_f32 v[8:9], v[2:3], v[10:11] neg_lo:[0,1] neg_hi:[0,1]
	s_nop 0
	v_sub_f32_e32 v2, v2, v8
	v_pk_add_f32 v[0:1], v[0:1], v[8:9] neg_lo:[0,1] neg_hi:[0,1]
	v_sub_f32_e32 v2, v10, v2
	v_add_f32_e32 v0, v0, v2
	v_add_f32_e32 v0, v0, v1
	;; [unrolled: 1-line block ×3, first 2 shown]
	v_cndmask_b32_e32 v40, v0, v16, vcc
.LBB145_52:                             ;   in Loop: Header=BB145_12 Depth=1
	s_or_b64 exec, exec, s[26:27]
	scratch_load_dwordx4 v[0:3], off, off offset:128 ; 16-byte Folded Reload
	s_waitcnt vmcnt(0)
	v_add_f32_e32 v94, s33, v0
	v_cmp_ge_f32_e32 vcc, s87, v94
	s_and_b64 s[2:3], s[84:85], vcc
	s_and_saveexec_b64 s[26:27], s[2:3]
	s_cbranch_execz .LBB145_54
; %bb.53:                               ;   in Loop: Header=BB145_12 Depth=1
	v_mul_f32_e32 v0, 0x3fb8aa3b, v94
	v_rndne_f32_e32 v1, v0
	v_sub_f32_e32 v2, v0, v1
	v_fma_f32 v0, v94, s4, -v0
	v_fmac_f32_e32 v0, 0x32a5705f, v94
	v_add_f32_e32 v0, v2, v0
	v_cvt_i32_f32_e32 v1, v1
	v_exp_f32_e32 v0, v0
	v_cmp_ngt_f32_e32 vcc, s30, v94
	v_ldexp_f32 v0, v0, v1
	s_nop 0
	v_cndmask_b32_e32 v0, 0, v0, vcc
	v_cmp_nlt_f32_e32 vcc, s31, v94
	s_nop 1
	v_cndmask_b32_e32 v16, v23, v0, vcc
	v_add_f32_e32 v2, 1.0, v16
	v_add_f32_e32 v0, -1.0, v2
	v_sub_f32_e32 v1, v0, v2
	v_add_f32_e32 v1, 1.0, v1
	v_sub_f32_e32 v0, v16, v0
	v_add_f32_e32 v3, v0, v1
	v_frexp_mant_f32_e32 v4, v2
	v_cvt_f64_f32_e32 v[0:1], v2
	v_frexp_exp_i32_f64_e32 v0, v[0:1]
	v_cmp_gt_f32_e32 vcc, s35, v4
	v_cmp_gt_f32_e64 s[2:3], s37, v16
	s_nop 0
	v_subbrev_co_u32_e32 v8, vcc, 0, v0, vcc
	v_sub_u32_e32 v0, 0, v8
	v_ldexp_f32 v1, v2, v0
	v_add_f32_e32 v2, -1.0, v1
	v_add_f32_e32 v4, 1.0, v1
	v_ldexp_f32 v0, v3, v0
	v_add_f32_e32 v3, 1.0, v2
	v_add_f32_e32 v5, -1.0, v4
	v_sub_f32_e32 v3, v1, v3
	v_sub_f32_e32 v1, v1, v5
	v_add_f32_e32 v3, v0, v3
	v_add_f32_e32 v0, v0, v1
	;; [unrolled: 1-line block ×3, first 2 shown]
	v_rcp_f32_e32 v11, v9
	v_sub_f32_e32 v1, v4, v9
	v_add_f32_e32 v10, v0, v1
	v_add_f32_e32 v1, v2, v3
	v_mul_f32_e32 v13, v1, v11
	v_sub_f32_e32 v0, v2, v1
	v_mul_f32_e32 v2, v9, v13
	v_fma_f32 v4, v13, v9, -v2
	v_fmac_f32_e32 v4, v13, v10
	v_add_f32_e32 v12, v3, v0
	v_add_f32_e32 v0, v2, v4
	v_sub_f32_e32 v3, v1, v0
	v_pk_add_f32 v[6:7], v[0:1], v[2:3] neg_lo:[0,1] neg_hi:[0,1]
	v_mov_b32_e32 v5, v0
	v_pk_add_f32 v[0:1], v[6:7], v[4:5] neg_lo:[0,1] neg_hi:[0,1]
	v_cmp_eq_f32_e32 vcc, s34, v16
	v_add_f32_e32 v1, v12, v1
	v_add_f32_e32 v0, v0, v1
	v_add_f32_e32 v1, v3, v0
	v_mul_f32_e32 v12, v11, v1
	v_mul_f32_e32 v2, v9, v12
	v_fma_f32 v4, v12, v9, -v2
	v_fmac_f32_e32 v4, v12, v10
	v_sub_f32_e32 v3, v3, v1
	v_add_f32_e32 v9, v0, v3
	v_add_f32_e32 v0, v2, v4
	v_sub_f32_e32 v3, v1, v0
	v_pk_add_f32 v[6:7], v[0:1], v[2:3] neg_lo:[0,1] neg_hi:[0,1]
	v_mov_b32_e32 v5, v0
	v_pk_add_f32 v[0:1], v[6:7], v[4:5] neg_lo:[0,1] neg_hi:[0,1]
	scratch_load_dwordx2 v[6:7], off, off offset:104 ; 8-byte Folded Reload
	v_add_f32_e32 v1, v9, v1
	v_add_f32_e32 v0, v0, v1
	;; [unrolled: 1-line block ×4, first 2 shown]
	v_sub_f32_e32 v2, v1, v13
	v_mul_f32_e32 v0, v11, v0
	v_sub_f32_e32 v2, v12, v2
	v_add_f32_e32 v2, v2, v0
	v_add_f32_e32 v4, v1, v2
	v_mul_f32_e32 v5, v4, v4
	v_fmamk_f32 v0, v5, 0x3e9b6dac, v22
	v_fmaak_f32 v11, v5, v0, 0x3f2aaada
	v_cvt_f32_i32_e32 v0, v8
	v_sub_f32_e32 v1, v4, v1
	v_sub_f32_e32 v1, v2, v1
	v_ldexp_f32 v3, v4, 1
	s_or_b64 vcc, s[2:3], vcc
	s_waitcnt vmcnt(0)
	v_mov_b32_e32 v10, v6
	v_ldexp_f32 v6, v1, 1
	v_mul_f32_e32 v1, v4, v5
	v_mov_b32_e32 v2, v10
	v_pk_mul_f32 v[4:5], v[0:1], v[10:11]
	scratch_store_dwordx2 off, v[2:3], off offset:104 ; 8-byte Folded Spill
	v_fma_f32 v2, v0, s36, -v4
	v_fmac_f32_e32 v2, 0xb102e308, v0
	v_pk_add_f32 v[0:1], v[4:5], v[2:3]
	s_nop 0
	v_sub_f32_e32 v3, v1, v3
	v_sub_f32_e32 v3, v5, v3
	v_add_f32_e32 v7, v6, v3
	v_mov_b32_e32 v6, v4
	v_pk_add_f32 v[4:5], v[0:1], v[4:5] neg_lo:[0,1] neg_hi:[0,1]
	v_pk_add_f32 v[8:9], v[0:1], v[6:7]
	v_mov_b32_e32 v3, v0
	v_mov_b32_e32 v5, v9
	v_pk_add_f32 v[10:11], v[2:3], v[4:5] neg_lo:[0,1] neg_hi:[0,1]
	v_pk_add_f32 v[2:3], v[2:3], v[4:5]
	v_mov_b32_e32 v6, v7
	v_mov_b32_e32 v4, v3
	v_pk_add_f32 v[12:13], v[4:5], v[0:1] neg_lo:[0,1] neg_hi:[0,1]
	v_mov_b32_e32 v2, v9
	v_mov_b32_e32 v5, v12
	v_pk_add_f32 v[14:15], v[8:9], v[4:5] neg_lo:[0,1] neg_hi:[0,1]
	v_mov_b32_e32 v8, v1
	v_mov_b32_e32 v9, v12
	;; [unrolled: 1-line block ×3, first 2 shown]
	v_pk_add_f32 v[2:3], v[2:3], v[8:9] neg_lo:[0,1] neg_hi:[0,1]
	v_mov_b32_e32 v7, v0
	v_pk_add_f32 v[0:1], v[6:7], v[2:3] neg_lo:[0,1] neg_hi:[0,1]
	v_mov_b32_e32 v14, v10
	v_pk_add_f32 v[2:3], v[14:15], v[0:1]
	s_nop 0
	v_mov_b32_e32 v6, v3
	v_pk_add_f32 v[6:7], v[2:3], v[6:7]
	s_nop 0
	v_pk_add_f32 v[4:5], v[4:5], v[6:7]
	v_mov_b32_e32 v1, v6
	v_mov_b32_e32 v3, v4
	v_pk_add_f32 v[8:9], v[2:3], v[10:11] neg_lo:[0,1] neg_hi:[0,1]
	s_nop 0
	v_sub_f32_e32 v2, v2, v8
	v_pk_add_f32 v[0:1], v[0:1], v[8:9] neg_lo:[0,1] neg_hi:[0,1]
	v_sub_f32_e32 v2, v10, v2
	v_add_f32_e32 v0, v0, v2
	v_add_f32_e32 v0, v0, v1
	;; [unrolled: 1-line block ×3, first 2 shown]
	v_cndmask_b32_e32 v94, v0, v16, vcc
.LBB145_54:                             ;   in Loop: Header=BB145_12 Depth=1
	s_or_b64 exec, exec, s[26:27]
	scratch_load_dwordx4 v[0:3], off, off offset:128 ; 16-byte Folded Reload
	s_waitcnt vmcnt(0)
	v_add_f32_e32 v20, s33, v1
	v_cmp_ge_f32_e32 vcc, s87, v20
	s_and_b64 s[2:3], s[84:85], vcc
	s_and_saveexec_b64 s[26:27], s[2:3]
	s_cbranch_execz .LBB145_56
; %bb.55:                               ;   in Loop: Header=BB145_12 Depth=1
	v_mul_f32_e32 v0, 0x3fb8aa3b, v20
	v_rndne_f32_e32 v1, v0
	v_sub_f32_e32 v2, v0, v1
	v_fma_f32 v0, v20, s4, -v0
	v_fmac_f32_e32 v0, 0x32a5705f, v20
	v_add_f32_e32 v0, v2, v0
	v_cvt_i32_f32_e32 v1, v1
	v_exp_f32_e32 v0, v0
	v_cmp_ngt_f32_e32 vcc, s30, v20
	v_ldexp_f32 v0, v0, v1
	s_nop 0
	v_cndmask_b32_e32 v0, 0, v0, vcc
	v_cmp_nlt_f32_e32 vcc, s31, v20
	s_nop 1
	v_cndmask_b32_e32 v16, v23, v0, vcc
	v_add_f32_e32 v2, 1.0, v16
	v_add_f32_e32 v0, -1.0, v2
	v_sub_f32_e32 v1, v0, v2
	v_add_f32_e32 v1, 1.0, v1
	v_sub_f32_e32 v0, v16, v0
	v_add_f32_e32 v3, v0, v1
	v_frexp_mant_f32_e32 v4, v2
	v_cvt_f64_f32_e32 v[0:1], v2
	v_frexp_exp_i32_f64_e32 v0, v[0:1]
	v_cmp_gt_f32_e32 vcc, s35, v4
	v_cmp_gt_f32_e64 s[2:3], s37, v16
	s_nop 0
	v_subbrev_co_u32_e32 v8, vcc, 0, v0, vcc
	v_sub_u32_e32 v0, 0, v8
	v_ldexp_f32 v1, v2, v0
	v_add_f32_e32 v2, -1.0, v1
	v_add_f32_e32 v4, 1.0, v1
	v_ldexp_f32 v0, v3, v0
	v_add_f32_e32 v3, 1.0, v2
	v_add_f32_e32 v5, -1.0, v4
	v_sub_f32_e32 v3, v1, v3
	v_sub_f32_e32 v1, v1, v5
	v_add_f32_e32 v3, v0, v3
	v_add_f32_e32 v0, v0, v1
	;; [unrolled: 1-line block ×3, first 2 shown]
	v_rcp_f32_e32 v11, v9
	v_sub_f32_e32 v1, v4, v9
	v_add_f32_e32 v10, v0, v1
	v_add_f32_e32 v1, v2, v3
	v_mul_f32_e32 v13, v1, v11
	v_sub_f32_e32 v0, v2, v1
	v_mul_f32_e32 v2, v9, v13
	v_fma_f32 v4, v13, v9, -v2
	v_fmac_f32_e32 v4, v13, v10
	v_add_f32_e32 v12, v3, v0
	v_add_f32_e32 v0, v2, v4
	v_sub_f32_e32 v3, v1, v0
	v_pk_add_f32 v[6:7], v[0:1], v[2:3] neg_lo:[0,1] neg_hi:[0,1]
	v_mov_b32_e32 v5, v0
	v_pk_add_f32 v[0:1], v[6:7], v[4:5] neg_lo:[0,1] neg_hi:[0,1]
	v_cmp_eq_f32_e32 vcc, s34, v16
	v_add_f32_e32 v1, v12, v1
	v_add_f32_e32 v0, v0, v1
	;; [unrolled: 1-line block ×3, first 2 shown]
	v_mul_f32_e32 v12, v11, v1
	v_mul_f32_e32 v2, v9, v12
	v_fma_f32 v4, v12, v9, -v2
	v_fmac_f32_e32 v4, v12, v10
	v_sub_f32_e32 v3, v3, v1
	v_add_f32_e32 v9, v0, v3
	v_add_f32_e32 v0, v2, v4
	v_sub_f32_e32 v3, v1, v0
	v_pk_add_f32 v[6:7], v[0:1], v[2:3] neg_lo:[0,1] neg_hi:[0,1]
	v_mov_b32_e32 v5, v0
	v_pk_add_f32 v[0:1], v[6:7], v[4:5] neg_lo:[0,1] neg_hi:[0,1]
	scratch_load_dwordx2 v[6:7], off, off offset:104 ; 8-byte Folded Reload
	v_add_f32_e32 v1, v9, v1
	v_add_f32_e32 v0, v0, v1
	;; [unrolled: 1-line block ×4, first 2 shown]
	v_sub_f32_e32 v2, v1, v13
	v_mul_f32_e32 v0, v11, v0
	v_sub_f32_e32 v2, v12, v2
	v_add_f32_e32 v2, v2, v0
	v_add_f32_e32 v4, v1, v2
	v_mul_f32_e32 v5, v4, v4
	v_fmamk_f32 v0, v5, 0x3e9b6dac, v22
	v_fmaak_f32 v11, v5, v0, 0x3f2aaada
	v_cvt_f32_i32_e32 v0, v8
	v_sub_f32_e32 v1, v4, v1
	v_sub_f32_e32 v1, v2, v1
	v_ldexp_f32 v3, v4, 1
	s_or_b64 vcc, s[2:3], vcc
	s_waitcnt vmcnt(0)
	v_mov_b32_e32 v10, v6
	v_ldexp_f32 v6, v1, 1
	v_mul_f32_e32 v1, v4, v5
	v_mov_b32_e32 v2, v10
	v_pk_mul_f32 v[4:5], v[0:1], v[10:11]
	scratch_store_dwordx2 off, v[2:3], off offset:104 ; 8-byte Folded Spill
	v_fma_f32 v2, v0, s36, -v4
	v_fmac_f32_e32 v2, 0xb102e308, v0
	v_pk_add_f32 v[0:1], v[4:5], v[2:3]
	s_nop 0
	v_sub_f32_e32 v3, v1, v3
	v_sub_f32_e32 v3, v5, v3
	v_add_f32_e32 v7, v6, v3
	v_mov_b32_e32 v6, v4
	v_pk_add_f32 v[4:5], v[0:1], v[4:5] neg_lo:[0,1] neg_hi:[0,1]
	v_pk_add_f32 v[8:9], v[0:1], v[6:7]
	v_mov_b32_e32 v3, v0
	v_mov_b32_e32 v5, v9
	v_pk_add_f32 v[10:11], v[2:3], v[4:5] neg_lo:[0,1] neg_hi:[0,1]
	v_pk_add_f32 v[2:3], v[2:3], v[4:5]
	v_mov_b32_e32 v6, v7
	v_mov_b32_e32 v4, v3
	v_pk_add_f32 v[12:13], v[4:5], v[0:1] neg_lo:[0,1] neg_hi:[0,1]
	v_mov_b32_e32 v2, v9
	v_mov_b32_e32 v5, v12
	v_pk_add_f32 v[14:15], v[8:9], v[4:5] neg_lo:[0,1] neg_hi:[0,1]
	v_mov_b32_e32 v8, v1
	v_mov_b32_e32 v9, v12
	;; [unrolled: 1-line block ×3, first 2 shown]
	v_pk_add_f32 v[2:3], v[2:3], v[8:9] neg_lo:[0,1] neg_hi:[0,1]
	v_mov_b32_e32 v7, v0
	v_pk_add_f32 v[0:1], v[6:7], v[2:3] neg_lo:[0,1] neg_hi:[0,1]
	v_mov_b32_e32 v14, v10
	v_pk_add_f32 v[2:3], v[14:15], v[0:1]
	s_nop 0
	v_mov_b32_e32 v6, v3
	v_pk_add_f32 v[6:7], v[2:3], v[6:7]
	s_nop 0
	v_pk_add_f32 v[4:5], v[4:5], v[6:7]
	v_mov_b32_e32 v1, v6
	v_mov_b32_e32 v3, v4
	v_pk_add_f32 v[8:9], v[2:3], v[10:11] neg_lo:[0,1] neg_hi:[0,1]
	s_nop 0
	v_sub_f32_e32 v2, v2, v8
	v_pk_add_f32 v[0:1], v[0:1], v[8:9] neg_lo:[0,1] neg_hi:[0,1]
	v_sub_f32_e32 v2, v10, v2
	v_add_f32_e32 v0, v0, v2
	v_add_f32_e32 v0, v0, v1
	;; [unrolled: 1-line block ×3, first 2 shown]
	v_cndmask_b32_e32 v20, v0, v16, vcc
.LBB145_56:                             ;   in Loop: Header=BB145_12 Depth=1
	s_or_b64 exec, exec, s[26:27]
	scratch_load_dwordx4 v[0:3], off, off offset:128 ; 16-byte Folded Reload
	s_waitcnt vmcnt(0)
	v_add_f32_e32 v21, s33, v2
	v_cmp_ge_f32_e32 vcc, s87, v21
	s_and_b64 s[2:3], s[84:85], vcc
	s_and_saveexec_b64 s[26:27], s[2:3]
	s_cbranch_execz .LBB145_58
; %bb.57:                               ;   in Loop: Header=BB145_12 Depth=1
	v_mul_f32_e32 v0, 0x3fb8aa3b, v21
	v_rndne_f32_e32 v1, v0
	v_sub_f32_e32 v2, v0, v1
	v_fma_f32 v0, v21, s4, -v0
	v_fmac_f32_e32 v0, 0x32a5705f, v21
	v_add_f32_e32 v0, v2, v0
	v_cvt_i32_f32_e32 v1, v1
	v_exp_f32_e32 v0, v0
	v_cmp_ngt_f32_e32 vcc, s30, v21
	v_ldexp_f32 v0, v0, v1
	s_nop 0
	v_cndmask_b32_e32 v0, 0, v0, vcc
	v_cmp_nlt_f32_e32 vcc, s31, v21
	s_nop 1
	v_cndmask_b32_e32 v16, v23, v0, vcc
	v_add_f32_e32 v2, 1.0, v16
	v_add_f32_e32 v0, -1.0, v2
	v_sub_f32_e32 v1, v0, v2
	v_add_f32_e32 v1, 1.0, v1
	v_sub_f32_e32 v0, v16, v0
	v_add_f32_e32 v3, v0, v1
	v_frexp_mant_f32_e32 v4, v2
	v_cvt_f64_f32_e32 v[0:1], v2
	v_frexp_exp_i32_f64_e32 v0, v[0:1]
	v_cmp_gt_f32_e32 vcc, s35, v4
	v_cmp_gt_f32_e64 s[2:3], s37, v16
	s_nop 0
	v_subbrev_co_u32_e32 v8, vcc, 0, v0, vcc
	v_sub_u32_e32 v0, 0, v8
	v_ldexp_f32 v1, v2, v0
	v_add_f32_e32 v2, -1.0, v1
	v_add_f32_e32 v4, 1.0, v1
	v_ldexp_f32 v0, v3, v0
	v_add_f32_e32 v3, 1.0, v2
	v_add_f32_e32 v5, -1.0, v4
	v_sub_f32_e32 v3, v1, v3
	v_sub_f32_e32 v1, v1, v5
	v_add_f32_e32 v3, v0, v3
	v_add_f32_e32 v0, v0, v1
	;; [unrolled: 1-line block ×3, first 2 shown]
	v_rcp_f32_e32 v11, v9
	v_sub_f32_e32 v1, v4, v9
	v_add_f32_e32 v10, v0, v1
	v_add_f32_e32 v1, v2, v3
	v_mul_f32_e32 v13, v1, v11
	v_sub_f32_e32 v0, v2, v1
	v_mul_f32_e32 v2, v9, v13
	v_fma_f32 v4, v13, v9, -v2
	v_fmac_f32_e32 v4, v13, v10
	v_add_f32_e32 v12, v3, v0
	v_add_f32_e32 v0, v2, v4
	v_sub_f32_e32 v3, v1, v0
	v_pk_add_f32 v[6:7], v[0:1], v[2:3] neg_lo:[0,1] neg_hi:[0,1]
	v_mov_b32_e32 v5, v0
	v_pk_add_f32 v[0:1], v[6:7], v[4:5] neg_lo:[0,1] neg_hi:[0,1]
	v_cmp_eq_f32_e32 vcc, s34, v16
	v_add_f32_e32 v1, v12, v1
	v_add_f32_e32 v0, v0, v1
	v_add_f32_e32 v1, v3, v0
	v_mul_f32_e32 v12, v11, v1
	v_mul_f32_e32 v2, v9, v12
	v_fma_f32 v4, v12, v9, -v2
	v_fmac_f32_e32 v4, v12, v10
	v_sub_f32_e32 v3, v3, v1
	v_add_f32_e32 v9, v0, v3
	v_add_f32_e32 v0, v2, v4
	v_sub_f32_e32 v3, v1, v0
	v_pk_add_f32 v[6:7], v[0:1], v[2:3] neg_lo:[0,1] neg_hi:[0,1]
	v_mov_b32_e32 v5, v0
	v_pk_add_f32 v[0:1], v[6:7], v[4:5] neg_lo:[0,1] neg_hi:[0,1]
	scratch_load_dwordx2 v[6:7], off, off offset:104 ; 8-byte Folded Reload
	v_add_f32_e32 v1, v9, v1
	v_add_f32_e32 v0, v0, v1
	;; [unrolled: 1-line block ×4, first 2 shown]
	v_sub_f32_e32 v2, v1, v13
	v_mul_f32_e32 v0, v11, v0
	v_sub_f32_e32 v2, v12, v2
	v_add_f32_e32 v2, v2, v0
	v_add_f32_e32 v4, v1, v2
	v_mul_f32_e32 v5, v4, v4
	v_fmamk_f32 v0, v5, 0x3e9b6dac, v22
	v_fmaak_f32 v11, v5, v0, 0x3f2aaada
	v_cvt_f32_i32_e32 v0, v8
	v_sub_f32_e32 v1, v4, v1
	v_sub_f32_e32 v1, v2, v1
	v_ldexp_f32 v3, v4, 1
	s_or_b64 vcc, s[2:3], vcc
	s_waitcnt vmcnt(0)
	v_mov_b32_e32 v10, v6
	v_ldexp_f32 v6, v1, 1
	v_mul_f32_e32 v1, v4, v5
	v_mov_b32_e32 v2, v10
	v_pk_mul_f32 v[4:5], v[0:1], v[10:11]
	scratch_store_dwordx2 off, v[2:3], off offset:104 ; 8-byte Folded Spill
	v_fma_f32 v2, v0, s36, -v4
	v_fmac_f32_e32 v2, 0xb102e308, v0
	v_pk_add_f32 v[0:1], v[4:5], v[2:3]
	s_nop 0
	v_sub_f32_e32 v3, v1, v3
	v_sub_f32_e32 v3, v5, v3
	v_add_f32_e32 v7, v6, v3
	v_mov_b32_e32 v6, v4
	v_pk_add_f32 v[4:5], v[0:1], v[4:5] neg_lo:[0,1] neg_hi:[0,1]
	v_pk_add_f32 v[8:9], v[0:1], v[6:7]
	v_mov_b32_e32 v3, v0
	v_mov_b32_e32 v5, v9
	v_pk_add_f32 v[10:11], v[2:3], v[4:5] neg_lo:[0,1] neg_hi:[0,1]
	v_pk_add_f32 v[2:3], v[2:3], v[4:5]
	v_mov_b32_e32 v6, v7
	v_mov_b32_e32 v4, v3
	v_pk_add_f32 v[12:13], v[4:5], v[0:1] neg_lo:[0,1] neg_hi:[0,1]
	v_mov_b32_e32 v2, v9
	v_mov_b32_e32 v5, v12
	v_pk_add_f32 v[14:15], v[8:9], v[4:5] neg_lo:[0,1] neg_hi:[0,1]
	v_mov_b32_e32 v8, v1
	v_mov_b32_e32 v9, v12
	;; [unrolled: 1-line block ×3, first 2 shown]
	v_pk_add_f32 v[2:3], v[2:3], v[8:9] neg_lo:[0,1] neg_hi:[0,1]
	v_mov_b32_e32 v7, v0
	v_pk_add_f32 v[0:1], v[6:7], v[2:3] neg_lo:[0,1] neg_hi:[0,1]
	v_mov_b32_e32 v14, v10
	v_pk_add_f32 v[2:3], v[14:15], v[0:1]
	s_nop 0
	v_mov_b32_e32 v6, v3
	v_pk_add_f32 v[6:7], v[2:3], v[6:7]
	s_nop 0
	v_pk_add_f32 v[4:5], v[4:5], v[6:7]
	v_mov_b32_e32 v1, v6
	v_mov_b32_e32 v3, v4
	v_pk_add_f32 v[8:9], v[2:3], v[10:11] neg_lo:[0,1] neg_hi:[0,1]
	s_nop 0
	v_sub_f32_e32 v2, v2, v8
	v_pk_add_f32 v[0:1], v[0:1], v[8:9] neg_lo:[0,1] neg_hi:[0,1]
	v_sub_f32_e32 v2, v10, v2
	v_add_f32_e32 v0, v0, v2
	v_add_f32_e32 v0, v0, v1
	;; [unrolled: 1-line block ×3, first 2 shown]
	v_cndmask_b32_e32 v21, v0, v16, vcc
.LBB145_58:                             ;   in Loop: Header=BB145_12 Depth=1
	s_or_b64 exec, exec, s[26:27]
	scratch_load_dwordx4 v[0:3], off, off offset:128 ; 16-byte Folded Reload
	s_waitcnt vmcnt(0)
	v_add_f32_e32 v39, s33, v3
	v_cmp_ge_f32_e32 vcc, s87, v39
	s_and_b64 s[2:3], s[84:85], vcc
	s_and_saveexec_b64 s[26:27], s[2:3]
	s_cbranch_execz .LBB145_60
; %bb.59:                               ;   in Loop: Header=BB145_12 Depth=1
	v_mul_f32_e32 v0, 0x3fb8aa3b, v39
	v_rndne_f32_e32 v1, v0
	v_sub_f32_e32 v2, v0, v1
	v_fma_f32 v0, v39, s4, -v0
	v_fmac_f32_e32 v0, 0x32a5705f, v39
	v_add_f32_e32 v0, v2, v0
	v_cvt_i32_f32_e32 v1, v1
	v_exp_f32_e32 v0, v0
	v_cmp_ngt_f32_e32 vcc, s30, v39
	v_ldexp_f32 v0, v0, v1
	s_nop 0
	v_cndmask_b32_e32 v0, 0, v0, vcc
	v_cmp_nlt_f32_e32 vcc, s31, v39
	s_nop 1
	v_cndmask_b32_e32 v16, v23, v0, vcc
	v_add_f32_e32 v2, 1.0, v16
	v_add_f32_e32 v0, -1.0, v2
	v_sub_f32_e32 v1, v0, v2
	v_add_f32_e32 v1, 1.0, v1
	v_sub_f32_e32 v0, v16, v0
	v_add_f32_e32 v3, v0, v1
	v_frexp_mant_f32_e32 v4, v2
	v_cvt_f64_f32_e32 v[0:1], v2
	v_frexp_exp_i32_f64_e32 v0, v[0:1]
	v_cmp_gt_f32_e32 vcc, s35, v4
	v_cmp_gt_f32_e64 s[2:3], s37, v16
	s_nop 0
	v_subbrev_co_u32_e32 v8, vcc, 0, v0, vcc
	v_sub_u32_e32 v0, 0, v8
	v_ldexp_f32 v1, v2, v0
	v_add_f32_e32 v2, -1.0, v1
	v_add_f32_e32 v4, 1.0, v1
	v_ldexp_f32 v0, v3, v0
	v_add_f32_e32 v3, 1.0, v2
	v_add_f32_e32 v5, -1.0, v4
	v_sub_f32_e32 v3, v1, v3
	v_sub_f32_e32 v1, v1, v5
	v_add_f32_e32 v3, v0, v3
	v_add_f32_e32 v0, v0, v1
	;; [unrolled: 1-line block ×3, first 2 shown]
	v_rcp_f32_e32 v11, v9
	v_sub_f32_e32 v1, v4, v9
	v_add_f32_e32 v10, v0, v1
	v_add_f32_e32 v1, v2, v3
	v_mul_f32_e32 v13, v1, v11
	v_sub_f32_e32 v0, v2, v1
	v_mul_f32_e32 v2, v9, v13
	v_fma_f32 v4, v13, v9, -v2
	v_fmac_f32_e32 v4, v13, v10
	v_add_f32_e32 v12, v3, v0
	v_add_f32_e32 v0, v2, v4
	v_sub_f32_e32 v3, v1, v0
	v_pk_add_f32 v[6:7], v[0:1], v[2:3] neg_lo:[0,1] neg_hi:[0,1]
	v_mov_b32_e32 v5, v0
	v_pk_add_f32 v[0:1], v[6:7], v[4:5] neg_lo:[0,1] neg_hi:[0,1]
	v_cmp_eq_f32_e32 vcc, s34, v16
	v_add_f32_e32 v1, v12, v1
	v_add_f32_e32 v0, v0, v1
	;; [unrolled: 1-line block ×3, first 2 shown]
	v_mul_f32_e32 v12, v11, v1
	v_mul_f32_e32 v2, v9, v12
	v_fma_f32 v4, v12, v9, -v2
	v_fmac_f32_e32 v4, v12, v10
	v_sub_f32_e32 v3, v3, v1
	v_add_f32_e32 v9, v0, v3
	v_add_f32_e32 v0, v2, v4
	v_sub_f32_e32 v3, v1, v0
	v_pk_add_f32 v[6:7], v[0:1], v[2:3] neg_lo:[0,1] neg_hi:[0,1]
	v_mov_b32_e32 v5, v0
	v_pk_add_f32 v[0:1], v[6:7], v[4:5] neg_lo:[0,1] neg_hi:[0,1]
	scratch_load_dwordx2 v[6:7], off, off offset:104 ; 8-byte Folded Reload
	v_add_f32_e32 v1, v9, v1
	v_add_f32_e32 v0, v0, v1
	;; [unrolled: 1-line block ×4, first 2 shown]
	v_sub_f32_e32 v2, v1, v13
	v_mul_f32_e32 v0, v11, v0
	v_sub_f32_e32 v2, v12, v2
	v_add_f32_e32 v2, v2, v0
	v_add_f32_e32 v4, v1, v2
	v_mul_f32_e32 v5, v4, v4
	v_fmamk_f32 v0, v5, 0x3e9b6dac, v22
	v_fmaak_f32 v11, v5, v0, 0x3f2aaada
	v_cvt_f32_i32_e32 v0, v8
	v_sub_f32_e32 v1, v4, v1
	v_sub_f32_e32 v1, v2, v1
	v_ldexp_f32 v3, v4, 1
	s_or_b64 vcc, s[2:3], vcc
	s_waitcnt vmcnt(0)
	v_mov_b32_e32 v10, v6
	v_ldexp_f32 v6, v1, 1
	v_mul_f32_e32 v1, v4, v5
	v_mov_b32_e32 v2, v10
	v_pk_mul_f32 v[4:5], v[0:1], v[10:11]
	scratch_store_dwordx2 off, v[2:3], off offset:104 ; 8-byte Folded Spill
	v_fma_f32 v2, v0, s36, -v4
	v_fmac_f32_e32 v2, 0xb102e308, v0
	v_pk_add_f32 v[0:1], v[4:5], v[2:3]
	s_nop 0
	v_sub_f32_e32 v3, v1, v3
	v_sub_f32_e32 v3, v5, v3
	v_add_f32_e32 v7, v6, v3
	v_mov_b32_e32 v6, v4
	v_pk_add_f32 v[4:5], v[0:1], v[4:5] neg_lo:[0,1] neg_hi:[0,1]
	v_pk_add_f32 v[8:9], v[0:1], v[6:7]
	v_mov_b32_e32 v3, v0
	v_mov_b32_e32 v5, v9
	v_pk_add_f32 v[10:11], v[2:3], v[4:5] neg_lo:[0,1] neg_hi:[0,1]
	v_pk_add_f32 v[2:3], v[2:3], v[4:5]
	v_mov_b32_e32 v6, v7
	v_mov_b32_e32 v4, v3
	v_pk_add_f32 v[12:13], v[4:5], v[0:1] neg_lo:[0,1] neg_hi:[0,1]
	v_mov_b32_e32 v2, v9
	v_mov_b32_e32 v5, v12
	v_pk_add_f32 v[14:15], v[8:9], v[4:5] neg_lo:[0,1] neg_hi:[0,1]
	v_mov_b32_e32 v8, v1
	v_mov_b32_e32 v9, v12
	;; [unrolled: 1-line block ×3, first 2 shown]
	v_pk_add_f32 v[2:3], v[2:3], v[8:9] neg_lo:[0,1] neg_hi:[0,1]
	v_mov_b32_e32 v7, v0
	v_pk_add_f32 v[0:1], v[6:7], v[2:3] neg_lo:[0,1] neg_hi:[0,1]
	v_mov_b32_e32 v14, v10
	v_pk_add_f32 v[2:3], v[14:15], v[0:1]
	s_nop 0
	v_mov_b32_e32 v6, v3
	v_pk_add_f32 v[6:7], v[2:3], v[6:7]
	s_nop 0
	v_pk_add_f32 v[4:5], v[4:5], v[6:7]
	v_mov_b32_e32 v1, v6
	v_mov_b32_e32 v3, v4
	v_pk_add_f32 v[8:9], v[2:3], v[10:11] neg_lo:[0,1] neg_hi:[0,1]
	s_nop 0
	v_sub_f32_e32 v2, v2, v8
	v_pk_add_f32 v[0:1], v[0:1], v[8:9] neg_lo:[0,1] neg_hi:[0,1]
	v_sub_f32_e32 v2, v10, v2
	v_add_f32_e32 v0, v0, v2
	v_add_f32_e32 v0, v0, v1
	;; [unrolled: 1-line block ×3, first 2 shown]
	v_cndmask_b32_e32 v39, v0, v16, vcc
.LBB145_60:                             ;   in Loop: Header=BB145_12 Depth=1
	s_or_b64 exec, exec, s[26:27]
	scratch_load_dwordx4 v[0:3], off, off offset:176 ; 16-byte Folded Reload
	scratch_load_dwordx4 v[12:15], off, off offset:192 ; 16-byte Folded Reload
	;; [unrolled: 1-line block ×4, first 2 shown]
	v_readlane_b32 s0, v95, 0
	v_readlane_b32 s1, v95, 1
	s_lshl_b32 s2, s61, 10
	s_and_b64 vcc, exec, s[0:1]
	s_waitcnt lgkmcnt(0)
	; wave barrier
	s_waitcnt vmcnt(3)
	v_mul_f32_e32 v50, s80, v2
	v_mul_f32_e32 v49, s80, v1
	;; [unrolled: 1-line block ×3, first 2 shown]
	s_waitcnt vmcnt(1)
	v_mul_f32_e32 v55, s80, v7
	v_mul_f32_e32 v54, s80, v6
	;; [unrolled: 1-line block ×4, first 2 shown]
	s_waitcnt vmcnt(0)
	v_mul_f32_e32 v59, s80, v11
	v_mul_f32_e32 v58, s80, v10
	;; [unrolled: 1-line block ×9, first 2 shown]
	s_cbranch_vccz .LBB145_89
; %bb.61:                               ;   in Loop: Header=BB145_12 Depth=1
	v_mul_f32_e32 v0, v0, v94
	scratch_store_dword off, v0, off offset:32 ; 4-byte Folded Spill
	v_mul_f32_e32 v0, v7, v40
	scratch_store_dword off, v0, off offset:36 ; 4-byte Folded Spill
	;; [unrolled: 2-line block ×13, first 2 shown]
	scratch_load_dword v0, off, off offset:328 ; 4-byte Folded Reload
	v_readlane_b32 s0, v95, 2
	s_sub_i32 s0, s0, s2
	s_cmp_lg_u32 s61, 0
	v_readlane_b32 s3, v95, 5
	s_cselect_b64 s[78:79], -1, 0
	s_cmp_eq_u32 s61, s3
	s_cselect_b64 s[90:91], -1, 0
	v_readlane_b32 s1, v95, 3
	s_mov_b32 s82, 0
	v_mul_f32_e32 v3, v3, v39
	v_lshl_add_u64 v[22:23], s[66:67], 0, v[92:93]
	v_lshl_add_u64 v[24:25], s[70:71], 0, v[92:93]
	v_mul_f32_e32 v2, v2, v21
	v_mul_f32_e32 v1, v1, v20
	s_mov_b32 s92, s82
	s_mov_b32 s94, s82
	;; [unrolled: 1-line block ×4, first 2 shown]
	v_readlane_b32 s4, v95, 14
	scratch_store_dword off, v3, off offset:20 ; 4-byte Folded Spill
	scratch_store_dword off, v2, off offset:24 ; 4-byte Folded Spill
	;; [unrolled: 1-line block ×3, first 2 shown]
	s_waitcnt vmcnt(3)
	v_cmp_gt_u32_e32 vcc, s0, v0
	scratch_load_dword v0, off, off offset:332 ; 4-byte Folded Reload
	s_or_b64 s[26:27], s[88:89], vcc
	s_waitcnt vmcnt(0)
	v_cmp_gt_u32_e32 vcc, s0, v0
	scratch_load_dword v0, off, off offset:336 ; 4-byte Folded Reload
	s_or_b64 s[28:29], s[88:89], vcc
	;; [unrolled: 4-line block ×15, first 2 shown]
	s_waitcnt vmcnt(0)
	v_cmp_gt_u32_e32 vcc, s0, v0
	s_or_b64 s[58:59], s[88:89], vcc
	s_branch .LBB145_63
.LBB145_62:                             ;   in Loop: Header=BB145_63 Depth=2
	s_or_b64 exec, exec, s[98:99]
	v_mul_f32_e32 v13, v35, v13
	v_fma_f32 v14, v35, v14, v16
	v_cndmask_b32_e64 v16, v14, v16, s[24:25]
	v_cndmask_b32_e64 v13, v13, v35, s[24:25]
	s_waitcnt lgkmcnt(0)
	v_fmac_f32_e32 v16, v30, v13
	v_fmac_f32_e32 v17, v16, v0
	;; [unrolled: 1-line block ×16, first 2 shown]
	s_add_i32 s4, s4, 8
	s_add_i32 s3, s3, -1
	s_add_i32 s96, s96, s81
	s_add_i32 s94, s94, s72
	;; [unrolled: 1-line block ×4, first 2 shown]
	v_pk_fma_f32 v[60:61], v[76:77], v[16:17], v[60:61]
	v_pk_fma_f32 v[62:63], v[78:79], v[18:19], v[62:63]
	v_pk_fma_f32 v[56:57], v[72:73], v[88:89], v[56:57]
	v_pk_fma_f32 v[58:59], v[74:75], v[90:91], v[58:59]
	v_pk_fma_f32 v[52:53], v[68:69], v[84:85], v[52:53]
	v_pk_fma_f32 v[54:55], v[70:71], v[86:87], v[54:55]
	v_pk_fma_f32 v[48:49], v[64:65], v[28:29], v[48:49]
	s_cmp_eq_u32 s3, 0
	v_pk_fma_f32 v[50:51], v[66:67], v[80:81], v[50:51]
	s_cbranch_scc1 .LBB145_88
.LBB145_63:                             ;   Parent Loop BB145_12 Depth=1
                                        ; =>  This Inner Loop Header: Depth=2
	s_lshl_b64 s[98:99], s[82:83], 2
	s_add_u32 s98, s64, s98
	s_mov_b32 s93, s83
	s_addc_u32 s99, s86, s99
	v_lshl_add_u64 v[6:7], s[92:93], 2, v[22:23]
	global_load_dword v0, v93, s[98:99]
	global_load_dwordx4 v[2:5], v[6:7], off
	scratch_load_dword v1, off, off         ; 4-byte Folded Reload
	s_mov_b32 s95, s83
	s_andn2_b64 vcc, exec, s[78:79]
	s_waitcnt vmcnt(0)
	ds_write_b128 v1, v[2:5]
	global_load_dwordx4 v[2:5], v[6:7], off offset:1024
	scratch_load_dword v8, off, off offset:4 ; 4-byte Folded Reload
	s_waitcnt vmcnt(0)
	ds_write_b128 v8, v[2:5] offset:1024
	global_load_dwordx4 v[2:5], v[6:7], off offset:2048
	scratch_load_dword v8, off, off offset:8 ; 4-byte Folded Reload
	s_waitcnt vmcnt(0)
	ds_write_b128 v8, v[2:5] offset:2048
	global_load_dwordx4 v[2:5], v[6:7], off offset:3072
	s_nop 0
	scratch_load_dword v6, off, off offset:12 ; 4-byte Folded Reload
	s_waitcnt vmcnt(0)
	ds_write_b128 v6, v[2:5] offset:3072
	; wave barrier
	scratch_load_dword v8, off, off offset:16 ; 4-byte Folded Reload
	v_lshl_add_u64 v[6:7], s[94:95], 2, v[24:25]
	s_waitcnt vmcnt(0)
	ds_read_b128 v[16:19], v8
	ds_read_b128 v[88:91], v8 offset:16
	ds_read_b128 v[84:87], v8 offset:32
	;; [unrolled: 1-line block ×3, first 2 shown]
	global_load_dwordx4 v[2:5], v[6:7], off
	s_waitcnt vmcnt(0)
	ds_write_b128 v1, v[2:5] offset:4224
	global_load_dwordx4 v[2:5], v[6:7], off offset:1024
	scratch_load_dword v1, off, off offset:84 ; 4-byte Folded Reload
	s_waitcnt vmcnt(0)
	ds_write_b128 v1, v[2:5] offset:1024
	global_load_dwordx4 v[2:5], v[6:7], off offset:2048
	scratch_load_dword v1, off, off offset:88 ; 4-byte Folded Reload
	;; [unrolled: 4-line block ×3, first 2 shown]
	s_waitcnt vmcnt(0)
	ds_write_b128 v1, v[2:5] offset:3072
	; wave barrier
	scratch_load_dword v1, off, off offset:96 ; 4-byte Folded Reload
	ds_read_b128 v[76:79], v8 offset:4224
	s_waitcnt vmcnt(0)
	ds_read_b128 v[72:75], v1 offset:16
	ds_read_b128 v[68:71], v1 offset:32
	;; [unrolled: 1-line block ×3, first 2 shown]
	s_cbranch_vccnz .LBB145_65
; %bb.64:                               ;   in Loop: Header=BB145_63 Depth=2
	v_mov_b32_e32 v1, s4
	ds_read_b64 v[26:27], v1
	s_cbranch_execz .LBB145_66
	s_branch .LBB145_69
.LBB145_65:                             ;   in Loop: Header=BB145_63 Depth=2
                                        ; implicit-def: $vgpr27
.LBB145_66:                             ;   in Loop: Header=BB145_63 Depth=2
	s_andn2_b64 vcc, exec, s[62:63]
	s_waitcnt lgkmcnt(0)
	v_mov_b32_e32 v27, 0
	s_cbranch_vccnz .LBB145_68
; %bb.67:                               ;   in Loop: Header=BB145_63 Depth=2
	s_mov_b32 s97, s83
	s_lshl_b64 s[98:99], s[96:97], 2
	s_add_u32 s98, s69, s98
	s_addc_u32 s99, s73, s99
	global_load_dword v27, v93, s[98:99]
.LBB145_68:                             ;   in Loop: Header=BB145_63 Depth=2
	v_mov_b32_e32 v26, 1.0
.LBB145_69:                             ;   in Loop: Header=BB145_63 Depth=2
	scratch_load_dword v1, off, off offset:80 ; 4-byte Folded Reload
	v_mul_f32_e32 v30, 0x3fb8aa3b, v0
	v_mul_f32_e32 v0, v30, v44
	v_cmp_gt_f32_e32 vcc, s7, v0
	v_mul_f32_e32 v3, v30, v47
	v_mul_f32_e32 v4, v30, v36
	v_cndmask_b32_e32 v0, 0, v43, vcc
	v_fmac_f32_e32 v0, v30, v44
	v_exp_f32_e32 v0, v0
	v_cndmask_b32_e32 v2, 1.0, v41, vcc
	v_mul_f32_e32 v5, v30, v37
	v_mul_f32_e32 v6, v30, v38
	;; [unrolled: 1-line block ×4, first 2 shown]
	v_cmp_gt_f32_e32 vcc, s7, v2
	v_cndmask_b32_e64 v35, 1.0, v0, s[26:27]
	v_mul_f32_e32 v7, v30, v42
	v_cndmask_b32_e32 v2, 0, v43, vcc
	v_fmac_f32_e32 v2, v30, v45
	v_exp_f32_e32 v2, v2
	v_cndmask_b32_e32 v0, 1.0, v41, vcc
	v_mul_f32_e32 v8, v30, v32
	v_mul_f32_e32 v9, v30, v33
	;; [unrolled: 1-line block ×4, first 2 shown]
	v_cmp_gt_f32_e32 vcc, s7, v2
	v_mul_f32_e32 v10, v30, v34
	v_mul_f32_e32 v11, v30, v40
	v_cndmask_b32_e32 v2, 0, v43, vcc
	v_fmac_f32_e32 v2, v30, v46
	v_exp_f32_e32 v2, v2
	v_mul_f32_e32 v12, v30, v94
	v_mul_f32_e32 v13, v30, v20
	;; [unrolled: 1-line block ×4, first 2 shown]
	v_cndmask_b32_e64 v0, 1.0, v0, s[28:29]
	s_waitcnt vmcnt(0) lgkmcnt(11)
	v_mul_f32_e32 v1, v16, v1
	v_cndmask_b32_e64 v16, 0, v1, s[26:27]
	scratch_load_dword v1, off, off offset:76 ; 4-byte Folded Reload
	s_waitcnt vmcnt(0)
	v_mul_f32_e32 v1, v17, v1
	v_cndmask_b32_e64 v17, 0, v1, s[28:29]
	v_cndmask_b32_e32 v1, 1.0, v41, vcc
	v_mul_f32_e32 v1, v2, v1
	scratch_load_dword v2, off, off offset:72 ; 4-byte Folded Reload
	v_cmp_gt_f32_e32 vcc, s7, v3
	v_cndmask_b32_e64 v1, 1.0, v1, s[30:31]
	s_waitcnt vmcnt(0)
	v_mul_f32_e32 v2, v18, v2
	v_cndmask_b32_e32 v3, 0, v43, vcc
	v_fmac_f32_e32 v3, v30, v47
	v_exp_f32_e32 v3, v3
	v_cndmask_b32_e64 v18, 0, v2, s[30:31]
	v_cndmask_b32_e32 v2, 1.0, v41, vcc
	v_cmp_gt_f32_e32 vcc, s7, v4
	v_mul_f32_e32 v2, v3, v2
	scratch_load_dword v3, off, off offset:68 ; 4-byte Folded Reload
	v_cndmask_b32_e32 v4, 0, v43, vcc
	v_fmac_f32_e32 v4, v30, v36
	v_exp_f32_e32 v4, v4
	v_cndmask_b32_e64 v2, 1.0, v2, s[34:35]
	s_waitcnt vmcnt(0)
	v_mul_f32_e32 v3, v19, v3
	v_cndmask_b32_e64 v19, 0, v3, s[34:35]
	v_cndmask_b32_e32 v3, 1.0, v41, vcc
	v_mul_f32_e32 v3, v4, v3
	scratch_load_dword v4, off, off offset:64 ; 4-byte Folded Reload
	v_cmp_gt_f32_e32 vcc, s7, v5
	v_cndmask_b32_e64 v3, 1.0, v3, s[36:37]
	s_waitcnt vmcnt(0) lgkmcnt(10)
	v_mul_f32_e32 v4, v88, v4
	v_cndmask_b32_e32 v5, 0, v43, vcc
	v_fmac_f32_e32 v5, v30, v37
	v_exp_f32_e32 v5, v5
	v_cndmask_b32_e64 v88, 0, v4, s[36:37]
	v_cndmask_b32_e32 v4, 1.0, v41, vcc
	v_cmp_gt_f32_e32 vcc, s7, v6
	v_mul_f32_e32 v4, v5, v4
	scratch_load_dword v5, off, off offset:60 ; 4-byte Folded Reload
	v_cndmask_b32_e32 v6, 0, v43, vcc
	v_fmac_f32_e32 v6, v30, v38
	v_exp_f32_e32 v6, v6
	v_cndmask_b32_e64 v4, 1.0, v4, s[38:39]
	s_waitcnt vmcnt(0)
	v_mul_f32_e32 v5, v89, v5
	v_cndmask_b32_e64 v89, 0, v5, s[38:39]
	v_cndmask_b32_e32 v5, 1.0, v41, vcc
	v_mul_f32_e32 v5, v6, v5
	scratch_load_dword v6, off, off offset:56 ; 4-byte Folded Reload
	v_cmp_gt_f32_e32 vcc, s7, v7
	v_cndmask_b32_e64 v5, 1.0, v5, s[40:41]
	s_waitcnt vmcnt(0)
	v_mul_f32_e32 v6, v90, v6
	v_cndmask_b32_e32 v7, 0, v43, vcc
	v_fmac_f32_e32 v7, v30, v42
	v_exp_f32_e32 v7, v7
	v_cndmask_b32_e64 v90, 0, v6, s[40:41]
	v_cndmask_b32_e32 v6, 1.0, v41, vcc
	v_cmp_gt_f32_e32 vcc, s7, v8
	v_mul_f32_e32 v6, v7, v6
	scratch_load_dword v7, off, off offset:52 ; 4-byte Folded Reload
	v_cndmask_b32_e32 v8, 0, v43, vcc
	v_fmac_f32_e32 v8, v30, v32
	v_exp_f32_e32 v8, v8
	v_cndmask_b32_e64 v6, 1.0, v6, s[42:43]
	s_waitcnt vmcnt(0)
	v_mul_f32_e32 v7, v91, v7
	v_cndmask_b32_e64 v91, 0, v7, s[42:43]
	v_cndmask_b32_e32 v7, 1.0, v41, vcc
	v_mul_f32_e32 v7, v8, v7
	scratch_load_dword v8, off, off offset:48 ; 4-byte Folded Reload
	v_cmp_gt_f32_e32 vcc, s7, v9
	v_cndmask_b32_e64 v7, 1.0, v7, s[44:45]
	s_waitcnt vmcnt(0) lgkmcnt(9)
	v_mul_f32_e32 v8, v84, v8
	v_cndmask_b32_e32 v9, 0, v43, vcc
	v_fmac_f32_e32 v9, v30, v33
	v_exp_f32_e32 v9, v9
	v_cndmask_b32_e64 v84, 0, v8, s[44:45]
	v_cndmask_b32_e32 v8, 1.0, v41, vcc
	v_cmp_gt_f32_e32 vcc, s7, v10
	v_mul_f32_e32 v8, v9, v8
	scratch_load_dword v9, off, off offset:44 ; 4-byte Folded Reload
	v_cndmask_b32_e32 v10, 0, v43, vcc
	v_fmac_f32_e32 v10, v30, v34
	v_exp_f32_e32 v10, v10
	v_cndmask_b32_e64 v8, 1.0, v8, s[46:47]
	;; [unrolled: 44-line block ×3, first 2 shown]
	s_waitcnt vmcnt(0)
	v_mul_f32_e32 v13, v81, v13
	v_cndmask_b32_e64 v29, 0, v13, s[54:55]
	v_cndmask_b32_e32 v13, 1.0, v41, vcc
	v_mul_f32_e32 v13, v14, v13
	scratch_load_dword v14, off, off offset:24 ; 4-byte Folded Reload
	v_cmp_gt_f32_e32 vcc, s7, v31
	s_waitcnt vmcnt(0)
	v_mul_f32_e32 v14, v82, v14
	v_cndmask_b32_e64 v80, 0, v14, s[56:57]
	scratch_load_dword v14, off, off offset:20 ; 4-byte Folded Reload
	v_cndmask_b32_e32 v31, 0, v43, vcc
	v_fmac_f32_e32 v31, v30, v39
	v_exp_f32_e32 v30, v31
	v_cndmask_b32_e64 v82, 1.0, v13, s[56:57]
	v_cndmask_b32_e32 v13, 1.0, v41, vcc
	v_mul_f32_e32 v13, v30, v13
	s_waitcnt vmcnt(0)
	v_mul_f32_e32 v14, v83, v14
	v_cndmask_b32_e64 v81, 0, v14, s[58:59]
	v_cndmask_b32_e64 v83, 1.0, v13, s[58:59]
	v_mul_f32_e32 v13, v0, v35
	v_fma_f32 v14, v0, v16, v17
	v_mul_f32_e32 v13, v13, v1
	v_fma_f32 v14, v14, v1, v18
	;; [unrolled: 2-line block ×15, first 2 shown]
	s_nop 0
	v_mov_b32_dpp v14, v30 row_shr:1 row_mask:0xf bank_mask:0xf
	v_mov_b32_dpp v13, v15 row_shr:1 row_mask:0xf bank_mask:0xf
	s_and_saveexec_b64 s[98:99], s[8:9]
; %bb.70:                               ;   in Loop: Header=BB145_63 Depth=2
	v_mul_f32_e32 v14, v30, v14
	v_fmac_f32_e32 v15, v30, v13
	v_mov_b32_e32 v30, v14
; %bb.71:                               ;   in Loop: Header=BB145_63 Depth=2
	s_or_b64 exec, exec, s[98:99]
	s_nop 0
	v_mov_b32_dpp v13, v30 row_shr:2 row_mask:0xf bank_mask:0xf
	v_mov_b32_dpp v14, v15 row_shr:2 row_mask:0xf bank_mask:0xf
	s_and_saveexec_b64 s[98:99], s[10:11]
; %bb.72:                               ;   in Loop: Header=BB145_63 Depth=2
	v_fmac_f32_e32 v15, v30, v14
	v_mul_f32_e32 v30, v30, v13
; %bb.73:                               ;   in Loop: Header=BB145_63 Depth=2
	s_or_b64 exec, exec, s[98:99]
	s_nop 0
	v_mov_b32_dpp v13, v30 row_shr:4 row_mask:0xf bank_mask:0xf
	v_mov_b32_dpp v14, v15 row_shr:4 row_mask:0xf bank_mask:0xf
	s_and_saveexec_b64 s[98:99], s[12:13]
; %bb.74:                               ;   in Loop: Header=BB145_63 Depth=2
	v_fmac_f32_e32 v15, v30, v14
	v_mul_f32_e32 v30, v30, v13
	;; [unrolled: 9-line block ×3, first 2 shown]
; %bb.77:                               ;   in Loop: Header=BB145_63 Depth=2
	s_or_b64 exec, exec, s[98:99]
	s_nop 0
	v_mov_b32_dpp v13, v30 row_bcast:15 row_mask:0xf bank_mask:0xf
	v_mov_b32_dpp v14, v15 row_bcast:15 row_mask:0xf bank_mask:0xf
	s_and_saveexec_b64 s[98:99], s[16:17]
; %bb.78:                               ;   in Loop: Header=BB145_63 Depth=2
	v_fmac_f32_e32 v15, v30, v14
	v_mul_f32_e32 v30, v30, v13
; %bb.79:                               ;   in Loop: Header=BB145_63 Depth=2
	s_or_b64 exec, exec, s[98:99]
	s_nop 0
	v_mov_b32_dpp v13, v30 row_bcast:31 row_mask:0xf bank_mask:0xf
	v_mov_b32_dpp v14, v15 row_bcast:31 row_mask:0xf bank_mask:0xf
	v_mov_b32_e32 v31, v15
	v_mul_f32_e32 v13, v30, v13
	v_fmac_f32_e32 v31, v30, v14
	v_cndmask_b32_e64 v30, v30, v13, s[18:19]
	v_cndmask_b32_e64 v31, v15, v31, s[18:19]
	s_and_saveexec_b64 s[98:99], s[20:21]
	s_cbranch_execz .LBB145_81
; %bb.80:                               ;   in Loop: Header=BB145_63 Depth=2
	ds_write_b64 v93, v[30:31] offset:8448
.LBB145_81:                             ;   in Loop: Header=BB145_63 Depth=2
	s_or_b64 exec, exec, s[98:99]
	scratch_load_dword v14, off, off offset:100 ; 4-byte Folded Reload
	s_waitcnt lgkmcnt(0)
	; wave barrier
	s_waitcnt vmcnt(0) lgkmcnt(0)
	ds_bpermute_b32 v13, v14, v30
	ds_bpermute_b32 v14, v14, v31
	v_mov_b32_e32 v31, v27
	s_and_saveexec_b64 s[98:99], s[22:23]
	s_cbranch_execz .LBB145_85
; %bb.82:                               ;   in Loop: Header=BB145_63 Depth=2
	ds_read_b64 v[30:31], v93 offset:8448
	s_and_saveexec_b64 vcc, s[24:25]
	s_cbranch_execz .LBB145_84
; %bb.83:                               ;   in Loop: Header=BB145_63 Depth=2
	ds_write_b64 v93, v[26:27] offset:8448
.LBB145_84:                             ;   in Loop: Header=BB145_63 Depth=2
	s_or_b64 exec, exec, vcc
	s_waitcnt lgkmcnt(0)
	v_fmac_f32_e32 v31, v27, v30
	v_mul_f32_e32 v26, v26, v30
	v_mov_b32_e32 v27, v31
.LBB145_85:                             ;   in Loop: Header=BB145_63 Depth=2
	s_or_b64 exec, exec, s[98:99]
	s_waitcnt lgkmcnt(0)
	; wave barrier
	s_waitcnt lgkmcnt(0)
	ds_read_b32 v30, v93 offset:8452
	s_and_saveexec_b64 s[98:99], s[24:25]
	s_cbranch_execz .LBB145_62
; %bb.86:                               ;   in Loop: Header=BB145_63 Depth=2
	v_mov_b32_e32 v15, s4
	s_andn2_b64 vcc, exec, s[90:91]
	ds_write_b64 v15, v[26:27]
	s_cbranch_vccnz .LBB145_62
; %bb.87:                               ;   in Loop: Header=BB145_63 Depth=2
	s_mov_b32 s97, s83
	s_lshl_b64 s[0:1], s[96:97], 2
	s_add_u32 s0, s69, s0
	s_addc_u32 s1, s73, s1
	global_store_dword v93, v31, s[0:1]
	s_branch .LBB145_62
.LBB145_88:                             ;   in Loop: Header=BB145_12 Depth=1
	s_mov_b32 s4, 0x3fb8aa3b
	s_mov_b32 s30, 0xc2ce8ed0
	s_mov_b32 s31, 0x42b17218
	s_mov_b32 s34, 0x7f800000
	s_mov_b32 s35, 0x3f2aaaab
	s_mov_b32 s36, 0x3f317218
	s_mov_b32 s37, 0x33800000
	v_mov_b32_e32 v22, 0x3ecc95a3
	v_mov_b32_e32 v23, 0x7f800000
.LBB145_89:                             ;   in Loop: Header=BB145_12 Depth=1
	s_waitcnt lgkmcnt(0)
	; wave barrier
	scratch_load_dword v0, off, off offset:16 ; 4-byte Folded Reload
	s_mov_b32 s3, s83
	s_lshl_b64 s[26:27], s[2:3], 2
	v_readlane_b32 s0, v95, 6
	v_readlane_b32 s1, v95, 7
	s_waitcnt vmcnt(0)
	ds_write_b128 v0, v[60:63]
	ds_write_b128 v0, v[56:59] offset:16
	ds_write_b128 v0, v[52:55] offset:32
	;; [unrolled: 1-line block ×3, first 2 shown]
	; wave barrier
	scratch_load_dword v0, off, off         ; 4-byte Folded Reload
	scratch_load_dwordx2 v[4:5], off, off offset:304 ; 8-byte Folded Reload
	s_waitcnt vmcnt(1)
	ds_read_b128 v[0:3], v0
	s_waitcnt vmcnt(0)
	v_lshl_add_u64 v[8:9], v[4:5], 0, s[26:27]
	s_waitcnt lgkmcnt(0)
	v_mov_b32_e32 v4, v1
	v_mov_b32_e32 v5, v2
	;; [unrolled: 1-line block ×6, first 2 shown]
	global_store_dwordx4 v[8:9], v[0:3], off
	scratch_load_dword v0, off, off offset:4 ; 4-byte Folded Reload
	s_waitcnt vmcnt(0)
	ds_read_b128 v[0:3], v0 offset:1024
	s_waitcnt lgkmcnt(0)
	global_store_dwordx4 v[8:9], v[0:3], off offset:1024
	scratch_load_dword v0, off, off offset:8 ; 4-byte Folded Reload
	s_waitcnt vmcnt(0)
	ds_read_b128 v[0:3], v0 offset:2048
	s_waitcnt lgkmcnt(0)
	global_store_dwordx4 v[8:9], v[0:3], off offset:2048
	;; [unrolled: 5-line block ×3, first 2 shown]
	s_waitcnt lgkmcnt(0)
	; wave barrier
	scratch_load_dwordx2 v[0:1], off, off offset:312 ; 8-byte Folded Reload
	s_waitcnt vmcnt(0)
	v_lshl_add_u64 v[16:17], v[0:1], 0, s[26:27]
	s_and_saveexec_b64 s[26:27], s[0:1]
	s_cbranch_execz .LBB145_91
; %bb.90:                               ;   in Loop: Header=BB145_12 Depth=1
	global_load_dwordx4 v[0:3], v[16:17], off
	s_waitcnt vmcnt(0)
	scratch_store_dwordx4 off, v[0:3], off offset:272 ; 16-byte Folded Spill
.LBB145_91:                             ;   in Loop: Header=BB145_12 Depth=1
	s_or_b64 exec, exec, s[26:27]
	s_mov_b64 s[26:27], exec
	scratch_load_dwordx4 v[2:5], off, off offset:288 ; 16-byte Folded Reload
	v_readlane_b32 s0, v95, 8
	v_readlane_b32 s1, v95, 9
	s_and_b64 s[28:29], s[26:27], s[0:1]
	s_mov_b64 exec, s[28:29]
	s_cbranch_execz .LBB145_93
; %bb.92:                               ;   in Loop: Header=BB145_12 Depth=1
	global_load_dwordx4 v[6:9], v[16:17], off offset:1024
	s_waitcnt vmcnt(0)
	scratch_store_dwordx4 off, v[6:9], off offset:240 ; 16-byte Folded Spill
.LBB145_93:                             ;   in Loop: Header=BB145_12 Depth=1
	s_or_b64 exec, exec, s[26:27]
	v_readlane_b32 s0, v95, 10
	v_readlane_b32 s1, v95, 11
	s_and_saveexec_b64 s[26:27], s[0:1]
	s_cbranch_execz .LBB145_95
; %bb.94:                               ;   in Loop: Header=BB145_12 Depth=1
	global_load_dwordx4 v[6:9], v[16:17], off offset:2048
	s_waitcnt vmcnt(0)
	scratch_store_dwordx4 off, v[6:9], off offset:256 ; 16-byte Folded Spill
.LBB145_95:                             ;   in Loop: Header=BB145_12 Depth=1
	s_or_b64 exec, exec, s[26:27]
	v_readlane_b32 s0, v95, 12
	v_readlane_b32 s1, v95, 13
	s_and_saveexec_b64 s[26:27], s[0:1]
	s_cbranch_execz .LBB145_11
; %bb.96:                               ;   in Loop: Header=BB145_12 Depth=1
	global_load_dwordx4 v[2:5], v[16:17], off offset:3072
	s_branch .LBB145_11
.LBB145_97:
	s_endpgm
	.section	.rodata,"a",@progbits
	.p2align	6, 0x0
	.amdhsa_kernel _Z25selective_scan_fwd_kernelI32Selective_Scan_fwd_kernel_traitsILi64ELi16ELi1ELb1ELb1ELb1ELb1ELb0EfffEEv13SSMParamsBase
		.amdhsa_group_segment_fixed_size 0
		.amdhsa_private_segment_fixed_size 396
		.amdhsa_kernarg_size 248
		.amdhsa_user_sgpr_count 2
		.amdhsa_user_sgpr_dispatch_ptr 0
		.amdhsa_user_sgpr_queue_ptr 0
		.amdhsa_user_sgpr_kernarg_segment_ptr 1
		.amdhsa_user_sgpr_dispatch_id 0
		.amdhsa_user_sgpr_kernarg_preload_length 0
		.amdhsa_user_sgpr_kernarg_preload_offset 0
		.amdhsa_user_sgpr_private_segment_size 0
		.amdhsa_uses_dynamic_stack 0
		.amdhsa_enable_private_segment 1
		.amdhsa_system_sgpr_workgroup_id_x 1
		.amdhsa_system_sgpr_workgroup_id_y 1
		.amdhsa_system_sgpr_workgroup_id_z 0
		.amdhsa_system_sgpr_workgroup_info 0
		.amdhsa_system_vgpr_workitem_id 0
		.amdhsa_next_free_vgpr 96
		.amdhsa_next_free_sgpr 100
		.amdhsa_accum_offset 96
		.amdhsa_reserve_vcc 1
		.amdhsa_float_round_mode_32 0
		.amdhsa_float_round_mode_16_64 0
		.amdhsa_float_denorm_mode_32 3
		.amdhsa_float_denorm_mode_16_64 3
		.amdhsa_dx10_clamp 1
		.amdhsa_ieee_mode 1
		.amdhsa_fp16_overflow 0
		.amdhsa_tg_split 0
		.amdhsa_exception_fp_ieee_invalid_op 0
		.amdhsa_exception_fp_denorm_src 0
		.amdhsa_exception_fp_ieee_div_zero 0
		.amdhsa_exception_fp_ieee_overflow 0
		.amdhsa_exception_fp_ieee_underflow 0
		.amdhsa_exception_fp_ieee_inexact 0
		.amdhsa_exception_int_div_zero 0
	.end_amdhsa_kernel
	.section	.text._Z25selective_scan_fwd_kernelI32Selective_Scan_fwd_kernel_traitsILi64ELi16ELi1ELb1ELb1ELb1ELb1ELb0EfffEEv13SSMParamsBase,"axG",@progbits,_Z25selective_scan_fwd_kernelI32Selective_Scan_fwd_kernel_traitsILi64ELi16ELi1ELb1ELb1ELb1ELb1ELb0EfffEEv13SSMParamsBase,comdat
.Lfunc_end145:
	.size	_Z25selective_scan_fwd_kernelI32Selective_Scan_fwd_kernel_traitsILi64ELi16ELi1ELb1ELb1ELb1ELb1ELb0EfffEEv13SSMParamsBase, .Lfunc_end145-_Z25selective_scan_fwd_kernelI32Selective_Scan_fwd_kernel_traitsILi64ELi16ELi1ELb1ELb1ELb1ELb1ELb0EfffEEv13SSMParamsBase
                                        ; -- End function
	.section	.AMDGPU.csdata,"",@progbits
; Kernel info:
; codeLenInByte = 20812
; NumSgprs: 106
; NumVgprs: 96
; NumAgprs: 0
; TotalNumVgprs: 96
; ScratchSize: 396
; MemoryBound: 1
; FloatMode: 240
; IeeeMode: 1
; LDSByteSize: 0 bytes/workgroup (compile time only)
; SGPRBlocks: 13
; VGPRBlocks: 11
; NumSGPRsForWavesPerEU: 106
; NumVGPRsForWavesPerEU: 96
; AccumOffset: 96
; Occupancy: 5
; WaveLimiterHint : 1
; COMPUTE_PGM_RSRC2:SCRATCH_EN: 1
; COMPUTE_PGM_RSRC2:USER_SGPR: 2
; COMPUTE_PGM_RSRC2:TRAP_HANDLER: 0
; COMPUTE_PGM_RSRC2:TGID_X_EN: 1
; COMPUTE_PGM_RSRC2:TGID_Y_EN: 1
; COMPUTE_PGM_RSRC2:TGID_Z_EN: 0
; COMPUTE_PGM_RSRC2:TIDIG_COMP_CNT: 0
; COMPUTE_PGM_RSRC3_GFX90A:ACCUM_OFFSET: 23
; COMPUTE_PGM_RSRC3_GFX90A:TG_SPLIT: 0
	.section	.text._Z25selective_scan_fwd_kernelI32Selective_Scan_fwd_kernel_traitsILi64ELi16ELi1ELb1ELb1ELb1ELb0ELb1EfffEEv13SSMParamsBase,"axG",@progbits,_Z25selective_scan_fwd_kernelI32Selective_Scan_fwd_kernel_traitsILi64ELi16ELi1ELb1ELb1ELb1ELb0ELb1EfffEEv13SSMParamsBase,comdat
	.protected	_Z25selective_scan_fwd_kernelI32Selective_Scan_fwd_kernel_traitsILi64ELi16ELi1ELb1ELb1ELb1ELb0ELb1EfffEEv13SSMParamsBase ; -- Begin function _Z25selective_scan_fwd_kernelI32Selective_Scan_fwd_kernel_traitsILi64ELi16ELi1ELb1ELb1ELb1ELb0ELb1EfffEEv13SSMParamsBase
	.globl	_Z25selective_scan_fwd_kernelI32Selective_Scan_fwd_kernel_traitsILi64ELi16ELi1ELb1ELb1ELb1ELb0ELb1EfffEEv13SSMParamsBase
	.p2align	8
	.type	_Z25selective_scan_fwd_kernelI32Selective_Scan_fwd_kernel_traitsILi64ELi16ELi1ELb1ELb1ELb1ELb0ELb1EfffEEv13SSMParamsBase,@function
_Z25selective_scan_fwd_kernelI32Selective_Scan_fwd_kernel_traitsILi64ELi16ELi1ELb1ELb1ELb1ELb0ELb1EfffEEv13SSMParamsBase: ; @_Z25selective_scan_fwd_kernelI32Selective_Scan_fwd_kernel_traitsILi64ELi16ELi1ELb1ELb1ELb1ELb0ELb1EfffEEv13SSMParamsBase
; %bb.0:
	s_load_dword s27, s[0:1], 0x18
	s_load_dwordx4 s[4:7], s[0:1], 0xe0
	s_load_dwordx2 s[10:11], s[0:1], 0xf0
	s_mov_b32 s20, s3
	s_ashr_i32 s3, s2, 31
	s_waitcnt lgkmcnt(0)
	s_abs_i32 s26, s27
	v_cvt_f32_u32_e32 v1, s26
	s_lshl_b64 s[8:9], s[2:3], 2
	s_add_u32 s24, s4, s8
	s_addc_u32 s25, s5, s9
	v_rcp_iflag_f32_e32 v1, v1
	s_cmp_eq_u64 s[10:11], 0
                                        ; implicit-def: $vgpr95 : SGPR spill to VGPR lane
	v_mul_f32_e32 v1, 0x4f7ffffe, v1
	v_cvt_u32_f32_e32 v1, v1
	s_nop 0
	v_readfirstlane_b32 s28, v1
	s_cbranch_scc1 .LBB146_2
; %bb.1:
	s_add_u32 s4, s10, s2
	s_addc_u32 s5, s11, s3
	v_mov_b32_e32 v1, 0
	global_load_ubyte v1, v1, s[4:5]
	s_waitcnt vmcnt(0)
	v_and_b32_e32 v1, 1, v1
	v_cmp_eq_u32_e64 s[4:5], 1, v1
	s_branch .LBB146_3
.LBB146_2:
	s_mov_b64 s[4:5], 0
.LBB146_3:
	s_nop 0
	v_writelane_b32 v95, s4, 0
	s_cmp_eq_u64 s[6:7], 0
	s_nop 0
	v_writelane_b32 v95, s5, 1
	s_load_dwordx2 s[4:5], s[0:1], 0x20
	s_cbranch_scc1 .LBB146_5
; %bb.4:
	s_add_u32 s2, s6, s8
	s_addc_u32 s3, s7, s9
	s_load_dword s2, s[2:3], 0x0
	s_waitcnt lgkmcnt(0)
	s_ashr_i32 s3, s2, 31
.LBB146_5:
	s_waitcnt lgkmcnt(0)
	s_cmp_eq_u64 s[4:5], s[2:3]
	s_cbranch_scc1 .LBB146_234
; %bb.6:
	s_load_dwordx16 s[4:19], s[0:1], 0x88
	s_load_dwordx2 s[22:23], s[24:25], 0x0
	s_mov_b32 s3, 0
	s_mov_b32 s56, 0
	v_writelane_b32 v95, s3, 2
	s_waitcnt lgkmcnt(0)
	s_cmp_eq_u64 s[10:11], 0
	s_cbranch_scc1 .LBB146_8
; %bb.7:
	s_ashr_i32 s21, s20, 31
	s_lshl_b64 s[24:25], s[20:21], 2
	s_add_u32 s10, s10, s24
	s_addc_u32 s11, s11, s25
	s_load_dword s3, s[10:11], 0x0
	s_waitcnt lgkmcnt(0)
	v_writelane_b32 v95, s3, 2
.LBB146_8:
	s_cmp_eq_u64 s[16:17], 0
	s_cbranch_scc1 .LBB146_10
; %bb.9:
	s_ashr_i32 s21, s20, 31
	s_lshl_b64 s[10:11], s[20:21], 2
	s_add_u32 s10, s16, s10
	s_addc_u32 s11, s17, s11
	s_load_dword s56, s[10:11], 0x0
.LBB146_10:
	s_sub_i32 s29, s23, s22
	s_cmp_lt_i32 s29, 1
	s_cbranch_scc1 .LBB146_234
; %bb.11:
	s_sub_i32 s3, 0, s26
	s_mul_i32 s3, s3, s28
	s_mul_hi_u32 s3, s28, s3
	s_abs_i32 s21, s20
	s_add_i32 s28, s28, s3
	s_load_dwordx8 s[36:43], s[0:1], 0x2c
	s_load_dwordx2 s[10:11], s[0:1], 0x5c
	s_load_dwordx4 s[44:47], s[0:1], 0x4c
	s_load_dwordx4 s[48:51], s[0:1], 0x7c
	s_load_dwordx2 s[24:25], s[0:1], 0x6c
	s_load_dwordx2 s[16:17], s[0:1], 0xc8
	s_mul_hi_u32 s3, s21, s28
	s_load_dword s28, s[0:1], 0xc
	s_load_dword s23, s[0:1], 0x28
	s_ashr_i32 s0, s20, 31
	s_ashr_i32 s1, s27, 31
	s_xor_b32 s0, s0, s1
	s_mul_i32 s1, s3, s26
	v_mbcnt_lo_u32_b32 v2, -1, 0
	s_sub_i32 s1, s21, s1
	v_mbcnt_hi_u32_b32 v20, -1, v2
	s_add_i32 s21, s3, 1
	s_sub_i32 s27, s1, s26
	v_lshrrev_b32_e32 v2, 5, v20
	s_cmp_ge_u32 s1, s26
	v_add_u32_e32 v2, v2, v20
	s_cselect_b32 s3, s21, s3
	v_add_u32_e32 v3, 64, v20
	v_lshl_add_u32 v2, v2, 2, 0
	s_cselect_b32 s1, s27, s1
	s_add_i32 s21, s3, 1
	scratch_store_dword off, v2, off        ; 4-byte Folded Spill
	scratch_store_dword off, v3, off offset:212 ; 4-byte Folded Spill
	v_lshrrev_b32_e32 v2, 5, v3
	s_cmp_ge_u32 s1, s26
	v_add_lshl_u32 v2, v2, v20, 2
	s_cselect_b32 s1, s21, s3
	v_or_b32_e32 v4, 0x80, v20
	v_add_u32_e32 v3, 0, v2
	s_xor_b32 s1, s1, s0
	s_waitcnt lgkmcnt(0)
	s_mul_i32 s92, s22, s46
	s_mov_b32 s93, 0
	scratch_store_dword off, v3, off offset:4 ; 4-byte Folded Spill
	scratch_store_dword off, v4, off offset:216 ; 4-byte Folded Spill
	v_lshrrev_b32_e32 v3, 5, v4
	s_sub_i32 s3, s1, s0
	s_lshl_b64 s[0:1], s[92:93], 2
	v_add_lshl_u32 v3, v3, v20, 2
	s_add_u32 s12, s12, s0
	s_mul_i32 s92, s47, s20
	v_add_u32_e32 v5, 0xc0, v20
	v_add_u32_e32 v4, 0, v3
	s_addc_u32 s13, s13, s1
	s_lshl_b64 s[0:1], s[92:93], 2
	scratch_store_dword off, v4, off offset:8 ; 4-byte Folded Spill
	scratch_store_dword off, v5, off offset:220 ; 4-byte Folded Spill
	v_lshrrev_b32_e32 v4, 5, v5
	s_add_u32 s26, s12, s0
	s_mul_i32 s92, s22, s10
	v_add_lshl_u32 v4, v4, v20, 2
	s_addc_u32 s27, s13, s1
	s_lshl_b64 s[0:1], s[92:93], 2
	v_or_b32_e32 v6, 0x100, v20
	v_add_u32_e32 v5, 0, v4
	s_add_u32 s10, s14, s0
	s_mul_i32 s92, s11, s20
	scratch_store_dword off, v5, off offset:12 ; 4-byte Folded Spill
	scratch_store_dword off, v6, off offset:224 ; 4-byte Folded Spill
	v_lshrrev_b32_e32 v5, 5, v6
	s_addc_u32 s12, s15, s1
	s_lshl_b64 s[0:1], s[92:93], 2
	v_add_lshl_u32 v5, v5, v20, 2
	s_add_u32 s0, s10, s0
	v_add_u32_e32 v7, 0x140, v20
	v_add_u32_e32 v6, 0, v5
	s_addc_u32 s1, s12, s1
	scratch_store_dword off, v6, off offset:16 ; 4-byte Folded Spill
	scratch_store_dword off, v7, off offset:228 ; 4-byte Folded Spill
	v_lshrrev_b32_e32 v6, 5, v7
	v_writelane_b32 v95, s0, 3
	s_mul_i32 s92, s36, s20
	v_add_lshl_u32 v6, v6, v20, 2
	v_writelane_b32 v95, s1, 4
	s_lshl_b64 s[0:1], s[92:93], 2
	v_or_b32_e32 v8, 0x180, v20
	v_add_u32_e32 v7, 0, v6
	s_add_u32 s99, s4, s0
	scratch_store_dword off, v7, off offset:20 ; 4-byte Folded Spill
	scratch_store_dword off, v8, off offset:232 ; 4-byte Folded Spill
	v_lshrrev_b32_e32 v7, 5, v8
	s_addc_u32 s0, s5, s1
	v_add_lshl_u32 v7, v7, v20, 2
	v_writelane_b32 v95, s0, 5
	s_mul_i32 s92, s22, s38
	v_add_u32_e32 v9, 0x1c0, v20
	v_add_u32_e32 v8, 0, v7
	s_lshl_b64 s[0:1], s[92:93], 2
	s_mul_i32 s92, s3, s41
	v_writelane_b32 v95, s36, 6
	scratch_store_dword off, v8, off offset:24 ; 4-byte Folded Spill
	scratch_store_dword off, v9, off offset:236 ; 4-byte Folded Spill
	v_lshrrev_b32_e32 v8, 5, v9
	v_writelane_b32 v95, s37, 7
	v_add_lshl_u32 v8, v8, v20, 2
	v_writelane_b32 v95, s38, 8
	v_or_b32_e32 v10, 0x200, v20
	v_add_u32_e32 v9, 0, v8
	v_writelane_b32 v95, s39, 9
	scratch_store_dword off, v9, off offset:28 ; 4-byte Folded Spill
	scratch_store_dword off, v10, off offset:240 ; 4-byte Folded Spill
	v_lshrrev_b32_e32 v9, 5, v10
	v_writelane_b32 v95, s40, 10
	v_add_lshl_u32 v9, v9, v20, 2
	s_add_u32 s4, s6, s0
	v_writelane_b32 v95, s41, 11
	v_add_u32_e32 v11, 0x240, v20
	v_add_u32_e32 v10, 0, v9
	s_addc_u32 s5, s7, s1
	s_lshl_b64 s[0:1], s[92:93], 2
	v_writelane_b32 v95, s42, 12
	scratch_store_dword off, v10, off offset:32 ; 4-byte Folded Spill
	scratch_store_dword off, v11, off offset:244 ; 4-byte Folded Spill
	v_lshrrev_b32_e32 v10, 5, v11
	s_add_u32 s6, s4, s0
	v_writelane_b32 v95, s43, 13
	s_mul_i32 s92, s22, s42
	v_add_lshl_u32 v10, v10, v20, 2
	s_addc_u32 s7, s5, s1
	s_lshl_b64 s[0:1], s[92:93], 2
	v_writelane_b32 v95, s44, 14
	v_or_b32_e32 v12, 0x280, v20
	v_add_u32_e32 v11, 0, v10
	s_add_u32 s4, s8, s0
	v_writelane_b32 v95, s45, 15
	s_mul_i32 s92, s3, s45
	scratch_store_dword off, v11, off offset:36 ; 4-byte Folded Spill
	scratch_store_dword off, v12, off offset:248 ; 4-byte Folded Spill
	v_lshrrev_b32_e32 v11, 5, v12
	s_addc_u32 s5, s9, s1
	v_writelane_b32 v95, s46, 16
	s_lshl_b64 s[0:1], s[92:93], 2
	v_add_lshl_u32 v11, v11, v20, 2
	v_writelane_b32 v95, s47, 17
	s_add_u32 s4, s4, s0
	s_mul_i32 s92, s2, s48
	v_add_u32_e32 v13, 0x2c0, v20
	v_add_u32_e32 v12, 0, v11
	s_addc_u32 s5, s5, s1
	s_lshl_b64 s[0:1], s[92:93], 2
	v_writelane_b32 v95, s48, 18
	scratch_store_dword off, v12, off offset:40 ; 4-byte Folded Spill
	scratch_store_dword off, v13, off offset:252 ; 4-byte Folded Spill
	v_lshrrev_b32_e32 v12, 5, v13
	s_add_u32 s2, s16, s0
	v_writelane_b32 v95, s49, 19
	s_mul_i32 s92, s49, s20
	v_add_lshl_u32 v12, v12, v20, 2
	s_addc_u32 s3, s17, s1
	v_writelane_b32 v95, s50, 20
	s_lshl_b64 s[0:1], s[92:93], 2
	v_or_b32_e32 v14, 0x300, v20
	v_add_u32_e32 v13, 0, v12
	v_writelane_b32 v95, s51, 21
	s_add_u32 s0, s2, s0
	scratch_store_dword off, v13, off offset:44 ; 4-byte Folded Spill
	scratch_store_dword off, v14, off offset:256 ; 4-byte Folded Spill
	v_lshrrev_b32_e32 v13, 5, v14
	v_writelane_b32 v95, s0, 22
	s_addc_u32 s0, s3, s1
	v_add_lshl_u32 v13, v13, v20, 2
	v_writelane_b32 v95, s0, 23
	s_add_i32 s0, s29, 0x7ff
	v_add_u32_e32 v15, 0x340, v20
	v_add_u32_e32 v14, 0, v13
	s_lshr_b32 s1, s0, 11
	scratch_store_dword off, v14, off offset:48 ; 4-byte Folded Spill
	scratch_store_dword off, v15, off offset:260 ; 4-byte Folded Spill
	v_lshrrev_b32_e32 v14, 5, v15
	v_add_lshl_u32 v14, v14, v20, 2
	s_bitcmp1_b32 s23, 0
	v_or_b32_e32 v16, 0x380, v20
	v_add_u32_e32 v15, 0, v14
	s_cselect_b64 s[2:3], -1, 0
	scratch_store_dword off, v15, off offset:52 ; 4-byte Folded Spill
	scratch_store_dword off, v16, off offset:264 ; 4-byte Folded Spill
	v_lshrrev_b32_e32 v15, 5, v16
	v_writelane_b32 v95, s2, 24
	s_cmp_gt_i32 s28, 0
	v_add_lshl_u32 v15, v15, v20, 2
	v_writelane_b32 v95, s3, 25
	s_cselect_b64 s[2:3], -1, 0
	s_add_i32 s0, 0, 0x1080
	v_add_u32_e32 v16, 0, v15
	v_add_u32_e32 v2, s0, v2
	;; [unrolled: 1-line block ×3, first 2 shown]
	scratch_store_dword off, v16, off offset:56 ; 4-byte Folded Spill
	scratch_store_dword off, v17, off offset:268 ; 4-byte Folded Spill
	;; [unrolled: 1-line block ×3, first 2 shown]
	v_add_u32_e32 v2, s0, v3
	scratch_store_dword off, v2, off offset:136 ; 4-byte Folded Spill
	v_add_u32_e32 v2, s0, v4
	scratch_store_dword off, v2, off offset:140 ; 4-byte Folded Spill
	;; [unrolled: 2-line block ×7, first 2 shown]
	v_add_u32_e32 v2, s0, v10
	v_lshrrev_b32_e32 v16, 5, v17
	scratch_store_dword off, v2, off offset:164 ; 4-byte Folded Spill
	v_add_u32_e32 v2, s0, v11
	v_add_lshl_u32 v16, v16, v20, 2
	scratch_store_dword off, v2, off offset:168 ; 4-byte Folded Spill
	v_add_u32_e32 v2, s0, v12
	v_add_u32_e32 v17, 0, v16
	scratch_store_dword off, v2, off offset:172 ; 4-byte Folded Spill
	v_add_u32_e32 v2, s0, v13
	scratch_store_dword off, v17, off offset:60 ; 4-byte Folded Spill
	v_lshlrev_b32_e32 v17, 4, v20
	v_bfe_u32 v18, v20, 1, 27
	scratch_store_dword off, v2, off offset:176 ; 4-byte Folded Spill
	v_add_u32_e32 v2, s0, v14
	v_add_lshl_u32 v17, v18, v17, 2
	v_writelane_b32 v95, s28, 26
	scratch_store_dword off, v2, off offset:180 ; 4-byte Folded Spill
	v_add_u32_e32 v2, s0, v15
	v_writelane_b32 v95, s2, 27
	scratch_store_dword off, v2, off offset:184 ; 4-byte Folded Spill
	v_add_u32_e32 v2, s0, v16
	v_add_u32_e32 v4, s0, v17
	s_and_b32 s0, s29, 0x3ff
	v_writelane_b32 v95, s3, 28
	s_cmp_eq_u32 s0, 0
	v_writelane_b32 v95, s29, 29
	s_cselect_b64 s[2:3], -1, 0
	scratch_store_dword off, v2, off offset:188 ; 4-byte Folded Spill
	v_writelane_b32 v95, s2, 30
	v_and_b32_e32 v2, 15, v20
	v_cmp_lt_u32_e64 s[8:9], 7, v2
	v_writelane_b32 v95, s3, 31
	v_cmp_ne_u32_e64 s[2:3], 0, v2
	v_and_b32_e32 v3, 64, v20
	v_lshlrev_b32_e32 v19, 4, v0
	v_writelane_b32 v95, s2, 32
	s_add_i32 s0, s1, -1
	s_mul_i32 s92, s22, s24
	v_writelane_b32 v95, s3, 33
	v_cmp_lt_u32_e64 s[2:3], 1, v2
	v_mov_b32_e32 v1, 0
	v_cmp_gt_u32_e64 s[14:15], 64, v0
	v_writelane_b32 v95, s2, 34
	v_cmp_eq_u32_e64 s[16:17], 0, v0
	v_add_u32_e32 v64, 0, v17
	v_writelane_b32 v95, s3, 35
	v_cmp_lt_u32_e64 s[2:3], 3, v2
	v_writelane_b32 v95, s8, 36
	v_and_b32_e32 v2, 16, v20
	v_cmp_lt_u32_e64 s[12:13], 31, v20
	v_writelane_b32 v95, s9, 37
	v_cmp_ne_u32_e64 s[8:9], 0, v2
	v_add_u32_e32 v2, -1, v20
	v_cmp_lt_i32_e32 vcc, v2, v3
	v_writelane_b32 v95, s8, 38
	s_mov_b32 s33, 0xc2fc0000
	v_cndmask_b32_e32 v2, v2, v20, vcc
	v_lshlrev_b32_e32 v2, 2, v2
	scratch_store_dword off, v2, off offset:192 ; 4-byte Folded Spill
	v_or_b32_e32 v2, 1, v19
	scratch_store_dword off, v2, off offset:284 ; 4-byte Folded Spill
	v_or_b32_e32 v2, 2, v19
	;; [unrolled: 2-line block ×5, first 2 shown]
	v_writelane_b32 v95, s9, 39
	scratch_store_dword off, v2, off offset:300 ; 4-byte Folded Spill
	v_or_b32_e32 v2, 6, v19
	v_writelane_b32 v95, s1, 40
	scratch_store_dword off, v2, off offset:304 ; 4-byte Folded Spill
                                        ; implicit-def: $vgpr2
	v_writelane_b32 v95, s0, 41
	s_lshl_b64 s[0:1], s[92:93], 2
	v_or_b32_e32 v2, 7, v19
	s_add_u32 s18, s18, s0
	scratch_store_dword off, v2, off offset:308 ; 4-byte Folded Spill
	v_or_b32_e32 v2, 8, v19
	s_addc_u32 s19, s19, s1
	v_cmp_eq_u32_e64 s[0:1], 63, v0
	scratch_store_dword off, v2, off offset:312 ; 4-byte Folded Spill
	v_or_b32_e32 v2, 9, v19
	v_writelane_b32 v95, s0, 42
	s_mul_i32 s92, s25, s20
	scratch_store_dword off, v2, off offset:316 ; 4-byte Folded Spill
	v_or_b32_e32 v2, 10, v19
	v_writelane_b32 v95, s1, 43
	s_lshl_b64 s[0:1], s[92:93], 2
	scratch_store_dword off, v2, off offset:320 ; 4-byte Folded Spill
	v_or_b32_e32 v2, 11, v19
	s_add_u32 s0, s18, s0
	scratch_store_dword off, v2, off offset:324 ; 4-byte Folded Spill
	v_or_b32_e32 v2, 12, v19
	s_addc_u32 s1, s19, s1
	s_add_i32 s8, 0, 0x2108
	scratch_store_dword off, v2, off offset:328 ; 4-byte Folded Spill
	v_or_b32_e32 v2, 13, v19
	v_mov_b32_e32 v0, v20
	v_writelane_b32 v95, s8, 44
	scratch_store_dword off, v2, off offset:332 ; 4-byte Folded Spill
	v_or_b32_e32 v2, 14, v19
	scratch_store_dwordx2 off, v[0:1], off offset:204 ; 8-byte Folded Spill
	v_lshlrev_b32_e32 v0, 2, v20
	scratch_store_dword off, v2, off offset:336 ; 4-byte Folded Spill
	scratch_store_dword off, v19, off offset:280 ; 4-byte Folded Spill
	v_or_b32_e32 v2, 15, v19
	v_writelane_b32 v95, s99, 45
	s_mov_b32 s8, 0
	scratch_store_dword off, v2, off offset:340 ; 4-byte Folded Spill
	v_mov_b32_e32 v2, 0x42800000
	v_mov_b32_e32 v65, 0x1f800000
	v_lshl_add_u64 v[6:7], s[0:1], 0, v[0:1]
	v_mov_b32_e32 v42, 0x3f317218
	v_writelane_b32 v95, s56, 46
	scratch_store_dwordx2 off, v[6:7], off offset:272 ; 8-byte Folded Spill
	s_branch .LBB146_13
.LBB146_12:                             ;   in Loop: Header=BB146_13 Depth=1
	s_or_b64 exec, exec, s[18:19]
	v_readlane_b32 s0, v95, 3
	v_readlane_b32 s1, v95, 4
	s_add_u32 s0, s0, 0x1000
	s_addc_u32 s1, s1, 0
	v_writelane_b32 v95, s0, 3
	s_nop 1
	v_writelane_b32 v95, s1, 4
	s_nop 0
	v_readlane_b32 s26, v95, 49
	v_readlane_b32 s27, v95, 50
	s_add_u32 s26, s26, 0x1000
	s_addc_u32 s27, s27, 0
	s_add_u32 s6, s6, 0x1000
	s_addc_u32 s7, s7, 0
	s_add_u32 s4, s4, 0x1000
	s_addc_u32 s5, s5, 0
	s_add_i32 s8, s8, 1
	v_readlane_b32 s0, v95, 40
	s_cmp_eq_u32 s8, s0
	s_cbranch_scc1 .LBB146_234
.LBB146_13:                             ; =>This Loop Header: Depth=1
                                        ;     Child Loop BB146_110 Depth 2
	s_waitcnt lgkmcnt(0)
	; wave barrier
	s_waitcnt lgkmcnt(3)
	scratch_load_dwordx2 v[6:7], off, off offset:204 ; 8-byte Folded Reload
	s_lshl_b32 s18, s8, 10
	s_mov_b32 s10, s18
	v_readlane_b32 s0, v95, 29
	v_writelane_b32 v95, s10, 47
	s_sub_i32 s82, s0, s18
	s_waitcnt lgkmcnt(2)
	v_mov_b32_e32 v5, 0
	v_writelane_b32 v95, s11, 48
	v_writelane_b32 v95, s26, 49
	s_waitcnt vmcnt(0) lgkmcnt(0)
	v_lshlrev_b32_e32 v0, 2, v6
	v_writelane_b32 v95, s27, 50
	v_lshl_add_u64 v[8:9], s[26:27], 0, v[0:1]
	v_cmp_gt_u32_e64 s[18:19], s82, v6
	s_and_saveexec_b64 s[20:21], s[18:19]
	s_cbranch_execz .LBB146_15
; %bb.14:                               ;   in Loop: Header=BB146_13 Depth=1
	global_load_dword v5, v[8:9], off
.LBB146_15:                             ;   in Loop: Header=BB146_13 Depth=1
	s_or_b64 exec, exec, s[20:21]
	scratch_load_dword v3, off, off offset:212 ; 4-byte Folded Reload
	v_mov_b32_e32 v6, 0
	v_mov_b32_e32 v7, 0
	s_waitcnt vmcnt(0)
	v_cmp_gt_u32_e64 s[20:21], s82, v3
	s_and_saveexec_b64 s[22:23], s[20:21]
	s_cbranch_execz .LBB146_17
; %bb.16:                               ;   in Loop: Header=BB146_13 Depth=1
	global_load_dword v7, v[8:9], off offset:256
.LBB146_17:                             ;   in Loop: Header=BB146_13 Depth=1
	s_or_b64 exec, exec, s[22:23]
	scratch_load_dword v3, off, off offset:216 ; 4-byte Folded Reload
	s_waitcnt vmcnt(0)
	v_cmp_gt_u32_e64 s[22:23], s82, v3
	s_and_saveexec_b64 s[24:25], s[22:23]
	s_cbranch_execz .LBB146_19
; %bb.18:                               ;   in Loop: Header=BB146_13 Depth=1
	global_load_dword v6, v[8:9], off offset:512
.LBB146_19:                             ;   in Loop: Header=BB146_13 Depth=1
	s_or_b64 exec, exec, s[24:25]
	scratch_load_dword v3, off, off offset:220 ; 4-byte Folded Reload
	v_mov_b32_e32 v10, 0
	v_mov_b32_e32 v11, 0
	s_waitcnt vmcnt(0)
	v_cmp_gt_u32_e64 s[24:25], s82, v3
	s_and_saveexec_b64 s[26:27], s[24:25]
	s_cbranch_execz .LBB146_21
; %bb.20:                               ;   in Loop: Header=BB146_13 Depth=1
	global_load_dword v11, v[8:9], off offset:768
.LBB146_21:                             ;   in Loop: Header=BB146_13 Depth=1
	s_or_b64 exec, exec, s[26:27]
	scratch_load_dword v3, off, off offset:224 ; 4-byte Folded Reload
	s_waitcnt vmcnt(0)
	v_cmp_gt_u32_e64 s[26:27], s82, v3
	s_and_saveexec_b64 s[28:29], s[26:27]
	s_cbranch_execz .LBB146_23
; %bb.22:                               ;   in Loop: Header=BB146_13 Depth=1
	global_load_dword v10, v[8:9], off offset:1024
.LBB146_23:                             ;   in Loop: Header=BB146_13 Depth=1
	;; [unrolled: 20-line block ×7, first 2 shown]
	s_or_b64 exec, exec, s[50:51]
	scratch_load_dword v3, off, off offset:268 ; 4-byte Folded Reload
	v_mov_b32_e32 v22, 0
	s_waitcnt vmcnt(0)
	v_cmp_gt_u32_e64 s[50:51], s82, v3
	v_mov_b32_e32 v3, 0
	s_and_saveexec_b64 s[52:53], s[50:51]
	s_cbranch_execz .LBB146_45
; %bb.44:                               ;   in Loop: Header=BB146_13 Depth=1
	global_load_dword v22, v[8:9], off offset:3840
.LBB146_45:                             ;   in Loop: Header=BB146_13 Depth=1
	s_or_b64 exec, exec, s[52:53]
	scratch_load_dword v8, off, off         ; 4-byte Folded Reload
	v_readlane_b32 s0, v95, 3
	v_readlane_b32 s1, v95, 4
	s_waitcnt vmcnt(0)
	ds_write_b32 v8, v5
	scratch_load_dword v5, off, off offset:4 ; 4-byte Folded Reload
	v_lshl_add_u64 v[24:25], s[0:1], 0, v[0:1]
	s_waitcnt vmcnt(0)
	ds_write_b32 v5, v7 offset:256
	scratch_load_dword v5, off, off offset:8 ; 4-byte Folded Reload
	s_waitcnt vmcnt(0)
	ds_write_b32 v5, v6 offset:512
	scratch_load_dword v5, off, off offset:12 ; 4-byte Folded Reload
	;; [unrolled: 3-line block ×14, first 2 shown]
	s_waitcnt vmcnt(0)
	ds_write_b32 v5, v22 offset:3840
	; wave barrier
	ds_read2_b32 v[8:9], v64 offset1:1
	ds_read2_b32 v[10:11], v64 offset0:2 offset1:3
	ds_read2_b32 v[12:13], v64 offset0:4 offset1:5
	;; [unrolled: 1-line block ×7, first 2 shown]
	s_waitcnt lgkmcnt(0)
	; wave barrier
	s_waitcnt lgkmcnt(0)
	s_and_saveexec_b64 s[52:53], s[18:19]
	s_cbranch_execz .LBB146_47
; %bb.46:                               ;   in Loop: Header=BB146_13 Depth=1
	global_load_dword v3, v[24:25], off
.LBB146_47:                             ;   in Loop: Header=BB146_13 Depth=1
	s_or_b64 exec, exec, s[52:53]
	v_mov_b32_e32 v5, 0
	v_mov_b32_e32 v6, 0
	s_and_saveexec_b64 s[52:53], s[20:21]
	s_cbranch_execz .LBB146_49
; %bb.48:                               ;   in Loop: Header=BB146_13 Depth=1
	global_load_dword v6, v[24:25], off offset:256
.LBB146_49:                             ;   in Loop: Header=BB146_13 Depth=1
	s_or_b64 exec, exec, s[52:53]
	s_and_saveexec_b64 s[52:53], s[22:23]
	s_cbranch_execz .LBB146_51
; %bb.50:                               ;   in Loop: Header=BB146_13 Depth=1
	global_load_dword v5, v[24:25], off offset:512
.LBB146_51:                             ;   in Loop: Header=BB146_13 Depth=1
	s_or_b64 exec, exec, s[52:53]
	v_mov_b32_e32 v7, 0
	v_mov_b32_e32 v26, 0
	s_and_saveexec_b64 s[52:53], s[24:25]
	s_cbranch_execz .LBB146_53
; %bb.52:                               ;   in Loop: Header=BB146_13 Depth=1
	global_load_dword v26, v[24:25], off offset:768
.LBB146_53:                             ;   in Loop: Header=BB146_13 Depth=1
	s_or_b64 exec, exec, s[52:53]
	s_and_saveexec_b64 s[52:53], s[26:27]
	s_cbranch_execz .LBB146_55
; %bb.54:                               ;   in Loop: Header=BB146_13 Depth=1
	global_load_dword v7, v[24:25], off offset:1024
.LBB146_55:                             ;   in Loop: Header=BB146_13 Depth=1
	;; [unrolled: 14-line block ×6, first 2 shown]
	s_or_b64 exec, exec, s[52:53]
	v_mov_b32_e32 v35, 0
	v_mov_b32_e32 v36, 0
	s_and_saveexec_b64 s[52:53], s[46:47]
	s_cbranch_execnz .LBB146_216
; %bb.72:                               ;   in Loop: Header=BB146_13 Depth=1
	s_or_b64 exec, exec, s[52:53]
	s_and_saveexec_b64 s[52:53], s[48:49]
	s_cbranch_execnz .LBB146_217
.LBB146_73:                             ;   in Loop: Header=BB146_13 Depth=1
	s_or_b64 exec, exec, s[52:53]
	v_mov_b32_e32 v37, 0
	s_and_saveexec_b64 s[52:53], s[50:51]
	s_cbranch_execz .LBB146_75
.LBB146_74:                             ;   in Loop: Header=BB146_13 Depth=1
	global_load_dword v37, v[24:25], off offset:3840
.LBB146_75:                             ;   in Loop: Header=BB146_13 Depth=1
	s_or_b64 exec, exec, s[52:53]
	scratch_load_dword v24, off, off        ; 4-byte Folded Reload
	s_mov_b32 s0, 0x41a00000
	v_mov_b32_e32 v52, v42
	s_waitcnt vmcnt(0)
	ds_write_b32 v24, v3
	scratch_load_dword v3, off, off offset:4 ; 4-byte Folded Reload
	s_waitcnt vmcnt(0)
	ds_write_b32 v3, v6 offset:256
	scratch_load_dword v3, off, off offset:8 ; 4-byte Folded Reload
	s_waitcnt vmcnt(0)
	ds_write_b32 v3, v5 offset:512
	;; [unrolled: 3-line block ×15, first 2 shown]
	; wave barrier
	ds_read2_b32 v[38:39], v64 offset1:1
	ds_read2_b32 v[36:37], v64 offset0:2 offset1:3
	ds_read2_b32 v[34:35], v64 offset0:4 offset1:5
	;; [unrolled: 1-line block ×7, first 2 shown]
	s_waitcnt lgkmcnt(7)
	v_add_f32_e32 v3, s56, v38
	v_cmp_ge_f32_e32 vcc, s0, v3
	v_readlane_b32 s0, v95, 24
	v_readlane_b32 s1, v95, 25
	s_and_b64 s[0:1], s[0:1], vcc
	scratch_store_dword off, v3, off offset:64 ; 4-byte Folded Spill
	s_and_saveexec_b64 s[54:55], s[0:1]
	s_cbranch_execz .LBB146_77
; %bb.76:                               ;   in Loop: Header=BB146_13 Depth=1
	scratch_load_dword v7, off, off offset:64 ; 4-byte Folded Reload
	s_mov_b32 s0, 0x3fb8aa3b
	s_waitcnt vmcnt(0)
	v_mul_f32_e32 v3, 0x3fb8aa3b, v7
	v_rndne_f32_e32 v5, v3
	v_sub_f32_e32 v6, v3, v5
	v_fma_f32 v3, v7, s0, -v3
	v_fmac_f32_e32 v3, 0x32a5705f, v7
	v_add_f32_e32 v3, v6, v3
	v_cvt_i32_f32_e32 v5, v5
	v_exp_f32_e32 v3, v3
	s_mov_b32 s0, 0xc2ce8ed0
	v_cmp_ngt_f32_e32 vcc, s0, v7
	s_mov_b32 s0, 0x42b17218
	v_ldexp_f32 v3, v3, v5
	v_cndmask_b32_e32 v3, 0, v3, vcc
	v_cmp_nlt_f32_e32 vcc, s0, v7
	v_mov_b32_e32 v5, 0x7f800000
	s_mov_b32 s0, 0x3f2aaaab
	v_cndmask_b32_e32 v5, v5, v3, vcc
	v_add_f32_e32 v3, 1.0, v5
	v_add_f32_e32 v6, -1.0, v3
	v_sub_f32_e32 v7, v6, v3
	v_add_f32_e32 v7, 1.0, v7
	v_sub_f32_e32 v6, v5, v6
	v_add_f32_e32 v38, v6, v7
	v_frexp_mant_f32_e32 v40, v3
	v_cvt_f64_f32_e32 v[6:7], v3
	v_frexp_exp_i32_f64_e32 v6, v[6:7]
	v_cmp_gt_f32_e32 vcc, s0, v40
	s_mov_b32 s0, 0x3f317218
	s_nop 0
	v_subbrev_co_u32_e32 v46, vcc, 0, v6, vcc
	v_sub_u32_e32 v6, 0, v46
	v_ldexp_f32 v3, v3, v6
	v_ldexp_f32 v6, v38, v6
	v_add_f32_e32 v38, -1.0, v3
	v_add_f32_e32 v7, 1.0, v38
	v_sub_f32_e32 v7, v3, v7
	v_add_f32_e32 v40, v6, v7
	v_add_f32_e32 v7, 1.0, v3
	v_add_f32_e32 v41, -1.0, v7
	v_sub_f32_e32 v3, v3, v41
	v_add_f32_e32 v3, v6, v3
	v_add_f32_e32 v47, v7, v3
	v_rcp_f32_e32 v48, v47
	v_sub_f32_e32 v6, v7, v47
	v_add_f32_e32 v7, v38, v40
	v_add_f32_e32 v3, v3, v6
	v_sub_f32_e32 v6, v38, v7
	v_mul_f32_e32 v49, v7, v48
	v_add_f32_e32 v38, v40, v6
	v_mul_f32_e32 v40, v47, v49
	v_fma_f32 v42, v49, v47, -v40
	v_fmac_f32_e32 v42, v49, v3
	v_add_f32_e32 v6, v40, v42
	v_sub_f32_e32 v41, v7, v6
	v_pk_add_f32 v[44:45], v[6:7], v[40:41] neg_lo:[0,1] neg_hi:[0,1]
	v_mov_b32_e32 v43, v6
	v_pk_add_f32 v[6:7], v[44:45], v[42:43] neg_lo:[0,1] neg_hi:[0,1]
	s_nop 0
	v_add_f32_e32 v7, v38, v7
	v_add_f32_e32 v6, v6, v7
	;; [unrolled: 1-line block ×3, first 2 shown]
	v_mul_f32_e32 v38, v48, v7
	v_mul_f32_e32 v40, v47, v38
	v_fma_f32 v42, v38, v47, -v40
	v_fmac_f32_e32 v42, v38, v3
	v_sub_f32_e32 v3, v41, v7
	v_add_f32_e32 v3, v6, v3
	v_add_f32_e32 v6, v40, v42
	v_sub_f32_e32 v41, v7, v6
	v_pk_add_f32 v[44:45], v[6:7], v[40:41] neg_lo:[0,1] neg_hi:[0,1]
	v_mov_b32_e32 v43, v6
	v_pk_add_f32 v[6:7], v[44:45], v[42:43] neg_lo:[0,1] neg_hi:[0,1]
	v_mov_b32_e32 v42, v52
	v_add_f32_e32 v3, v3, v7
	v_add_f32_e32 v3, v6, v3
	v_add_f32_e32 v7, v49, v38
	v_add_f32_e32 v3, v41, v3
	v_sub_f32_e32 v6, v7, v49
	v_mul_f32_e32 v3, v48, v3
	v_sub_f32_e32 v6, v38, v6
	v_add_f32_e32 v3, v6, v3
	v_add_f32_e32 v38, v7, v3
	v_mul_f32_e32 v40, v38, v38
	v_mov_b32_e32 v6, 0x3ecc95a3
	v_fmamk_f32 v6, v40, 0x3e9b6dac, v6
	v_fmaak_f32 v43, v40, v6, 0x3f2aaada
	v_cvt_f32_i32_e32 v6, v46
	v_sub_f32_e32 v7, v38, v7
	v_sub_f32_e32 v3, v3, v7
	v_mul_f32_e32 v7, v38, v40
	v_pk_mul_f32 v[42:43], v[6:7], v[42:43]
	v_ldexp_f32 v41, v38, 1
	v_fma_f32 v40, v6, s0, -v42
	v_fmac_f32_e32 v40, 0xb102e308, v6
	v_pk_add_f32 v[6:7], v[42:43], v[40:41]
	v_ldexp_f32 v3, v3, 1
	v_sub_f32_e32 v38, v7, v41
	v_sub_f32_e32 v38, v43, v38
	v_add_f32_e32 v45, v3, v38
	v_mov_b32_e32 v44, v42
	v_pk_add_f32 v[42:43], v[6:7], v[42:43] neg_lo:[0,1] neg_hi:[0,1]
	v_pk_add_f32 v[46:47], v[6:7], v[44:45]
	v_mov_b32_e32 v41, v6
	v_mov_b32_e32 v43, v47
	v_pk_add_f32 v[48:49], v[40:41], v[42:43] neg_lo:[0,1] neg_hi:[0,1]
	v_pk_add_f32 v[40:41], v[40:41], v[42:43]
	s_mov_b32 s0, 0x7f800000
	v_mov_b32_e32 v38, v41
	v_pk_add_f32 v[42:43], v[38:39], v[6:7] neg_lo:[0,1] neg_hi:[0,1]
	v_mov_b32_e32 v40, v47
	v_mov_b32_e32 v3, v42
	v_pk_add_f32 v[50:51], v[46:47], v[2:3] neg_lo:[0,1] neg_hi:[0,1]
	v_mov_b32_e32 v46, v7
	v_mov_b32_e32 v47, v42
	;; [unrolled: 1-line block ×3, first 2 shown]
	v_pk_add_f32 v[40:41], v[40:41], v[46:47] neg_lo:[0,1] neg_hi:[0,1]
	v_mov_b32_e32 v42, v45
	v_mov_b32_e32 v43, v6
	v_pk_add_f32 v[6:7], v[42:43], v[40:41] neg_lo:[0,1] neg_hi:[0,1]
	v_mov_b32_e32 v50, v48
	v_pk_add_f32 v[40:41], v[50:51], v[6:7]
	v_cmp_eq_f32_e32 vcc, s0, v5
	v_mov_b32_e32 v42, v41
	v_pk_add_f32 v[42:43], v[40:41], v[42:43]
	s_mov_b32 s0, 0x33800000
	v_pk_add_f32 v[44:45], v[38:39], v[42:43]
	v_mov_b32_e32 v7, v42
	v_mov_b32_e32 v41, v44
	v_pk_add_f32 v[46:47], v[40:41], v[48:49] neg_lo:[0,1] neg_hi:[0,1]
	v_cmp_gt_f32_e64 s[52:53], s0, v5
	v_sub_f32_e32 v3, v40, v46
	v_pk_add_f32 v[6:7], v[6:7], v[46:47] neg_lo:[0,1] neg_hi:[0,1]
	v_sub_f32_e32 v3, v48, v3
	v_add_f32_e32 v3, v6, v3
	v_add_f32_e32 v3, v3, v7
	;; [unrolled: 1-line block ×3, first 2 shown]
	s_or_b64 vcc, s[52:53], vcc
	v_cndmask_b32_e32 v3, v3, v5, vcc
	scratch_store_dword off, v3, off offset:64 ; 4-byte Folded Spill
.LBB146_77:                             ;   in Loop: Header=BB146_13 Depth=1
	s_or_b64 exec, exec, s[54:55]
	v_add_f32_e32 v67, s56, v39
	s_mov_b32 s0, 0x41a00000
	v_cmp_ge_f32_e32 vcc, s0, v67
	v_readlane_b32 s0, v95, 24
	v_readlane_b32 s1, v95, 25
	s_and_b64 s[0:1], s[0:1], vcc
	s_and_saveexec_b64 s[54:55], s[0:1]
	s_cbranch_execz .LBB146_79
; %bb.78:                               ;   in Loop: Header=BB146_13 Depth=1
	v_mul_f32_e32 v3, 0x3fb8aa3b, v67
	v_rndne_f32_e32 v5, v3
	s_mov_b32 s0, 0x3fb8aa3b
	v_sub_f32_e32 v6, v3, v5
	v_fma_f32 v3, v67, s0, -v3
	v_fmac_f32_e32 v3, 0x32a5705f, v67
	v_add_f32_e32 v3, v6, v3
	v_cvt_i32_f32_e32 v5, v5
	v_exp_f32_e32 v3, v3
	s_mov_b32 s0, 0xc2ce8ed0
	v_cmp_ngt_f32_e32 vcc, s0, v67
	s_mov_b32 s0, 0x42b17218
	v_ldexp_f32 v3, v3, v5
	v_cndmask_b32_e32 v3, 0, v3, vcc
	v_cmp_nlt_f32_e32 vcc, s0, v67
	v_mov_b32_e32 v5, 0x7f800000
	s_mov_b32 s0, 0x3f2aaaab
	v_cndmask_b32_e32 v5, v5, v3, vcc
	v_add_f32_e32 v3, 1.0, v5
	v_add_f32_e32 v6, -1.0, v3
	v_sub_f32_e32 v7, v6, v3
	v_add_f32_e32 v7, 1.0, v7
	v_sub_f32_e32 v6, v5, v6
	v_add_f32_e32 v38, v6, v7
	v_frexp_mant_f32_e32 v39, v3
	v_cvt_f64_f32_e32 v[6:7], v3
	v_frexp_exp_i32_f64_e32 v6, v[6:7]
	v_cmp_gt_f32_e32 vcc, s0, v39
	s_mov_b32 s0, 0x3f317218
	s_nop 0
	v_subbrev_co_u32_e32 v44, vcc, 0, v6, vcc
	v_sub_u32_e32 v6, 0, v44
	v_ldexp_f32 v3, v3, v6
	v_ldexp_f32 v6, v38, v6
	v_add_f32_e32 v38, -1.0, v3
	v_add_f32_e32 v7, 1.0, v38
	v_sub_f32_e32 v7, v3, v7
	v_add_f32_e32 v39, v6, v7
	v_add_f32_e32 v7, 1.0, v3
	v_add_f32_e32 v40, -1.0, v7
	v_sub_f32_e32 v3, v3, v40
	v_add_f32_e32 v3, v6, v3
	v_add_f32_e32 v45, v7, v3
	v_rcp_f32_e32 v46, v45
	v_sub_f32_e32 v6, v7, v45
	v_add_f32_e32 v7, v38, v39
	v_add_f32_e32 v3, v3, v6
	v_mul_f32_e32 v48, v7, v46
	v_sub_f32_e32 v6, v38, v7
	v_mul_f32_e32 v38, v45, v48
	v_fma_f32 v40, v48, v45, -v38
	v_fmac_f32_e32 v40, v48, v3
	v_add_f32_e32 v47, v39, v6
	v_add_f32_e32 v6, v38, v40
	v_sub_f32_e32 v39, v7, v6
	v_pk_add_f32 v[42:43], v[6:7], v[38:39] neg_lo:[0,1] neg_hi:[0,1]
	v_mov_b32_e32 v41, v6
	v_pk_add_f32 v[6:7], v[42:43], v[40:41] neg_lo:[0,1] neg_hi:[0,1]
	s_nop 0
	v_add_f32_e32 v7, v47, v7
	v_add_f32_e32 v6, v6, v7
	;; [unrolled: 1-line block ×3, first 2 shown]
	v_mul_f32_e32 v47, v46, v7
	v_mul_f32_e32 v38, v45, v47
	v_fma_f32 v40, v47, v45, -v38
	v_fmac_f32_e32 v40, v47, v3
	v_sub_f32_e32 v3, v39, v7
	v_add_f32_e32 v3, v6, v3
	v_add_f32_e32 v6, v38, v40
	v_sub_f32_e32 v39, v7, v6
	v_pk_add_f32 v[42:43], v[6:7], v[38:39] neg_lo:[0,1] neg_hi:[0,1]
	v_mov_b32_e32 v41, v6
	v_pk_add_f32 v[6:7], v[42:43], v[40:41] neg_lo:[0,1] neg_hi:[0,1]
	v_mov_b32_e32 v42, v52
	v_add_f32_e32 v3, v3, v7
	v_add_f32_e32 v3, v6, v3
	;; [unrolled: 1-line block ×4, first 2 shown]
	v_sub_f32_e32 v6, v7, v48
	v_mul_f32_e32 v3, v46, v3
	v_sub_f32_e32 v6, v47, v6
	v_add_f32_e32 v3, v6, v3
	v_add_f32_e32 v38, v7, v3
	v_mul_f32_e32 v40, v38, v38
	v_mov_b32_e32 v6, 0x3ecc95a3
	v_fmamk_f32 v6, v40, 0x3e9b6dac, v6
	v_fmaak_f32 v43, v40, v6, 0x3f2aaada
	v_cvt_f32_i32_e32 v6, v44
	v_sub_f32_e32 v7, v38, v7
	v_sub_f32_e32 v3, v3, v7
	v_mul_f32_e32 v7, v38, v40
	v_pk_mul_f32 v[40:41], v[6:7], v[42:43]
	v_ldexp_f32 v39, v38, 1
	v_fma_f32 v38, v6, s0, -v40
	v_fmac_f32_e32 v38, 0xb102e308, v6
	v_pk_add_f32 v[6:7], v[40:41], v[38:39]
	v_ldexp_f32 v3, v3, 1
	v_sub_f32_e32 v39, v7, v39
	v_sub_f32_e32 v39, v41, v39
	v_add_f32_e32 v43, v3, v39
	v_mov_b32_e32 v42, v40
	v_pk_add_f32 v[40:41], v[6:7], v[40:41] neg_lo:[0,1] neg_hi:[0,1]
	v_pk_add_f32 v[44:45], v[6:7], v[42:43]
	v_mov_b32_e32 v39, v6
	v_mov_b32_e32 v41, v45
	v_pk_add_f32 v[46:47], v[38:39], v[40:41] neg_lo:[0,1] neg_hi:[0,1]
	v_pk_add_f32 v[38:39], v[38:39], v[40:41]
	v_mov_b32_e32 v42, v43
	v_mov_b32_e32 v40, v39
	v_pk_add_f32 v[48:49], v[40:41], v[6:7] neg_lo:[0,1] neg_hi:[0,1]
	v_mov_b32_e32 v38, v45
	v_mov_b32_e32 v3, v48
	v_pk_add_f32 v[50:51], v[44:45], v[2:3] neg_lo:[0,1] neg_hi:[0,1]
	v_mov_b32_e32 v44, v7
	v_mov_b32_e32 v45, v48
	;; [unrolled: 1-line block ×3, first 2 shown]
	v_pk_add_f32 v[38:39], v[38:39], v[44:45] neg_lo:[0,1] neg_hi:[0,1]
	v_mov_b32_e32 v43, v6
	v_pk_add_f32 v[6:7], v[42:43], v[38:39] neg_lo:[0,1] neg_hi:[0,1]
	v_mov_b32_e32 v50, v46
	v_pk_add_f32 v[38:39], v[50:51], v[6:7]
	s_mov_b32 s0, 0x7f800000
	v_mov_b32_e32 v42, v39
	v_pk_add_f32 v[42:43], v[38:39], v[42:43]
	v_cmp_eq_f32_e32 vcc, s0, v5
	v_pk_add_f32 v[40:41], v[40:41], v[42:43]
	v_mov_b32_e32 v7, v42
	v_mov_b32_e32 v39, v40
	v_pk_add_f32 v[44:45], v[38:39], v[46:47] neg_lo:[0,1] neg_hi:[0,1]
	s_mov_b32 s0, 0x33800000
	v_sub_f32_e32 v3, v38, v44
	v_pk_add_f32 v[6:7], v[6:7], v[44:45] neg_lo:[0,1] neg_hi:[0,1]
	v_sub_f32_e32 v3, v46, v3
	v_add_f32_e32 v3, v6, v3
	v_add_f32_e32 v3, v3, v7
	v_cmp_gt_f32_e64 s[52:53], s0, v5
	v_add_f32_e32 v3, v40, v3
	s_or_b64 vcc, s[52:53], vcc
	v_cndmask_b32_e32 v67, v3, v5, vcc
.LBB146_79:                             ;   in Loop: Header=BB146_13 Depth=1
	s_or_b64 exec, exec, s[54:55]
	s_waitcnt lgkmcnt(6)
	v_add_f32_e32 v68, s56, v36
	s_mov_b32 s0, 0x41a00000
	v_cmp_ge_f32_e32 vcc, s0, v68
	v_readlane_b32 s0, v95, 24
	v_readlane_b32 s1, v95, 25
	s_and_b64 s[0:1], s[0:1], vcc
	s_and_saveexec_b64 s[54:55], s[0:1]
	s_cbranch_execz .LBB146_81
; %bb.80:                               ;   in Loop: Header=BB146_13 Depth=1
	v_mul_f32_e32 v3, 0x3fb8aa3b, v68
	v_rndne_f32_e32 v5, v3
	s_mov_b32 s0, 0x3fb8aa3b
	v_sub_f32_e32 v6, v3, v5
	v_fma_f32 v3, v68, s0, -v3
	v_fmac_f32_e32 v3, 0x32a5705f, v68
	v_add_f32_e32 v3, v6, v3
	v_cvt_i32_f32_e32 v5, v5
	v_exp_f32_e32 v3, v3
	s_mov_b32 s0, 0xc2ce8ed0
	v_cmp_ngt_f32_e32 vcc, s0, v68
	s_mov_b32 s0, 0x42b17218
	v_ldexp_f32 v3, v3, v5
	v_cndmask_b32_e32 v3, 0, v3, vcc
	v_cmp_nlt_f32_e32 vcc, s0, v68
	v_mov_b32_e32 v5, 0x7f800000
	s_mov_b32 s0, 0x3f2aaaab
	v_cndmask_b32_e32 v5, v5, v3, vcc
	v_add_f32_e32 v3, 1.0, v5
	v_add_f32_e32 v6, -1.0, v3
	v_sub_f32_e32 v7, v6, v3
	v_add_f32_e32 v7, 1.0, v7
	v_sub_f32_e32 v6, v5, v6
	v_add_f32_e32 v36, v6, v7
	v_frexp_mant_f32_e32 v38, v3
	v_cvt_f64_f32_e32 v[6:7], v3
	v_frexp_exp_i32_f64_e32 v6, v[6:7]
	v_cmp_gt_f32_e32 vcc, s0, v38
	s_mov_b32 s0, 0x3f317218
	s_nop 0
	v_subbrev_co_u32_e32 v44, vcc, 0, v6, vcc
	v_sub_u32_e32 v6, 0, v44
	v_ldexp_f32 v3, v3, v6
	v_ldexp_f32 v6, v36, v6
	v_add_f32_e32 v36, -1.0, v3
	v_add_f32_e32 v7, 1.0, v36
	v_sub_f32_e32 v7, v3, v7
	v_add_f32_e32 v38, v6, v7
	v_add_f32_e32 v7, 1.0, v3
	v_add_f32_e32 v39, -1.0, v7
	v_sub_f32_e32 v3, v3, v39
	v_add_f32_e32 v3, v6, v3
	v_add_f32_e32 v45, v7, v3
	v_rcp_f32_e32 v46, v45
	v_sub_f32_e32 v6, v7, v45
	v_add_f32_e32 v7, v36, v38
	v_add_f32_e32 v3, v3, v6
	v_sub_f32_e32 v6, v36, v7
	v_mul_f32_e32 v47, v7, v46
	v_add_f32_e32 v36, v38, v6
	v_mul_f32_e32 v38, v45, v47
	v_fma_f32 v40, v47, v45, -v38
	v_fmac_f32_e32 v40, v47, v3
	v_add_f32_e32 v6, v38, v40
	v_sub_f32_e32 v39, v7, v6
	v_pk_add_f32 v[42:43], v[6:7], v[38:39] neg_lo:[0,1] neg_hi:[0,1]
	v_mov_b32_e32 v41, v6
	v_pk_add_f32 v[6:7], v[42:43], v[40:41] neg_lo:[0,1] neg_hi:[0,1]
	s_nop 0
	v_add_f32_e32 v7, v36, v7
	v_add_f32_e32 v6, v6, v7
	;; [unrolled: 1-line block ×3, first 2 shown]
	v_mul_f32_e32 v36, v46, v7
	v_mul_f32_e32 v38, v45, v36
	v_fma_f32 v40, v36, v45, -v38
	v_fmac_f32_e32 v40, v36, v3
	v_sub_f32_e32 v3, v39, v7
	v_add_f32_e32 v3, v6, v3
	v_add_f32_e32 v6, v38, v40
	v_sub_f32_e32 v39, v7, v6
	v_pk_add_f32 v[42:43], v[6:7], v[38:39] neg_lo:[0,1] neg_hi:[0,1]
	v_mov_b32_e32 v41, v6
	v_pk_add_f32 v[6:7], v[42:43], v[40:41] neg_lo:[0,1] neg_hi:[0,1]
	v_mov_b32_e32 v40, v52
	v_add_f32_e32 v3, v3, v7
	v_add_f32_e32 v3, v6, v3
	;; [unrolled: 1-line block ×4, first 2 shown]
	v_sub_f32_e32 v6, v7, v47
	v_mul_f32_e32 v3, v46, v3
	v_sub_f32_e32 v6, v36, v6
	v_add_f32_e32 v3, v6, v3
	v_add_f32_e32 v36, v7, v3
	v_mul_f32_e32 v38, v36, v36
	v_mov_b32_e32 v6, 0x3ecc95a3
	v_fmamk_f32 v6, v38, 0x3e9b6dac, v6
	v_fmaak_f32 v41, v38, v6, 0x3f2aaada
	v_cvt_f32_i32_e32 v6, v44
	v_sub_f32_e32 v7, v36, v7
	v_sub_f32_e32 v3, v3, v7
	v_mul_f32_e32 v7, v36, v38
	v_pk_mul_f32 v[40:41], v[6:7], v[40:41]
	v_ldexp_f32 v39, v36, 1
	v_fma_f32 v38, v6, s0, -v40
	v_fmac_f32_e32 v38, 0xb102e308, v6
	v_pk_add_f32 v[6:7], v[40:41], v[38:39]
	v_ldexp_f32 v3, v3, 1
	v_sub_f32_e32 v36, v7, v39
	v_sub_f32_e32 v36, v41, v36
	v_add_f32_e32 v43, v3, v36
	v_mov_b32_e32 v42, v40
	v_pk_add_f32 v[40:41], v[6:7], v[40:41] neg_lo:[0,1] neg_hi:[0,1]
	v_pk_add_f32 v[44:45], v[6:7], v[42:43]
	v_mov_b32_e32 v39, v6
	v_mov_b32_e32 v41, v45
	v_pk_add_f32 v[46:47], v[38:39], v[40:41] neg_lo:[0,1] neg_hi:[0,1]
	v_pk_add_f32 v[38:39], v[38:39], v[40:41]
	s_mov_b32 s0, 0x7f800000
	v_mov_b32_e32 v36, v39
	v_pk_add_f32 v[40:41], v[36:37], v[6:7] neg_lo:[0,1] neg_hi:[0,1]
	v_mov_b32_e32 v38, v45
	v_mov_b32_e32 v3, v40
	v_pk_add_f32 v[48:49], v[44:45], v[2:3] neg_lo:[0,1] neg_hi:[0,1]
	v_mov_b32_e32 v44, v7
	v_mov_b32_e32 v45, v40
	;; [unrolled: 1-line block ×3, first 2 shown]
	v_pk_add_f32 v[38:39], v[38:39], v[44:45] neg_lo:[0,1] neg_hi:[0,1]
	v_mov_b32_e32 v40, v43
	v_mov_b32_e32 v41, v6
	v_pk_add_f32 v[6:7], v[40:41], v[38:39] neg_lo:[0,1] neg_hi:[0,1]
	v_mov_b32_e32 v48, v46
	v_pk_add_f32 v[38:39], v[48:49], v[6:7]
	v_cmp_eq_f32_e32 vcc, s0, v5
	v_mov_b32_e32 v40, v39
	v_pk_add_f32 v[40:41], v[38:39], v[40:41]
	s_mov_b32 s0, 0x33800000
	v_pk_add_f32 v[42:43], v[36:37], v[40:41]
	v_mov_b32_e32 v7, v40
	v_mov_b32_e32 v39, v42
	v_pk_add_f32 v[44:45], v[38:39], v[46:47] neg_lo:[0,1] neg_hi:[0,1]
	v_cmp_gt_f32_e64 s[52:53], s0, v5
	v_sub_f32_e32 v3, v38, v44
	v_pk_add_f32 v[6:7], v[6:7], v[44:45] neg_lo:[0,1] neg_hi:[0,1]
	v_sub_f32_e32 v3, v46, v3
	v_add_f32_e32 v3, v6, v3
	v_add_f32_e32 v3, v3, v7
	;; [unrolled: 1-line block ×3, first 2 shown]
	s_or_b64 vcc, s[52:53], vcc
	v_cndmask_b32_e32 v68, v3, v5, vcc
.LBB146_81:                             ;   in Loop: Header=BB146_13 Depth=1
	s_or_b64 exec, exec, s[54:55]
	v_add_f32_e32 v69, s56, v37
	s_mov_b32 s0, 0x41a00000
	v_cmp_ge_f32_e32 vcc, s0, v69
	v_readlane_b32 s0, v95, 24
	v_readlane_b32 s1, v95, 25
	s_and_b64 s[0:1], s[0:1], vcc
	s_and_saveexec_b64 s[54:55], s[0:1]
	s_cbranch_execz .LBB146_83
; %bb.82:                               ;   in Loop: Header=BB146_13 Depth=1
	v_mul_f32_e32 v3, 0x3fb8aa3b, v69
	v_rndne_f32_e32 v5, v3
	s_mov_b32 s0, 0x3fb8aa3b
	v_sub_f32_e32 v6, v3, v5
	v_fma_f32 v3, v69, s0, -v3
	v_fmac_f32_e32 v3, 0x32a5705f, v69
	v_add_f32_e32 v3, v6, v3
	v_cvt_i32_f32_e32 v5, v5
	v_exp_f32_e32 v3, v3
	s_mov_b32 s0, 0xc2ce8ed0
	v_cmp_ngt_f32_e32 vcc, s0, v69
	s_mov_b32 s0, 0x42b17218
	v_ldexp_f32 v3, v3, v5
	v_cndmask_b32_e32 v3, 0, v3, vcc
	v_cmp_nlt_f32_e32 vcc, s0, v69
	v_mov_b32_e32 v5, 0x7f800000
	s_mov_b32 s0, 0x3f2aaaab
	v_cndmask_b32_e32 v5, v5, v3, vcc
	v_add_f32_e32 v3, 1.0, v5
	v_add_f32_e32 v6, -1.0, v3
	v_sub_f32_e32 v7, v6, v3
	v_add_f32_e32 v7, 1.0, v7
	v_sub_f32_e32 v6, v5, v6
	v_add_f32_e32 v36, v6, v7
	v_frexp_mant_f32_e32 v37, v3
	v_cvt_f64_f32_e32 v[6:7], v3
	v_frexp_exp_i32_f64_e32 v6, v[6:7]
	v_cmp_gt_f32_e32 vcc, s0, v37
	s_mov_b32 s0, 0x3f317218
	s_nop 0
	v_subbrev_co_u32_e32 v42, vcc, 0, v6, vcc
	v_sub_u32_e32 v6, 0, v42
	v_ldexp_f32 v3, v3, v6
	v_ldexp_f32 v6, v36, v6
	v_add_f32_e32 v36, -1.0, v3
	v_add_f32_e32 v7, 1.0, v36
	v_sub_f32_e32 v7, v3, v7
	v_add_f32_e32 v37, v6, v7
	v_add_f32_e32 v7, 1.0, v3
	v_add_f32_e32 v38, -1.0, v7
	v_sub_f32_e32 v3, v3, v38
	v_add_f32_e32 v3, v6, v3
	v_add_f32_e32 v43, v7, v3
	v_rcp_f32_e32 v44, v43
	v_sub_f32_e32 v6, v7, v43
	v_add_f32_e32 v7, v36, v37
	v_add_f32_e32 v3, v3, v6
	v_mul_f32_e32 v46, v7, v44
	v_sub_f32_e32 v6, v36, v7
	v_mul_f32_e32 v36, v43, v46
	v_fma_f32 v38, v46, v43, -v36
	v_fmac_f32_e32 v38, v46, v3
	v_add_f32_e32 v45, v37, v6
	v_add_f32_e32 v6, v36, v38
	v_sub_f32_e32 v37, v7, v6
	v_pk_add_f32 v[40:41], v[6:7], v[36:37] neg_lo:[0,1] neg_hi:[0,1]
	v_mov_b32_e32 v39, v6
	v_pk_add_f32 v[6:7], v[40:41], v[38:39] neg_lo:[0,1] neg_hi:[0,1]
	s_nop 0
	v_add_f32_e32 v7, v45, v7
	v_add_f32_e32 v6, v6, v7
	;; [unrolled: 1-line block ×3, first 2 shown]
	v_mul_f32_e32 v45, v44, v7
	v_mul_f32_e32 v36, v43, v45
	v_fma_f32 v38, v45, v43, -v36
	v_fmac_f32_e32 v38, v45, v3
	v_sub_f32_e32 v3, v37, v7
	v_add_f32_e32 v3, v6, v3
	v_add_f32_e32 v6, v36, v38
	v_sub_f32_e32 v37, v7, v6
	v_pk_add_f32 v[40:41], v[6:7], v[36:37] neg_lo:[0,1] neg_hi:[0,1]
	v_mov_b32_e32 v39, v6
	v_pk_add_f32 v[6:7], v[40:41], v[38:39] neg_lo:[0,1] neg_hi:[0,1]
	v_mov_b32_e32 v40, v52
	v_add_f32_e32 v3, v3, v7
	v_add_f32_e32 v3, v6, v3
	;; [unrolled: 1-line block ×4, first 2 shown]
	v_sub_f32_e32 v6, v7, v46
	v_mul_f32_e32 v3, v44, v3
	v_sub_f32_e32 v6, v45, v6
	v_add_f32_e32 v3, v6, v3
	v_add_f32_e32 v36, v7, v3
	v_mul_f32_e32 v38, v36, v36
	v_mov_b32_e32 v6, 0x3ecc95a3
	v_fmamk_f32 v6, v38, 0x3e9b6dac, v6
	v_fmaak_f32 v41, v38, v6, 0x3f2aaada
	v_cvt_f32_i32_e32 v6, v42
	v_sub_f32_e32 v7, v36, v7
	v_sub_f32_e32 v3, v3, v7
	v_mul_f32_e32 v7, v36, v38
	v_pk_mul_f32 v[38:39], v[6:7], v[40:41]
	v_ldexp_f32 v37, v36, 1
	v_fma_f32 v36, v6, s0, -v38
	v_fmac_f32_e32 v36, 0xb102e308, v6
	v_pk_add_f32 v[6:7], v[38:39], v[36:37]
	v_ldexp_f32 v3, v3, 1
	v_sub_f32_e32 v37, v7, v37
	v_sub_f32_e32 v37, v39, v37
	v_add_f32_e32 v41, v3, v37
	v_mov_b32_e32 v40, v38
	v_pk_add_f32 v[38:39], v[6:7], v[38:39] neg_lo:[0,1] neg_hi:[0,1]
	v_pk_add_f32 v[42:43], v[6:7], v[40:41]
	v_mov_b32_e32 v37, v6
	v_mov_b32_e32 v39, v43
	v_pk_add_f32 v[44:45], v[36:37], v[38:39] neg_lo:[0,1] neg_hi:[0,1]
	v_pk_add_f32 v[36:37], v[36:37], v[38:39]
	v_mov_b32_e32 v40, v41
	v_mov_b32_e32 v38, v37
	v_pk_add_f32 v[46:47], v[38:39], v[6:7] neg_lo:[0,1] neg_hi:[0,1]
	v_mov_b32_e32 v36, v43
	v_mov_b32_e32 v3, v46
	v_pk_add_f32 v[48:49], v[42:43], v[2:3] neg_lo:[0,1] neg_hi:[0,1]
	v_mov_b32_e32 v42, v7
	v_mov_b32_e32 v43, v46
	;; [unrolled: 1-line block ×3, first 2 shown]
	v_pk_add_f32 v[36:37], v[36:37], v[42:43] neg_lo:[0,1] neg_hi:[0,1]
	v_mov_b32_e32 v41, v6
	v_pk_add_f32 v[6:7], v[40:41], v[36:37] neg_lo:[0,1] neg_hi:[0,1]
	v_mov_b32_e32 v48, v44
	v_pk_add_f32 v[36:37], v[48:49], v[6:7]
	s_mov_b32 s0, 0x7f800000
	v_mov_b32_e32 v40, v37
	v_pk_add_f32 v[40:41], v[36:37], v[40:41]
	v_cmp_eq_f32_e32 vcc, s0, v5
	v_pk_add_f32 v[38:39], v[38:39], v[40:41]
	v_mov_b32_e32 v7, v40
	v_mov_b32_e32 v37, v38
	v_pk_add_f32 v[42:43], v[36:37], v[44:45] neg_lo:[0,1] neg_hi:[0,1]
	s_mov_b32 s0, 0x33800000
	v_sub_f32_e32 v3, v36, v42
	v_pk_add_f32 v[6:7], v[6:7], v[42:43] neg_lo:[0,1] neg_hi:[0,1]
	v_sub_f32_e32 v3, v44, v3
	v_add_f32_e32 v3, v6, v3
	v_add_f32_e32 v3, v3, v7
	v_cmp_gt_f32_e64 s[52:53], s0, v5
	v_add_f32_e32 v3, v38, v3
	s_or_b64 vcc, s[52:53], vcc
	v_cndmask_b32_e32 v69, v3, v5, vcc
.LBB146_83:                             ;   in Loop: Header=BB146_13 Depth=1
	s_or_b64 exec, exec, s[54:55]
	s_waitcnt lgkmcnt(5)
	v_add_f32_e32 v70, s56, v34
	s_mov_b32 s0, 0x41a00000
	v_cmp_ge_f32_e32 vcc, s0, v70
	v_readlane_b32 s0, v95, 24
	v_readlane_b32 s1, v95, 25
	s_and_b64 s[0:1], s[0:1], vcc
	s_and_saveexec_b64 s[54:55], s[0:1]
	s_cbranch_execz .LBB146_85
; %bb.84:                               ;   in Loop: Header=BB146_13 Depth=1
	v_mul_f32_e32 v3, 0x3fb8aa3b, v70
	v_rndne_f32_e32 v5, v3
	s_mov_b32 s0, 0x3fb8aa3b
	v_sub_f32_e32 v6, v3, v5
	v_fma_f32 v3, v70, s0, -v3
	v_fmac_f32_e32 v3, 0x32a5705f, v70
	v_add_f32_e32 v3, v6, v3
	v_cvt_i32_f32_e32 v5, v5
	v_exp_f32_e32 v3, v3
	s_mov_b32 s0, 0xc2ce8ed0
	v_cmp_ngt_f32_e32 vcc, s0, v70
	s_mov_b32 s0, 0x42b17218
	v_ldexp_f32 v3, v3, v5
	v_cndmask_b32_e32 v3, 0, v3, vcc
	v_cmp_nlt_f32_e32 vcc, s0, v70
	v_mov_b32_e32 v5, 0x7f800000
	s_mov_b32 s0, 0x3f2aaaab
	v_cndmask_b32_e32 v5, v5, v3, vcc
	v_add_f32_e32 v3, 1.0, v5
	v_add_f32_e32 v6, -1.0, v3
	v_sub_f32_e32 v7, v6, v3
	v_add_f32_e32 v7, 1.0, v7
	v_sub_f32_e32 v6, v5, v6
	v_add_f32_e32 v34, v6, v7
	v_frexp_mant_f32_e32 v36, v3
	v_cvt_f64_f32_e32 v[6:7], v3
	v_frexp_exp_i32_f64_e32 v6, v[6:7]
	v_cmp_gt_f32_e32 vcc, s0, v36
	s_mov_b32 s0, 0x3f317218
	s_nop 0
	v_subbrev_co_u32_e32 v42, vcc, 0, v6, vcc
	v_sub_u32_e32 v6, 0, v42
	v_ldexp_f32 v3, v3, v6
	v_ldexp_f32 v6, v34, v6
	v_add_f32_e32 v34, -1.0, v3
	v_add_f32_e32 v7, 1.0, v34
	v_sub_f32_e32 v7, v3, v7
	v_add_f32_e32 v36, v6, v7
	v_add_f32_e32 v7, 1.0, v3
	v_add_f32_e32 v37, -1.0, v7
	v_sub_f32_e32 v3, v3, v37
	v_add_f32_e32 v3, v6, v3
	v_add_f32_e32 v43, v7, v3
	v_rcp_f32_e32 v44, v43
	v_sub_f32_e32 v6, v7, v43
	v_add_f32_e32 v7, v34, v36
	v_add_f32_e32 v3, v3, v6
	v_sub_f32_e32 v6, v34, v7
	v_mul_f32_e32 v45, v7, v44
	v_add_f32_e32 v34, v36, v6
	v_mul_f32_e32 v36, v43, v45
	v_fma_f32 v38, v45, v43, -v36
	v_fmac_f32_e32 v38, v45, v3
	v_add_f32_e32 v6, v36, v38
	v_sub_f32_e32 v37, v7, v6
	v_pk_add_f32 v[40:41], v[6:7], v[36:37] neg_lo:[0,1] neg_hi:[0,1]
	v_mov_b32_e32 v39, v6
	v_pk_add_f32 v[6:7], v[40:41], v[38:39] neg_lo:[0,1] neg_hi:[0,1]
	s_nop 0
	v_add_f32_e32 v7, v34, v7
	v_add_f32_e32 v6, v6, v7
	;; [unrolled: 1-line block ×3, first 2 shown]
	v_mul_f32_e32 v34, v44, v7
	v_mul_f32_e32 v36, v43, v34
	v_fma_f32 v38, v34, v43, -v36
	v_fmac_f32_e32 v38, v34, v3
	v_sub_f32_e32 v3, v37, v7
	v_add_f32_e32 v3, v6, v3
	v_add_f32_e32 v6, v36, v38
	v_sub_f32_e32 v37, v7, v6
	v_pk_add_f32 v[40:41], v[6:7], v[36:37] neg_lo:[0,1] neg_hi:[0,1]
	v_mov_b32_e32 v39, v6
	v_pk_add_f32 v[6:7], v[40:41], v[38:39] neg_lo:[0,1] neg_hi:[0,1]
	v_mov_b32_e32 v38, v52
	v_add_f32_e32 v3, v3, v7
	v_add_f32_e32 v3, v6, v3
	;; [unrolled: 1-line block ×4, first 2 shown]
	v_sub_f32_e32 v6, v7, v45
	v_mul_f32_e32 v3, v44, v3
	v_sub_f32_e32 v6, v34, v6
	v_add_f32_e32 v3, v6, v3
	v_add_f32_e32 v34, v7, v3
	v_mul_f32_e32 v36, v34, v34
	v_mov_b32_e32 v6, 0x3ecc95a3
	v_fmamk_f32 v6, v36, 0x3e9b6dac, v6
	v_fmaak_f32 v39, v36, v6, 0x3f2aaada
	v_cvt_f32_i32_e32 v6, v42
	v_sub_f32_e32 v7, v34, v7
	v_sub_f32_e32 v3, v3, v7
	v_mul_f32_e32 v7, v34, v36
	v_pk_mul_f32 v[38:39], v[6:7], v[38:39]
	v_ldexp_f32 v37, v34, 1
	v_fma_f32 v36, v6, s0, -v38
	v_fmac_f32_e32 v36, 0xb102e308, v6
	v_pk_add_f32 v[6:7], v[38:39], v[36:37]
	v_ldexp_f32 v3, v3, 1
	v_sub_f32_e32 v34, v7, v37
	v_sub_f32_e32 v34, v39, v34
	v_add_f32_e32 v41, v3, v34
	v_mov_b32_e32 v40, v38
	v_pk_add_f32 v[38:39], v[6:7], v[38:39] neg_lo:[0,1] neg_hi:[0,1]
	v_pk_add_f32 v[42:43], v[6:7], v[40:41]
	v_mov_b32_e32 v37, v6
	v_mov_b32_e32 v39, v43
	v_pk_add_f32 v[44:45], v[36:37], v[38:39] neg_lo:[0,1] neg_hi:[0,1]
	v_pk_add_f32 v[36:37], v[36:37], v[38:39]
	s_mov_b32 s0, 0x7f800000
	v_mov_b32_e32 v34, v37
	v_pk_add_f32 v[38:39], v[34:35], v[6:7] neg_lo:[0,1] neg_hi:[0,1]
	v_mov_b32_e32 v36, v43
	v_mov_b32_e32 v3, v38
	v_pk_add_f32 v[46:47], v[42:43], v[2:3] neg_lo:[0,1] neg_hi:[0,1]
	v_mov_b32_e32 v42, v7
	v_mov_b32_e32 v43, v38
	;; [unrolled: 1-line block ×3, first 2 shown]
	v_pk_add_f32 v[36:37], v[36:37], v[42:43] neg_lo:[0,1] neg_hi:[0,1]
	v_mov_b32_e32 v38, v41
	v_mov_b32_e32 v39, v6
	v_pk_add_f32 v[6:7], v[38:39], v[36:37] neg_lo:[0,1] neg_hi:[0,1]
	v_mov_b32_e32 v46, v44
	v_pk_add_f32 v[36:37], v[46:47], v[6:7]
	v_cmp_eq_f32_e32 vcc, s0, v5
	v_mov_b32_e32 v38, v37
	v_pk_add_f32 v[38:39], v[36:37], v[38:39]
	s_mov_b32 s0, 0x33800000
	v_pk_add_f32 v[40:41], v[34:35], v[38:39]
	v_mov_b32_e32 v7, v38
	v_mov_b32_e32 v37, v40
	v_pk_add_f32 v[42:43], v[36:37], v[44:45] neg_lo:[0,1] neg_hi:[0,1]
	v_cmp_gt_f32_e64 s[52:53], s0, v5
	v_sub_f32_e32 v3, v36, v42
	v_pk_add_f32 v[6:7], v[6:7], v[42:43] neg_lo:[0,1] neg_hi:[0,1]
	v_sub_f32_e32 v3, v44, v3
	v_add_f32_e32 v3, v6, v3
	v_add_f32_e32 v3, v3, v7
	;; [unrolled: 1-line block ×3, first 2 shown]
	s_or_b64 vcc, s[52:53], vcc
	v_cndmask_b32_e32 v70, v3, v5, vcc
.LBB146_85:                             ;   in Loop: Header=BB146_13 Depth=1
	s_or_b64 exec, exec, s[54:55]
	v_add_f32_e32 v71, s56, v35
	s_mov_b32 s0, 0x41a00000
	v_cmp_ge_f32_e32 vcc, s0, v71
	v_readlane_b32 s0, v95, 24
	v_readlane_b32 s1, v95, 25
	s_and_b64 s[0:1], s[0:1], vcc
	s_and_saveexec_b64 s[54:55], s[0:1]
	s_cbranch_execz .LBB146_87
; %bb.86:                               ;   in Loop: Header=BB146_13 Depth=1
	v_mul_f32_e32 v3, 0x3fb8aa3b, v71
	v_rndne_f32_e32 v5, v3
	s_mov_b32 s0, 0x3fb8aa3b
	v_sub_f32_e32 v6, v3, v5
	v_fma_f32 v3, v71, s0, -v3
	v_fmac_f32_e32 v3, 0x32a5705f, v71
	v_add_f32_e32 v3, v6, v3
	v_cvt_i32_f32_e32 v5, v5
	v_exp_f32_e32 v3, v3
	s_mov_b32 s0, 0xc2ce8ed0
	v_cmp_ngt_f32_e32 vcc, s0, v71
	s_mov_b32 s0, 0x42b17218
	v_ldexp_f32 v3, v3, v5
	v_cndmask_b32_e32 v3, 0, v3, vcc
	v_cmp_nlt_f32_e32 vcc, s0, v71
	v_mov_b32_e32 v5, 0x7f800000
	s_mov_b32 s0, 0x3f2aaaab
	v_cndmask_b32_e32 v5, v5, v3, vcc
	v_add_f32_e32 v3, 1.0, v5
	v_add_f32_e32 v6, -1.0, v3
	v_sub_f32_e32 v7, v6, v3
	v_add_f32_e32 v7, 1.0, v7
	v_sub_f32_e32 v6, v5, v6
	v_add_f32_e32 v34, v6, v7
	v_frexp_mant_f32_e32 v35, v3
	v_cvt_f64_f32_e32 v[6:7], v3
	v_frexp_exp_i32_f64_e32 v6, v[6:7]
	v_cmp_gt_f32_e32 vcc, s0, v35
	s_mov_b32 s0, 0x3f317218
	s_nop 0
	v_subbrev_co_u32_e32 v40, vcc, 0, v6, vcc
	v_sub_u32_e32 v6, 0, v40
	v_ldexp_f32 v3, v3, v6
	v_ldexp_f32 v6, v34, v6
	v_add_f32_e32 v34, -1.0, v3
	v_add_f32_e32 v7, 1.0, v34
	v_sub_f32_e32 v7, v3, v7
	v_add_f32_e32 v35, v6, v7
	v_add_f32_e32 v7, 1.0, v3
	v_add_f32_e32 v36, -1.0, v7
	v_sub_f32_e32 v3, v3, v36
	v_add_f32_e32 v3, v6, v3
	v_add_f32_e32 v41, v7, v3
	v_rcp_f32_e32 v42, v41
	v_sub_f32_e32 v6, v7, v41
	v_add_f32_e32 v7, v34, v35
	v_add_f32_e32 v3, v3, v6
	v_mul_f32_e32 v44, v7, v42
	v_sub_f32_e32 v6, v34, v7
	v_mul_f32_e32 v34, v41, v44
	v_fma_f32 v36, v44, v41, -v34
	v_fmac_f32_e32 v36, v44, v3
	v_add_f32_e32 v43, v35, v6
	v_add_f32_e32 v6, v34, v36
	v_sub_f32_e32 v35, v7, v6
	v_pk_add_f32 v[38:39], v[6:7], v[34:35] neg_lo:[0,1] neg_hi:[0,1]
	v_mov_b32_e32 v37, v6
	v_pk_add_f32 v[6:7], v[38:39], v[36:37] neg_lo:[0,1] neg_hi:[0,1]
	s_nop 0
	v_add_f32_e32 v7, v43, v7
	v_add_f32_e32 v6, v6, v7
	;; [unrolled: 1-line block ×3, first 2 shown]
	v_mul_f32_e32 v43, v42, v7
	v_mul_f32_e32 v34, v41, v43
	v_fma_f32 v36, v43, v41, -v34
	v_fmac_f32_e32 v36, v43, v3
	v_sub_f32_e32 v3, v35, v7
	v_add_f32_e32 v3, v6, v3
	v_add_f32_e32 v6, v34, v36
	v_sub_f32_e32 v35, v7, v6
	v_pk_add_f32 v[38:39], v[6:7], v[34:35] neg_lo:[0,1] neg_hi:[0,1]
	v_mov_b32_e32 v37, v6
	v_pk_add_f32 v[6:7], v[38:39], v[36:37] neg_lo:[0,1] neg_hi:[0,1]
	v_mov_b32_e32 v38, v52
	v_add_f32_e32 v3, v3, v7
	v_add_f32_e32 v3, v6, v3
	;; [unrolled: 1-line block ×4, first 2 shown]
	v_sub_f32_e32 v6, v7, v44
	v_mul_f32_e32 v3, v42, v3
	v_sub_f32_e32 v6, v43, v6
	v_add_f32_e32 v3, v6, v3
	v_add_f32_e32 v34, v7, v3
	v_mul_f32_e32 v36, v34, v34
	v_mov_b32_e32 v6, 0x3ecc95a3
	v_fmamk_f32 v6, v36, 0x3e9b6dac, v6
	v_fmaak_f32 v39, v36, v6, 0x3f2aaada
	v_cvt_f32_i32_e32 v6, v40
	v_sub_f32_e32 v7, v34, v7
	v_sub_f32_e32 v3, v3, v7
	v_mul_f32_e32 v7, v34, v36
	v_pk_mul_f32 v[36:37], v[6:7], v[38:39]
	v_ldexp_f32 v35, v34, 1
	v_fma_f32 v34, v6, s0, -v36
	v_fmac_f32_e32 v34, 0xb102e308, v6
	v_pk_add_f32 v[6:7], v[36:37], v[34:35]
	v_ldexp_f32 v3, v3, 1
	v_sub_f32_e32 v35, v7, v35
	v_sub_f32_e32 v35, v37, v35
	v_add_f32_e32 v39, v3, v35
	v_mov_b32_e32 v38, v36
	v_pk_add_f32 v[36:37], v[6:7], v[36:37] neg_lo:[0,1] neg_hi:[0,1]
	v_pk_add_f32 v[40:41], v[6:7], v[38:39]
	v_mov_b32_e32 v35, v6
	v_mov_b32_e32 v37, v41
	v_pk_add_f32 v[42:43], v[34:35], v[36:37] neg_lo:[0,1] neg_hi:[0,1]
	v_pk_add_f32 v[34:35], v[34:35], v[36:37]
	v_mov_b32_e32 v38, v39
	v_mov_b32_e32 v36, v35
	v_pk_add_f32 v[44:45], v[36:37], v[6:7] neg_lo:[0,1] neg_hi:[0,1]
	v_mov_b32_e32 v34, v41
	v_mov_b32_e32 v3, v44
	v_pk_add_f32 v[46:47], v[40:41], v[2:3] neg_lo:[0,1] neg_hi:[0,1]
	v_mov_b32_e32 v40, v7
	v_mov_b32_e32 v41, v44
	;; [unrolled: 1-line block ×3, first 2 shown]
	v_pk_add_f32 v[34:35], v[34:35], v[40:41] neg_lo:[0,1] neg_hi:[0,1]
	v_mov_b32_e32 v39, v6
	v_pk_add_f32 v[6:7], v[38:39], v[34:35] neg_lo:[0,1] neg_hi:[0,1]
	v_mov_b32_e32 v46, v42
	v_pk_add_f32 v[34:35], v[46:47], v[6:7]
	s_mov_b32 s0, 0x7f800000
	v_mov_b32_e32 v38, v35
	v_pk_add_f32 v[38:39], v[34:35], v[38:39]
	v_cmp_eq_f32_e32 vcc, s0, v5
	v_pk_add_f32 v[36:37], v[36:37], v[38:39]
	v_mov_b32_e32 v7, v38
	v_mov_b32_e32 v35, v36
	v_pk_add_f32 v[40:41], v[34:35], v[42:43] neg_lo:[0,1] neg_hi:[0,1]
	s_mov_b32 s0, 0x33800000
	v_sub_f32_e32 v3, v34, v40
	v_pk_add_f32 v[6:7], v[6:7], v[40:41] neg_lo:[0,1] neg_hi:[0,1]
	v_sub_f32_e32 v3, v42, v3
	v_add_f32_e32 v3, v6, v3
	v_add_f32_e32 v3, v3, v7
	v_cmp_gt_f32_e64 s[52:53], s0, v5
	v_add_f32_e32 v3, v36, v3
	s_or_b64 vcc, s[52:53], vcc
	v_cndmask_b32_e32 v71, v3, v5, vcc
.LBB146_87:                             ;   in Loop: Header=BB146_13 Depth=1
	s_or_b64 exec, exec, s[54:55]
	s_waitcnt lgkmcnt(4)
	v_add_f32_e32 v72, s56, v32
	s_mov_b32 s0, 0x41a00000
	v_cmp_ge_f32_e32 vcc, s0, v72
	v_readlane_b32 s0, v95, 24
	v_readlane_b32 s1, v95, 25
	s_and_b64 s[0:1], s[0:1], vcc
	s_and_saveexec_b64 s[54:55], s[0:1]
	s_cbranch_execz .LBB146_89
; %bb.88:                               ;   in Loop: Header=BB146_13 Depth=1
	v_mul_f32_e32 v3, 0x3fb8aa3b, v72
	v_rndne_f32_e32 v5, v3
	s_mov_b32 s0, 0x3fb8aa3b
	v_sub_f32_e32 v6, v3, v5
	v_fma_f32 v3, v72, s0, -v3
	v_fmac_f32_e32 v3, 0x32a5705f, v72
	v_add_f32_e32 v3, v6, v3
	v_cvt_i32_f32_e32 v5, v5
	v_exp_f32_e32 v3, v3
	s_mov_b32 s0, 0xc2ce8ed0
	v_cmp_ngt_f32_e32 vcc, s0, v72
	s_mov_b32 s0, 0x42b17218
	v_ldexp_f32 v3, v3, v5
	v_cndmask_b32_e32 v3, 0, v3, vcc
	v_cmp_nlt_f32_e32 vcc, s0, v72
	v_mov_b32_e32 v5, 0x7f800000
	s_mov_b32 s0, 0x3f2aaaab
	v_cndmask_b32_e32 v5, v5, v3, vcc
	v_add_f32_e32 v3, 1.0, v5
	v_add_f32_e32 v6, -1.0, v3
	v_sub_f32_e32 v7, v6, v3
	v_add_f32_e32 v7, 1.0, v7
	v_sub_f32_e32 v6, v5, v6
	v_add_f32_e32 v32, v6, v7
	v_frexp_mant_f32_e32 v34, v3
	v_cvt_f64_f32_e32 v[6:7], v3
	v_frexp_exp_i32_f64_e32 v6, v[6:7]
	v_cmp_gt_f32_e32 vcc, s0, v34
	s_mov_b32 s0, 0x3f317218
	s_nop 0
	v_subbrev_co_u32_e32 v40, vcc, 0, v6, vcc
	v_sub_u32_e32 v6, 0, v40
	v_ldexp_f32 v3, v3, v6
	v_ldexp_f32 v6, v32, v6
	v_add_f32_e32 v32, -1.0, v3
	v_add_f32_e32 v7, 1.0, v32
	v_sub_f32_e32 v7, v3, v7
	v_add_f32_e32 v34, v6, v7
	v_add_f32_e32 v7, 1.0, v3
	v_add_f32_e32 v35, -1.0, v7
	v_sub_f32_e32 v3, v3, v35
	v_add_f32_e32 v3, v6, v3
	v_add_f32_e32 v41, v7, v3
	v_rcp_f32_e32 v42, v41
	v_sub_f32_e32 v6, v7, v41
	v_add_f32_e32 v7, v32, v34
	v_add_f32_e32 v3, v3, v6
	v_sub_f32_e32 v6, v32, v7
	v_mul_f32_e32 v43, v7, v42
	v_add_f32_e32 v32, v34, v6
	v_mul_f32_e32 v34, v41, v43
	v_fma_f32 v36, v43, v41, -v34
	v_fmac_f32_e32 v36, v43, v3
	v_add_f32_e32 v6, v34, v36
	v_sub_f32_e32 v35, v7, v6
	v_pk_add_f32 v[38:39], v[6:7], v[34:35] neg_lo:[0,1] neg_hi:[0,1]
	v_mov_b32_e32 v37, v6
	v_pk_add_f32 v[6:7], v[38:39], v[36:37] neg_lo:[0,1] neg_hi:[0,1]
	s_nop 0
	v_add_f32_e32 v7, v32, v7
	v_add_f32_e32 v6, v6, v7
	;; [unrolled: 1-line block ×3, first 2 shown]
	v_mul_f32_e32 v32, v42, v7
	v_mul_f32_e32 v34, v41, v32
	v_fma_f32 v36, v32, v41, -v34
	v_fmac_f32_e32 v36, v32, v3
	v_sub_f32_e32 v3, v35, v7
	v_add_f32_e32 v3, v6, v3
	v_add_f32_e32 v6, v34, v36
	v_sub_f32_e32 v35, v7, v6
	v_pk_add_f32 v[38:39], v[6:7], v[34:35] neg_lo:[0,1] neg_hi:[0,1]
	v_mov_b32_e32 v37, v6
	v_pk_add_f32 v[6:7], v[38:39], v[36:37] neg_lo:[0,1] neg_hi:[0,1]
	v_mov_b32_e32 v36, v52
	v_add_f32_e32 v3, v3, v7
	v_add_f32_e32 v3, v6, v3
	;; [unrolled: 1-line block ×4, first 2 shown]
	v_sub_f32_e32 v6, v7, v43
	v_mul_f32_e32 v3, v42, v3
	v_sub_f32_e32 v6, v32, v6
	v_add_f32_e32 v3, v6, v3
	v_add_f32_e32 v32, v7, v3
	v_mul_f32_e32 v34, v32, v32
	v_mov_b32_e32 v6, 0x3ecc95a3
	v_fmamk_f32 v6, v34, 0x3e9b6dac, v6
	v_fmaak_f32 v37, v34, v6, 0x3f2aaada
	v_cvt_f32_i32_e32 v6, v40
	v_sub_f32_e32 v7, v32, v7
	v_sub_f32_e32 v3, v3, v7
	v_mul_f32_e32 v7, v32, v34
	v_pk_mul_f32 v[36:37], v[6:7], v[36:37]
	v_ldexp_f32 v35, v32, 1
	v_fma_f32 v34, v6, s0, -v36
	v_fmac_f32_e32 v34, 0xb102e308, v6
	v_pk_add_f32 v[6:7], v[36:37], v[34:35]
	v_ldexp_f32 v3, v3, 1
	v_sub_f32_e32 v32, v7, v35
	v_sub_f32_e32 v32, v37, v32
	v_add_f32_e32 v39, v3, v32
	v_mov_b32_e32 v38, v36
	v_pk_add_f32 v[36:37], v[6:7], v[36:37] neg_lo:[0,1] neg_hi:[0,1]
	v_pk_add_f32 v[40:41], v[6:7], v[38:39]
	v_mov_b32_e32 v35, v6
	v_mov_b32_e32 v37, v41
	v_pk_add_f32 v[42:43], v[34:35], v[36:37] neg_lo:[0,1] neg_hi:[0,1]
	v_pk_add_f32 v[34:35], v[34:35], v[36:37]
	s_mov_b32 s0, 0x7f800000
	v_mov_b32_e32 v32, v35
	v_pk_add_f32 v[36:37], v[32:33], v[6:7] neg_lo:[0,1] neg_hi:[0,1]
	v_mov_b32_e32 v34, v41
	v_mov_b32_e32 v3, v36
	v_pk_add_f32 v[44:45], v[40:41], v[2:3] neg_lo:[0,1] neg_hi:[0,1]
	v_mov_b32_e32 v40, v7
	v_mov_b32_e32 v41, v36
	v_mov_b32_e32 v43, v35
	v_pk_add_f32 v[34:35], v[34:35], v[40:41] neg_lo:[0,1] neg_hi:[0,1]
	v_mov_b32_e32 v36, v39
	v_mov_b32_e32 v37, v6
	v_pk_add_f32 v[6:7], v[36:37], v[34:35] neg_lo:[0,1] neg_hi:[0,1]
	v_mov_b32_e32 v44, v42
	v_pk_add_f32 v[34:35], v[44:45], v[6:7]
	v_cmp_eq_f32_e32 vcc, s0, v5
	v_mov_b32_e32 v36, v35
	v_pk_add_f32 v[36:37], v[34:35], v[36:37]
	s_mov_b32 s0, 0x33800000
	v_pk_add_f32 v[38:39], v[32:33], v[36:37]
	v_mov_b32_e32 v7, v36
	v_mov_b32_e32 v35, v38
	v_pk_add_f32 v[40:41], v[34:35], v[42:43] neg_lo:[0,1] neg_hi:[0,1]
	v_cmp_gt_f32_e64 s[52:53], s0, v5
	v_sub_f32_e32 v3, v34, v40
	v_pk_add_f32 v[6:7], v[6:7], v[40:41] neg_lo:[0,1] neg_hi:[0,1]
	v_sub_f32_e32 v3, v42, v3
	v_add_f32_e32 v3, v6, v3
	v_add_f32_e32 v3, v3, v7
	;; [unrolled: 1-line block ×3, first 2 shown]
	s_or_b64 vcc, s[52:53], vcc
	v_cndmask_b32_e32 v72, v3, v5, vcc
.LBB146_89:                             ;   in Loop: Header=BB146_13 Depth=1
	s_or_b64 exec, exec, s[54:55]
	v_add_f32_e32 v73, s56, v33
	s_mov_b32 s0, 0x41a00000
	v_cmp_ge_f32_e32 vcc, s0, v73
	v_readlane_b32 s0, v95, 24
	v_readlane_b32 s1, v95, 25
	s_and_b64 s[0:1], s[0:1], vcc
	s_and_saveexec_b64 s[54:55], s[0:1]
	s_cbranch_execz .LBB146_91
; %bb.90:                               ;   in Loop: Header=BB146_13 Depth=1
	v_mul_f32_e32 v3, 0x3fb8aa3b, v73
	v_rndne_f32_e32 v5, v3
	s_mov_b32 s0, 0x3fb8aa3b
	v_sub_f32_e32 v6, v3, v5
	v_fma_f32 v3, v73, s0, -v3
	v_fmac_f32_e32 v3, 0x32a5705f, v73
	v_add_f32_e32 v3, v6, v3
	v_cvt_i32_f32_e32 v5, v5
	v_exp_f32_e32 v3, v3
	s_mov_b32 s0, 0xc2ce8ed0
	v_cmp_ngt_f32_e32 vcc, s0, v73
	s_mov_b32 s0, 0x42b17218
	v_ldexp_f32 v3, v3, v5
	v_cndmask_b32_e32 v3, 0, v3, vcc
	v_cmp_nlt_f32_e32 vcc, s0, v73
	v_mov_b32_e32 v5, 0x7f800000
	s_mov_b32 s0, 0x3f2aaaab
	v_cndmask_b32_e32 v5, v5, v3, vcc
	v_add_f32_e32 v3, 1.0, v5
	v_add_f32_e32 v6, -1.0, v3
	v_sub_f32_e32 v7, v6, v3
	v_add_f32_e32 v7, 1.0, v7
	v_sub_f32_e32 v6, v5, v6
	v_add_f32_e32 v32, v6, v7
	v_frexp_mant_f32_e32 v33, v3
	v_cvt_f64_f32_e32 v[6:7], v3
	v_frexp_exp_i32_f64_e32 v6, v[6:7]
	v_cmp_gt_f32_e32 vcc, s0, v33
	s_mov_b32 s0, 0x3f317218
	s_nop 0
	v_subbrev_co_u32_e32 v38, vcc, 0, v6, vcc
	v_sub_u32_e32 v6, 0, v38
	v_ldexp_f32 v3, v3, v6
	v_ldexp_f32 v6, v32, v6
	v_add_f32_e32 v32, -1.0, v3
	v_add_f32_e32 v7, 1.0, v32
	v_sub_f32_e32 v7, v3, v7
	v_add_f32_e32 v33, v6, v7
	v_add_f32_e32 v7, 1.0, v3
	v_add_f32_e32 v34, -1.0, v7
	v_sub_f32_e32 v3, v3, v34
	v_add_f32_e32 v3, v6, v3
	v_add_f32_e32 v39, v7, v3
	v_rcp_f32_e32 v40, v39
	v_sub_f32_e32 v6, v7, v39
	v_add_f32_e32 v7, v32, v33
	v_add_f32_e32 v3, v3, v6
	v_mul_f32_e32 v42, v7, v40
	v_sub_f32_e32 v6, v32, v7
	v_mul_f32_e32 v32, v39, v42
	v_fma_f32 v34, v42, v39, -v32
	v_fmac_f32_e32 v34, v42, v3
	v_add_f32_e32 v41, v33, v6
	v_add_f32_e32 v6, v32, v34
	v_sub_f32_e32 v33, v7, v6
	v_pk_add_f32 v[36:37], v[6:7], v[32:33] neg_lo:[0,1] neg_hi:[0,1]
	v_mov_b32_e32 v35, v6
	v_pk_add_f32 v[6:7], v[36:37], v[34:35] neg_lo:[0,1] neg_hi:[0,1]
	s_nop 0
	v_add_f32_e32 v7, v41, v7
	v_add_f32_e32 v6, v6, v7
	;; [unrolled: 1-line block ×3, first 2 shown]
	v_mul_f32_e32 v41, v40, v7
	v_mul_f32_e32 v32, v39, v41
	v_fma_f32 v34, v41, v39, -v32
	v_fmac_f32_e32 v34, v41, v3
	v_sub_f32_e32 v3, v33, v7
	v_add_f32_e32 v3, v6, v3
	v_add_f32_e32 v6, v32, v34
	v_sub_f32_e32 v33, v7, v6
	v_pk_add_f32 v[36:37], v[6:7], v[32:33] neg_lo:[0,1] neg_hi:[0,1]
	v_mov_b32_e32 v35, v6
	v_pk_add_f32 v[6:7], v[36:37], v[34:35] neg_lo:[0,1] neg_hi:[0,1]
	v_mov_b32_e32 v36, v52
	v_add_f32_e32 v3, v3, v7
	v_add_f32_e32 v3, v6, v3
	v_add_f32_e32 v7, v42, v41
	v_add_f32_e32 v3, v33, v3
	v_sub_f32_e32 v6, v7, v42
	v_mul_f32_e32 v3, v40, v3
	v_sub_f32_e32 v6, v41, v6
	v_add_f32_e32 v3, v6, v3
	v_add_f32_e32 v32, v7, v3
	v_mul_f32_e32 v34, v32, v32
	v_mov_b32_e32 v6, 0x3ecc95a3
	v_fmamk_f32 v6, v34, 0x3e9b6dac, v6
	v_fmaak_f32 v37, v34, v6, 0x3f2aaada
	v_cvt_f32_i32_e32 v6, v38
	v_sub_f32_e32 v7, v32, v7
	v_sub_f32_e32 v3, v3, v7
	v_mul_f32_e32 v7, v32, v34
	v_pk_mul_f32 v[34:35], v[6:7], v[36:37]
	v_ldexp_f32 v33, v32, 1
	v_fma_f32 v32, v6, s0, -v34
	v_fmac_f32_e32 v32, 0xb102e308, v6
	v_pk_add_f32 v[6:7], v[34:35], v[32:33]
	v_ldexp_f32 v3, v3, 1
	v_sub_f32_e32 v33, v7, v33
	v_sub_f32_e32 v33, v35, v33
	v_add_f32_e32 v37, v3, v33
	v_mov_b32_e32 v36, v34
	v_pk_add_f32 v[34:35], v[6:7], v[34:35] neg_lo:[0,1] neg_hi:[0,1]
	v_pk_add_f32 v[38:39], v[6:7], v[36:37]
	v_mov_b32_e32 v33, v6
	v_mov_b32_e32 v35, v39
	v_pk_add_f32 v[40:41], v[32:33], v[34:35] neg_lo:[0,1] neg_hi:[0,1]
	v_pk_add_f32 v[32:33], v[32:33], v[34:35]
	v_mov_b32_e32 v36, v37
	v_mov_b32_e32 v34, v33
	v_pk_add_f32 v[42:43], v[34:35], v[6:7] neg_lo:[0,1] neg_hi:[0,1]
	v_mov_b32_e32 v32, v39
	v_mov_b32_e32 v3, v42
	v_pk_add_f32 v[44:45], v[38:39], v[2:3] neg_lo:[0,1] neg_hi:[0,1]
	v_mov_b32_e32 v38, v7
	v_mov_b32_e32 v39, v42
	;; [unrolled: 1-line block ×3, first 2 shown]
	v_pk_add_f32 v[32:33], v[32:33], v[38:39] neg_lo:[0,1] neg_hi:[0,1]
	v_mov_b32_e32 v37, v6
	v_pk_add_f32 v[6:7], v[36:37], v[32:33] neg_lo:[0,1] neg_hi:[0,1]
	v_mov_b32_e32 v44, v40
	v_pk_add_f32 v[32:33], v[44:45], v[6:7]
	s_mov_b32 s0, 0x7f800000
	v_mov_b32_e32 v36, v33
	v_pk_add_f32 v[36:37], v[32:33], v[36:37]
	v_cmp_eq_f32_e32 vcc, s0, v5
	v_pk_add_f32 v[34:35], v[34:35], v[36:37]
	v_mov_b32_e32 v7, v36
	v_mov_b32_e32 v33, v34
	v_pk_add_f32 v[38:39], v[32:33], v[40:41] neg_lo:[0,1] neg_hi:[0,1]
	s_mov_b32 s0, 0x33800000
	v_sub_f32_e32 v3, v32, v38
	v_pk_add_f32 v[6:7], v[6:7], v[38:39] neg_lo:[0,1] neg_hi:[0,1]
	v_sub_f32_e32 v3, v40, v3
	v_add_f32_e32 v3, v6, v3
	v_add_f32_e32 v3, v3, v7
	v_cmp_gt_f32_e64 s[52:53], s0, v5
	v_add_f32_e32 v3, v34, v3
	s_or_b64 vcc, s[52:53], vcc
	v_cndmask_b32_e32 v73, v3, v5, vcc
.LBB146_91:                             ;   in Loop: Header=BB146_13 Depth=1
	s_or_b64 exec, exec, s[54:55]
	s_waitcnt lgkmcnt(3)
	v_add_f32_e32 v74, s56, v30
	s_mov_b32 s0, 0x41a00000
	v_cmp_ge_f32_e32 vcc, s0, v74
	v_readlane_b32 s0, v95, 24
	v_readlane_b32 s1, v95, 25
	s_and_b64 s[0:1], s[0:1], vcc
	s_and_saveexec_b64 s[54:55], s[0:1]
	s_cbranch_execz .LBB146_93
; %bb.92:                               ;   in Loop: Header=BB146_13 Depth=1
	v_mul_f32_e32 v3, 0x3fb8aa3b, v74
	v_rndne_f32_e32 v5, v3
	s_mov_b32 s0, 0x3fb8aa3b
	v_sub_f32_e32 v6, v3, v5
	v_fma_f32 v3, v74, s0, -v3
	v_fmac_f32_e32 v3, 0x32a5705f, v74
	v_add_f32_e32 v3, v6, v3
	v_cvt_i32_f32_e32 v5, v5
	v_exp_f32_e32 v3, v3
	s_mov_b32 s0, 0xc2ce8ed0
	v_cmp_ngt_f32_e32 vcc, s0, v74
	s_mov_b32 s0, 0x42b17218
	v_ldexp_f32 v3, v3, v5
	v_cndmask_b32_e32 v3, 0, v3, vcc
	v_cmp_nlt_f32_e32 vcc, s0, v74
	v_mov_b32_e32 v5, 0x7f800000
	s_mov_b32 s0, 0x3f2aaaab
	v_cndmask_b32_e32 v5, v5, v3, vcc
	v_add_f32_e32 v3, 1.0, v5
	v_add_f32_e32 v6, -1.0, v3
	v_sub_f32_e32 v7, v6, v3
	v_add_f32_e32 v7, 1.0, v7
	v_sub_f32_e32 v6, v5, v6
	v_add_f32_e32 v30, v6, v7
	v_frexp_mant_f32_e32 v32, v3
	v_cvt_f64_f32_e32 v[6:7], v3
	v_frexp_exp_i32_f64_e32 v6, v[6:7]
	v_cmp_gt_f32_e32 vcc, s0, v32
	s_mov_b32 s0, 0x3f317218
	s_nop 0
	v_subbrev_co_u32_e32 v38, vcc, 0, v6, vcc
	v_sub_u32_e32 v6, 0, v38
	v_ldexp_f32 v3, v3, v6
	v_ldexp_f32 v6, v30, v6
	v_add_f32_e32 v30, -1.0, v3
	v_add_f32_e32 v7, 1.0, v30
	v_sub_f32_e32 v7, v3, v7
	v_add_f32_e32 v32, v6, v7
	v_add_f32_e32 v7, 1.0, v3
	v_add_f32_e32 v33, -1.0, v7
	v_sub_f32_e32 v3, v3, v33
	v_add_f32_e32 v3, v6, v3
	v_add_f32_e32 v39, v7, v3
	v_rcp_f32_e32 v40, v39
	v_sub_f32_e32 v6, v7, v39
	v_add_f32_e32 v7, v30, v32
	v_add_f32_e32 v3, v3, v6
	v_sub_f32_e32 v6, v30, v7
	v_mul_f32_e32 v41, v7, v40
	v_add_f32_e32 v30, v32, v6
	v_mul_f32_e32 v32, v39, v41
	v_fma_f32 v34, v41, v39, -v32
	v_fmac_f32_e32 v34, v41, v3
	v_add_f32_e32 v6, v32, v34
	v_sub_f32_e32 v33, v7, v6
	v_pk_add_f32 v[36:37], v[6:7], v[32:33] neg_lo:[0,1] neg_hi:[0,1]
	v_mov_b32_e32 v35, v6
	v_pk_add_f32 v[6:7], v[36:37], v[34:35] neg_lo:[0,1] neg_hi:[0,1]
	s_nop 0
	v_add_f32_e32 v7, v30, v7
	v_add_f32_e32 v6, v6, v7
	;; [unrolled: 1-line block ×3, first 2 shown]
	v_mul_f32_e32 v30, v40, v7
	v_mul_f32_e32 v32, v39, v30
	v_fma_f32 v34, v30, v39, -v32
	v_fmac_f32_e32 v34, v30, v3
	v_sub_f32_e32 v3, v33, v7
	v_add_f32_e32 v3, v6, v3
	v_add_f32_e32 v6, v32, v34
	v_sub_f32_e32 v33, v7, v6
	v_pk_add_f32 v[36:37], v[6:7], v[32:33] neg_lo:[0,1] neg_hi:[0,1]
	v_mov_b32_e32 v35, v6
	v_pk_add_f32 v[6:7], v[36:37], v[34:35] neg_lo:[0,1] neg_hi:[0,1]
	v_mov_b32_e32 v34, v52
	v_add_f32_e32 v3, v3, v7
	v_add_f32_e32 v3, v6, v3
	;; [unrolled: 1-line block ×4, first 2 shown]
	v_sub_f32_e32 v6, v7, v41
	v_mul_f32_e32 v3, v40, v3
	v_sub_f32_e32 v6, v30, v6
	v_add_f32_e32 v3, v6, v3
	v_add_f32_e32 v30, v7, v3
	v_mul_f32_e32 v32, v30, v30
	v_mov_b32_e32 v6, 0x3ecc95a3
	v_fmamk_f32 v6, v32, 0x3e9b6dac, v6
	v_fmaak_f32 v35, v32, v6, 0x3f2aaada
	v_cvt_f32_i32_e32 v6, v38
	v_sub_f32_e32 v7, v30, v7
	v_sub_f32_e32 v3, v3, v7
	v_mul_f32_e32 v7, v30, v32
	v_pk_mul_f32 v[34:35], v[6:7], v[34:35]
	v_ldexp_f32 v33, v30, 1
	v_fma_f32 v32, v6, s0, -v34
	v_fmac_f32_e32 v32, 0xb102e308, v6
	v_pk_add_f32 v[6:7], v[34:35], v[32:33]
	v_ldexp_f32 v3, v3, 1
	v_sub_f32_e32 v30, v7, v33
	v_sub_f32_e32 v30, v35, v30
	v_add_f32_e32 v37, v3, v30
	v_mov_b32_e32 v36, v34
	v_pk_add_f32 v[34:35], v[6:7], v[34:35] neg_lo:[0,1] neg_hi:[0,1]
	v_pk_add_f32 v[38:39], v[6:7], v[36:37]
	v_mov_b32_e32 v33, v6
	v_mov_b32_e32 v35, v39
	v_pk_add_f32 v[40:41], v[32:33], v[34:35] neg_lo:[0,1] neg_hi:[0,1]
	v_pk_add_f32 v[32:33], v[32:33], v[34:35]
	s_mov_b32 s0, 0x7f800000
	v_mov_b32_e32 v30, v33
	v_pk_add_f32 v[34:35], v[30:31], v[6:7] neg_lo:[0,1] neg_hi:[0,1]
	v_mov_b32_e32 v32, v39
	v_mov_b32_e32 v3, v34
	v_pk_add_f32 v[42:43], v[38:39], v[2:3] neg_lo:[0,1] neg_hi:[0,1]
	v_mov_b32_e32 v38, v7
	v_mov_b32_e32 v39, v34
	;; [unrolled: 1-line block ×3, first 2 shown]
	v_pk_add_f32 v[32:33], v[32:33], v[38:39] neg_lo:[0,1] neg_hi:[0,1]
	v_mov_b32_e32 v34, v37
	v_mov_b32_e32 v35, v6
	v_pk_add_f32 v[6:7], v[34:35], v[32:33] neg_lo:[0,1] neg_hi:[0,1]
	v_mov_b32_e32 v42, v40
	v_pk_add_f32 v[32:33], v[42:43], v[6:7]
	v_cmp_eq_f32_e32 vcc, s0, v5
	v_mov_b32_e32 v34, v33
	v_pk_add_f32 v[34:35], v[32:33], v[34:35]
	s_mov_b32 s0, 0x33800000
	v_pk_add_f32 v[36:37], v[30:31], v[34:35]
	v_mov_b32_e32 v7, v34
	v_mov_b32_e32 v33, v36
	v_pk_add_f32 v[38:39], v[32:33], v[40:41] neg_lo:[0,1] neg_hi:[0,1]
	v_cmp_gt_f32_e64 s[52:53], s0, v5
	v_sub_f32_e32 v3, v32, v38
	v_pk_add_f32 v[6:7], v[6:7], v[38:39] neg_lo:[0,1] neg_hi:[0,1]
	v_sub_f32_e32 v3, v40, v3
	v_add_f32_e32 v3, v6, v3
	v_add_f32_e32 v3, v3, v7
	;; [unrolled: 1-line block ×3, first 2 shown]
	s_or_b64 vcc, s[52:53], vcc
	v_cndmask_b32_e32 v74, v3, v5, vcc
.LBB146_93:                             ;   in Loop: Header=BB146_13 Depth=1
	s_or_b64 exec, exec, s[54:55]
	v_add_f32_e32 v75, s56, v31
	s_mov_b32 s0, 0x41a00000
	v_cmp_ge_f32_e32 vcc, s0, v75
	v_readlane_b32 s0, v95, 24
	v_readlane_b32 s1, v95, 25
	s_and_b64 s[0:1], s[0:1], vcc
	s_mov_b64 s[54:55], exec
	s_and_b64 s[0:1], s[54:55], s[0:1]
	v_mov_b32_e32 v42, v52
	s_mov_b64 exec, s[0:1]
	s_cbranch_execz .LBB146_95
; %bb.94:                               ;   in Loop: Header=BB146_13 Depth=1
	v_mul_f32_e32 v3, 0x3fb8aa3b, v75
	v_rndne_f32_e32 v5, v3
	s_mov_b32 s0, 0x3fb8aa3b
	v_sub_f32_e32 v6, v3, v5
	v_fma_f32 v3, v75, s0, -v3
	v_fmac_f32_e32 v3, 0x32a5705f, v75
	v_add_f32_e32 v3, v6, v3
	v_cvt_i32_f32_e32 v5, v5
	v_exp_f32_e32 v3, v3
	s_mov_b32 s0, 0xc2ce8ed0
	v_cmp_ngt_f32_e32 vcc, s0, v75
	s_mov_b32 s0, 0x42b17218
	v_ldexp_f32 v3, v3, v5
	v_cndmask_b32_e32 v3, 0, v3, vcc
	v_cmp_nlt_f32_e32 vcc, s0, v75
	v_mov_b32_e32 v5, 0x7f800000
	s_mov_b32 s0, 0x3f2aaaab
	v_cndmask_b32_e32 v5, v5, v3, vcc
	v_add_f32_e32 v3, 1.0, v5
	v_add_f32_e32 v6, -1.0, v3
	v_sub_f32_e32 v7, v6, v3
	v_add_f32_e32 v7, 1.0, v7
	v_sub_f32_e32 v6, v5, v6
	v_add_f32_e32 v30, v6, v7
	v_frexp_mant_f32_e32 v31, v3
	v_cvt_f64_f32_e32 v[6:7], v3
	v_frexp_exp_i32_f64_e32 v6, v[6:7]
	v_cmp_gt_f32_e32 vcc, s0, v31
	s_mov_b32 s0, 0x3f317218
	v_mov_b32_e32 v44, v42
	v_subbrev_co_u32_e32 v36, vcc, 0, v6, vcc
	v_sub_u32_e32 v6, 0, v36
	v_ldexp_f32 v3, v3, v6
	v_ldexp_f32 v6, v30, v6
	v_add_f32_e32 v30, -1.0, v3
	v_add_f32_e32 v7, 1.0, v30
	v_sub_f32_e32 v7, v3, v7
	v_add_f32_e32 v31, v6, v7
	v_add_f32_e32 v7, 1.0, v3
	v_add_f32_e32 v32, -1.0, v7
	v_sub_f32_e32 v3, v3, v32
	v_add_f32_e32 v3, v6, v3
	v_add_f32_e32 v37, v7, v3
	v_rcp_f32_e32 v38, v37
	v_sub_f32_e32 v6, v7, v37
	v_add_f32_e32 v7, v30, v31
	v_add_f32_e32 v3, v3, v6
	v_mul_f32_e32 v40, v7, v38
	v_sub_f32_e32 v6, v30, v7
	v_mul_f32_e32 v30, v37, v40
	v_fma_f32 v32, v40, v37, -v30
	v_fmac_f32_e32 v32, v40, v3
	v_add_f32_e32 v39, v31, v6
	v_add_f32_e32 v6, v30, v32
	v_sub_f32_e32 v31, v7, v6
	v_pk_add_f32 v[34:35], v[6:7], v[30:31] neg_lo:[0,1] neg_hi:[0,1]
	v_mov_b32_e32 v33, v6
	v_pk_add_f32 v[6:7], v[34:35], v[32:33] neg_lo:[0,1] neg_hi:[0,1]
	s_nop 0
	v_add_f32_e32 v7, v39, v7
	v_add_f32_e32 v6, v6, v7
	;; [unrolled: 1-line block ×3, first 2 shown]
	v_mul_f32_e32 v39, v38, v7
	v_mul_f32_e32 v30, v37, v39
	v_fma_f32 v32, v39, v37, -v30
	v_fmac_f32_e32 v32, v39, v3
	v_sub_f32_e32 v3, v31, v7
	v_add_f32_e32 v3, v6, v3
	v_add_f32_e32 v6, v30, v32
	v_sub_f32_e32 v31, v7, v6
	v_pk_add_f32 v[34:35], v[6:7], v[30:31] neg_lo:[0,1] neg_hi:[0,1]
	v_mov_b32_e32 v33, v6
	v_pk_add_f32 v[6:7], v[34:35], v[32:33] neg_lo:[0,1] neg_hi:[0,1]
	s_nop 0
	v_add_f32_e32 v3, v3, v7
	v_add_f32_e32 v3, v6, v3
	;; [unrolled: 1-line block ×4, first 2 shown]
	v_sub_f32_e32 v6, v7, v40
	v_mul_f32_e32 v3, v38, v3
	v_sub_f32_e32 v6, v39, v6
	v_add_f32_e32 v3, v6, v3
	v_add_f32_e32 v30, v7, v3
	v_mul_f32_e32 v32, v30, v30
	v_mov_b32_e32 v6, 0x3ecc95a3
	v_fmamk_f32 v6, v32, 0x3e9b6dac, v6
	v_fmaak_f32 v43, v32, v6, 0x3f2aaada
	v_cvt_f32_i32_e32 v6, v36
	v_sub_f32_e32 v7, v30, v7
	v_sub_f32_e32 v3, v3, v7
	v_mul_f32_e32 v7, v30, v32
	v_pk_mul_f32 v[32:33], v[6:7], v[42:43]
	v_ldexp_f32 v31, v30, 1
	v_fma_f32 v30, v6, s0, -v32
	v_fmac_f32_e32 v30, 0xb102e308, v6
	v_pk_add_f32 v[6:7], v[32:33], v[30:31]
	v_ldexp_f32 v3, v3, 1
	v_sub_f32_e32 v31, v7, v31
	v_sub_f32_e32 v31, v33, v31
	v_add_f32_e32 v35, v3, v31
	v_mov_b32_e32 v34, v32
	v_pk_add_f32 v[32:33], v[6:7], v[32:33] neg_lo:[0,1] neg_hi:[0,1]
	v_pk_add_f32 v[36:37], v[6:7], v[34:35]
	v_mov_b32_e32 v31, v6
	v_mov_b32_e32 v33, v37
	v_pk_add_f32 v[38:39], v[30:31], v[32:33] neg_lo:[0,1] neg_hi:[0,1]
	v_pk_add_f32 v[30:31], v[30:31], v[32:33]
	v_mov_b32_e32 v34, v35
	v_mov_b32_e32 v32, v31
	v_pk_add_f32 v[40:41], v[32:33], v[6:7] neg_lo:[0,1] neg_hi:[0,1]
	v_mov_b32_e32 v30, v37
	v_mov_b32_e32 v3, v40
	v_pk_add_f32 v[42:43], v[36:37], v[2:3] neg_lo:[0,1] neg_hi:[0,1]
	v_mov_b32_e32 v36, v7
	v_mov_b32_e32 v37, v40
	;; [unrolled: 1-line block ×3, first 2 shown]
	v_pk_add_f32 v[30:31], v[30:31], v[36:37] neg_lo:[0,1] neg_hi:[0,1]
	v_mov_b32_e32 v35, v6
	v_pk_add_f32 v[6:7], v[34:35], v[30:31] neg_lo:[0,1] neg_hi:[0,1]
	v_mov_b32_e32 v42, v38
	v_pk_add_f32 v[30:31], v[42:43], v[6:7]
	s_mov_b32 s0, 0x7f800000
	v_mov_b32_e32 v34, v31
	v_pk_add_f32 v[34:35], v[30:31], v[34:35]
	v_cmp_eq_f32_e32 vcc, s0, v5
	v_pk_add_f32 v[32:33], v[32:33], v[34:35]
	v_mov_b32_e32 v7, v34
	v_mov_b32_e32 v31, v32
	v_pk_add_f32 v[36:37], v[30:31], v[38:39] neg_lo:[0,1] neg_hi:[0,1]
	s_mov_b32 s0, 0x33800000
	v_sub_f32_e32 v3, v30, v36
	v_pk_add_f32 v[6:7], v[6:7], v[36:37] neg_lo:[0,1] neg_hi:[0,1]
	v_sub_f32_e32 v3, v38, v3
	v_add_f32_e32 v3, v6, v3
	v_add_f32_e32 v3, v3, v7
	v_cmp_gt_f32_e64 s[52:53], s0, v5
	v_add_f32_e32 v3, v32, v3
	s_or_b64 vcc, s[52:53], vcc
	v_mov_b32_e32 v42, v44
	v_cndmask_b32_e32 v75, v3, v5, vcc
.LBB146_95:                             ;   in Loop: Header=BB146_13 Depth=1
	s_or_b64 exec, exec, s[54:55]
	s_waitcnt lgkmcnt(2)
	v_add_f32_e32 v76, s56, v28
	s_mov_b32 s0, 0x41a00000
	v_cmp_ge_f32_e32 vcc, s0, v76
	v_readlane_b32 s0, v95, 24
	v_readlane_b32 s1, v95, 25
	s_and_b64 s[0:1], s[0:1], vcc
	s_and_saveexec_b64 s[54:55], s[0:1]
	s_cbranch_execz .LBB146_97
; %bb.96:                               ;   in Loop: Header=BB146_13 Depth=1
	v_mul_f32_e32 v3, 0x3fb8aa3b, v76
	v_rndne_f32_e32 v5, v3
	s_mov_b32 s0, 0x3fb8aa3b
	v_sub_f32_e32 v6, v3, v5
	v_fma_f32 v3, v76, s0, -v3
	v_fmac_f32_e32 v3, 0x32a5705f, v76
	v_add_f32_e32 v3, v6, v3
	v_cvt_i32_f32_e32 v5, v5
	v_exp_f32_e32 v3, v3
	s_mov_b32 s0, 0xc2ce8ed0
	v_cmp_ngt_f32_e32 vcc, s0, v76
	s_mov_b32 s0, 0x42b17218
	v_ldexp_f32 v3, v3, v5
	v_cndmask_b32_e32 v3, 0, v3, vcc
	v_cmp_nlt_f32_e32 vcc, s0, v76
	v_mov_b32_e32 v5, 0x7f800000
	s_mov_b32 s0, 0x3f2aaaab
	v_cndmask_b32_e32 v5, v5, v3, vcc
	v_add_f32_e32 v3, 1.0, v5
	v_add_f32_e32 v6, -1.0, v3
	v_sub_f32_e32 v7, v6, v3
	v_add_f32_e32 v7, 1.0, v7
	v_sub_f32_e32 v6, v5, v6
	v_add_f32_e32 v28, v6, v7
	v_frexp_mant_f32_e32 v30, v3
	v_cvt_f64_f32_e32 v[6:7], v3
	v_frexp_exp_i32_f64_e32 v6, v[6:7]
	v_cmp_gt_f32_e32 vcc, s0, v30
	s_mov_b32 s0, 0x3f317218
	s_nop 0
	v_subbrev_co_u32_e32 v36, vcc, 0, v6, vcc
	v_sub_u32_e32 v6, 0, v36
	v_ldexp_f32 v3, v3, v6
	v_ldexp_f32 v6, v28, v6
	v_add_f32_e32 v28, -1.0, v3
	v_add_f32_e32 v7, 1.0, v28
	v_sub_f32_e32 v7, v3, v7
	v_add_f32_e32 v30, v6, v7
	v_add_f32_e32 v7, 1.0, v3
	v_add_f32_e32 v31, -1.0, v7
	v_sub_f32_e32 v3, v3, v31
	v_add_f32_e32 v3, v6, v3
	v_add_f32_e32 v37, v7, v3
	v_rcp_f32_e32 v38, v37
	v_sub_f32_e32 v6, v7, v37
	v_add_f32_e32 v7, v28, v30
	v_add_f32_e32 v3, v3, v6
	v_sub_f32_e32 v6, v28, v7
	v_mul_f32_e32 v39, v7, v38
	v_add_f32_e32 v28, v30, v6
	v_mul_f32_e32 v30, v37, v39
	v_fma_f32 v32, v39, v37, -v30
	v_fmac_f32_e32 v32, v39, v3
	v_add_f32_e32 v6, v30, v32
	v_sub_f32_e32 v31, v7, v6
	v_pk_add_f32 v[34:35], v[6:7], v[30:31] neg_lo:[0,1] neg_hi:[0,1]
	v_mov_b32_e32 v33, v6
	v_pk_add_f32 v[6:7], v[34:35], v[32:33] neg_lo:[0,1] neg_hi:[0,1]
	s_nop 0
	v_add_f32_e32 v7, v28, v7
	v_add_f32_e32 v6, v6, v7
	;; [unrolled: 1-line block ×3, first 2 shown]
	v_mul_f32_e32 v28, v38, v7
	v_mul_f32_e32 v30, v37, v28
	v_fma_f32 v32, v28, v37, -v30
	v_fmac_f32_e32 v32, v28, v3
	v_sub_f32_e32 v3, v31, v7
	v_add_f32_e32 v3, v6, v3
	v_add_f32_e32 v6, v30, v32
	v_sub_f32_e32 v31, v7, v6
	v_pk_add_f32 v[34:35], v[6:7], v[30:31] neg_lo:[0,1] neg_hi:[0,1]
	v_mov_b32_e32 v33, v6
	v_pk_add_f32 v[6:7], v[34:35], v[32:33] neg_lo:[0,1] neg_hi:[0,1]
	s_nop 0
	v_add_f32_e32 v3, v3, v7
	v_add_f32_e32 v3, v6, v3
	;; [unrolled: 1-line block ×4, first 2 shown]
	v_sub_f32_e32 v6, v7, v39
	v_mul_f32_e32 v3, v38, v3
	v_sub_f32_e32 v6, v28, v6
	v_add_f32_e32 v3, v6, v3
	v_add_f32_e32 v28, v7, v3
	v_mul_f32_e32 v30, v28, v28
	v_mov_b32_e32 v6, 0x3ecc95a3
	v_fmamk_f32 v6, v30, 0x3e9b6dac, v6
	v_fmaak_f32 v43, v30, v6, 0x3f2aaada
	v_cvt_f32_i32_e32 v6, v36
	v_sub_f32_e32 v7, v28, v7
	v_sub_f32_e32 v3, v3, v7
	v_mul_f32_e32 v7, v28, v30
	v_pk_mul_f32 v[32:33], v[6:7], v[42:43]
	v_ldexp_f32 v31, v28, 1
	v_fma_f32 v30, v6, s0, -v32
	v_fmac_f32_e32 v30, 0xb102e308, v6
	v_pk_add_f32 v[6:7], v[32:33], v[30:31]
	v_ldexp_f32 v3, v3, 1
	v_sub_f32_e32 v28, v7, v31
	v_sub_f32_e32 v28, v33, v28
	v_add_f32_e32 v35, v3, v28
	v_mov_b32_e32 v34, v32
	v_pk_add_f32 v[32:33], v[6:7], v[32:33] neg_lo:[0,1] neg_hi:[0,1]
	v_pk_add_f32 v[36:37], v[6:7], v[34:35]
	v_mov_b32_e32 v31, v6
	v_mov_b32_e32 v33, v37
	v_pk_add_f32 v[38:39], v[30:31], v[32:33] neg_lo:[0,1] neg_hi:[0,1]
	v_pk_add_f32 v[30:31], v[30:31], v[32:33]
	s_mov_b32 s0, 0x7f800000
	v_mov_b32_e32 v28, v31
	v_pk_add_f32 v[32:33], v[28:29], v[6:7] neg_lo:[0,1] neg_hi:[0,1]
	v_mov_b32_e32 v30, v37
	v_mov_b32_e32 v3, v32
	v_pk_add_f32 v[40:41], v[36:37], v[2:3] neg_lo:[0,1] neg_hi:[0,1]
	v_mov_b32_e32 v36, v7
	v_mov_b32_e32 v37, v32
	;; [unrolled: 1-line block ×3, first 2 shown]
	v_pk_add_f32 v[30:31], v[30:31], v[36:37] neg_lo:[0,1] neg_hi:[0,1]
	v_mov_b32_e32 v32, v35
	v_mov_b32_e32 v33, v6
	v_pk_add_f32 v[6:7], v[32:33], v[30:31] neg_lo:[0,1] neg_hi:[0,1]
	v_mov_b32_e32 v40, v38
	v_pk_add_f32 v[30:31], v[40:41], v[6:7]
	v_cmp_eq_f32_e32 vcc, s0, v5
	v_mov_b32_e32 v32, v31
	v_pk_add_f32 v[32:33], v[30:31], v[32:33]
	s_mov_b32 s0, 0x33800000
	v_pk_add_f32 v[34:35], v[28:29], v[32:33]
	v_mov_b32_e32 v7, v32
	v_mov_b32_e32 v31, v34
	v_pk_add_f32 v[36:37], v[30:31], v[38:39] neg_lo:[0,1] neg_hi:[0,1]
	v_cmp_gt_f32_e64 s[52:53], s0, v5
	v_sub_f32_e32 v3, v30, v36
	v_pk_add_f32 v[6:7], v[6:7], v[36:37] neg_lo:[0,1] neg_hi:[0,1]
	v_sub_f32_e32 v3, v38, v3
	v_add_f32_e32 v3, v6, v3
	v_add_f32_e32 v3, v3, v7
	;; [unrolled: 1-line block ×3, first 2 shown]
	s_or_b64 vcc, s[52:53], vcc
	v_cndmask_b32_e32 v76, v3, v5, vcc
.LBB146_97:                             ;   in Loop: Header=BB146_13 Depth=1
	s_or_b64 exec, exec, s[54:55]
	v_add_f32_e32 v77, s56, v29
	s_mov_b32 s0, 0x41a00000
	v_cmp_ge_f32_e32 vcc, s0, v77
	v_readlane_b32 s0, v95, 24
	v_readlane_b32 s1, v95, 25
	s_and_b64 s[0:1], s[0:1], vcc
	s_and_saveexec_b64 s[54:55], s[0:1]
	s_cbranch_execz .LBB146_99
; %bb.98:                               ;   in Loop: Header=BB146_13 Depth=1
	v_mul_f32_e32 v3, 0x3fb8aa3b, v77
	v_rndne_f32_e32 v5, v3
	s_mov_b32 s0, 0x3fb8aa3b
	v_sub_f32_e32 v6, v3, v5
	v_fma_f32 v3, v77, s0, -v3
	v_fmac_f32_e32 v3, 0x32a5705f, v77
	v_add_f32_e32 v3, v6, v3
	v_cvt_i32_f32_e32 v5, v5
	v_exp_f32_e32 v3, v3
	s_mov_b32 s0, 0xc2ce8ed0
	v_cmp_ngt_f32_e32 vcc, s0, v77
	s_mov_b32 s0, 0x42b17218
	v_ldexp_f32 v3, v3, v5
	v_cndmask_b32_e32 v3, 0, v3, vcc
	v_cmp_nlt_f32_e32 vcc, s0, v77
	v_mov_b32_e32 v5, 0x7f800000
	s_mov_b32 s0, 0x3f2aaaab
	v_cndmask_b32_e32 v5, v5, v3, vcc
	v_add_f32_e32 v3, 1.0, v5
	v_add_f32_e32 v6, -1.0, v3
	v_sub_f32_e32 v7, v6, v3
	v_add_f32_e32 v7, 1.0, v7
	v_sub_f32_e32 v6, v5, v6
	v_add_f32_e32 v28, v6, v7
	v_frexp_mant_f32_e32 v29, v3
	v_cvt_f64_f32_e32 v[6:7], v3
	v_frexp_exp_i32_f64_e32 v6, v[6:7]
	v_cmp_gt_f32_e32 vcc, s0, v29
	s_mov_b32 s0, 0x3f317218
	s_nop 0
	v_subbrev_co_u32_e32 v34, vcc, 0, v6, vcc
	v_sub_u32_e32 v6, 0, v34
	v_ldexp_f32 v3, v3, v6
	v_ldexp_f32 v6, v28, v6
	v_add_f32_e32 v28, -1.0, v3
	v_add_f32_e32 v7, 1.0, v28
	v_sub_f32_e32 v7, v3, v7
	v_add_f32_e32 v29, v6, v7
	v_add_f32_e32 v7, 1.0, v3
	v_add_f32_e32 v30, -1.0, v7
	v_sub_f32_e32 v3, v3, v30
	v_add_f32_e32 v3, v6, v3
	v_add_f32_e32 v35, v7, v3
	v_rcp_f32_e32 v36, v35
	v_sub_f32_e32 v6, v7, v35
	v_add_f32_e32 v7, v28, v29
	v_add_f32_e32 v3, v3, v6
	v_mul_f32_e32 v38, v7, v36
	v_sub_f32_e32 v6, v28, v7
	v_mul_f32_e32 v28, v35, v38
	v_fma_f32 v30, v38, v35, -v28
	v_fmac_f32_e32 v30, v38, v3
	v_add_f32_e32 v37, v29, v6
	v_add_f32_e32 v6, v28, v30
	v_sub_f32_e32 v29, v7, v6
	v_pk_add_f32 v[32:33], v[6:7], v[28:29] neg_lo:[0,1] neg_hi:[0,1]
	v_mov_b32_e32 v31, v6
	v_pk_add_f32 v[6:7], v[32:33], v[30:31] neg_lo:[0,1] neg_hi:[0,1]
	s_nop 0
	v_add_f32_e32 v7, v37, v7
	v_add_f32_e32 v6, v6, v7
	;; [unrolled: 1-line block ×3, first 2 shown]
	v_mul_f32_e32 v37, v36, v7
	v_mul_f32_e32 v28, v35, v37
	v_fma_f32 v30, v37, v35, -v28
	v_fmac_f32_e32 v30, v37, v3
	v_sub_f32_e32 v3, v29, v7
	v_add_f32_e32 v3, v6, v3
	v_add_f32_e32 v6, v28, v30
	v_sub_f32_e32 v29, v7, v6
	v_pk_add_f32 v[32:33], v[6:7], v[28:29] neg_lo:[0,1] neg_hi:[0,1]
	v_mov_b32_e32 v31, v6
	v_pk_add_f32 v[6:7], v[32:33], v[30:31] neg_lo:[0,1] neg_hi:[0,1]
	s_nop 0
	v_add_f32_e32 v3, v3, v7
	v_add_f32_e32 v3, v6, v3
	;; [unrolled: 1-line block ×4, first 2 shown]
	v_sub_f32_e32 v6, v7, v38
	v_mul_f32_e32 v3, v36, v3
	v_sub_f32_e32 v6, v37, v6
	v_add_f32_e32 v3, v6, v3
	v_add_f32_e32 v28, v7, v3
	v_mul_f32_e32 v30, v28, v28
	v_mov_b32_e32 v6, 0x3ecc95a3
	v_fmamk_f32 v6, v30, 0x3e9b6dac, v6
	v_fmaak_f32 v43, v30, v6, 0x3f2aaada
	v_cvt_f32_i32_e32 v6, v34
	v_sub_f32_e32 v7, v28, v7
	v_sub_f32_e32 v3, v3, v7
	v_mul_f32_e32 v7, v28, v30
	v_pk_mul_f32 v[30:31], v[6:7], v[42:43]
	v_ldexp_f32 v29, v28, 1
	v_fma_f32 v28, v6, s0, -v30
	v_fmac_f32_e32 v28, 0xb102e308, v6
	v_pk_add_f32 v[6:7], v[30:31], v[28:29]
	v_ldexp_f32 v3, v3, 1
	v_sub_f32_e32 v29, v7, v29
	v_sub_f32_e32 v29, v31, v29
	v_add_f32_e32 v33, v3, v29
	v_mov_b32_e32 v32, v30
	v_pk_add_f32 v[30:31], v[6:7], v[30:31] neg_lo:[0,1] neg_hi:[0,1]
	v_pk_add_f32 v[34:35], v[6:7], v[32:33]
	v_mov_b32_e32 v29, v6
	v_mov_b32_e32 v31, v35
	v_pk_add_f32 v[36:37], v[28:29], v[30:31] neg_lo:[0,1] neg_hi:[0,1]
	v_pk_add_f32 v[28:29], v[28:29], v[30:31]
	v_mov_b32_e32 v32, v33
	v_mov_b32_e32 v30, v29
	v_pk_add_f32 v[38:39], v[30:31], v[6:7] neg_lo:[0,1] neg_hi:[0,1]
	v_mov_b32_e32 v28, v35
	v_mov_b32_e32 v3, v38
	v_pk_add_f32 v[40:41], v[34:35], v[2:3] neg_lo:[0,1] neg_hi:[0,1]
	v_mov_b32_e32 v34, v7
	v_mov_b32_e32 v35, v38
	;; [unrolled: 1-line block ×3, first 2 shown]
	v_pk_add_f32 v[28:29], v[28:29], v[34:35] neg_lo:[0,1] neg_hi:[0,1]
	v_mov_b32_e32 v33, v6
	v_pk_add_f32 v[6:7], v[32:33], v[28:29] neg_lo:[0,1] neg_hi:[0,1]
	v_mov_b32_e32 v40, v36
	v_pk_add_f32 v[28:29], v[40:41], v[6:7]
	s_mov_b32 s0, 0x7f800000
	v_mov_b32_e32 v32, v29
	v_pk_add_f32 v[32:33], v[28:29], v[32:33]
	v_cmp_eq_f32_e32 vcc, s0, v5
	v_pk_add_f32 v[30:31], v[30:31], v[32:33]
	v_mov_b32_e32 v7, v32
	v_mov_b32_e32 v29, v30
	v_pk_add_f32 v[34:35], v[28:29], v[36:37] neg_lo:[0,1] neg_hi:[0,1]
	s_mov_b32 s0, 0x33800000
	v_sub_f32_e32 v3, v28, v34
	v_pk_add_f32 v[6:7], v[6:7], v[34:35] neg_lo:[0,1] neg_hi:[0,1]
	v_sub_f32_e32 v3, v36, v3
	v_add_f32_e32 v3, v6, v3
	v_add_f32_e32 v3, v3, v7
	v_cmp_gt_f32_e64 s[52:53], s0, v5
	v_add_f32_e32 v3, v30, v3
	s_or_b64 vcc, s[52:53], vcc
	v_cndmask_b32_e32 v77, v3, v5, vcc
.LBB146_99:                             ;   in Loop: Header=BB146_13 Depth=1
	s_or_b64 exec, exec, s[54:55]
	s_waitcnt lgkmcnt(1)
	v_add_f32_e32 v78, s56, v26
	s_mov_b32 s0, 0x41a00000
	v_cmp_ge_f32_e32 vcc, s0, v78
	v_readlane_b32 s0, v95, 24
	v_readlane_b32 s1, v95, 25
	s_and_b64 s[0:1], s[0:1], vcc
	s_and_saveexec_b64 s[54:55], s[0:1]
	s_cbranch_execz .LBB146_101
; %bb.100:                              ;   in Loop: Header=BB146_13 Depth=1
	v_mul_f32_e32 v3, 0x3fb8aa3b, v78
	v_rndne_f32_e32 v5, v3
	s_mov_b32 s0, 0x3fb8aa3b
	v_sub_f32_e32 v6, v3, v5
	v_fma_f32 v3, v78, s0, -v3
	v_fmac_f32_e32 v3, 0x32a5705f, v78
	v_add_f32_e32 v3, v6, v3
	v_cvt_i32_f32_e32 v5, v5
	v_exp_f32_e32 v3, v3
	s_mov_b32 s0, 0xc2ce8ed0
	v_cmp_ngt_f32_e32 vcc, s0, v78
	s_mov_b32 s0, 0x42b17218
	v_ldexp_f32 v3, v3, v5
	v_cndmask_b32_e32 v3, 0, v3, vcc
	v_cmp_nlt_f32_e32 vcc, s0, v78
	v_mov_b32_e32 v5, 0x7f800000
	s_mov_b32 s0, 0x3f2aaaab
	v_cndmask_b32_e32 v5, v5, v3, vcc
	v_add_f32_e32 v3, 1.0, v5
	v_add_f32_e32 v6, -1.0, v3
	v_sub_f32_e32 v7, v6, v3
	v_add_f32_e32 v7, 1.0, v7
	v_sub_f32_e32 v6, v5, v6
	v_add_f32_e32 v26, v6, v7
	v_frexp_mant_f32_e32 v28, v3
	v_cvt_f64_f32_e32 v[6:7], v3
	v_frexp_exp_i32_f64_e32 v6, v[6:7]
	v_cmp_gt_f32_e32 vcc, s0, v28
	s_mov_b32 s0, 0x3f317218
	s_nop 0
	v_subbrev_co_u32_e32 v34, vcc, 0, v6, vcc
	v_sub_u32_e32 v6, 0, v34
	v_ldexp_f32 v3, v3, v6
	v_ldexp_f32 v6, v26, v6
	v_add_f32_e32 v26, -1.0, v3
	v_add_f32_e32 v7, 1.0, v26
	v_sub_f32_e32 v7, v3, v7
	v_add_f32_e32 v28, v6, v7
	v_add_f32_e32 v7, 1.0, v3
	v_add_f32_e32 v29, -1.0, v7
	v_sub_f32_e32 v3, v3, v29
	v_add_f32_e32 v3, v6, v3
	v_add_f32_e32 v35, v7, v3
	v_rcp_f32_e32 v36, v35
	v_sub_f32_e32 v6, v7, v35
	v_add_f32_e32 v7, v26, v28
	v_add_f32_e32 v3, v3, v6
	v_sub_f32_e32 v6, v26, v7
	v_mul_f32_e32 v37, v7, v36
	v_add_f32_e32 v26, v28, v6
	v_mul_f32_e32 v28, v35, v37
	v_fma_f32 v30, v37, v35, -v28
	v_fmac_f32_e32 v30, v37, v3
	v_add_f32_e32 v6, v28, v30
	v_sub_f32_e32 v29, v7, v6
	v_pk_add_f32 v[32:33], v[6:7], v[28:29] neg_lo:[0,1] neg_hi:[0,1]
	v_mov_b32_e32 v31, v6
	v_pk_add_f32 v[6:7], v[32:33], v[30:31] neg_lo:[0,1] neg_hi:[0,1]
	s_nop 0
	v_add_f32_e32 v7, v26, v7
	v_add_f32_e32 v6, v6, v7
	;; [unrolled: 1-line block ×3, first 2 shown]
	v_mul_f32_e32 v26, v36, v7
	v_mul_f32_e32 v28, v35, v26
	v_fma_f32 v30, v26, v35, -v28
	v_fmac_f32_e32 v30, v26, v3
	v_sub_f32_e32 v3, v29, v7
	v_add_f32_e32 v3, v6, v3
	v_add_f32_e32 v6, v28, v30
	v_sub_f32_e32 v29, v7, v6
	v_pk_add_f32 v[32:33], v[6:7], v[28:29] neg_lo:[0,1] neg_hi:[0,1]
	v_mov_b32_e32 v31, v6
	v_pk_add_f32 v[6:7], v[32:33], v[30:31] neg_lo:[0,1] neg_hi:[0,1]
	s_nop 0
	v_add_f32_e32 v3, v3, v7
	v_add_f32_e32 v3, v6, v3
	;; [unrolled: 1-line block ×4, first 2 shown]
	v_sub_f32_e32 v6, v7, v37
	v_mul_f32_e32 v3, v36, v3
	v_sub_f32_e32 v6, v26, v6
	v_add_f32_e32 v3, v6, v3
	v_add_f32_e32 v26, v7, v3
	v_mul_f32_e32 v28, v26, v26
	v_mov_b32_e32 v6, 0x3ecc95a3
	v_fmamk_f32 v6, v28, 0x3e9b6dac, v6
	v_fmaak_f32 v43, v28, v6, 0x3f2aaada
	v_cvt_f32_i32_e32 v6, v34
	v_sub_f32_e32 v7, v26, v7
	v_sub_f32_e32 v3, v3, v7
	v_mul_f32_e32 v7, v26, v28
	v_pk_mul_f32 v[30:31], v[6:7], v[42:43]
	v_ldexp_f32 v29, v26, 1
	v_fma_f32 v28, v6, s0, -v30
	v_fmac_f32_e32 v28, 0xb102e308, v6
	v_pk_add_f32 v[6:7], v[30:31], v[28:29]
	v_ldexp_f32 v3, v3, 1
	v_sub_f32_e32 v26, v7, v29
	v_sub_f32_e32 v26, v31, v26
	v_add_f32_e32 v33, v3, v26
	v_mov_b32_e32 v32, v30
	v_pk_add_f32 v[30:31], v[6:7], v[30:31] neg_lo:[0,1] neg_hi:[0,1]
	v_pk_add_f32 v[34:35], v[6:7], v[32:33]
	v_mov_b32_e32 v29, v6
	v_mov_b32_e32 v31, v35
	v_pk_add_f32 v[36:37], v[28:29], v[30:31] neg_lo:[0,1] neg_hi:[0,1]
	v_pk_add_f32 v[28:29], v[28:29], v[30:31]
	s_mov_b32 s0, 0x7f800000
	v_mov_b32_e32 v26, v29
	v_pk_add_f32 v[30:31], v[26:27], v[6:7] neg_lo:[0,1] neg_hi:[0,1]
	v_mov_b32_e32 v28, v35
	v_mov_b32_e32 v3, v30
	v_pk_add_f32 v[38:39], v[34:35], v[2:3] neg_lo:[0,1] neg_hi:[0,1]
	v_mov_b32_e32 v34, v7
	v_mov_b32_e32 v35, v30
	;; [unrolled: 1-line block ×3, first 2 shown]
	v_pk_add_f32 v[28:29], v[28:29], v[34:35] neg_lo:[0,1] neg_hi:[0,1]
	v_mov_b32_e32 v30, v33
	v_mov_b32_e32 v31, v6
	v_pk_add_f32 v[6:7], v[30:31], v[28:29] neg_lo:[0,1] neg_hi:[0,1]
	v_mov_b32_e32 v38, v36
	v_pk_add_f32 v[28:29], v[38:39], v[6:7]
	v_cmp_eq_f32_e32 vcc, s0, v5
	v_mov_b32_e32 v30, v29
	v_pk_add_f32 v[30:31], v[28:29], v[30:31]
	s_mov_b32 s0, 0x33800000
	v_pk_add_f32 v[32:33], v[26:27], v[30:31]
	v_mov_b32_e32 v7, v30
	v_mov_b32_e32 v29, v32
	v_pk_add_f32 v[34:35], v[28:29], v[36:37] neg_lo:[0,1] neg_hi:[0,1]
	v_cmp_gt_f32_e64 s[52:53], s0, v5
	v_sub_f32_e32 v3, v28, v34
	v_pk_add_f32 v[6:7], v[6:7], v[34:35] neg_lo:[0,1] neg_hi:[0,1]
	v_sub_f32_e32 v3, v36, v3
	v_add_f32_e32 v3, v6, v3
	v_add_f32_e32 v3, v3, v7
	v_add_f32_e32 v3, v32, v3
	s_or_b64 vcc, s[52:53], vcc
	v_cndmask_b32_e32 v78, v3, v5, vcc
.LBB146_101:                            ;   in Loop: Header=BB146_13 Depth=1
	s_or_b64 exec, exec, s[54:55]
	v_add_f32_e32 v3, s56, v27
	s_mov_b32 s0, 0x41a00000
	v_cmp_ge_f32_e32 vcc, s0, v3
	v_readlane_b32 s0, v95, 24
	v_readlane_b32 s1, v95, 25
	s_and_b64 s[0:1], s[0:1], vcc
	s_and_saveexec_b64 s[54:55], s[0:1]
	s_cbranch_execz .LBB146_103
; %bb.102:                              ;   in Loop: Header=BB146_13 Depth=1
	v_mul_f32_e32 v5, 0x3fb8aa3b, v3
	v_rndne_f32_e32 v6, v5
	s_mov_b32 s0, 0x3fb8aa3b
	v_sub_f32_e32 v7, v5, v6
	v_fma_f32 v5, v3, s0, -v5
	v_fmac_f32_e32 v5, 0x32a5705f, v3
	v_add_f32_e32 v5, v7, v5
	v_cvt_i32_f32_e32 v6, v6
	v_exp_f32_e32 v5, v5
	s_mov_b32 s0, 0xc2ce8ed0
	v_cmp_ngt_f32_e32 vcc, s0, v3
	s_mov_b32 s0, 0x42b17218
	v_ldexp_f32 v5, v5, v6
	v_cndmask_b32_e32 v5, 0, v5, vcc
	v_cmp_nlt_f32_e32 vcc, s0, v3
	v_mov_b32_e32 v3, 0x7f800000
	s_mov_b32 s0, 0x3f2aaaab
	v_cndmask_b32_e32 v5, v3, v5, vcc
	v_add_f32_e32 v3, 1.0, v5
	v_add_f32_e32 v6, -1.0, v3
	v_sub_f32_e32 v7, v6, v3
	v_add_f32_e32 v7, 1.0, v7
	v_sub_f32_e32 v6, v5, v6
	v_add_f32_e32 v26, v6, v7
	v_frexp_mant_f32_e32 v27, v3
	v_cvt_f64_f32_e32 v[6:7], v3
	v_frexp_exp_i32_f64_e32 v6, v[6:7]
	v_cmp_gt_f32_e32 vcc, s0, v27
	s_mov_b32 s0, 0x3f317218
	s_nop 0
	v_subbrev_co_u32_e32 v32, vcc, 0, v6, vcc
	v_sub_u32_e32 v6, 0, v32
	v_ldexp_f32 v3, v3, v6
	v_ldexp_f32 v6, v26, v6
	v_add_f32_e32 v26, -1.0, v3
	v_add_f32_e32 v7, 1.0, v26
	v_sub_f32_e32 v7, v3, v7
	v_add_f32_e32 v27, v6, v7
	v_add_f32_e32 v7, 1.0, v3
	v_add_f32_e32 v28, -1.0, v7
	v_sub_f32_e32 v3, v3, v28
	v_add_f32_e32 v3, v6, v3
	v_add_f32_e32 v33, v7, v3
	v_rcp_f32_e32 v34, v33
	v_sub_f32_e32 v6, v7, v33
	v_add_f32_e32 v7, v26, v27
	v_add_f32_e32 v3, v3, v6
	v_mul_f32_e32 v36, v7, v34
	v_sub_f32_e32 v6, v26, v7
	v_mul_f32_e32 v26, v33, v36
	v_fma_f32 v28, v36, v33, -v26
	v_fmac_f32_e32 v28, v36, v3
	v_add_f32_e32 v35, v27, v6
	v_add_f32_e32 v6, v26, v28
	v_sub_f32_e32 v27, v7, v6
	v_pk_add_f32 v[30:31], v[6:7], v[26:27] neg_lo:[0,1] neg_hi:[0,1]
	v_mov_b32_e32 v29, v6
	v_pk_add_f32 v[6:7], v[30:31], v[28:29] neg_lo:[0,1] neg_hi:[0,1]
	s_nop 0
	v_add_f32_e32 v7, v35, v7
	v_add_f32_e32 v6, v6, v7
	;; [unrolled: 1-line block ×3, first 2 shown]
	v_mul_f32_e32 v35, v34, v7
	v_mul_f32_e32 v26, v33, v35
	v_fma_f32 v28, v35, v33, -v26
	v_fmac_f32_e32 v28, v35, v3
	v_sub_f32_e32 v3, v27, v7
	v_add_f32_e32 v3, v6, v3
	v_add_f32_e32 v6, v26, v28
	v_sub_f32_e32 v27, v7, v6
	v_pk_add_f32 v[30:31], v[6:7], v[26:27] neg_lo:[0,1] neg_hi:[0,1]
	v_mov_b32_e32 v29, v6
	v_pk_add_f32 v[6:7], v[30:31], v[28:29] neg_lo:[0,1] neg_hi:[0,1]
	s_nop 0
	v_add_f32_e32 v3, v3, v7
	v_add_f32_e32 v3, v6, v3
	;; [unrolled: 1-line block ×4, first 2 shown]
	v_sub_f32_e32 v6, v7, v36
	v_mul_f32_e32 v3, v34, v3
	v_sub_f32_e32 v6, v35, v6
	v_add_f32_e32 v3, v6, v3
	v_add_f32_e32 v26, v7, v3
	v_mul_f32_e32 v28, v26, v26
	v_mov_b32_e32 v6, 0x3ecc95a3
	v_fmamk_f32 v6, v28, 0x3e9b6dac, v6
	v_fmaak_f32 v43, v28, v6, 0x3f2aaada
	v_cvt_f32_i32_e32 v6, v32
	v_sub_f32_e32 v7, v26, v7
	v_sub_f32_e32 v3, v3, v7
	v_mul_f32_e32 v7, v26, v28
	v_pk_mul_f32 v[28:29], v[6:7], v[42:43]
	v_ldexp_f32 v27, v26, 1
	v_fma_f32 v26, v6, s0, -v28
	v_fmac_f32_e32 v26, 0xb102e308, v6
	v_pk_add_f32 v[6:7], v[28:29], v[26:27]
	v_ldexp_f32 v3, v3, 1
	v_sub_f32_e32 v27, v7, v27
	v_sub_f32_e32 v27, v29, v27
	v_add_f32_e32 v31, v3, v27
	v_mov_b32_e32 v30, v28
	v_pk_add_f32 v[28:29], v[6:7], v[28:29] neg_lo:[0,1] neg_hi:[0,1]
	v_pk_add_f32 v[32:33], v[6:7], v[30:31]
	v_mov_b32_e32 v27, v6
	v_mov_b32_e32 v29, v33
	v_pk_add_f32 v[34:35], v[26:27], v[28:29] neg_lo:[0,1] neg_hi:[0,1]
	v_pk_add_f32 v[26:27], v[26:27], v[28:29]
	v_mov_b32_e32 v30, v31
	v_mov_b32_e32 v28, v27
	v_pk_add_f32 v[36:37], v[28:29], v[6:7] neg_lo:[0,1] neg_hi:[0,1]
	v_mov_b32_e32 v26, v33
	v_mov_b32_e32 v3, v36
	v_pk_add_f32 v[38:39], v[32:33], v[2:3] neg_lo:[0,1] neg_hi:[0,1]
	v_mov_b32_e32 v32, v7
	v_mov_b32_e32 v33, v36
	v_mov_b32_e32 v35, v27
	v_pk_add_f32 v[26:27], v[26:27], v[32:33] neg_lo:[0,1] neg_hi:[0,1]
	v_mov_b32_e32 v31, v6
	v_pk_add_f32 v[6:7], v[30:31], v[26:27] neg_lo:[0,1] neg_hi:[0,1]
	v_mov_b32_e32 v38, v34
	v_pk_add_f32 v[26:27], v[38:39], v[6:7]
	s_mov_b32 s0, 0x7f800000
	v_mov_b32_e32 v30, v27
	v_pk_add_f32 v[30:31], v[26:27], v[30:31]
	v_cmp_eq_f32_e32 vcc, s0, v5
	v_pk_add_f32 v[28:29], v[28:29], v[30:31]
	v_mov_b32_e32 v7, v30
	v_mov_b32_e32 v27, v28
	v_pk_add_f32 v[32:33], v[26:27], v[34:35] neg_lo:[0,1] neg_hi:[0,1]
	s_mov_b32 s0, 0x33800000
	v_sub_f32_e32 v3, v26, v32
	v_pk_add_f32 v[6:7], v[6:7], v[32:33] neg_lo:[0,1] neg_hi:[0,1]
	v_sub_f32_e32 v3, v34, v3
	v_add_f32_e32 v3, v6, v3
	v_add_f32_e32 v3, v3, v7
	v_cmp_gt_f32_e64 s[52:53], s0, v5
	v_add_f32_e32 v3, v28, v3
	s_or_b64 vcc, s[52:53], vcc
	v_cndmask_b32_e32 v3, v3, v5, vcc
.LBB146_103:                            ;   in Loop: Header=BB146_13 Depth=1
	s_or_b64 exec, exec, s[54:55]
	s_waitcnt lgkmcnt(0)
	v_add_f32_e32 v80, s56, v24
	s_mov_b32 s0, 0x41a00000
	v_cmp_ge_f32_e32 vcc, s0, v80
	v_readlane_b32 s0, v95, 24
	v_readlane_b32 s1, v95, 25
	s_and_b64 s[0:1], s[0:1], vcc
	s_and_saveexec_b64 s[54:55], s[0:1]
	s_cbranch_execz .LBB146_105
; %bb.104:                              ;   in Loop: Header=BB146_13 Depth=1
	v_mul_f32_e32 v5, 0x3fb8aa3b, v80
	v_rndne_f32_e32 v6, v5
	s_mov_b32 s0, 0x3fb8aa3b
	v_sub_f32_e32 v7, v5, v6
	v_fma_f32 v5, v80, s0, -v5
	v_fmac_f32_e32 v5, 0x32a5705f, v80
	v_add_f32_e32 v5, v7, v5
	v_cvt_i32_f32_e32 v6, v6
	v_exp_f32_e32 v5, v5
	s_mov_b32 s0, 0xc2ce8ed0
	v_cmp_ngt_f32_e32 vcc, s0, v80
	s_mov_b32 s0, 0x42b17218
	v_ldexp_f32 v5, v5, v6
	v_cndmask_b32_e32 v5, 0, v5, vcc
	v_cmp_nlt_f32_e32 vcc, s0, v80
	v_mov_b32_e32 v6, 0x7f800000
	s_mov_b32 s0, 0x3f2aaaab
	v_cndmask_b32_e32 v38, v6, v5, vcc
	v_add_f32_e32 v5, 1.0, v38
	v_add_f32_e32 v6, -1.0, v5
	v_sub_f32_e32 v7, v6, v5
	v_add_f32_e32 v7, 1.0, v7
	v_sub_f32_e32 v6, v38, v6
	v_add_f32_e32 v24, v6, v7
	v_frexp_mant_f32_e32 v26, v5
	v_cvt_f64_f32_e32 v[6:7], v5
	v_frexp_exp_i32_f64_e32 v6, v[6:7]
	v_cmp_gt_f32_e32 vcc, s0, v26
	s_mov_b32 s0, 0x3f317218
	s_nop 0
	v_subbrev_co_u32_e32 v32, vcc, 0, v6, vcc
	v_sub_u32_e32 v6, 0, v32
	v_ldexp_f32 v5, v5, v6
	v_ldexp_f32 v6, v24, v6
	v_add_f32_e32 v24, -1.0, v5
	v_add_f32_e32 v7, 1.0, v24
	v_sub_f32_e32 v7, v5, v7
	v_add_f32_e32 v26, v6, v7
	v_add_f32_e32 v7, 1.0, v5
	v_add_f32_e32 v27, -1.0, v7
	v_sub_f32_e32 v5, v5, v27
	v_add_f32_e32 v5, v6, v5
	v_add_f32_e32 v33, v7, v5
	v_rcp_f32_e32 v34, v33
	v_sub_f32_e32 v6, v7, v33
	v_add_f32_e32 v7, v24, v26
	v_add_f32_e32 v5, v5, v6
	v_sub_f32_e32 v6, v24, v7
	v_mul_f32_e32 v35, v7, v34
	v_add_f32_e32 v24, v26, v6
	v_mul_f32_e32 v26, v33, v35
	v_fma_f32 v28, v35, v33, -v26
	v_fmac_f32_e32 v28, v35, v5
	v_add_f32_e32 v6, v26, v28
	v_sub_f32_e32 v27, v7, v6
	v_pk_add_f32 v[30:31], v[6:7], v[26:27] neg_lo:[0,1] neg_hi:[0,1]
	v_mov_b32_e32 v29, v6
	v_pk_add_f32 v[6:7], v[30:31], v[28:29] neg_lo:[0,1] neg_hi:[0,1]
	s_nop 0
	v_add_f32_e32 v7, v24, v7
	v_add_f32_e32 v6, v6, v7
	;; [unrolled: 1-line block ×3, first 2 shown]
	v_mul_f32_e32 v24, v34, v7
	v_mul_f32_e32 v26, v33, v24
	v_fma_f32 v28, v24, v33, -v26
	v_fmac_f32_e32 v28, v24, v5
	v_sub_f32_e32 v5, v27, v7
	v_add_f32_e32 v5, v6, v5
	v_add_f32_e32 v6, v26, v28
	v_sub_f32_e32 v27, v7, v6
	v_pk_add_f32 v[30:31], v[6:7], v[26:27] neg_lo:[0,1] neg_hi:[0,1]
	v_mov_b32_e32 v29, v6
	v_pk_add_f32 v[6:7], v[30:31], v[28:29] neg_lo:[0,1] neg_hi:[0,1]
	s_nop 0
	v_add_f32_e32 v5, v5, v7
	v_add_f32_e32 v5, v6, v5
	;; [unrolled: 1-line block ×4, first 2 shown]
	v_sub_f32_e32 v6, v7, v35
	v_mul_f32_e32 v5, v34, v5
	v_sub_f32_e32 v6, v24, v6
	v_add_f32_e32 v5, v6, v5
	v_add_f32_e32 v24, v7, v5
	v_mul_f32_e32 v26, v24, v24
	v_mov_b32_e32 v6, 0x3ecc95a3
	v_fmamk_f32 v6, v26, 0x3e9b6dac, v6
	v_fmaak_f32 v43, v26, v6, 0x3f2aaada
	v_cvt_f32_i32_e32 v6, v32
	v_sub_f32_e32 v7, v24, v7
	v_sub_f32_e32 v5, v5, v7
	v_mul_f32_e32 v7, v24, v26
	v_pk_mul_f32 v[28:29], v[6:7], v[42:43]
	v_ldexp_f32 v27, v24, 1
	v_fma_f32 v26, v6, s0, -v28
	v_fmac_f32_e32 v26, 0xb102e308, v6
	v_pk_add_f32 v[6:7], v[28:29], v[26:27]
	v_ldexp_f32 v5, v5, 1
	v_sub_f32_e32 v24, v7, v27
	v_sub_f32_e32 v24, v29, v24
	v_add_f32_e32 v31, v5, v24
	v_mov_b32_e32 v30, v28
	v_pk_add_f32 v[28:29], v[6:7], v[28:29] neg_lo:[0,1] neg_hi:[0,1]
	v_pk_add_f32 v[32:33], v[6:7], v[30:31]
	v_mov_b32_e32 v27, v6
	v_mov_b32_e32 v29, v33
	v_pk_add_f32 v[34:35], v[26:27], v[28:29] neg_lo:[0,1] neg_hi:[0,1]
	v_pk_add_f32 v[26:27], v[26:27], v[28:29]
	s_mov_b32 s0, 0x7f800000
	v_mov_b32_e32 v24, v27
	v_pk_add_f32 v[28:29], v[24:25], v[6:7] neg_lo:[0,1] neg_hi:[0,1]
	v_mov_b32_e32 v26, v33
	v_mov_b32_e32 v5, v28
	v_pk_add_f32 v[36:37], v[32:33], v[4:5] neg_lo:[0,1] neg_hi:[0,1]
	v_mov_b32_e32 v32, v7
	v_mov_b32_e32 v33, v28
	;; [unrolled: 1-line block ×3, first 2 shown]
	v_pk_add_f32 v[26:27], v[26:27], v[32:33] neg_lo:[0,1] neg_hi:[0,1]
	v_mov_b32_e32 v28, v31
	v_mov_b32_e32 v29, v6
	v_pk_add_f32 v[6:7], v[28:29], v[26:27] neg_lo:[0,1] neg_hi:[0,1]
	v_mov_b32_e32 v36, v34
	v_pk_add_f32 v[26:27], v[36:37], v[6:7]
	v_cmp_eq_f32_e32 vcc, s0, v38
	v_mov_b32_e32 v28, v27
	v_pk_add_f32 v[28:29], v[26:27], v[28:29]
	s_mov_b32 s0, 0x33800000
	v_pk_add_f32 v[30:31], v[24:25], v[28:29]
	v_mov_b32_e32 v7, v28
	v_mov_b32_e32 v27, v30
	v_pk_add_f32 v[32:33], v[26:27], v[34:35] neg_lo:[0,1] neg_hi:[0,1]
	v_cmp_gt_f32_e64 s[52:53], s0, v38
	v_sub_f32_e32 v5, v26, v32
	v_pk_add_f32 v[6:7], v[6:7], v[32:33] neg_lo:[0,1] neg_hi:[0,1]
	v_sub_f32_e32 v5, v34, v5
	v_add_f32_e32 v5, v6, v5
	v_add_f32_e32 v5, v5, v7
	;; [unrolled: 1-line block ×3, first 2 shown]
	s_or_b64 vcc, s[52:53], vcc
	v_cndmask_b32_e32 v80, v5, v38, vcc
.LBB146_105:                            ;   in Loop: Header=BB146_13 Depth=1
	s_or_b64 exec, exec, s[54:55]
	v_add_f32_e32 v7, s56, v25
	s_mov_b32 s0, 0x41a00000
	v_cmp_ge_f32_e32 vcc, s0, v7
	v_readlane_b32 s0, v95, 24
	v_readlane_b32 s1, v95, 25
	s_and_b64 s[0:1], s[0:1], vcc
	s_and_saveexec_b64 s[54:55], s[0:1]
	s_cbranch_execz .LBB146_107
; %bb.106:                              ;   in Loop: Header=BB146_13 Depth=1
	v_mul_f32_e32 v5, 0x3fb8aa3b, v7
	v_rndne_f32_e32 v6, v5
	s_mov_b32 s0, 0x3fb8aa3b
	v_sub_f32_e32 v24, v5, v6
	v_fma_f32 v5, v7, s0, -v5
	v_fmac_f32_e32 v5, 0x32a5705f, v7
	v_add_f32_e32 v5, v24, v5
	v_cvt_i32_f32_e32 v6, v6
	v_exp_f32_e32 v5, v5
	s_mov_b32 s0, 0xc2ce8ed0
	v_cmp_ngt_f32_e32 vcc, s0, v7
	s_mov_b32 s0, 0x42b17218
	v_ldexp_f32 v5, v5, v6
	v_cndmask_b32_e32 v5, 0, v5, vcc
	v_cmp_nlt_f32_e32 vcc, s0, v7
	v_mov_b32_e32 v6, 0x7f800000
	s_mov_b32 s0, 0x3f2aaaab
	v_cndmask_b32_e32 v38, v6, v5, vcc
	v_add_f32_e32 v5, 1.0, v38
	v_add_f32_e32 v6, -1.0, v5
	v_sub_f32_e32 v7, v6, v5
	v_add_f32_e32 v7, 1.0, v7
	v_sub_f32_e32 v6, v38, v6
	v_add_f32_e32 v24, v6, v7
	v_frexp_mant_f32_e32 v25, v5
	v_cvt_f64_f32_e32 v[6:7], v5
	v_frexp_exp_i32_f64_e32 v6, v[6:7]
	v_cmp_gt_f32_e32 vcc, s0, v25
	s_mov_b32 s0, 0x3f317218
	s_nop 0
	v_subbrev_co_u32_e32 v30, vcc, 0, v6, vcc
	v_sub_u32_e32 v6, 0, v30
	v_ldexp_f32 v5, v5, v6
	v_ldexp_f32 v6, v24, v6
	v_add_f32_e32 v24, -1.0, v5
	v_add_f32_e32 v7, 1.0, v24
	v_sub_f32_e32 v7, v5, v7
	v_add_f32_e32 v25, v6, v7
	v_add_f32_e32 v7, 1.0, v5
	v_add_f32_e32 v26, -1.0, v7
	v_sub_f32_e32 v5, v5, v26
	v_add_f32_e32 v5, v6, v5
	v_add_f32_e32 v31, v7, v5
	v_rcp_f32_e32 v32, v31
	v_sub_f32_e32 v6, v7, v31
	v_add_f32_e32 v7, v24, v25
	v_add_f32_e32 v5, v5, v6
	v_mul_f32_e32 v34, v7, v32
	v_sub_f32_e32 v6, v24, v7
	v_mul_f32_e32 v24, v31, v34
	v_fma_f32 v26, v34, v31, -v24
	v_fmac_f32_e32 v26, v34, v5
	v_add_f32_e32 v33, v25, v6
	v_add_f32_e32 v6, v24, v26
	v_sub_f32_e32 v25, v7, v6
	v_pk_add_f32 v[28:29], v[6:7], v[24:25] neg_lo:[0,1] neg_hi:[0,1]
	v_mov_b32_e32 v27, v6
	v_pk_add_f32 v[6:7], v[28:29], v[26:27] neg_lo:[0,1] neg_hi:[0,1]
	s_nop 0
	v_add_f32_e32 v7, v33, v7
	v_add_f32_e32 v6, v6, v7
	;; [unrolled: 1-line block ×3, first 2 shown]
	v_mul_f32_e32 v33, v32, v7
	v_mul_f32_e32 v24, v31, v33
	v_fma_f32 v26, v33, v31, -v24
	v_fmac_f32_e32 v26, v33, v5
	v_sub_f32_e32 v5, v25, v7
	v_add_f32_e32 v5, v6, v5
	v_add_f32_e32 v6, v24, v26
	v_sub_f32_e32 v25, v7, v6
	v_pk_add_f32 v[28:29], v[6:7], v[24:25] neg_lo:[0,1] neg_hi:[0,1]
	v_mov_b32_e32 v27, v6
	v_pk_add_f32 v[6:7], v[28:29], v[26:27] neg_lo:[0,1] neg_hi:[0,1]
	s_nop 0
	v_add_f32_e32 v5, v5, v7
	v_add_f32_e32 v5, v6, v5
	;; [unrolled: 1-line block ×4, first 2 shown]
	v_sub_f32_e32 v6, v7, v34
	v_mul_f32_e32 v5, v32, v5
	v_sub_f32_e32 v6, v33, v6
	v_add_f32_e32 v5, v6, v5
	v_add_f32_e32 v24, v7, v5
	v_mul_f32_e32 v26, v24, v24
	v_mov_b32_e32 v6, 0x3ecc95a3
	v_fmamk_f32 v6, v26, 0x3e9b6dac, v6
	v_fmaak_f32 v43, v26, v6, 0x3f2aaada
	v_cvt_f32_i32_e32 v6, v30
	v_sub_f32_e32 v7, v24, v7
	v_sub_f32_e32 v5, v5, v7
	v_mul_f32_e32 v7, v24, v26
	v_pk_mul_f32 v[26:27], v[6:7], v[42:43]
	v_ldexp_f32 v25, v24, 1
	v_fma_f32 v24, v6, s0, -v26
	v_fmac_f32_e32 v24, 0xb102e308, v6
	v_pk_add_f32 v[6:7], v[26:27], v[24:25]
	v_ldexp_f32 v5, v5, 1
	v_sub_f32_e32 v25, v7, v25
	v_sub_f32_e32 v25, v27, v25
	v_add_f32_e32 v29, v5, v25
	v_mov_b32_e32 v28, v26
	v_pk_add_f32 v[26:27], v[6:7], v[26:27] neg_lo:[0,1] neg_hi:[0,1]
	v_pk_add_f32 v[30:31], v[6:7], v[28:29]
	v_mov_b32_e32 v25, v6
	v_mov_b32_e32 v27, v31
	v_pk_add_f32 v[32:33], v[24:25], v[26:27] neg_lo:[0,1] neg_hi:[0,1]
	v_pk_add_f32 v[24:25], v[24:25], v[26:27]
	v_mov_b32_e32 v28, v29
	v_mov_b32_e32 v26, v25
	v_pk_add_f32 v[34:35], v[26:27], v[6:7] neg_lo:[0,1] neg_hi:[0,1]
	v_mov_b32_e32 v24, v31
	v_mov_b32_e32 v5, v34
	v_pk_add_f32 v[36:37], v[30:31], v[4:5] neg_lo:[0,1] neg_hi:[0,1]
	v_mov_b32_e32 v30, v7
	v_mov_b32_e32 v31, v34
	;; [unrolled: 1-line block ×3, first 2 shown]
	v_pk_add_f32 v[24:25], v[24:25], v[30:31] neg_lo:[0,1] neg_hi:[0,1]
	v_mov_b32_e32 v29, v6
	v_pk_add_f32 v[6:7], v[28:29], v[24:25] neg_lo:[0,1] neg_hi:[0,1]
	v_mov_b32_e32 v36, v32
	v_pk_add_f32 v[24:25], v[36:37], v[6:7]
	s_mov_b32 s0, 0x7f800000
	v_mov_b32_e32 v28, v25
	v_pk_add_f32 v[28:29], v[24:25], v[28:29]
	v_cmp_eq_f32_e32 vcc, s0, v38
	v_pk_add_f32 v[26:27], v[26:27], v[28:29]
	v_mov_b32_e32 v7, v28
	v_mov_b32_e32 v25, v26
	v_pk_add_f32 v[30:31], v[24:25], v[32:33] neg_lo:[0,1] neg_hi:[0,1]
	s_mov_b32 s0, 0x33800000
	v_sub_f32_e32 v5, v24, v30
	v_pk_add_f32 v[6:7], v[6:7], v[30:31] neg_lo:[0,1] neg_hi:[0,1]
	v_sub_f32_e32 v5, v32, v5
	v_add_f32_e32 v5, v6, v5
	v_add_f32_e32 v5, v5, v7
	v_cmp_gt_f32_e64 s[52:53], s0, v38
	v_add_f32_e32 v5, v26, v5
	s_or_b64 vcc, s[52:53], vcc
	v_cndmask_b32_e32 v7, v5, v38, vcc
.LBB146_107:                            ;   in Loop: Header=BB146_13 Depth=1
	s_or_b64 exec, exec, s[54:55]
	v_readlane_b32 s0, v95, 2
	s_waitcnt lgkmcnt(0)
	; wave barrier
	s_nop 0
	v_mul_f32_e32 v24, s0, v22
	v_mul_f32_e32 v27, s0, v21
	;; [unrolled: 1-line block ×16, first 2 shown]
	v_readlane_b32 s0, v95, 27
	v_readlane_b32 s1, v95, 28
	s_and_b64 vcc, exec, s[0:1]
	s_cbranch_vccz .LBB146_200
; %bb.108:                              ;   in Loop: Header=BB146_13 Depth=1
	v_writelane_b32 v95, s6, 51
	scratch_store_dwordx2 off, v[42:43], off offset:196 ; 8-byte Folded Spill
	s_cmp_lg_u32 s8, 0
	v_writelane_b32 v95, s7, 52
	v_lshl_add_u64 v[40:41], s[6:7], 0, v[0:1]
	v_writelane_b32 v95, s4, 53
	s_cselect_b64 s[86:87], -1, 0
	s_mov_b32 s92, 0
	v_lshl_add_u64 v[42:43], s[4:5], 0, v[0:1]
	v_mul_f32_e32 v0, v22, v80
	scratch_store_dword off, v0, off offset:72 ; 4-byte Folded Spill
	v_mul_f32_e32 v0, v21, v3
	scratch_store_dword off, v0, off offset:76 ; 4-byte Folded Spill
	;; [unrolled: 2-line block ×14, first 2 shown]
	scratch_load_dword v0, off, off offset:64 ; 4-byte Folded Reload
	v_writelane_b32 v95, s5, 54
	v_mul_f32_e32 v5, v23, v7
	v_readlane_b32 s0, v95, 41
	v_writelane_b32 v95, s8, 55
	s_cmp_eq_u32 s8, s0
	v_readlane_b32 s0, v95, 30
	v_readlane_b32 s1, v95, 31
	s_cselect_b64 s[90:91], -1, 0
	s_mov_b32 s96, s92
	s_mov_b32 s94, s92
	;; [unrolled: 1-line block ×3, first 2 shown]
	scratch_store_dword off, v5, off offset:68 ; 4-byte Folded Spill
	s_waitcnt vmcnt(1)
	v_mul_f32_e32 v0, v8, v0
	scratch_store_dword off, v0, off offset:128 ; 4-byte Folded Spill
	scratch_load_dword v0, off, off offset:280 ; 4-byte Folded Reload
	s_waitcnt vmcnt(0)
	v_cmp_gt_u32_e32 vcc, s82, v0
	scratch_load_dword v0, off, off offset:284 ; 4-byte Folded Reload
	s_or_b64 s[52:53], s[0:1], vcc
	s_waitcnt vmcnt(0)
	v_cmp_gt_u32_e32 vcc, s82, v0
	scratch_load_dword v0, off, off offset:288 ; 4-byte Folded Reload
	s_or_b64 s[54:55], s[0:1], vcc
	;; [unrolled: 4-line block ×15, first 2 shown]
	s_waitcnt vmcnt(0)
	v_cmp_gt_u32_e32 vcc, s82, v0
	s_or_b64 s[82:83], s[0:1], vcc
	v_readlane_b32 s0, v95, 26
	v_readlane_b32 s1, v95, 44
	s_branch .LBB146_110
.LBB146_109:                            ;   in Loop: Header=BB146_110 Depth=2
	s_or_b64 exec, exec, s[84:85]
	v_mul_f32_e32 v48, v79, v94
	v_fma_f32 v5, v79, v5, v46
	v_cndmask_b32_e64 v46, v5, v46, s[16:17]
	v_cndmask_b32_e64 v5, v48, v79, s[16:17]
	s_waitcnt lgkmcnt(0)
	v_fmac_f32_e32 v46, v62, v5
	v_fmac_f32_e32 v47, v46, v6
	;; [unrolled: 1-line block ×10, first 2 shown]
	v_readlane_b32 s4, v95, 18
	v_fmac_f32_e32 v56, v61, v88
	v_readlane_b32 s5, v95, 19
	v_readlane_b32 s6, v95, 20
	;; [unrolled: 1-line block ×3, first 2 shown]
	v_fmac_f32_e32 v57, v56, v89
	s_add_i32 s98, s98, s6
	v_readlane_b32 s4, v95, 14
	v_fmac_f32_e32 v52, v57, v90
	v_readlane_b32 s5, v95, 15
	v_readlane_b32 s6, v95, 16
	;; [unrolled: 1-line block ×3, first 2 shown]
	v_fmac_f32_e32 v53, v52, v91
	s_add_i32 s94, s94, s4
	v_readlane_b32 s4, v95, 6
	v_fmac_f32_e32 v44, v53, v92
	v_readlane_b32 s5, v95, 7
	v_readlane_b32 s8, v95, 10
	v_fmac_f32_e32 v45, v44, v93
	s_add_i32 s1, s1, 8
	s_add_i32 s0, s0, -1
	s_add_i32 s96, s96, s8
	s_add_i32 s92, s92, s5
	v_pk_fma_f32 v[38:39], v[22:23], v[46:47], v[38:39]
	v_pk_fma_f32 v[36:37], v[20:21], v[50:51], v[36:37]
	;; [unrolled: 1-line block ×7, first 2 shown]
	s_cmp_eq_u32 s0, 0
	v_pk_fma_f32 v[24:25], v[8:9], v[44:45], v[24:25]
	v_readlane_b32 s6, v95, 8
	v_readlane_b32 s7, v95, 9
	;; [unrolled: 1-line block ×5, first 2 shown]
	s_cbranch_scc1 .LBB146_199
.LBB146_110:                            ;   Parent Loop BB146_13 Depth=1
                                        ; =>  This Inner Loop Header: Depth=2
	s_lshl_b64 s[84:85], s[92:93], 2
	s_add_u32 s84, s99, s84
	v_readlane_b32 s4, v95, 5
	s_addc_u32 s85, s4, s85
	global_load_dword v62, v1, s[84:85]
	s_mov_b32 s97, s93
	v_lshl_add_u64 v[8:9], s[96:97], 2, v[40:41]
	v_mov_b32_e32 v0, 0
	v_mov_b32_e32 v6, 0
	s_and_saveexec_b64 s[84:85], s[18:19]
	s_cbranch_execz .LBB146_112
; %bb.111:                              ;   in Loop: Header=BB146_110 Depth=2
	global_load_dword v6, v[8:9], off
.LBB146_112:                            ;   in Loop: Header=BB146_110 Depth=2
	s_or_b64 exec, exec, s[84:85]
	s_and_saveexec_b64 s[84:85], s[20:21]
	s_cbranch_execz .LBB146_114
; %bb.113:                              ;   in Loop: Header=BB146_110 Depth=2
	global_load_dword v0, v[8:9], off offset:256
.LBB146_114:                            ;   in Loop: Header=BB146_110 Depth=2
	s_or_b64 exec, exec, s[84:85]
	v_mov_b32_e32 v10, 0
	v_mov_b32_e32 v11, 0
	s_and_saveexec_b64 s[84:85], s[22:23]
	s_cbranch_execz .LBB146_116
; %bb.115:                              ;   in Loop: Header=BB146_110 Depth=2
	global_load_dword v11, v[8:9], off offset:512
.LBB146_116:                            ;   in Loop: Header=BB146_110 Depth=2
	s_or_b64 exec, exec, s[84:85]
	s_and_saveexec_b64 s[84:85], s[24:25]
	s_cbranch_execz .LBB146_118
; %bb.117:                              ;   in Loop: Header=BB146_110 Depth=2
	global_load_dword v10, v[8:9], off offset:768
.LBB146_118:                            ;   in Loop: Header=BB146_110 Depth=2
	s_or_b64 exec, exec, s[84:85]
	v_mov_b32_e32 v12, 0
	v_mov_b32_e32 v13, 0
	s_and_saveexec_b64 s[84:85], s[26:27]
	s_cbranch_execz .LBB146_120
; %bb.119:                              ;   in Loop: Header=BB146_110 Depth=2
	global_load_dword v13, v[8:9], off offset:1024
.LBB146_120:                            ;   in Loop: Header=BB146_110 Depth=2
	;; [unrolled: 14-line block ×7, first 2 shown]
	s_or_b64 exec, exec, s[84:85]
	s_and_saveexec_b64 s[84:85], s[50:51]
	s_cbranch_execz .LBB146_142
; %bb.141:                              ;   in Loop: Header=BB146_110 Depth=2
	global_load_dword v21, v[8:9], off offset:3840
.LBB146_142:                            ;   in Loop: Header=BB146_110 Depth=2
	s_or_b64 exec, exec, s[84:85]
	scratch_load_dword v8, off, off         ; 4-byte Folded Reload
	s_mov_b32 s95, s93
	s_waitcnt vmcnt(0)
	ds_write_b32 v8, v6
	scratch_load_dword v6, off, off offset:4 ; 4-byte Folded Reload
	v_lshl_add_u64 v[8:9], s[94:95], 2, v[42:43]
	s_waitcnt vmcnt(0)
	ds_write_b32 v6, v0 offset:256
	scratch_load_dword v0, off, off offset:8 ; 4-byte Folded Reload
	v_mov_b32_e32 v6, 0
	s_waitcnt vmcnt(0)
	ds_write_b32 v0, v11 offset:512
	scratch_load_dword v0, off, off offset:12 ; 4-byte Folded Reload
	s_waitcnt vmcnt(0)
	ds_write_b32 v0, v10 offset:768
	scratch_load_dword v0, off, off offset:16 ; 4-byte Folded Reload
	;; [unrolled: 3-line block ×13, first 2 shown]
	s_waitcnt vmcnt(0)
	ds_write_b32 v0, v21 offset:3840
	; wave barrier
	ds_read2_b32 v[46:47], v64 offset1:1
	ds_read2_b32 v[50:51], v64 offset0:2 offset1:3
	ds_read2_b32 v[54:55], v64 offset0:4 offset1:5
	ds_read2_b32 v[58:59], v64 offset0:6 offset1:7
	ds_read2_b32 v[60:61], v64 offset0:8 offset1:9
	ds_read2_b32 v[56:57], v64 offset0:10 offset1:11
	ds_read2_b32 v[52:53], v64 offset0:12 offset1:13
	ds_read2_b32 v[44:45], v64 offset0:14 offset1:15
	v_mov_b32_e32 v0, 0
	s_and_saveexec_b64 s[84:85], s[18:19]
	s_cbranch_execz .LBB146_144
; %bb.143:                              ;   in Loop: Header=BB146_110 Depth=2
	global_load_dword v6, v[8:9], off
.LBB146_144:                            ;   in Loop: Header=BB146_110 Depth=2
	s_or_b64 exec, exec, s[84:85]
	s_and_saveexec_b64 s[84:85], s[20:21]
	s_cbranch_execz .LBB146_146
; %bb.145:                              ;   in Loop: Header=BB146_110 Depth=2
	global_load_dword v0, v[8:9], off offset:256
.LBB146_146:                            ;   in Loop: Header=BB146_110 Depth=2
	s_or_b64 exec, exec, s[84:85]
	v_mov_b32_e32 v10, 0
	v_mov_b32_e32 v11, 0
	s_and_saveexec_b64 s[84:85], s[22:23]
	s_cbranch_execz .LBB146_148
; %bb.147:                              ;   in Loop: Header=BB146_110 Depth=2
	global_load_dword v11, v[8:9], off offset:512
.LBB146_148:                            ;   in Loop: Header=BB146_110 Depth=2
	s_or_b64 exec, exec, s[84:85]
	s_and_saveexec_b64 s[84:85], s[24:25]
	s_cbranch_execz .LBB146_150
; %bb.149:                              ;   in Loop: Header=BB146_110 Depth=2
	global_load_dword v10, v[8:9], off offset:768
.LBB146_150:                            ;   in Loop: Header=BB146_110 Depth=2
	s_or_b64 exec, exec, s[84:85]
	v_mov_b32_e32 v12, 0
	v_mov_b32_e32 v13, 0
	s_and_saveexec_b64 s[84:85], s[26:27]
	s_cbranch_execz .LBB146_152
; %bb.151:                              ;   in Loop: Header=BB146_110 Depth=2
	global_load_dword v13, v[8:9], off offset:1024
.LBB146_152:                            ;   in Loop: Header=BB146_110 Depth=2
	;; [unrolled: 14-line block ×7, first 2 shown]
	s_or_b64 exec, exec, s[84:85]
	s_and_saveexec_b64 s[84:85], s[50:51]
	s_cbranch_execz .LBB146_174
; %bb.173:                              ;   in Loop: Header=BB146_110 Depth=2
	global_load_dword v21, v[8:9], off offset:3840
.LBB146_174:                            ;   in Loop: Header=BB146_110 Depth=2
	s_or_b64 exec, exec, s[84:85]
	scratch_load_dword v8, off, off         ; 4-byte Folded Reload
	s_andn2_b64 vcc, exec, s[86:87]
	s_waitcnt vmcnt(0)
	ds_write_b32 v8, v6 offset:4224
	scratch_load_dword v6, off, off offset:132 ; 4-byte Folded Reload
	s_waitcnt vmcnt(0)
	ds_write_b32 v6, v0 offset:256
	scratch_load_dword v0, off, off offset:136 ; 4-byte Folded Reload
	;; [unrolled: 3-line block ×15, first 2 shown]
	s_waitcnt vmcnt(0)
	ds_write_b32 v0, v21 offset:3840
	; wave barrier
	v_add_u32_e32 v0, 0x1080, v64
	ds_read2_b32 v[20:21], v4 offset0:2 offset1:3
	ds_read2_b32 v[18:19], v4 offset0:4 offset1:5
	;; [unrolled: 1-line block ×6, first 2 shown]
	ds_read2_b32 v[22:23], v0 offset1:1
	ds_read2_b32 v[8:9], v4 offset0:14 offset1:15
	s_cbranch_vccnz .LBB146_176
; %bb.175:                              ;   in Loop: Header=BB146_110 Depth=2
	v_mov_b32_e32 v0, s1
	ds_read_b64 v[48:49], v0
	s_cbranch_execz .LBB146_177
	s_branch .LBB146_180
.LBB146_176:                            ;   in Loop: Header=BB146_110 Depth=2
                                        ; implicit-def: $vgpr49
.LBB146_177:                            ;   in Loop: Header=BB146_110 Depth=2
	v_readlane_b32 s84, v95, 0
	v_readlane_b32 s85, v95, 1
	s_andn2_b64 vcc, exec, s[84:85]
	s_waitcnt lgkmcnt(0)
	v_mov_b32_e32 v49, 0
	s_cbranch_vccnz .LBB146_179
; %bb.178:                              ;   in Loop: Header=BB146_110 Depth=2
	s_mov_b32 s99, s93
	s_lshl_b64 s[84:85], s[98:99], 2
	v_readlane_b32 s4, v95, 22
	s_add_u32 s84, s4, s84
	v_readlane_b32 s4, v95, 23
	s_addc_u32 s85, s4, s85
	global_load_dword v49, v1, s[84:85]
	v_readlane_b32 s99, v95, 45
.LBB146_179:                            ;   in Loop: Header=BB146_110 Depth=2
	v_mov_b32_e32 v48, 1.0
.LBB146_180:                            ;   in Loop: Header=BB146_110 Depth=2
	scratch_load_dword v5, off, off offset:64 ; 4-byte Folded Reload
	v_mul_f32_e32 v62, 0x3fb8aa3b, v62
	v_readlane_b32 s4, v95, 32
	v_readlane_b32 s5, v95, 33
	s_waitcnt vmcnt(0)
	v_mul_f32_e32 v0, v62, v5
	v_cmp_gt_f32_e32 vcc, s33, v0
	s_nop 1
	v_cndmask_b32_e32 v0, 0, v2, vcc
	v_fmac_f32_e32 v0, v62, v5
	scratch_load_dword v5, off, off offset:128 ; 4-byte Folded Reload
	v_exp_f32_e32 v0, v0
	v_cndmask_b32_e32 v6, 1.0, v65, vcc
	v_mul_f32_e32 v0, v0, v6
	v_mul_f32_e32 v6, v62, v67
	v_cmp_gt_f32_e32 vcc, s33, v6
	v_cndmask_b32_e64 v79, 1.0, v0, s[52:53]
	s_waitcnt vmcnt(0) lgkmcnt(14)
	v_mul_f32_e32 v5, v46, v5
	v_cndmask_b32_e64 v46, 0, v5, s[52:53]
	scratch_load_dword v5, off, off offset:124 ; 4-byte Folded Reload
	v_cndmask_b32_e32 v6, 0, v2, vcc
	v_fmac_f32_e32 v6, v62, v67
	v_exp_f32_e32 v6, v6
	v_cndmask_b32_e32 v0, 1.0, v65, vcc
	v_mul_f32_e32 v0, v6, v0
	v_mul_f32_e32 v6, v62, v68
	v_cmp_gt_f32_e32 vcc, s33, v6
	s_waitcnt vmcnt(0)
	v_mul_f32_e32 v5, v47, v5
	v_cndmask_b32_e64 v47, 0, v5, s[54:55]
	scratch_load_dword v5, off, off offset:120 ; 4-byte Folded Reload
	v_cndmask_b32_e32 v6, 0, v2, vcc
	v_fmac_f32_e32 v6, v62, v68
	v_exp_f32_e32 v63, v6
	v_cndmask_b32_e64 v6, 1.0, v0, s[54:55]
	v_cndmask_b32_e32 v0, 1.0, v65, vcc
	v_mul_f32_e32 v0, v63, v0
	v_cndmask_b32_e64 v81, 1.0, v0, s[56:57]
	s_waitcnt vmcnt(0)
	v_mul_f32_e32 v5, v50, v5
	v_mul_f32_e32 v50, v62, v69
	v_cmp_gt_f32_e32 vcc, s33, v50
	s_nop 1
	v_cndmask_b32_e32 v50, 0, v2, vcc
	v_fmac_f32_e32 v50, v62, v69
	v_exp_f32_e32 v63, v50
	v_cndmask_b32_e64 v50, 0, v5, s[56:57]
	scratch_load_dword v5, off, off offset:116 ; 4-byte Folded Reload
	v_cndmask_b32_e32 v0, 1.0, v65, vcc
	v_mul_f32_e32 v0, v63, v0
	v_cndmask_b32_e64 v0, 1.0, v0, s[58:59]
	s_waitcnt vmcnt(0)
	v_mul_f32_e32 v5, v51, v5
	v_mul_f32_e32 v51, v62, v70
	v_cmp_gt_f32_e32 vcc, s33, v51
	s_nop 1
	v_cndmask_b32_e32 v51, 0, v2, vcc
	v_fmac_f32_e32 v51, v62, v70
	v_exp_f32_e32 v63, v51
	v_cndmask_b32_e64 v51, 0, v5, s[58:59]
	v_cndmask_b32_e32 v5, 1.0, v65, vcc
	v_mul_f32_e32 v5, v63, v5
	scratch_load_dword v63, off, off offset:112 ; 4-byte Folded Reload
	v_cndmask_b32_e64 v82, 1.0, v5, s[60:61]
	s_waitcnt vmcnt(0)
	v_mul_f32_e32 v54, v54, v63
	v_mul_f32_e32 v63, v62, v71
	v_cmp_gt_f32_e32 vcc, s33, v63
	v_cndmask_b32_e64 v54, 0, v54, s[60:61]
	s_nop 0
	v_cndmask_b32_e32 v63, 0, v2, vcc
	v_fmac_f32_e32 v63, v62, v71
	v_exp_f32_e32 v63, v63
	v_cndmask_b32_e32 v5, 1.0, v65, vcc
	v_mul_f32_e32 v5, v63, v5
	scratch_load_dword v63, off, off offset:108 ; 4-byte Folded Reload
	v_cndmask_b32_e64 v83, 1.0, v5, s[62:63]
	s_waitcnt vmcnt(0)
	v_mul_f32_e32 v55, v55, v63
	v_mul_f32_e32 v63, v62, v72
	v_cmp_gt_f32_e32 vcc, s33, v63
	v_cndmask_b32_e64 v55, 0, v55, s[62:63]
	s_nop 0
	v_cndmask_b32_e32 v63, 0, v2, vcc
	v_fmac_f32_e32 v63, v62, v72
	v_exp_f32_e32 v63, v63
	;; [unrolled: 13-line block ×11, first 2 shown]
	v_cndmask_b32_e32 v5, 1.0, v65, vcc
	v_mul_f32_e32 v5, v62, v5
	scratch_load_dword v62, off, off offset:68 ; 4-byte Folded Reload
	v_cndmask_b32_e64 v93, 1.0, v5, s[82:83]
	v_mul_f32_e32 v5, v6, v79
	v_mul_f32_e32 v5, v5, v81
	;; [unrolled: 1-line block ×14, first 2 shown]
	s_waitcnt vmcnt(0)
	v_mul_f32_e32 v45, v45, v62
	v_fma_f32 v62, v6, v46, v47
	v_fma_f32 v62, v62, v81, v50
	;; [unrolled: 1-line block ×13, first 2 shown]
	v_cndmask_b32_e64 v45, 0, v45, s[82:83]
	v_fma_f32 v63, v62, v92, v44
	v_mul_f32_e32 v62, v5, v93
	v_fma_f32 v66, v63, v93, v45
	s_nop 0
	v_mov_b32_dpp v94, v62 row_shr:1 row_mask:0xf bank_mask:0xf
	v_mov_b32_dpp v5, v66 row_shr:1 row_mask:0xf bank_mask:0xf
	s_and_saveexec_b64 s[84:85], s[4:5]
; %bb.181:                              ;   in Loop: Header=BB146_110 Depth=2
	v_mul_f32_e32 v94, v62, v94
	v_fmac_f32_e32 v66, v62, v5
	v_mov_b32_e32 v62, v94
; %bb.182:                              ;   in Loop: Header=BB146_110 Depth=2
	s_or_b64 exec, exec, s[84:85]
	v_readlane_b32 s4, v95, 34
	v_mov_b32_dpp v5, v62 row_shr:2 row_mask:0xf bank_mask:0xf
	v_mov_b32_dpp v94, v66 row_shr:2 row_mask:0xf bank_mask:0xf
	v_readlane_b32 s5, v95, 35
	s_and_saveexec_b64 s[84:85], s[4:5]
; %bb.183:                              ;   in Loop: Header=BB146_110 Depth=2
	v_fmac_f32_e32 v66, v62, v94
	v_mul_f32_e32 v62, v62, v5
; %bb.184:                              ;   in Loop: Header=BB146_110 Depth=2
	s_or_b64 exec, exec, s[84:85]
	s_nop 0
	v_mov_b32_dpp v5, v62 row_shr:4 row_mask:0xf bank_mask:0xf
	v_mov_b32_dpp v94, v66 row_shr:4 row_mask:0xf bank_mask:0xf
	s_and_saveexec_b64 s[84:85], s[2:3]
; %bb.185:                              ;   in Loop: Header=BB146_110 Depth=2
	v_fmac_f32_e32 v66, v62, v94
	v_mul_f32_e32 v62, v62, v5
; %bb.186:                              ;   in Loop: Header=BB146_110 Depth=2
	s_or_b64 exec, exec, s[84:85]
	v_readlane_b32 s4, v95, 36
	v_mov_b32_dpp v5, v62 row_shr:8 row_mask:0xf bank_mask:0xf
	v_mov_b32_dpp v94, v66 row_shr:8 row_mask:0xf bank_mask:0xf
	v_readlane_b32 s5, v95, 37
	s_and_saveexec_b64 s[84:85], s[4:5]
; %bb.187:                              ;   in Loop: Header=BB146_110 Depth=2
	v_fmac_f32_e32 v66, v62, v94
	v_mul_f32_e32 v62, v62, v5
; %bb.188:                              ;   in Loop: Header=BB146_110 Depth=2
	s_or_b64 exec, exec, s[84:85]
	v_readlane_b32 s4, v95, 38
	v_mov_b32_dpp v5, v62 row_bcast:15 row_mask:0xf bank_mask:0xf
	v_mov_b32_dpp v94, v66 row_bcast:15 row_mask:0xf bank_mask:0xf
	v_readlane_b32 s5, v95, 39
	s_and_saveexec_b64 s[84:85], s[4:5]
; %bb.189:                              ;   in Loop: Header=BB146_110 Depth=2
	v_fmac_f32_e32 v66, v62, v94
	v_mul_f32_e32 v62, v62, v5
; %bb.190:                              ;   in Loop: Header=BB146_110 Depth=2
	s_or_b64 exec, exec, s[84:85]
	s_nop 0
	v_mov_b32_dpp v5, v62 row_bcast:31 row_mask:0xf bank_mask:0xf
	v_mov_b32_dpp v94, v66 row_bcast:31 row_mask:0xf bank_mask:0xf
	v_mov_b32_e32 v63, v66
	v_mul_f32_e32 v5, v62, v5
	v_fmac_f32_e32 v63, v62, v94
	v_readlane_b32 s4, v95, 42
	v_cndmask_b32_e64 v62, v62, v5, s[12:13]
	v_cndmask_b32_e64 v63, v66, v63, s[12:13]
	v_readlane_b32 s5, v95, 43
	s_and_saveexec_b64 s[84:85], s[4:5]
	s_cbranch_execz .LBB146_192
; %bb.191:                              ;   in Loop: Header=BB146_110 Depth=2
	ds_write_b64 v1, v[62:63] offset:8448
.LBB146_192:                            ;   in Loop: Header=BB146_110 Depth=2
	s_or_b64 exec, exec, s[84:85]
	scratch_load_dword v5, off, off offset:192 ; 4-byte Folded Reload
	s_waitcnt lgkmcnt(0)
	; wave barrier
	s_waitcnt vmcnt(0) lgkmcnt(0)
	ds_bpermute_b32 v94, v5, v62
	ds_bpermute_b32 v5, v5, v63
	v_mov_b32_e32 v63, v49
	s_and_saveexec_b64 s[84:85], s[14:15]
	s_cbranch_execz .LBB146_196
; %bb.193:                              ;   in Loop: Header=BB146_110 Depth=2
	ds_read_b64 v[62:63], v1 offset:8448
	s_and_saveexec_b64 s[88:89], s[16:17]
	s_cbranch_execz .LBB146_195
; %bb.194:                              ;   in Loop: Header=BB146_110 Depth=2
	ds_write_b64 v1, v[48:49] offset:8448
.LBB146_195:                            ;   in Loop: Header=BB146_110 Depth=2
	s_or_b64 exec, exec, s[88:89]
	s_waitcnt lgkmcnt(0)
	v_fmac_f32_e32 v63, v49, v62
	v_mul_f32_e32 v48, v48, v62
	v_mov_b32_e32 v49, v63
.LBB146_196:                            ;   in Loop: Header=BB146_110 Depth=2
	s_or_b64 exec, exec, s[84:85]
	s_waitcnt lgkmcnt(0)
	; wave barrier
	s_waitcnt lgkmcnt(0)
	ds_read_b32 v62, v1 offset:8452
	s_and_saveexec_b64 s[84:85], s[16:17]
	s_cbranch_execz .LBB146_109
; %bb.197:                              ;   in Loop: Header=BB146_110 Depth=2
	v_mov_b32_e32 v66, s1
	s_andn2_b64 vcc, exec, s[90:91]
	ds_write_b64 v66, v[48:49]
	s_cbranch_vccnz .LBB146_109
; %bb.198:                              ;   in Loop: Header=BB146_110 Depth=2
	s_mov_b32 s99, s93
	s_lshl_b64 s[88:89], s[98:99], 2
	v_readlane_b32 s4, v95, 22
	s_add_u32 s88, s4, s88
	v_readlane_b32 s4, v95, 23
	v_readlane_b32 s99, v95, 45
	s_addc_u32 s89, s4, s89
	global_store_dword v1, v63, s[88:89]
	s_branch .LBB146_109
.LBB146_199:                            ;   in Loop: Header=BB146_13 Depth=1
	scratch_load_dwordx2 v[42:43], off, off offset:196 ; 8-byte Folded Reload
	v_readlane_b32 s6, v95, 51
	v_readlane_b32 s4, v95, 53
	v_readlane_b32 s56, v95, 46
	v_readlane_b32 s7, v95, 52
	v_readlane_b32 s5, v95, 54
	v_readlane_b32 s8, v95, 55
.LBB146_200:                            ;   in Loop: Header=BB146_13 Depth=1
	s_waitcnt lgkmcnt(0)
	; wave barrier
	ds_write2_b32 v64, v38, v39 offset1:1
	ds_write2_b32 v64, v36, v37 offset0:2 offset1:3
	ds_write2_b32 v64, v34, v35 offset0:4 offset1:5
	;; [unrolled: 1-line block ×7, first 2 shown]
	; wave barrier
	scratch_load_dword v0, off, off offset:4 ; 4-byte Folded Reload
	scratch_load_dwordx2 v[8:9], off, off offset:272 ; 8-byte Folded Reload
	v_readlane_b32 s0, v95, 47
	v_readlane_b32 s1, v95, 48
	s_mov_b32 s1, s93
	s_waitcnt vmcnt(1)
	ds_read_b32 v19, v0 offset:256
	scratch_load_dword v0, off, off offset:8 ; 4-byte Folded Reload
	s_waitcnt vmcnt(1)
	v_lshl_add_u64 v[8:9], s[0:1], 2, v[8:9]
	s_waitcnt vmcnt(0)
	ds_read_b32 v18, v0 offset:512
	scratch_load_dword v0, off, off offset:12 ; 4-byte Folded Reload
	s_waitcnt vmcnt(0)
	ds_read_b32 v17, v0 offset:768
	scratch_load_dword v0, off, off offset:16 ; 4-byte Folded Reload
	s_waitcnt vmcnt(0)
	ds_read_b32 v16, v0 offset:1024
	scratch_load_dword v0, off, off offset:20 ; 4-byte Folded Reload
	s_waitcnt vmcnt(0)
	ds_read_b32 v15, v0 offset:1280
	scratch_load_dword v0, off, off offset:24 ; 4-byte Folded Reload
	s_waitcnt vmcnt(0)
	ds_read_b32 v14, v0 offset:1536
	scratch_load_dword v0, off, off offset:28 ; 4-byte Folded Reload
	s_waitcnt vmcnt(0)
	ds_read_b32 v13, v0 offset:1792
	scratch_load_dword v0, off, off offset:32 ; 4-byte Folded Reload
	s_waitcnt vmcnt(0)
	ds_read_b32 v12, v0 offset:2048
	scratch_load_dword v0, off, off offset:36 ; 4-byte Folded Reload
	s_waitcnt vmcnt(0)
	ds_read_b32 v11, v0 offset:2304
	scratch_load_dword v0, off, off offset:40 ; 4-byte Folded Reload
	s_waitcnt vmcnt(0)
	ds_read_b32 v10, v0 offset:2560
	scratch_load_dword v0, off, off offset:44 ; 4-byte Folded Reload
	s_waitcnt vmcnt(0)
	ds_read_b32 v7, v0 offset:2816
	scratch_load_dword v0, off, off offset:48 ; 4-byte Folded Reload
	s_waitcnt vmcnt(0)
	ds_read_b32 v6, v0 offset:3072
	scratch_load_dword v0, off, off offset:52 ; 4-byte Folded Reload
	s_waitcnt vmcnt(0)
	ds_read_b32 v5, v0 offset:3328
	scratch_load_dword v0, off, off offset:56 ; 4-byte Folded Reload
	s_waitcnt vmcnt(0)
	ds_read_b32 v3, v0 offset:3584
	scratch_load_dword v0, off, off offset:60 ; 4-byte Folded Reload
	s_waitcnt vmcnt(0)
	ds_read_b32 v0, v0 offset:3840
	s_and_saveexec_b64 s[52:53], s[18:19]
	s_cbranch_execnz .LBB146_218
; %bb.201:                              ;   in Loop: Header=BB146_13 Depth=1
	s_or_b64 exec, exec, s[52:53]
	s_and_saveexec_b64 s[18:19], s[20:21]
	s_cbranch_execnz .LBB146_219
.LBB146_202:                            ;   in Loop: Header=BB146_13 Depth=1
	s_or_b64 exec, exec, s[18:19]
	s_and_saveexec_b64 s[18:19], s[22:23]
	s_cbranch_execnz .LBB146_220
.LBB146_203:                            ;   in Loop: Header=BB146_13 Depth=1
	s_or_b64 exec, exec, s[18:19]
	s_and_saveexec_b64 s[18:19], s[24:25]
	s_cbranch_execnz .LBB146_221
.LBB146_204:                            ;   in Loop: Header=BB146_13 Depth=1
	s_or_b64 exec, exec, s[18:19]
	s_and_saveexec_b64 s[18:19], s[26:27]
	s_cbranch_execnz .LBB146_222
.LBB146_205:                            ;   in Loop: Header=BB146_13 Depth=1
	s_or_b64 exec, exec, s[18:19]
	s_and_saveexec_b64 s[18:19], s[28:29]
	s_cbranch_execnz .LBB146_223
.LBB146_206:                            ;   in Loop: Header=BB146_13 Depth=1
	s_or_b64 exec, exec, s[18:19]
	s_and_saveexec_b64 s[18:19], s[30:31]
	s_cbranch_execnz .LBB146_224
.LBB146_207:                            ;   in Loop: Header=BB146_13 Depth=1
	s_or_b64 exec, exec, s[18:19]
	s_and_saveexec_b64 s[18:19], s[34:35]
	s_cbranch_execnz .LBB146_225
.LBB146_208:                            ;   in Loop: Header=BB146_13 Depth=1
	s_or_b64 exec, exec, s[18:19]
	s_and_saveexec_b64 s[18:19], s[36:37]
	s_cbranch_execnz .LBB146_226
.LBB146_209:                            ;   in Loop: Header=BB146_13 Depth=1
	s_or_b64 exec, exec, s[18:19]
	s_and_saveexec_b64 s[18:19], s[38:39]
	s_cbranch_execnz .LBB146_227
.LBB146_210:                            ;   in Loop: Header=BB146_13 Depth=1
	s_or_b64 exec, exec, s[18:19]
	s_and_saveexec_b64 s[18:19], s[40:41]
	s_cbranch_execnz .LBB146_228
.LBB146_211:                            ;   in Loop: Header=BB146_13 Depth=1
	s_or_b64 exec, exec, s[18:19]
	s_and_saveexec_b64 s[18:19], s[42:43]
	s_cbranch_execnz .LBB146_229
.LBB146_212:                            ;   in Loop: Header=BB146_13 Depth=1
	s_or_b64 exec, exec, s[18:19]
	s_and_saveexec_b64 s[18:19], s[44:45]
	s_cbranch_execnz .LBB146_230
.LBB146_213:                            ;   in Loop: Header=BB146_13 Depth=1
	s_or_b64 exec, exec, s[18:19]
	s_and_saveexec_b64 s[18:19], s[46:47]
	s_cbranch_execnz .LBB146_231
.LBB146_214:                            ;   in Loop: Header=BB146_13 Depth=1
	s_or_b64 exec, exec, s[18:19]
	s_and_saveexec_b64 s[18:19], s[48:49]
	s_cbranch_execnz .LBB146_232
.LBB146_215:                            ;   in Loop: Header=BB146_13 Depth=1
	s_or_b64 exec, exec, s[18:19]
	s_and_saveexec_b64 s[18:19], s[50:51]
	s_cbranch_execz .LBB146_12
	s_branch .LBB146_233
.LBB146_216:                            ;   in Loop: Header=BB146_13 Depth=1
	global_load_dword v36, v[24:25], off offset:3328
	s_or_b64 exec, exec, s[52:53]
	s_and_saveexec_b64 s[52:53], s[48:49]
	s_cbranch_execz .LBB146_73
.LBB146_217:                            ;   in Loop: Header=BB146_13 Depth=1
	global_load_dword v35, v[24:25], off offset:3584
	s_or_b64 exec, exec, s[52:53]
	v_mov_b32_e32 v37, 0
	s_and_saveexec_b64 s[52:53], s[50:51]
	s_cbranch_execnz .LBB146_74
	s_branch .LBB146_75
.LBB146_218:                            ;   in Loop: Header=BB146_13 Depth=1
	scratch_load_dword v20, off, off        ; 4-byte Folded Reload
	s_waitcnt vmcnt(0)
	ds_read_b32 v20, v20
	s_waitcnt lgkmcnt(0)
	global_store_dword v[8:9], v20, off
	s_or_b64 exec, exec, s[52:53]
	s_and_saveexec_b64 s[18:19], s[20:21]
	s_cbranch_execz .LBB146_202
.LBB146_219:                            ;   in Loop: Header=BB146_13 Depth=1
	s_waitcnt lgkmcnt(14)
	global_store_dword v[8:9], v19, off offset:256
	s_or_b64 exec, exec, s[18:19]
	s_and_saveexec_b64 s[18:19], s[22:23]
	s_cbranch_execz .LBB146_203
.LBB146_220:                            ;   in Loop: Header=BB146_13 Depth=1
	s_waitcnt lgkmcnt(13)
	global_store_dword v[8:9], v18, off offset:512
	s_or_b64 exec, exec, s[18:19]
	s_and_saveexec_b64 s[18:19], s[24:25]
	s_cbranch_execz .LBB146_204
.LBB146_221:                            ;   in Loop: Header=BB146_13 Depth=1
	s_waitcnt lgkmcnt(12)
	global_store_dword v[8:9], v17, off offset:768
	s_or_b64 exec, exec, s[18:19]
	s_and_saveexec_b64 s[18:19], s[26:27]
	s_cbranch_execz .LBB146_205
.LBB146_222:                            ;   in Loop: Header=BB146_13 Depth=1
	s_waitcnt lgkmcnt(11)
	global_store_dword v[8:9], v16, off offset:1024
	s_or_b64 exec, exec, s[18:19]
	s_and_saveexec_b64 s[18:19], s[28:29]
	s_cbranch_execz .LBB146_206
.LBB146_223:                            ;   in Loop: Header=BB146_13 Depth=1
	s_waitcnt lgkmcnt(10)
	global_store_dword v[8:9], v15, off offset:1280
	s_or_b64 exec, exec, s[18:19]
	s_and_saveexec_b64 s[18:19], s[30:31]
	s_cbranch_execz .LBB146_207
.LBB146_224:                            ;   in Loop: Header=BB146_13 Depth=1
	s_waitcnt lgkmcnt(9)
	global_store_dword v[8:9], v14, off offset:1536
	s_or_b64 exec, exec, s[18:19]
	s_and_saveexec_b64 s[18:19], s[34:35]
	s_cbranch_execz .LBB146_208
.LBB146_225:                            ;   in Loop: Header=BB146_13 Depth=1
	s_waitcnt lgkmcnt(8)
	global_store_dword v[8:9], v13, off offset:1792
	s_or_b64 exec, exec, s[18:19]
	s_and_saveexec_b64 s[18:19], s[36:37]
	s_cbranch_execz .LBB146_209
.LBB146_226:                            ;   in Loop: Header=BB146_13 Depth=1
	s_waitcnt lgkmcnt(7)
	global_store_dword v[8:9], v12, off offset:2048
	s_or_b64 exec, exec, s[18:19]
	s_and_saveexec_b64 s[18:19], s[38:39]
	s_cbranch_execz .LBB146_210
.LBB146_227:                            ;   in Loop: Header=BB146_13 Depth=1
	s_waitcnt lgkmcnt(6)
	global_store_dword v[8:9], v11, off offset:2304
	s_or_b64 exec, exec, s[18:19]
	s_and_saveexec_b64 s[18:19], s[40:41]
	s_cbranch_execz .LBB146_211
.LBB146_228:                            ;   in Loop: Header=BB146_13 Depth=1
	s_waitcnt lgkmcnt(5)
	global_store_dword v[8:9], v10, off offset:2560
	s_or_b64 exec, exec, s[18:19]
	s_and_saveexec_b64 s[18:19], s[42:43]
	s_cbranch_execz .LBB146_212
.LBB146_229:                            ;   in Loop: Header=BB146_13 Depth=1
	s_waitcnt lgkmcnt(4)
	global_store_dword v[8:9], v7, off offset:2816
	s_or_b64 exec, exec, s[18:19]
	s_and_saveexec_b64 s[18:19], s[44:45]
	s_cbranch_execz .LBB146_213
.LBB146_230:                            ;   in Loop: Header=BB146_13 Depth=1
	s_waitcnt lgkmcnt(3)
	global_store_dword v[8:9], v6, off offset:3072
	s_or_b64 exec, exec, s[18:19]
	s_and_saveexec_b64 s[18:19], s[46:47]
	s_cbranch_execz .LBB146_214
.LBB146_231:                            ;   in Loop: Header=BB146_13 Depth=1
	s_waitcnt lgkmcnt(2)
	global_store_dword v[8:9], v5, off offset:3328
	s_or_b64 exec, exec, s[18:19]
	s_and_saveexec_b64 s[18:19], s[48:49]
	s_cbranch_execz .LBB146_215
.LBB146_232:                            ;   in Loop: Header=BB146_13 Depth=1
	s_waitcnt lgkmcnt(1)
	global_store_dword v[8:9], v3, off offset:3584
	s_or_b64 exec, exec, s[18:19]
	s_and_saveexec_b64 s[18:19], s[50:51]
	s_cbranch_execz .LBB146_12
.LBB146_233:                            ;   in Loop: Header=BB146_13 Depth=1
	s_waitcnt lgkmcnt(0)
	global_store_dword v[8:9], v0, off offset:3840
	s_branch .LBB146_12
.LBB146_234:
	s_endpgm
	.section	.rodata,"a",@progbits
	.p2align	6, 0x0
	.amdhsa_kernel _Z25selective_scan_fwd_kernelI32Selective_Scan_fwd_kernel_traitsILi64ELi16ELi1ELb1ELb1ELb1ELb0ELb1EfffEEv13SSMParamsBase
		.amdhsa_group_segment_fixed_size 0
		.amdhsa_private_segment_fixed_size 348
		.amdhsa_kernarg_size 248
		.amdhsa_user_sgpr_count 2
		.amdhsa_user_sgpr_dispatch_ptr 0
		.amdhsa_user_sgpr_queue_ptr 0
		.amdhsa_user_sgpr_kernarg_segment_ptr 1
		.amdhsa_user_sgpr_dispatch_id 0
		.amdhsa_user_sgpr_kernarg_preload_length 0
		.amdhsa_user_sgpr_kernarg_preload_offset 0
		.amdhsa_user_sgpr_private_segment_size 0
		.amdhsa_uses_dynamic_stack 0
		.amdhsa_enable_private_segment 1
		.amdhsa_system_sgpr_workgroup_id_x 1
		.amdhsa_system_sgpr_workgroup_id_y 1
		.amdhsa_system_sgpr_workgroup_id_z 0
		.amdhsa_system_sgpr_workgroup_info 0
		.amdhsa_system_vgpr_workitem_id 0
		.amdhsa_next_free_vgpr 96
		.amdhsa_next_free_sgpr 100
		.amdhsa_accum_offset 96
		.amdhsa_reserve_vcc 1
		.amdhsa_float_round_mode_32 0
		.amdhsa_float_round_mode_16_64 0
		.amdhsa_float_denorm_mode_32 3
		.amdhsa_float_denorm_mode_16_64 3
		.amdhsa_dx10_clamp 1
		.amdhsa_ieee_mode 1
		.amdhsa_fp16_overflow 0
		.amdhsa_tg_split 0
		.amdhsa_exception_fp_ieee_invalid_op 0
		.amdhsa_exception_fp_denorm_src 0
		.amdhsa_exception_fp_ieee_div_zero 0
		.amdhsa_exception_fp_ieee_overflow 0
		.amdhsa_exception_fp_ieee_underflow 0
		.amdhsa_exception_fp_ieee_inexact 0
		.amdhsa_exception_int_div_zero 0
	.end_amdhsa_kernel
	.section	.text._Z25selective_scan_fwd_kernelI32Selective_Scan_fwd_kernel_traitsILi64ELi16ELi1ELb1ELb1ELb1ELb0ELb1EfffEEv13SSMParamsBase,"axG",@progbits,_Z25selective_scan_fwd_kernelI32Selective_Scan_fwd_kernel_traitsILi64ELi16ELi1ELb1ELb1ELb1ELb0ELb1EfffEEv13SSMParamsBase,comdat
.Lfunc_end146:
	.size	_Z25selective_scan_fwd_kernelI32Selective_Scan_fwd_kernel_traitsILi64ELi16ELi1ELb1ELb1ELb1ELb0ELb1EfffEEv13SSMParamsBase, .Lfunc_end146-_Z25selective_scan_fwd_kernelI32Selective_Scan_fwd_kernel_traitsILi64ELi16ELi1ELb1ELb1ELb1ELb0ELb1EfffEEv13SSMParamsBase
                                        ; -- End function
	.section	.AMDGPU.csdata,"",@progbits
; Kernel info:
; codeLenInByte = 22532
; NumSgprs: 106
; NumVgprs: 96
; NumAgprs: 0
; TotalNumVgprs: 96
; ScratchSize: 348
; MemoryBound: 0
; FloatMode: 240
; IeeeMode: 1
; LDSByteSize: 0 bytes/workgroup (compile time only)
; SGPRBlocks: 13
; VGPRBlocks: 11
; NumSGPRsForWavesPerEU: 106
; NumVGPRsForWavesPerEU: 96
; AccumOffset: 96
; Occupancy: 5
; WaveLimiterHint : 1
; COMPUTE_PGM_RSRC2:SCRATCH_EN: 1
; COMPUTE_PGM_RSRC2:USER_SGPR: 2
; COMPUTE_PGM_RSRC2:TRAP_HANDLER: 0
; COMPUTE_PGM_RSRC2:TGID_X_EN: 1
; COMPUTE_PGM_RSRC2:TGID_Y_EN: 1
; COMPUTE_PGM_RSRC2:TGID_Z_EN: 0
; COMPUTE_PGM_RSRC2:TIDIG_COMP_CNT: 0
; COMPUTE_PGM_RSRC3_GFX90A:ACCUM_OFFSET: 23
; COMPUTE_PGM_RSRC3_GFX90A:TG_SPLIT: 0
	.section	.text._Z25selective_scan_fwd_kernelI32Selective_Scan_fwd_kernel_traitsILi64ELi16ELi1ELb1ELb1ELb1ELb0ELb0EfffEEv13SSMParamsBase,"axG",@progbits,_Z25selective_scan_fwd_kernelI32Selective_Scan_fwd_kernel_traitsILi64ELi16ELi1ELb1ELb1ELb1ELb0ELb0EfffEEv13SSMParamsBase,comdat
	.protected	_Z25selective_scan_fwd_kernelI32Selective_Scan_fwd_kernel_traitsILi64ELi16ELi1ELb1ELb1ELb1ELb0ELb0EfffEEv13SSMParamsBase ; -- Begin function _Z25selective_scan_fwd_kernelI32Selective_Scan_fwd_kernel_traitsILi64ELi16ELi1ELb1ELb1ELb1ELb0ELb0EfffEEv13SSMParamsBase
	.globl	_Z25selective_scan_fwd_kernelI32Selective_Scan_fwd_kernel_traitsILi64ELi16ELi1ELb1ELb1ELb1ELb0ELb0EfffEEv13SSMParamsBase
	.p2align	8
	.type	_Z25selective_scan_fwd_kernelI32Selective_Scan_fwd_kernel_traitsILi64ELi16ELi1ELb1ELb1ELb1ELb0ELb0EfffEEv13SSMParamsBase,@function
_Z25selective_scan_fwd_kernelI32Selective_Scan_fwd_kernel_traitsILi64ELi16ELi1ELb1ELb1ELb1ELb0ELb0EfffEEv13SSMParamsBase: ; @_Z25selective_scan_fwd_kernelI32Selective_Scan_fwd_kernel_traitsILi64ELi16ELi1ELb1ELb1ELb1ELb0ELb0EfffEEv13SSMParamsBase
; %bb.0:
	s_load_dword s23, s[0:1], 0x18
	s_load_dwordx4 s[4:7], s[0:1], 0xe8
	s_mov_b32 s26, s3
	s_waitcnt lgkmcnt(0)
	s_abs_i32 s22, s23
	v_cvt_f32_u32_e32 v1, s22
	s_cmp_eq_u64 s[6:7], 0
	v_rcp_iflag_f32_e32 v1, v1
	s_nop 0
	v_mul_f32_e32 v1, 0x4f7ffffe, v1
	v_cvt_u32_f32_e32 v1, v1
	s_nop 0
	v_readfirstlane_b32 s24, v1
	s_cbranch_scc1 .LBB147_3
; %bb.1:
	s_ashr_i32 s3, s2, 31
	s_add_u32 s6, s6, s2
	s_addc_u32 s7, s7, s3
	v_mov_b32_e32 v1, 0
	global_load_ubyte v1, v1, s[6:7]
	s_waitcnt vmcnt(0)
	v_and_b32_e32 v1, 1, v1
	v_cmp_eq_u32_e64 s[76:77], 1, v1
	s_load_dwordx2 s[6:7], s[0:1], 0x20
	s_cmp_eq_u64 s[4:5], 0
	s_cbranch_scc1 .LBB147_4
.LBB147_2:
	s_ashr_i32 s3, s2, 31
	s_lshl_b64 s[8:9], s[2:3], 2
	s_add_u32 s4, s4, s8
	s_addc_u32 s5, s5, s9
	s_load_dword s20, s[4:5], 0x0
	s_waitcnt lgkmcnt(0)
	s_ashr_i32 s21, s20, 31
	s_cmp_eq_u64 s[6:7], s[20:21]
	s_cbranch_scc0 .LBB147_5
	s_branch .LBB147_89
.LBB147_3:
	s_mov_b64 s[76:77], 0
	s_load_dwordx2 s[6:7], s[0:1], 0x20
	s_cmp_eq_u64 s[4:5], 0
	s_cbranch_scc0 .LBB147_2
.LBB147_4:
	s_mov_b32 s20, s2
	s_ashr_i32 s21, s20, 31
	s_waitcnt lgkmcnt(0)
	s_cmp_eq_u64 s[6:7], s[20:21]
	s_cbranch_scc1 .LBB147_89
.LBB147_5:
	s_load_dwordx16 s[4:19], s[0:1], 0x88
	s_load_dwordx2 s[30:31], s[0:1], 0x8
	s_mov_b32 s33, 0
	s_mov_b32 s86, 0
	s_waitcnt lgkmcnt(0)
	s_cmp_eq_u64 s[10:11], 0
	s_cbranch_scc1 .LBB147_7
; %bb.6:
	s_ashr_i32 s27, s26, 31
	s_lshl_b64 s[28:29], s[26:27], 2
	s_add_u32 s10, s10, s28
	s_addc_u32 s11, s11, s29
	s_load_dword s86, s[10:11], 0x0
.LBB147_7:
	s_cmp_eq_u64 s[16:17], 0
	s_cbranch_scc1 .LBB147_9
; %bb.8:
	s_ashr_i32 s27, s26, 31
	s_lshl_b64 s[10:11], s[26:27], 2
	s_add_u32 s10, s16, s10
	s_addc_u32 s11, s17, s11
	s_load_dword s33, s[10:11], 0x0
.LBB147_9:
	s_cmp_lt_i32 s30, 1
	s_cbranch_scc1 .LBB147_89
; %bb.10:
	s_sub_i32 s3, 0, s22
	s_mul_i32 s3, s3, s24
	s_mul_hi_u32 s3, s24, s3
	s_abs_i32 s21, s26
	s_add_i32 s24, s24, s3
	s_load_dwordx8 s[64:71], s[0:1], 0x2c
	s_load_dwordx2 s[10:11], s[0:1], 0x5c
	s_load_dwordx4 s[72:75], s[0:1], 0x4c
	s_load_dwordx4 s[60:63], s[0:1], 0x7c
	s_load_dwordx2 s[28:29], s[0:1], 0x6c
	s_load_dwordx2 s[16:17], s[0:1], 0xc8
	s_mul_hi_u32 s3, s21, s24
	s_load_dword s24, s[0:1], 0x28
	s_ashr_i32 s0, s26, 31
	s_ashr_i32 s1, s23, 31
	s_xor_b32 s0, s0, s1
	s_mul_i32 s1, s3, s22
	s_sub_i32 s1, s21, s1
	s_add_i32 s21, s3, 1
	s_sub_i32 s23, s1, s22
	s_cmp_ge_u32 s1, s22
	s_cselect_b32 s3, s21, s3
	s_cselect_b32 s1, s23, s1
	s_add_i32 s21, s3, 1
	s_cmp_ge_u32 s1, s22
	s_cselect_b32 s1, s21, s3
	s_xor_b32 s1, s1, s0
	s_waitcnt lgkmcnt(0)
	s_mul_i32 s80, s74, s2
	s_mov_b32 s81, 0
	s_sub_i32 s3, s1, s0
	s_lshl_b64 s[0:1], s[80:81], 2
	s_add_u32 s12, s12, s0
	s_mul_i32 s80, s75, s26
	s_addc_u32 s13, s13, s1
	s_lshl_b64 s[0:1], s[80:81], 2
	s_add_u32 s74, s12, s0
	s_mul_i32 s80, s10, s2
	s_addc_u32 s75, s13, s1
	;; [unrolled: 4-line block ×10, first 2 shown]
	s_lshl_b64 s[0:1], s[80:81], 2
	s_add_u32 s69, s3, s0
	s_addc_u32 s73, s4, s1
	s_add_i32 s0, s30, 0x7ff
	v_mbcnt_lo_u32_b32 v1, -1, 0
	s_lshr_b32 s1, s0, 11
	v_mbcnt_hi_u32_b32 v2, -1, v1
	s_movk_i32 s0, 0x100
	v_cmp_gt_u32_e64 s[4:5], s0, v2
                                        ; implicit-def: $vgpr95 : SGPR spill to VGPR lane
	v_add_u32_e32 v1, 64, v2
	v_lshrrev_b32_e32 v5, 5, v2
	v_writelane_b32 v95, s4, 0
	v_add_u32_e32 v5, v5, v2
	v_or_b32_e32 v3, 0x80, v2
	v_writelane_b32 v95, s5, 1
	v_cmp_gt_u32_e64 s[4:5], s0, v1
	v_lshrrev_b32_e32 v1, 5, v1
	v_lshl_add_u32 v5, v5, 4, 0
	v_add_lshl_u32 v1, v1, v2, 4
	v_cmp_gt_u32_e64 s[6:7], s0, v3
	scratch_store_dword off, v5, off        ; 4-byte Folded Spill
	v_add_u32_e32 v5, 0, v1
	v_lshrrev_b32_e32 v3, 5, v3
	v_add_u32_e32 v4, 0xc0, v2
	scratch_store_dword off, v5, off offset:4 ; 4-byte Folded Spill
	v_add_lshl_u32 v5, v3, v2, 4
	v_cmp_gt_u32_e64 s[8:9], s0, v4
	v_add_u32_e32 v3, 0, v5
	s_bitcmp1_b32 s24, 0
	v_writelane_b32 v95, s8, 2
	scratch_store_dword off, v3, off offset:8 ; 4-byte Folded Spill
	v_lshrrev_b32_e32 v3, 5, v4
	s_cselect_b64 s[84:85], -1, 0
	s_cmp_gt_i32 s31, 0
	v_writelane_b32 v95, s9, 3
	v_add_lshl_u32 v4, v3, v2, 4
	s_cselect_b64 s[8:9], -1, 0
	s_add_i32 s0, 0, 0x1080
	v_add_u32_e32 v3, 0, v4
	v_add_u32_e32 v1, s0, v1
	scratch_store_dword off, v3, off offset:12 ; 4-byte Folded Spill
	v_lshlrev_b32_e32 v3, 2, v2
	v_bfe_u32 v6, v2, 3, 27
	v_writelane_b32 v95, s8, 4
	scratch_store_dword off, v1, off offset:84 ; 4-byte Folded Spill
	v_add_u32_e32 v1, s0, v5
	v_add_lshl_u32 v6, v6, v3, 4
	v_writelane_b32 v95, s9, 5
	scratch_store_dword off, v1, off offset:88 ; 4-byte Folded Spill
	v_add_u32_e32 v1, s0, v4
	scratch_store_dword off, v1, off offset:92 ; 4-byte Folded Spill
	v_add_u32_e32 v1, s0, v6
	v_writelane_b32 v95, s30, 6
	s_and_b32 s0, s30, 0x3ff
	s_cmp_eq_u32 s0, 0
	v_writelane_b32 v95, s31, 7
	scratch_store_dword off, v1, off offset:96 ; 4-byte Folded Spill
	s_cselect_b64 s[88:89], -1, 0
	v_and_b32_e32 v1, 15, v2
	v_writelane_b32 v95, s1, 8
	s_add_i32 s0, s1, -1
	s_mul_i32 s80, s28, s2
	v_cmp_ne_u32_e64 s[8:9], 0, v1
	v_cmp_lt_u32_e64 s[10:11], 1, v1
	v_writelane_b32 v95, s0, 9
	s_lshl_b64 s[0:1], s[80:81], 2
	v_cmp_lt_u32_e64 s[12:13], 3, v1
	v_cmp_lt_u32_e64 s[14:15], 7, v1
	v_and_b32_e32 v1, 16, v2
	s_add_u32 s2, s18, s0
	v_cmp_ne_u32_e64 s[16:17], 0, v1
	v_add_u32_e32 v1, -1, v2
	v_and_b32_e32 v4, 64, v2
	s_mul_i32 s80, s29, s26
	s_addc_u32 s3, s19, s1
	v_cmp_lt_i32_e32 vcc, v1, v4
	s_lshl_b64 s[0:1], s[80:81], 2
	s_add_u32 s0, s2, s0
	v_cndmask_b32_e32 v1, v1, v2, vcc
	v_mov_b32_e32 v81, 0
	v_lshlrev_b32_e32 v1, 2, v1
	s_addc_u32 s1, s3, s1
	v_lshlrev_b32_e32 v80, 4, v2
	v_lshlrev_b32_e32 v5, 4, v0
	v_cmp_eq_u32_e64 s[20:21], 63, v0
	scratch_store_dword off, v1, off offset:100 ; 4-byte Folded Spill
	v_cmp_gt_u32_e64 s[22:23], 64, v0
	v_cmp_eq_u32_e64 s[24:25], 0, v0
	v_lshl_add_u64 v[0:1], s[0:1], 0, v[80:81]
	scratch_store_dwordx2 off, v[0:1], off offset:240 ; 8-byte Folded Spill
	v_or_b32_e32 v0, 1, v5
	scratch_store_dword off, v0, off offset:252 ; 4-byte Folded Spill
	v_or_b32_e32 v0, 2, v5
	scratch_store_dword off, v0, off offset:256 ; 4-byte Folded Spill
	;; [unrolled: 2-line block ×13, first 2 shown]
	v_or_b32_e32 v0, 14, v5
	s_add_i32 s0, 0, 0x2108
	s_mov_b64 s[28:29], s[4:5]
	s_mov_b64 s[4:5], s[6:7]
	scratch_store_dword off, v0, off offset:304 ; 4-byte Folded Spill
	scratch_store_dword off, v5, off offset:248 ; 4-byte Folded Spill
	v_or_b32_e32 v0, 15, v5
	v_writelane_b32 v95, s0, 10
	scratch_store_dword off, v0, off offset:308 ; 4-byte Folded Spill
                                        ; implicit-def: $vgpr0
	v_writelane_b32 v95, s4, 11
	v_add_u32_e32 v3, 0, v6
	v_cmp_lt_u32_e64 s[18:19], 31, v2
	s_mov_b32 s87, 0x41a00000
	v_mov_b32_e32 v48, 0x3ecc95a3
	s_mov_b32 s6, 0x33800000
	s_mov_b32 s7, 0xc2fc0000
	v_lshlrev_b32_e32 v80, 4, v2
	v_mov_b32_e32 v49, 0x7f800000
	v_mov_b32_e32 v0, 0x42800000
                                        ; implicit-def: $vgpr4_vgpr5
	s_mov_b32 s0, 0
	v_mov_b32_e32 v13, 0x1f800000
	v_mov_b32_e32 v54, 0x3f317218
	v_writelane_b32 v95, s5, 12
	scratch_store_dwordx4 off, v[4:7], off offset:120 ; 16-byte Folded Spill
                                        ; implicit-def: $vgpr4_vgpr5
	scratch_store_dwordx4 off, v[4:7], off offset:104 ; 16-byte Folded Spill
                                        ; implicit-def: $vgpr56_vgpr57
                                        ; implicit-def: $vgpr50_vgpr51
                                        ; implicit-def: $vgpr72_vgpr73
                                        ; implicit-def: $vgpr68_vgpr69
                                        ; implicit-def: $vgpr64_vgpr65
                                        ; implicit-def: $vgpr60_vgpr61
	s_branch .LBB147_13
.LBB147_11:                             ;   in Loop: Header=BB147_13 Depth=1
	scratch_load_dwordx4 v[50:53], off, off offset:136 ; 16-byte Folded Reload
	scratch_load_dwordx2 v[54:55], off, off offset:152 ; 8-byte Folded Reload
	scratch_load_dwordx4 v[56:59], off, off offset:160 ; 16-byte Folded Reload
	scratch_load_dwordx4 v[60:63], off, off offset:176 ; 16-byte Folded Reload
	;; [unrolled: 1-line block ×5, first 2 shown]
	s_mov_b64 s[28:29], s[4:5]
	v_readlane_b32 s4, v95, 11
	v_readlane_b32 s5, v95, 12
	v_mov_b32_e32 v48, 0x3ecc95a3
	v_mov_b32_e32 v49, 0x7f800000
.LBB147_12:                             ;   in Loop: Header=BB147_13 Depth=1
	s_waitcnt lgkmcnt(0)
	; wave barrier
	ds_write_b128 v3, v[44:47]
	ds_write_b128 v3, v[40:43] offset:16
	ds_write_b128 v3, v[36:39] offset:32
	;; [unrolled: 1-line block ×3, first 2 shown]
	; wave barrier
	scratch_load_dword v1, off, off         ; 4-byte Folded Reload
	scratch_load_dwordx2 v[8:9], off, off offset:240 ; 8-byte Folded Reload
	s_mov_b32 s3, s81
	s_add_u32 s82, s82, 0x1000
	s_addc_u32 s83, s83, 0
	s_add_u32 s74, s74, 0x1000
	s_addc_u32 s75, s75, 0
	;; [unrolled: 2-line block ×4, first 2 shown]
	s_add_i32 s0, s0, 1
	v_readlane_b32 s1, v95, 8
	s_cmp_eq_u32 s0, s1
	s_waitcnt vmcnt(1)
	ds_read_b128 v[4:7], v1
	scratch_load_dword v1, off, off offset:4 ; 4-byte Folded Reload
	s_waitcnt vmcnt(1)
	v_lshl_add_u64 v[22:23], s[2:3], 2, v[8:9]
	s_waitcnt lgkmcnt(0)
	v_mov_b32_e32 v18, v5
	v_mov_b32_e32 v19, v6
	;; [unrolled: 1-line block ×6, first 2 shown]
	s_waitcnt vmcnt(0)
	ds_read_b128 v[8:11], v1 offset:1024
	scratch_load_dword v1, off, off offset:8 ; 4-byte Folded Reload
	s_waitcnt vmcnt(0)
	ds_read_b128 v[14:17], v1 offset:2048
	global_store_dwordx4 v[22:23], v[4:7], off
	s_waitcnt lgkmcnt(1)
	global_store_dwordx4 v[22:23], v[8:11], off offset:1024
	scratch_load_dword v1, off, off offset:12 ; 4-byte Folded Reload
	s_waitcnt vmcnt(0)
	ds_read_b128 v[4:7], v1 offset:3072
	s_waitcnt lgkmcnt(1)
	global_store_dwordx4 v[22:23], v[14:17], off offset:2048
	s_waitcnt lgkmcnt(0)
	global_store_dwordx4 v[22:23], v[4:7], off offset:3072
	s_cbranch_scc1 .LBB147_89
.LBB147_13:                             ; =>This Loop Header: Depth=1
                                        ;     Child Loop BB147_60 Depth 2
	v_lshl_add_u64 v[32:33], s[74:75], 0, v[80:81]
	s_waitcnt lgkmcnt(0)
	; wave barrier
	s_mov_b64 s[2:3], exec
	scratch_load_dwordx4 v[8:11], off, off offset:120 ; 16-byte Folded Reload
	v_readlane_b32 s26, v95, 0
	v_readlane_b32 s27, v95, 1
	s_and_b64 s[26:27], s[2:3], s[26:27]
	s_mov_b64 exec, s[26:27]
	s_cbranch_execnz .LBB147_85
; %bb.14:                               ;   in Loop: Header=BB147_13 Depth=1
	s_or_b64 exec, exec, s[2:3]
	s_and_saveexec_b64 s[2:3], s[28:29]
	s_cbranch_execnz .LBB147_86
.LBB147_15:                             ;   in Loop: Header=BB147_13 Depth=1
	s_or_b64 exec, exec, s[2:3]
	s_and_saveexec_b64 s[2:3], s[4:5]
	s_cbranch_execz .LBB147_17
.LBB147_16:                             ;   in Loop: Header=BB147_13 Depth=1
	global_load_dwordx4 v[64:67], v[32:33], off offset:2048
.LBB147_17:                             ;   in Loop: Header=BB147_13 Depth=1
	s_or_b64 exec, exec, s[2:3]
	s_mov_b64 s[2:3], exec
	v_readlane_b32 s26, v95, 2
	v_readlane_b32 s27, v95, 3
	s_and_b64 s[26:27], s[2:3], s[26:27]
	s_mov_b64 exec, s[26:27]
	s_cbranch_execz .LBB147_19
; %bb.18:                               ;   in Loop: Header=BB147_13 Depth=1
	global_load_dwordx4 v[60:63], v[32:33], off offset:3072
.LBB147_19:                             ;   in Loop: Header=BB147_13 Depth=1
	s_or_b64 exec, exec, s[2:3]
	scratch_load_dword v1, off, off         ; 4-byte Folded Reload
	v_lshl_add_u64 v[32:33], s[82:83], 0, v[80:81]
	s_waitcnt vmcnt(0)
	ds_write_b128 v1, v[72:75]
	scratch_load_dword v1, off, off offset:4 ; 4-byte Folded Reload
	s_waitcnt vmcnt(0)
	ds_write_b128 v1, v[68:71] offset:1024
	scratch_load_dword v1, off, off offset:8 ; 4-byte Folded Reload
	s_waitcnt vmcnt(0)
	ds_write_b128 v1, v[64:67] offset:2048
	;; [unrolled: 3-line block ×3, first 2 shown]
	; wave barrier
	ds_read_b128 v[72:75], v3
	ds_read_b128 v[68:71], v3 offset:16
	ds_read_b128 v[64:67], v3 offset:32
	;; [unrolled: 1-line block ×3, first 2 shown]
	s_waitcnt lgkmcnt(0)
	; wave barrier
	s_waitcnt lgkmcnt(0)
	s_mov_b64 s[2:3], exec
	v_readlane_b32 s26, v95, 0
	v_readlane_b32 s27, v95, 1
	s_and_b64 s[26:27], s[2:3], s[26:27]
	s_mov_b64 exec, s[26:27]
	s_cbranch_execnz .LBB147_87
; %bb.20:                               ;   in Loop: Header=BB147_13 Depth=1
	s_or_b64 exec, exec, s[2:3]
	s_and_saveexec_b64 s[2:3], s[28:29]
	s_cbranch_execnz .LBB147_88
.LBB147_21:                             ;   in Loop: Header=BB147_13 Depth=1
	s_or_b64 exec, exec, s[2:3]
	s_and_saveexec_b64 s[2:3], s[4:5]
	s_cbranch_execz .LBB147_23
.LBB147_22:                             ;   in Loop: Header=BB147_13 Depth=1
	global_load_dwordx4 v[56:59], v[32:33], off offset:2048
.LBB147_23:                             ;   in Loop: Header=BB147_13 Depth=1
	s_or_b64 exec, exec, s[2:3]
	s_mov_b64 s[2:3], exec
	v_readlane_b32 s26, v95, 2
	v_readlane_b32 s27, v95, 3
	s_and_b64 s[26:27], s[2:3], s[26:27]
	s_mov_b64 exec, s[26:27]
	s_cbranch_execz .LBB147_25
; %bb.24:                               ;   in Loop: Header=BB147_13 Depth=1
	global_load_dwordx4 v[50:53], v[32:33], off offset:3072
.LBB147_25:                             ;   in Loop: Header=BB147_13 Depth=1
	s_or_b64 exec, exec, s[2:3]
	scratch_load_dword v1, off, off         ; 4-byte Folded Reload
	s_waitcnt vmcnt(0)
	ds_write_b128 v1, v[8:11]
	scratch_load_dword v1, off, off offset:4 ; 4-byte Folded Reload
	scratch_load_dwordx4 v[4:7], off, off offset:104 ; 16-byte Folded Reload
	s_waitcnt vmcnt(0)
	ds_write_b128 v1, v[4:7] offset:1024
	scratch_load_dword v1, off, off offset:8 ; 4-byte Folded Reload
	s_waitcnt vmcnt(0)
	ds_write_b128 v1, v[56:59] offset:2048
	scratch_load_dword v1, off, off offset:12 ; 4-byte Folded Reload
	s_waitcnt vmcnt(0)
	ds_write_b128 v1, v[50:53] offset:3072
	; wave barrier
	ds_read_b128 v[20:23], v3
	ds_read_b128 v[4:7], v3 offset:16
	s_waitcnt lgkmcnt(1)
	v_add_f32_e32 v1, s33, v20
	s_waitcnt lgkmcnt(0)
	scratch_store_dwordx4 off, v[4:7], off offset:104 ; 16-byte Folded Spill
	ds_read_b128 v[56:59], v3 offset:32
	ds_read_b128 v[50:53], v3 offset:48
	v_cmp_ge_f32_e32 vcc, s87, v1
	s_and_b64 s[2:3], s[84:85], vcc
	scratch_store_dword off, v1, off offset:16 ; 4-byte Folded Spill
	s_and_saveexec_b64 s[26:27], s[2:3]
	s_cbranch_execz .LBB147_27
; %bb.26:                               ;   in Loop: Header=BB147_13 Depth=1
	scratch_load_dword v5, off, off offset:16 ; 4-byte Folded Reload
	s_mov_b32 s1, 0x3fb8aa3b
	s_waitcnt vmcnt(0)
	v_mul_f32_e32 v1, 0x3fb8aa3b, v5
	v_rndne_f32_e32 v2, v1
	v_sub_f32_e32 v4, v1, v2
	v_fma_f32 v1, v5, s1, -v1
	v_fmac_f32_e32 v1, 0x32a5705f, v5
	v_add_f32_e32 v1, v4, v1
	v_cvt_i32_f32_e32 v2, v2
	v_exp_f32_e32 v1, v1
	s_mov_b32 s1, 0xc2ce8ed0
	v_cmp_ngt_f32_e32 vcc, s1, v5
	s_mov_b32 s1, 0x42b17218
	v_ldexp_f32 v1, v1, v2
	v_cndmask_b32_e32 v1, 0, v1, vcc
	v_cmp_nlt_f32_e32 vcc, s1, v5
	s_mov_b32 s1, 0x3f2aaaab
	s_nop 0
	v_cndmask_b32_e32 v12, v49, v1, vcc
	v_add_f32_e32 v1, 1.0, v12
	v_add_f32_e32 v2, -1.0, v1
	v_sub_f32_e32 v4, v2, v1
	v_add_f32_e32 v4, 1.0, v4
	v_sub_f32_e32 v2, v12, v2
	v_add_f32_e32 v2, v2, v4
	v_frexp_mant_f32_e32 v6, v1
	v_cvt_f64_f32_e32 v[4:5], v1
	v_frexp_exp_i32_f64_e32 v4, v[4:5]
	v_cmp_gt_f32_e32 vcc, s1, v6
	s_mov_b32 s1, 0x3f317218
	v_cmp_gt_f32_e64 s[2:3], s6, v12
	v_subbrev_co_u32_e32 v14, vcc, 0, v4, vcc
	v_sub_u32_e32 v4, 0, v14
	v_ldexp_f32 v1, v1, v4
	v_ldexp_f32 v2, v2, v4
	v_add_f32_e32 v4, -1.0, v1
	v_add_f32_e32 v5, 1.0, v4
	v_sub_f32_e32 v5, v1, v5
	v_add_f32_e32 v6, v2, v5
	v_add_f32_e32 v5, 1.0, v1
	v_add_f32_e32 v7, -1.0, v5
	v_sub_f32_e32 v1, v1, v7
	v_add_f32_e32 v1, v2, v1
	v_add_f32_e32 v2, v5, v1
	v_rcp_f32_e32 v15, v2
	v_sub_f32_e32 v5, v5, v2
	v_add_f32_e32 v1, v1, v5
	v_add_f32_e32 v5, v4, v6
	v_sub_f32_e32 v4, v4, v5
	v_mul_f32_e32 v17, v5, v15
	v_add_f32_e32 v16, v6, v4
	v_mul_f32_e32 v6, v2, v17
	v_fma_f32 v8, v17, v2, -v6
	v_fmac_f32_e32 v8, v17, v1
	v_add_f32_e32 v4, v6, v8
	v_sub_f32_e32 v7, v5, v4
	v_pk_add_f32 v[10:11], v[4:5], v[6:7] neg_lo:[0,1] neg_hi:[0,1]
	v_mov_b32_e32 v9, v4
	v_pk_add_f32 v[4:5], v[10:11], v[8:9] neg_lo:[0,1] neg_hi:[0,1]
	s_nop 0
	v_add_f32_e32 v5, v16, v5
	v_add_f32_e32 v4, v4, v5
	;; [unrolled: 1-line block ×3, first 2 shown]
	v_mul_f32_e32 v16, v15, v5
	v_mul_f32_e32 v6, v2, v16
	v_fma_f32 v8, v16, v2, -v6
	v_fmac_f32_e32 v8, v16, v1
	v_sub_f32_e32 v1, v7, v5
	v_add_f32_e32 v1, v4, v1
	v_add_f32_e32 v4, v6, v8
	v_sub_f32_e32 v7, v5, v4
	v_pk_add_f32 v[10:11], v[4:5], v[6:7] neg_lo:[0,1] neg_hi:[0,1]
	v_mov_b32_e32 v9, v4
	v_pk_add_f32 v[4:5], v[10:11], v[8:9] neg_lo:[0,1] neg_hi:[0,1]
	v_add_f32_e32 v2, v17, v16
	v_add_f32_e32 v1, v1, v5
	;; [unrolled: 1-line block ×4, first 2 shown]
	v_sub_f32_e32 v4, v2, v17
	v_mul_f32_e32 v1, v15, v1
	v_sub_f32_e32 v4, v16, v4
	v_add_f32_e32 v1, v4, v1
	v_add_f32_e32 v5, v2, v1
	v_mul_f32_e32 v6, v5, v5
	v_fmamk_f32 v4, v6, 0x3e9b6dac, v48
	v_fmaak_f32 v55, v6, v4, 0x3f2aaada
	v_cvt_f32_i32_e32 v4, v14
	v_sub_f32_e32 v2, v5, v2
	v_ldexp_f32 v7, v5, 1
	v_mul_f32_e32 v5, v5, v6
	v_pk_mul_f32 v[8:9], v[4:5], v[54:55]
	v_sub_f32_e32 v1, v1, v2
	v_fma_f32 v6, v4, s1, -v8
	v_fmac_f32_e32 v6, 0xb102e308, v4
	v_pk_add_f32 v[4:5], v[8:9], v[6:7]
	v_ldexp_f32 v1, v1, 1
	v_sub_f32_e32 v2, v5, v7
	v_sub_f32_e32 v2, v9, v2
	v_add_f32_e32 v11, v1, v2
	v_mov_b32_e32 v10, v8
	v_pk_add_f32 v[8:9], v[4:5], v[8:9] neg_lo:[0,1] neg_hi:[0,1]
	v_pk_add_f32 v[14:15], v[4:5], v[10:11]
	v_mov_b32_e32 v7, v4
	v_mov_b32_e32 v9, v15
	v_pk_add_f32 v[16:17], v[6:7], v[8:9] neg_lo:[0,1] neg_hi:[0,1]
	v_pk_add_f32 v[6:7], v[6:7], v[8:9]
	s_mov_b32 s1, 0x7f800000
	v_mov_b32_e32 v2, v7
	v_pk_add_f32 v[8:9], v[2:3], v[4:5] neg_lo:[0,1] neg_hi:[0,1]
	v_mov_b32_e32 v6, v15
	v_mov_b32_e32 v1, v8
	v_pk_add_f32 v[18:19], v[14:15], v[0:1] neg_lo:[0,1] neg_hi:[0,1]
	v_mov_b32_e32 v14, v5
	v_mov_b32_e32 v15, v8
	v_mov_b32_e32 v17, v7
	v_pk_add_f32 v[6:7], v[6:7], v[14:15] neg_lo:[0,1] neg_hi:[0,1]
	v_mov_b32_e32 v8, v11
	v_mov_b32_e32 v9, v4
	v_pk_add_f32 v[4:5], v[8:9], v[6:7] neg_lo:[0,1] neg_hi:[0,1]
	v_mov_b32_e32 v18, v16
	v_pk_add_f32 v[6:7], v[18:19], v[4:5]
	v_cmp_eq_f32_e32 vcc, s1, v12
	v_mov_b32_e32 v8, v7
	v_pk_add_f32 v[8:9], v[6:7], v[8:9]
	s_or_b64 vcc, s[2:3], vcc
	v_pk_add_f32 v[10:11], v[2:3], v[8:9]
	v_mov_b32_e32 v5, v8
	v_mov_b32_e32 v7, v10
	v_pk_add_f32 v[14:15], v[6:7], v[16:17] neg_lo:[0,1] neg_hi:[0,1]
	s_nop 0
	v_sub_f32_e32 v1, v6, v14
	v_pk_add_f32 v[4:5], v[4:5], v[14:15] neg_lo:[0,1] neg_hi:[0,1]
	v_sub_f32_e32 v1, v16, v1
	v_add_f32_e32 v1, v4, v1
	v_add_f32_e32 v1, v1, v5
	;; [unrolled: 1-line block ×3, first 2 shown]
	v_cndmask_b32_e32 v1, v1, v12, vcc
	scratch_store_dword off, v1, off offset:16 ; 4-byte Folded Spill
.LBB147_27:                             ;   in Loop: Header=BB147_13 Depth=1
	s_or_b64 exec, exec, s[26:27]
	v_add_f32_e32 v15, s33, v21
	v_cmp_ge_f32_e32 vcc, s87, v15
	s_and_b64 s[2:3], s[84:85], vcc
	s_and_saveexec_b64 s[26:27], s[2:3]
	s_cbranch_execz .LBB147_29
; %bb.28:                               ;   in Loop: Header=BB147_13 Depth=1
	v_mul_f32_e32 v1, 0x3fb8aa3b, v15
	v_rndne_f32_e32 v2, v1
	s_mov_b32 s1, 0x3fb8aa3b
	v_sub_f32_e32 v4, v1, v2
	v_fma_f32 v1, v15, s1, -v1
	v_fmac_f32_e32 v1, 0x32a5705f, v15
	v_add_f32_e32 v1, v4, v1
	v_cvt_i32_f32_e32 v2, v2
	v_exp_f32_e32 v1, v1
	s_mov_b32 s1, 0xc2ce8ed0
	v_cmp_ngt_f32_e32 vcc, s1, v15
	s_mov_b32 s1, 0x42b17218
	v_ldexp_f32 v1, v1, v2
	v_cndmask_b32_e32 v1, 0, v1, vcc
	v_cmp_nlt_f32_e32 vcc, s1, v15
	s_mov_b32 s1, 0x3f2aaaab
	v_mov_b64_e32 v[24:25], v[22:23]
	v_cndmask_b32_e32 v12, v49, v1, vcc
	v_add_f32_e32 v1, 1.0, v12
	v_add_f32_e32 v2, -1.0, v1
	v_sub_f32_e32 v4, v2, v1
	v_add_f32_e32 v4, 1.0, v4
	v_sub_f32_e32 v2, v12, v2
	v_add_f32_e32 v2, v2, v4
	v_frexp_mant_f32_e32 v6, v1
	v_cvt_f64_f32_e32 v[4:5], v1
	v_frexp_exp_i32_f64_e32 v4, v[4:5]
	v_cmp_gt_f32_e32 vcc, s1, v6
	s_mov_b32 s1, 0x3f317218
	v_mov_b64_e32 v[22:23], v[20:21]
	v_subbrev_co_u32_e32 v15, vcc, 0, v4, vcc
	v_sub_u32_e32 v4, 0, v15
	v_ldexp_f32 v1, v1, v4
	v_ldexp_f32 v2, v2, v4
	v_add_f32_e32 v4, -1.0, v1
	v_add_f32_e32 v5, 1.0, v4
	v_sub_f32_e32 v5, v1, v5
	v_add_f32_e32 v6, v2, v5
	v_add_f32_e32 v5, 1.0, v1
	v_add_f32_e32 v7, -1.0, v5
	v_sub_f32_e32 v1, v1, v7
	v_add_f32_e32 v1, v2, v1
	v_add_f32_e32 v2, v5, v1
	v_rcp_f32_e32 v16, v2
	v_sub_f32_e32 v5, v5, v2
	v_add_f32_e32 v1, v1, v5
	v_add_f32_e32 v5, v4, v6
	v_sub_f32_e32 v4, v4, v5
	v_mul_f32_e32 v18, v5, v16
	v_add_f32_e32 v17, v6, v4
	v_mul_f32_e32 v6, v2, v18
	v_fma_f32 v8, v18, v2, -v6
	v_fmac_f32_e32 v8, v18, v1
	v_add_f32_e32 v4, v6, v8
	v_sub_f32_e32 v7, v5, v4
	v_pk_add_f32 v[10:11], v[4:5], v[6:7] neg_lo:[0,1] neg_hi:[0,1]
	v_mov_b32_e32 v9, v4
	v_pk_add_f32 v[4:5], v[10:11], v[8:9] neg_lo:[0,1] neg_hi:[0,1]
	v_cmp_gt_f32_e64 s[2:3], s6, v12
	v_add_f32_e32 v5, v17, v5
	v_add_f32_e32 v4, v4, v5
	;; [unrolled: 1-line block ×3, first 2 shown]
	v_mul_f32_e32 v17, v16, v5
	v_mul_f32_e32 v6, v2, v17
	v_fma_f32 v8, v17, v2, -v6
	v_fmac_f32_e32 v8, v17, v1
	v_sub_f32_e32 v1, v7, v5
	v_add_f32_e32 v1, v4, v1
	v_add_f32_e32 v4, v6, v8
	v_sub_f32_e32 v7, v5, v4
	v_pk_add_f32 v[10:11], v[4:5], v[6:7] neg_lo:[0,1] neg_hi:[0,1]
	v_mov_b32_e32 v9, v4
	v_pk_add_f32 v[4:5], v[10:11], v[8:9] neg_lo:[0,1] neg_hi:[0,1]
	v_add_f32_e32 v2, v18, v17
	v_add_f32_e32 v1, v1, v5
	;; [unrolled: 1-line block ×4, first 2 shown]
	v_sub_f32_e32 v4, v2, v18
	v_mul_f32_e32 v1, v16, v1
	v_sub_f32_e32 v4, v17, v4
	v_add_f32_e32 v1, v4, v1
	v_add_f32_e32 v5, v2, v1
	v_mul_f32_e32 v6, v5, v5
	v_fmamk_f32 v4, v6, 0x3e9b6dac, v48
	v_fmaak_f32 v55, v6, v4, 0x3f2aaada
	v_cvt_f32_i32_e32 v4, v15
	v_sub_f32_e32 v2, v5, v2
	v_ldexp_f32 v7, v5, 1
	v_mul_f32_e32 v5, v5, v6
	v_pk_mul_f32 v[8:9], v[4:5], v[54:55]
	v_sub_f32_e32 v1, v1, v2
	v_fma_f32 v6, v4, s1, -v8
	v_fmac_f32_e32 v6, 0xb102e308, v4
	v_pk_add_f32 v[4:5], v[8:9], v[6:7]
	v_ldexp_f32 v1, v1, 1
	v_sub_f32_e32 v2, v5, v7
	v_sub_f32_e32 v2, v9, v2
	v_add_f32_e32 v11, v1, v2
	v_mov_b32_e32 v10, v8
	v_pk_add_f32 v[8:9], v[4:5], v[8:9] neg_lo:[0,1] neg_hi:[0,1]
	v_pk_add_f32 v[16:17], v[4:5], v[10:11]
	v_mov_b32_e32 v7, v4
	v_mov_b32_e32 v9, v17
	v_pk_add_f32 v[18:19], v[6:7], v[8:9] neg_lo:[0,1] neg_hi:[0,1]
	v_pk_add_f32 v[6:7], v[6:7], v[8:9]
	s_mov_b32 s1, 0x7f800000
	v_mov_b32_e32 v2, v7
	v_pk_add_f32 v[8:9], v[2:3], v[4:5] neg_lo:[0,1] neg_hi:[0,1]
	v_mov_b32_e32 v6, v17
	v_mov_b32_e32 v1, v8
	v_pk_add_f32 v[20:21], v[16:17], v[0:1] neg_lo:[0,1] neg_hi:[0,1]
	v_mov_b32_e32 v16, v5
	v_mov_b32_e32 v17, v8
	;; [unrolled: 1-line block ×3, first 2 shown]
	v_pk_add_f32 v[6:7], v[6:7], v[16:17] neg_lo:[0,1] neg_hi:[0,1]
	v_mov_b32_e32 v8, v11
	v_mov_b32_e32 v9, v4
	v_pk_add_f32 v[4:5], v[8:9], v[6:7] neg_lo:[0,1] neg_hi:[0,1]
	v_mov_b32_e32 v20, v18
	v_pk_add_f32 v[6:7], v[20:21], v[4:5]
	v_cmp_eq_f32_e32 vcc, s1, v12
	v_mov_b32_e32 v8, v7
	v_pk_add_f32 v[8:9], v[6:7], v[8:9]
	v_mov_b64_e32 v[20:21], v[22:23]
	v_pk_add_f32 v[10:11], v[2:3], v[8:9]
	v_mov_b32_e32 v5, v8
	v_mov_b32_e32 v7, v10
	v_pk_add_f32 v[16:17], v[6:7], v[18:19] neg_lo:[0,1] neg_hi:[0,1]
	s_or_b64 vcc, s[2:3], vcc
	v_sub_f32_e32 v1, v6, v16
	v_pk_add_f32 v[4:5], v[4:5], v[16:17] neg_lo:[0,1] neg_hi:[0,1]
	v_sub_f32_e32 v1, v18, v1
	v_add_f32_e32 v1, v4, v1
	v_add_f32_e32 v1, v1, v5
	;; [unrolled: 1-line block ×3, first 2 shown]
	v_mov_b64_e32 v[22:23], v[24:25]
	v_cndmask_b32_e32 v15, v1, v12, vcc
.LBB147_29:                             ;   in Loop: Header=BB147_13 Depth=1
	s_or_b64 exec, exec, s[26:27]
	v_add_f32_e32 v2, s33, v22
	v_cmp_ge_f32_e32 vcc, s87, v2
	s_and_b64 s[2:3], s[84:85], vcc
	s_and_saveexec_b64 s[26:27], s[2:3]
	s_cbranch_execz .LBB147_31
; %bb.30:                               ;   in Loop: Header=BB147_13 Depth=1
	v_mul_f32_e32 v1, 0x3fb8aa3b, v2
	v_rndne_f32_e32 v4, v1
	s_mov_b32 s1, 0x3fb8aa3b
	v_sub_f32_e32 v5, v1, v4
	v_fma_f32 v1, v2, s1, -v1
	v_fmac_f32_e32 v1, 0x32a5705f, v2
	v_add_f32_e32 v1, v5, v1
	v_cvt_i32_f32_e32 v4, v4
	v_exp_f32_e32 v1, v1
	s_mov_b32 s1, 0xc2ce8ed0
	v_cmp_ngt_f32_e32 vcc, s1, v2
	s_mov_b32 s1, 0x42b17218
	v_ldexp_f32 v1, v1, v4
	v_cndmask_b32_e32 v1, 0, v1, vcc
	v_cmp_nlt_f32_e32 vcc, s1, v2
	s_mov_b32 s1, 0x3f2aaaab
	v_mov_b64_e32 v[24:25], v[22:23]
	v_cndmask_b32_e32 v12, v49, v1, vcc
	v_add_f32_e32 v1, 1.0, v12
	v_add_f32_e32 v2, -1.0, v1
	v_sub_f32_e32 v4, v2, v1
	v_add_f32_e32 v4, 1.0, v4
	v_sub_f32_e32 v2, v12, v2
	v_add_f32_e32 v2, v2, v4
	v_frexp_mant_f32_e32 v6, v1
	v_cvt_f64_f32_e32 v[4:5], v1
	v_frexp_exp_i32_f64_e32 v4, v[4:5]
	v_cmp_gt_f32_e32 vcc, s1, v6
	s_mov_b32 s1, 0x3f317218
	v_mov_b64_e32 v[22:23], v[20:21]
	v_subbrev_co_u32_e32 v16, vcc, 0, v4, vcc
	v_sub_u32_e32 v4, 0, v16
	v_ldexp_f32 v1, v1, v4
	v_ldexp_f32 v2, v2, v4
	v_add_f32_e32 v4, -1.0, v1
	v_add_f32_e32 v5, 1.0, v4
	v_sub_f32_e32 v5, v1, v5
	v_add_f32_e32 v6, v2, v5
	v_add_f32_e32 v5, 1.0, v1
	v_add_f32_e32 v7, -1.0, v5
	v_sub_f32_e32 v1, v1, v7
	v_add_f32_e32 v1, v2, v1
	v_add_f32_e32 v2, v5, v1
	v_rcp_f32_e32 v17, v2
	v_sub_f32_e32 v5, v5, v2
	v_add_f32_e32 v1, v1, v5
	v_add_f32_e32 v5, v4, v6
	v_sub_f32_e32 v4, v4, v5
	v_mul_f32_e32 v19, v5, v17
	v_add_f32_e32 v18, v6, v4
	v_mul_f32_e32 v6, v2, v19
	v_fma_f32 v8, v19, v2, -v6
	v_fmac_f32_e32 v8, v19, v1
	v_add_f32_e32 v4, v6, v8
	v_sub_f32_e32 v7, v5, v4
	v_pk_add_f32 v[10:11], v[4:5], v[6:7] neg_lo:[0,1] neg_hi:[0,1]
	v_mov_b32_e32 v9, v4
	v_pk_add_f32 v[4:5], v[10:11], v[8:9] neg_lo:[0,1] neg_hi:[0,1]
	v_cmp_gt_f32_e64 s[2:3], s6, v12
	v_add_f32_e32 v5, v18, v5
	v_add_f32_e32 v4, v4, v5
	;; [unrolled: 1-line block ×3, first 2 shown]
	v_mul_f32_e32 v18, v17, v5
	v_mul_f32_e32 v6, v2, v18
	v_fma_f32 v8, v18, v2, -v6
	v_fmac_f32_e32 v8, v18, v1
	v_sub_f32_e32 v1, v7, v5
	v_add_f32_e32 v1, v4, v1
	v_add_f32_e32 v4, v6, v8
	v_sub_f32_e32 v7, v5, v4
	v_pk_add_f32 v[10:11], v[4:5], v[6:7] neg_lo:[0,1] neg_hi:[0,1]
	v_mov_b32_e32 v9, v4
	v_pk_add_f32 v[4:5], v[10:11], v[8:9] neg_lo:[0,1] neg_hi:[0,1]
	v_add_f32_e32 v2, v19, v18
	v_add_f32_e32 v1, v1, v5
	;; [unrolled: 1-line block ×4, first 2 shown]
	v_sub_f32_e32 v4, v2, v19
	v_mul_f32_e32 v1, v17, v1
	v_sub_f32_e32 v4, v18, v4
	v_add_f32_e32 v1, v4, v1
	v_add_f32_e32 v5, v2, v1
	v_mul_f32_e32 v6, v5, v5
	v_fmamk_f32 v4, v6, 0x3e9b6dac, v48
	v_fmaak_f32 v55, v6, v4, 0x3f2aaada
	v_cvt_f32_i32_e32 v4, v16
	v_sub_f32_e32 v2, v5, v2
	v_ldexp_f32 v7, v5, 1
	v_mul_f32_e32 v5, v5, v6
	v_pk_mul_f32 v[8:9], v[4:5], v[54:55]
	v_sub_f32_e32 v1, v1, v2
	v_fma_f32 v6, v4, s1, -v8
	v_fmac_f32_e32 v6, 0xb102e308, v4
	v_pk_add_f32 v[4:5], v[8:9], v[6:7]
	v_ldexp_f32 v1, v1, 1
	v_sub_f32_e32 v2, v5, v7
	v_sub_f32_e32 v2, v9, v2
	v_add_f32_e32 v11, v1, v2
	v_mov_b32_e32 v10, v8
	v_pk_add_f32 v[8:9], v[4:5], v[8:9] neg_lo:[0,1] neg_hi:[0,1]
	v_pk_add_f32 v[16:17], v[4:5], v[10:11]
	v_mov_b32_e32 v7, v4
	v_mov_b32_e32 v9, v17
	v_pk_add_f32 v[18:19], v[6:7], v[8:9] neg_lo:[0,1] neg_hi:[0,1]
	v_pk_add_f32 v[6:7], v[6:7], v[8:9]
	s_mov_b32 s1, 0x7f800000
	v_mov_b32_e32 v2, v7
	v_pk_add_f32 v[8:9], v[2:3], v[4:5] neg_lo:[0,1] neg_hi:[0,1]
	v_mov_b32_e32 v6, v17
	v_mov_b32_e32 v1, v8
	v_pk_add_f32 v[20:21], v[16:17], v[0:1] neg_lo:[0,1] neg_hi:[0,1]
	v_mov_b32_e32 v16, v5
	v_mov_b32_e32 v17, v8
	;; [unrolled: 1-line block ×3, first 2 shown]
	v_pk_add_f32 v[6:7], v[6:7], v[16:17] neg_lo:[0,1] neg_hi:[0,1]
	v_mov_b32_e32 v8, v11
	v_mov_b32_e32 v9, v4
	v_pk_add_f32 v[4:5], v[8:9], v[6:7] neg_lo:[0,1] neg_hi:[0,1]
	v_mov_b32_e32 v20, v18
	v_pk_add_f32 v[6:7], v[20:21], v[4:5]
	v_cmp_eq_f32_e32 vcc, s1, v12
	v_mov_b32_e32 v8, v7
	v_pk_add_f32 v[8:9], v[6:7], v[8:9]
	v_mov_b64_e32 v[20:21], v[22:23]
	v_pk_add_f32 v[10:11], v[2:3], v[8:9]
	v_mov_b32_e32 v5, v8
	v_mov_b32_e32 v7, v10
	v_pk_add_f32 v[16:17], v[6:7], v[18:19] neg_lo:[0,1] neg_hi:[0,1]
	s_or_b64 vcc, s[2:3], vcc
	v_sub_f32_e32 v1, v6, v16
	v_pk_add_f32 v[4:5], v[4:5], v[16:17] neg_lo:[0,1] neg_hi:[0,1]
	v_sub_f32_e32 v1, v18, v1
	v_add_f32_e32 v1, v4, v1
	v_add_f32_e32 v1, v1, v5
	;; [unrolled: 1-line block ×3, first 2 shown]
	v_mov_b64_e32 v[22:23], v[24:25]
	v_cndmask_b32_e32 v2, v1, v12, vcc
.LBB147_31:                             ;   in Loop: Header=BB147_13 Depth=1
	s_or_b64 exec, exec, s[26:27]
	scratch_store_dwordx4 off, v[20:23], off offset:120 ; 16-byte Folded Spill
	s_nop 1
	v_add_f32_e32 v20, s33, v23
	v_cmp_ge_f32_e32 vcc, s87, v20
	s_and_b64 s[2:3], s[84:85], vcc
	s_and_saveexec_b64 s[26:27], s[2:3]
	s_cbranch_execz .LBB147_33
; %bb.32:                               ;   in Loop: Header=BB147_13 Depth=1
	v_mul_f32_e32 v1, 0x3fb8aa3b, v20
	v_rndne_f32_e32 v4, v1
	s_mov_b32 s1, 0x3fb8aa3b
	v_sub_f32_e32 v5, v1, v4
	v_fma_f32 v1, v20, s1, -v1
	v_fmac_f32_e32 v1, 0x32a5705f, v20
	v_add_f32_e32 v1, v5, v1
	v_cvt_i32_f32_e32 v4, v4
	v_exp_f32_e32 v1, v1
	s_mov_b32 s1, 0xc2ce8ed0
	v_cmp_ngt_f32_e32 vcc, s1, v20
	s_mov_b32 s1, 0x42b17218
	v_ldexp_f32 v1, v1, v4
	v_cndmask_b32_e32 v1, 0, v1, vcc
	v_cmp_nlt_f32_e32 vcc, s1, v20
	s_mov_b32 s1, 0x3f2aaaab
	s_nop 0
	v_cndmask_b32_e32 v12, v49, v1, vcc
	v_add_f32_e32 v1, 1.0, v12
	v_add_f32_e32 v4, -1.0, v1
	v_sub_f32_e32 v5, v4, v1
	v_add_f32_e32 v5, 1.0, v5
	v_sub_f32_e32 v4, v12, v4
	v_add_f32_e32 v6, v4, v5
	v_frexp_mant_f32_e32 v7, v1
	v_cvt_f64_f32_e32 v[4:5], v1
	v_frexp_exp_i32_f64_e32 v4, v[4:5]
	v_cmp_gt_f32_e32 vcc, s1, v7
	s_mov_b32 s1, 0x3f317218
	v_cmp_gt_f32_e64 s[2:3], s6, v12
	v_subbrev_co_u32_e32 v16, vcc, 0, v4, vcc
	v_sub_u32_e32 v4, 0, v16
	v_ldexp_f32 v1, v1, v4
	v_ldexp_f32 v4, v6, v4
	v_add_f32_e32 v6, -1.0, v1
	v_add_f32_e32 v5, 1.0, v6
	v_sub_f32_e32 v5, v1, v5
	v_add_f32_e32 v7, v4, v5
	v_add_f32_e32 v5, 1.0, v1
	v_add_f32_e32 v8, -1.0, v5
	v_sub_f32_e32 v1, v1, v8
	v_add_f32_e32 v1, v4, v1
	v_add_f32_e32 v17, v5, v1
	v_rcp_f32_e32 v18, v17
	v_sub_f32_e32 v4, v5, v17
	v_add_f32_e32 v5, v6, v7
	v_add_f32_e32 v1, v1, v4
	v_mul_f32_e32 v20, v5, v18
	v_sub_f32_e32 v4, v6, v5
	v_mul_f32_e32 v6, v17, v20
	v_fma_f32 v8, v20, v17, -v6
	v_fmac_f32_e32 v8, v20, v1
	v_add_f32_e32 v19, v7, v4
	v_add_f32_e32 v4, v6, v8
	v_sub_f32_e32 v7, v5, v4
	v_pk_add_f32 v[10:11], v[4:5], v[6:7] neg_lo:[0,1] neg_hi:[0,1]
	v_mov_b32_e32 v9, v4
	v_pk_add_f32 v[4:5], v[10:11], v[8:9] neg_lo:[0,1] neg_hi:[0,1]
	s_nop 0
	v_add_f32_e32 v5, v19, v5
	v_add_f32_e32 v4, v4, v5
	;; [unrolled: 1-line block ×3, first 2 shown]
	v_mul_f32_e32 v19, v18, v5
	v_mul_f32_e32 v6, v17, v19
	v_fma_f32 v8, v19, v17, -v6
	v_fmac_f32_e32 v8, v19, v1
	v_sub_f32_e32 v1, v7, v5
	v_add_f32_e32 v1, v4, v1
	v_add_f32_e32 v4, v6, v8
	v_sub_f32_e32 v7, v5, v4
	v_pk_add_f32 v[10:11], v[4:5], v[6:7] neg_lo:[0,1] neg_hi:[0,1]
	v_mov_b32_e32 v9, v4
	v_pk_add_f32 v[4:5], v[10:11], v[8:9] neg_lo:[0,1] neg_hi:[0,1]
	s_nop 0
	v_add_f32_e32 v1, v1, v5
	v_add_f32_e32 v1, v4, v1
	;; [unrolled: 1-line block ×4, first 2 shown]
	v_sub_f32_e32 v4, v5, v20
	v_mul_f32_e32 v1, v18, v1
	v_sub_f32_e32 v4, v19, v4
	v_add_f32_e32 v1, v4, v1
	v_add_f32_e32 v6, v5, v1
	v_mul_f32_e32 v8, v6, v6
	v_fmamk_f32 v4, v8, 0x3e9b6dac, v48
	v_fmaak_f32 v55, v8, v4, 0x3f2aaada
	v_cvt_f32_i32_e32 v4, v16
	v_sub_f32_e32 v5, v6, v5
	v_sub_f32_e32 v1, v1, v5
	v_mul_f32_e32 v5, v6, v8
	v_pk_mul_f32 v[8:9], v[4:5], v[54:55]
	v_ldexp_f32 v7, v6, 1
	v_fma_f32 v6, v4, s1, -v8
	v_fmac_f32_e32 v6, 0xb102e308, v4
	v_pk_add_f32 v[4:5], v[8:9], v[6:7]
	v_ldexp_f32 v1, v1, 1
	v_sub_f32_e32 v7, v5, v7
	v_sub_f32_e32 v7, v9, v7
	v_add_f32_e32 v11, v1, v7
	v_mov_b32_e32 v10, v8
	v_pk_add_f32 v[8:9], v[4:5], v[8:9] neg_lo:[0,1] neg_hi:[0,1]
	v_pk_add_f32 v[16:17], v[4:5], v[10:11]
	v_mov_b32_e32 v7, v4
	v_mov_b32_e32 v9, v17
	v_pk_add_f32 v[18:19], v[6:7], v[8:9] neg_lo:[0,1] neg_hi:[0,1]
	v_pk_add_f32 v[6:7], v[6:7], v[8:9]
	v_mov_b32_e32 v10, v11
	v_mov_b32_e32 v8, v7
	v_pk_add_f32 v[20:21], v[8:9], v[4:5] neg_lo:[0,1] neg_hi:[0,1]
	v_mov_b32_e32 v6, v17
	v_mov_b32_e32 v1, v20
	v_pk_add_f32 v[22:23], v[16:17], v[0:1] neg_lo:[0,1] neg_hi:[0,1]
	v_mov_b32_e32 v16, v5
	v_mov_b32_e32 v17, v20
	;; [unrolled: 1-line block ×3, first 2 shown]
	v_pk_add_f32 v[6:7], v[6:7], v[16:17] neg_lo:[0,1] neg_hi:[0,1]
	v_mov_b32_e32 v11, v4
	v_pk_add_f32 v[4:5], v[10:11], v[6:7] neg_lo:[0,1] neg_hi:[0,1]
	v_mov_b32_e32 v22, v18
	v_pk_add_f32 v[6:7], v[22:23], v[4:5]
	s_mov_b32 s1, 0x7f800000
	v_mov_b32_e32 v10, v7
	v_pk_add_f32 v[10:11], v[6:7], v[10:11]
	v_cmp_eq_f32_e32 vcc, s1, v12
	v_pk_add_f32 v[8:9], v[8:9], v[10:11]
	v_mov_b32_e32 v5, v10
	v_mov_b32_e32 v7, v8
	v_pk_add_f32 v[16:17], v[6:7], v[18:19] neg_lo:[0,1] neg_hi:[0,1]
	s_or_b64 vcc, s[2:3], vcc
	v_sub_f32_e32 v1, v6, v16
	v_pk_add_f32 v[4:5], v[4:5], v[16:17] neg_lo:[0,1] neg_hi:[0,1]
	v_sub_f32_e32 v1, v18, v1
	v_add_f32_e32 v1, v4, v1
	v_add_f32_e32 v1, v1, v5
	;; [unrolled: 1-line block ×3, first 2 shown]
	v_cndmask_b32_e32 v20, v1, v12, vcc
.LBB147_33:                             ;   in Loop: Header=BB147_13 Depth=1
	s_or_b64 exec, exec, s[26:27]
	scratch_load_dwordx4 v[4:7], off, off offset:104 ; 16-byte Folded Reload
	s_waitcnt vmcnt(0)
	v_add_f32_e32 v21, s33, v4
	v_cmp_ge_f32_e32 vcc, s87, v21
	s_and_b64 s[2:3], s[84:85], vcc
	s_and_saveexec_b64 s[26:27], s[2:3]
	s_cbranch_execz .LBB147_35
; %bb.34:                               ;   in Loop: Header=BB147_13 Depth=1
	v_mul_f32_e32 v1, 0x3fb8aa3b, v21
	v_rndne_f32_e32 v4, v1
	s_mov_b32 s1, 0x3fb8aa3b
	v_sub_f32_e32 v5, v1, v4
	v_fma_f32 v1, v21, s1, -v1
	v_fmac_f32_e32 v1, 0x32a5705f, v21
	v_add_f32_e32 v1, v5, v1
	v_cvt_i32_f32_e32 v4, v4
	v_exp_f32_e32 v1, v1
	s_mov_b32 s1, 0xc2ce8ed0
	v_cmp_ngt_f32_e32 vcc, s1, v21
	s_mov_b32 s1, 0x42b17218
	v_ldexp_f32 v1, v1, v4
	v_cndmask_b32_e32 v1, 0, v1, vcc
	v_cmp_nlt_f32_e32 vcc, s1, v21
	s_mov_b32 s1, 0x3f2aaaab
	s_nop 0
	v_cndmask_b32_e32 v12, v49, v1, vcc
	v_add_f32_e32 v1, 1.0, v12
	v_add_f32_e32 v4, -1.0, v1
	v_sub_f32_e32 v5, v4, v1
	v_add_f32_e32 v5, 1.0, v5
	v_sub_f32_e32 v4, v12, v4
	v_add_f32_e32 v6, v4, v5
	v_frexp_mant_f32_e32 v7, v1
	v_cvt_f64_f32_e32 v[4:5], v1
	v_frexp_exp_i32_f64_e32 v4, v[4:5]
	v_cmp_gt_f32_e32 vcc, s1, v7
	s_mov_b32 s1, 0x3f317218
	v_cmp_gt_f32_e64 s[2:3], s6, v12
	v_subbrev_co_u32_e32 v16, vcc, 0, v4, vcc
	v_sub_u32_e32 v4, 0, v16
	v_ldexp_f32 v1, v1, v4
	v_ldexp_f32 v4, v6, v4
	v_add_f32_e32 v6, -1.0, v1
	v_add_f32_e32 v5, 1.0, v6
	v_sub_f32_e32 v5, v1, v5
	v_add_f32_e32 v7, v4, v5
	v_add_f32_e32 v5, 1.0, v1
	v_add_f32_e32 v8, -1.0, v5
	v_sub_f32_e32 v1, v1, v8
	v_add_f32_e32 v1, v4, v1
	v_add_f32_e32 v17, v5, v1
	v_rcp_f32_e32 v18, v17
	v_sub_f32_e32 v4, v5, v17
	v_add_f32_e32 v5, v6, v7
	v_add_f32_e32 v1, v1, v4
	v_mul_f32_e32 v21, v5, v18
	v_sub_f32_e32 v4, v6, v5
	v_mul_f32_e32 v6, v17, v21
	v_fma_f32 v8, v21, v17, -v6
	v_fmac_f32_e32 v8, v21, v1
	v_add_f32_e32 v19, v7, v4
	v_add_f32_e32 v4, v6, v8
	v_sub_f32_e32 v7, v5, v4
	v_pk_add_f32 v[10:11], v[4:5], v[6:7] neg_lo:[0,1] neg_hi:[0,1]
	v_mov_b32_e32 v9, v4
	v_pk_add_f32 v[4:5], v[10:11], v[8:9] neg_lo:[0,1] neg_hi:[0,1]
	s_nop 0
	v_add_f32_e32 v5, v19, v5
	v_add_f32_e32 v4, v4, v5
	;; [unrolled: 1-line block ×3, first 2 shown]
	v_mul_f32_e32 v19, v18, v5
	v_mul_f32_e32 v6, v17, v19
	v_fma_f32 v8, v19, v17, -v6
	v_fmac_f32_e32 v8, v19, v1
	v_sub_f32_e32 v1, v7, v5
	v_add_f32_e32 v1, v4, v1
	v_add_f32_e32 v4, v6, v8
	v_sub_f32_e32 v7, v5, v4
	v_pk_add_f32 v[10:11], v[4:5], v[6:7] neg_lo:[0,1] neg_hi:[0,1]
	v_mov_b32_e32 v9, v4
	v_pk_add_f32 v[4:5], v[10:11], v[8:9] neg_lo:[0,1] neg_hi:[0,1]
	s_nop 0
	v_add_f32_e32 v1, v1, v5
	v_add_f32_e32 v1, v4, v1
	;; [unrolled: 1-line block ×4, first 2 shown]
	v_sub_f32_e32 v4, v5, v21
	v_mul_f32_e32 v1, v18, v1
	v_sub_f32_e32 v4, v19, v4
	v_add_f32_e32 v1, v4, v1
	v_add_f32_e32 v6, v5, v1
	v_mul_f32_e32 v8, v6, v6
	v_fmamk_f32 v4, v8, 0x3e9b6dac, v48
	v_fmaak_f32 v55, v8, v4, 0x3f2aaada
	v_cvt_f32_i32_e32 v4, v16
	v_sub_f32_e32 v5, v6, v5
	v_sub_f32_e32 v1, v1, v5
	v_mul_f32_e32 v5, v6, v8
	v_pk_mul_f32 v[8:9], v[4:5], v[54:55]
	v_ldexp_f32 v7, v6, 1
	v_fma_f32 v6, v4, s1, -v8
	v_fmac_f32_e32 v6, 0xb102e308, v4
	v_pk_add_f32 v[4:5], v[8:9], v[6:7]
	v_ldexp_f32 v1, v1, 1
	v_sub_f32_e32 v7, v5, v7
	v_sub_f32_e32 v7, v9, v7
	v_add_f32_e32 v11, v1, v7
	v_mov_b32_e32 v10, v8
	v_pk_add_f32 v[8:9], v[4:5], v[8:9] neg_lo:[0,1] neg_hi:[0,1]
	v_pk_add_f32 v[16:17], v[4:5], v[10:11]
	v_mov_b32_e32 v7, v4
	v_mov_b32_e32 v9, v17
	v_pk_add_f32 v[18:19], v[6:7], v[8:9] neg_lo:[0,1] neg_hi:[0,1]
	v_pk_add_f32 v[6:7], v[6:7], v[8:9]
	v_mov_b32_e32 v10, v11
	v_mov_b32_e32 v8, v7
	v_pk_add_f32 v[22:23], v[8:9], v[4:5] neg_lo:[0,1] neg_hi:[0,1]
	v_mov_b32_e32 v6, v17
	v_mov_b32_e32 v1, v22
	v_pk_add_f32 v[24:25], v[16:17], v[0:1] neg_lo:[0,1] neg_hi:[0,1]
	v_mov_b32_e32 v16, v5
	v_mov_b32_e32 v17, v22
	;; [unrolled: 1-line block ×3, first 2 shown]
	v_pk_add_f32 v[6:7], v[6:7], v[16:17] neg_lo:[0,1] neg_hi:[0,1]
	v_mov_b32_e32 v11, v4
	v_pk_add_f32 v[4:5], v[10:11], v[6:7] neg_lo:[0,1] neg_hi:[0,1]
	v_mov_b32_e32 v24, v18
	v_pk_add_f32 v[6:7], v[24:25], v[4:5]
	s_mov_b32 s1, 0x7f800000
	v_mov_b32_e32 v10, v7
	v_pk_add_f32 v[10:11], v[6:7], v[10:11]
	v_cmp_eq_f32_e32 vcc, s1, v12
	v_pk_add_f32 v[8:9], v[8:9], v[10:11]
	v_mov_b32_e32 v5, v10
	v_mov_b32_e32 v7, v8
	v_pk_add_f32 v[16:17], v[6:7], v[18:19] neg_lo:[0,1] neg_hi:[0,1]
	s_or_b64 vcc, s[2:3], vcc
	v_sub_f32_e32 v1, v6, v16
	v_pk_add_f32 v[4:5], v[4:5], v[16:17] neg_lo:[0,1] neg_hi:[0,1]
	v_sub_f32_e32 v1, v18, v1
	v_add_f32_e32 v1, v4, v1
	v_add_f32_e32 v1, v1, v5
	;; [unrolled: 1-line block ×3, first 2 shown]
	v_cndmask_b32_e32 v21, v1, v12, vcc
.LBB147_35:                             ;   in Loop: Header=BB147_13 Depth=1
	s_or_b64 exec, exec, s[26:27]
	scratch_load_dwordx4 v[4:7], off, off offset:104 ; 16-byte Folded Reload
	s_waitcnt vmcnt(0)
	v_add_f32_e32 v22, s33, v5
	v_cmp_ge_f32_e32 vcc, s87, v22
	s_and_b64 s[2:3], s[84:85], vcc
	s_and_saveexec_b64 s[26:27], s[2:3]
	s_cbranch_execz .LBB147_37
; %bb.36:                               ;   in Loop: Header=BB147_13 Depth=1
	v_mul_f32_e32 v1, 0x3fb8aa3b, v22
	v_rndne_f32_e32 v4, v1
	s_mov_b32 s1, 0x3fb8aa3b
	v_sub_f32_e32 v5, v1, v4
	v_fma_f32 v1, v22, s1, -v1
	v_fmac_f32_e32 v1, 0x32a5705f, v22
	v_add_f32_e32 v1, v5, v1
	v_cvt_i32_f32_e32 v4, v4
	v_exp_f32_e32 v1, v1
	s_mov_b32 s1, 0xc2ce8ed0
	v_cmp_ngt_f32_e32 vcc, s1, v22
	s_mov_b32 s1, 0x42b17218
	v_ldexp_f32 v1, v1, v4
	v_cndmask_b32_e32 v1, 0, v1, vcc
	v_cmp_nlt_f32_e32 vcc, s1, v22
	s_mov_b32 s1, 0x3f2aaaab
	s_nop 0
	v_cndmask_b32_e32 v12, v49, v1, vcc
	v_add_f32_e32 v1, 1.0, v12
	v_add_f32_e32 v4, -1.0, v1
	v_sub_f32_e32 v5, v4, v1
	v_add_f32_e32 v5, 1.0, v5
	v_sub_f32_e32 v4, v12, v4
	v_add_f32_e32 v6, v4, v5
	v_frexp_mant_f32_e32 v7, v1
	v_cvt_f64_f32_e32 v[4:5], v1
	v_frexp_exp_i32_f64_e32 v4, v[4:5]
	v_cmp_gt_f32_e32 vcc, s1, v7
	s_mov_b32 s1, 0x3f317218
	v_cmp_gt_f32_e64 s[2:3], s6, v12
	v_subbrev_co_u32_e32 v16, vcc, 0, v4, vcc
	v_sub_u32_e32 v4, 0, v16
	v_ldexp_f32 v1, v1, v4
	v_ldexp_f32 v4, v6, v4
	v_add_f32_e32 v6, -1.0, v1
	v_add_f32_e32 v5, 1.0, v6
	v_sub_f32_e32 v5, v1, v5
	v_add_f32_e32 v7, v4, v5
	v_add_f32_e32 v5, 1.0, v1
	v_add_f32_e32 v8, -1.0, v5
	v_sub_f32_e32 v1, v1, v8
	v_add_f32_e32 v1, v4, v1
	v_add_f32_e32 v17, v5, v1
	v_rcp_f32_e32 v18, v17
	v_sub_f32_e32 v4, v5, v17
	v_add_f32_e32 v5, v6, v7
	v_add_f32_e32 v1, v1, v4
	v_mul_f32_e32 v22, v5, v18
	v_sub_f32_e32 v4, v6, v5
	v_mul_f32_e32 v6, v17, v22
	v_fma_f32 v8, v22, v17, -v6
	v_fmac_f32_e32 v8, v22, v1
	v_add_f32_e32 v19, v7, v4
	v_add_f32_e32 v4, v6, v8
	v_sub_f32_e32 v7, v5, v4
	v_pk_add_f32 v[10:11], v[4:5], v[6:7] neg_lo:[0,1] neg_hi:[0,1]
	v_mov_b32_e32 v9, v4
	v_pk_add_f32 v[4:5], v[10:11], v[8:9] neg_lo:[0,1] neg_hi:[0,1]
	s_nop 0
	v_add_f32_e32 v5, v19, v5
	v_add_f32_e32 v4, v4, v5
	;; [unrolled: 1-line block ×3, first 2 shown]
	v_mul_f32_e32 v19, v18, v5
	v_mul_f32_e32 v6, v17, v19
	v_fma_f32 v8, v19, v17, -v6
	v_fmac_f32_e32 v8, v19, v1
	v_sub_f32_e32 v1, v7, v5
	v_add_f32_e32 v1, v4, v1
	v_add_f32_e32 v4, v6, v8
	v_sub_f32_e32 v7, v5, v4
	v_pk_add_f32 v[10:11], v[4:5], v[6:7] neg_lo:[0,1] neg_hi:[0,1]
	v_mov_b32_e32 v9, v4
	v_pk_add_f32 v[4:5], v[10:11], v[8:9] neg_lo:[0,1] neg_hi:[0,1]
	s_nop 0
	v_add_f32_e32 v1, v1, v5
	v_add_f32_e32 v1, v4, v1
	;; [unrolled: 1-line block ×4, first 2 shown]
	v_sub_f32_e32 v4, v5, v22
	v_mul_f32_e32 v1, v18, v1
	v_sub_f32_e32 v4, v19, v4
	v_add_f32_e32 v1, v4, v1
	v_add_f32_e32 v6, v5, v1
	v_mul_f32_e32 v8, v6, v6
	v_fmamk_f32 v4, v8, 0x3e9b6dac, v48
	v_fmaak_f32 v55, v8, v4, 0x3f2aaada
	v_cvt_f32_i32_e32 v4, v16
	v_sub_f32_e32 v5, v6, v5
	v_sub_f32_e32 v1, v1, v5
	v_mul_f32_e32 v5, v6, v8
	v_pk_mul_f32 v[8:9], v[4:5], v[54:55]
	v_ldexp_f32 v7, v6, 1
	v_fma_f32 v6, v4, s1, -v8
	v_fmac_f32_e32 v6, 0xb102e308, v4
	v_pk_add_f32 v[4:5], v[8:9], v[6:7]
	v_ldexp_f32 v1, v1, 1
	v_sub_f32_e32 v7, v5, v7
	v_sub_f32_e32 v7, v9, v7
	v_add_f32_e32 v11, v1, v7
	v_mov_b32_e32 v10, v8
	v_pk_add_f32 v[8:9], v[4:5], v[8:9] neg_lo:[0,1] neg_hi:[0,1]
	v_pk_add_f32 v[16:17], v[4:5], v[10:11]
	v_mov_b32_e32 v7, v4
	v_mov_b32_e32 v9, v17
	v_pk_add_f32 v[18:19], v[6:7], v[8:9] neg_lo:[0,1] neg_hi:[0,1]
	v_pk_add_f32 v[6:7], v[6:7], v[8:9]
	v_mov_b32_e32 v10, v11
	v_mov_b32_e32 v8, v7
	v_pk_add_f32 v[22:23], v[8:9], v[4:5] neg_lo:[0,1] neg_hi:[0,1]
	v_mov_b32_e32 v6, v17
	v_mov_b32_e32 v1, v22
	v_pk_add_f32 v[24:25], v[16:17], v[0:1] neg_lo:[0,1] neg_hi:[0,1]
	v_mov_b32_e32 v16, v5
	v_mov_b32_e32 v17, v22
	;; [unrolled: 1-line block ×3, first 2 shown]
	v_pk_add_f32 v[6:7], v[6:7], v[16:17] neg_lo:[0,1] neg_hi:[0,1]
	v_mov_b32_e32 v11, v4
	v_pk_add_f32 v[4:5], v[10:11], v[6:7] neg_lo:[0,1] neg_hi:[0,1]
	v_mov_b32_e32 v24, v18
	v_pk_add_f32 v[6:7], v[24:25], v[4:5]
	s_mov_b32 s1, 0x7f800000
	v_mov_b32_e32 v10, v7
	v_pk_add_f32 v[10:11], v[6:7], v[10:11]
	v_cmp_eq_f32_e32 vcc, s1, v12
	v_pk_add_f32 v[8:9], v[8:9], v[10:11]
	v_mov_b32_e32 v5, v10
	v_mov_b32_e32 v7, v8
	v_pk_add_f32 v[16:17], v[6:7], v[18:19] neg_lo:[0,1] neg_hi:[0,1]
	s_or_b64 vcc, s[2:3], vcc
	v_sub_f32_e32 v1, v6, v16
	v_pk_add_f32 v[4:5], v[4:5], v[16:17] neg_lo:[0,1] neg_hi:[0,1]
	v_sub_f32_e32 v1, v18, v1
	v_add_f32_e32 v1, v4, v1
	v_add_f32_e32 v1, v1, v5
	;; [unrolled: 1-line block ×3, first 2 shown]
	v_cndmask_b32_e32 v22, v1, v12, vcc
.LBB147_37:                             ;   in Loop: Header=BB147_13 Depth=1
	s_or_b64 exec, exec, s[26:27]
	scratch_load_dwordx4 v[4:7], off, off offset:104 ; 16-byte Folded Reload
	s_waitcnt vmcnt(0)
	v_add_f32_e32 v23, s33, v6
	v_cmp_ge_f32_e32 vcc, s87, v23
	s_and_b64 s[2:3], s[84:85], vcc
	s_and_saveexec_b64 s[26:27], s[2:3]
	s_cbranch_execz .LBB147_39
; %bb.38:                               ;   in Loop: Header=BB147_13 Depth=1
	v_mul_f32_e32 v1, 0x3fb8aa3b, v23
	v_rndne_f32_e32 v4, v1
	s_mov_b32 s1, 0x3fb8aa3b
	v_sub_f32_e32 v5, v1, v4
	v_fma_f32 v1, v23, s1, -v1
	v_fmac_f32_e32 v1, 0x32a5705f, v23
	v_add_f32_e32 v1, v5, v1
	v_cvt_i32_f32_e32 v4, v4
	v_exp_f32_e32 v1, v1
	s_mov_b32 s1, 0xc2ce8ed0
	v_cmp_ngt_f32_e32 vcc, s1, v23
	s_mov_b32 s1, 0x42b17218
	v_ldexp_f32 v1, v1, v4
	v_cndmask_b32_e32 v1, 0, v1, vcc
	v_cmp_nlt_f32_e32 vcc, s1, v23
	s_mov_b32 s1, 0x3f2aaaab
	s_nop 0
	v_cndmask_b32_e32 v12, v49, v1, vcc
	v_add_f32_e32 v1, 1.0, v12
	v_add_f32_e32 v4, -1.0, v1
	v_sub_f32_e32 v5, v4, v1
	v_add_f32_e32 v5, 1.0, v5
	v_sub_f32_e32 v4, v12, v4
	v_add_f32_e32 v6, v4, v5
	v_frexp_mant_f32_e32 v7, v1
	v_cvt_f64_f32_e32 v[4:5], v1
	v_frexp_exp_i32_f64_e32 v4, v[4:5]
	v_cmp_gt_f32_e32 vcc, s1, v7
	s_mov_b32 s1, 0x3f317218
	v_cmp_gt_f32_e64 s[2:3], s6, v12
	v_subbrev_co_u32_e32 v16, vcc, 0, v4, vcc
	v_sub_u32_e32 v4, 0, v16
	v_ldexp_f32 v1, v1, v4
	v_ldexp_f32 v4, v6, v4
	v_add_f32_e32 v6, -1.0, v1
	v_add_f32_e32 v5, 1.0, v6
	v_sub_f32_e32 v5, v1, v5
	v_add_f32_e32 v7, v4, v5
	v_add_f32_e32 v5, 1.0, v1
	v_add_f32_e32 v8, -1.0, v5
	v_sub_f32_e32 v1, v1, v8
	v_add_f32_e32 v1, v4, v1
	v_add_f32_e32 v17, v5, v1
	v_rcp_f32_e32 v18, v17
	v_sub_f32_e32 v4, v5, v17
	v_add_f32_e32 v5, v6, v7
	v_add_f32_e32 v1, v1, v4
	v_mul_f32_e32 v23, v5, v18
	v_sub_f32_e32 v4, v6, v5
	v_mul_f32_e32 v6, v17, v23
	v_fma_f32 v8, v23, v17, -v6
	v_fmac_f32_e32 v8, v23, v1
	v_add_f32_e32 v19, v7, v4
	v_add_f32_e32 v4, v6, v8
	v_sub_f32_e32 v7, v5, v4
	v_pk_add_f32 v[10:11], v[4:5], v[6:7] neg_lo:[0,1] neg_hi:[0,1]
	v_mov_b32_e32 v9, v4
	v_pk_add_f32 v[4:5], v[10:11], v[8:9] neg_lo:[0,1] neg_hi:[0,1]
	s_nop 0
	v_add_f32_e32 v5, v19, v5
	v_add_f32_e32 v4, v4, v5
	;; [unrolled: 1-line block ×3, first 2 shown]
	v_mul_f32_e32 v19, v18, v5
	v_mul_f32_e32 v6, v17, v19
	v_fma_f32 v8, v19, v17, -v6
	v_fmac_f32_e32 v8, v19, v1
	v_sub_f32_e32 v1, v7, v5
	v_add_f32_e32 v1, v4, v1
	v_add_f32_e32 v4, v6, v8
	v_sub_f32_e32 v7, v5, v4
	v_pk_add_f32 v[10:11], v[4:5], v[6:7] neg_lo:[0,1] neg_hi:[0,1]
	v_mov_b32_e32 v9, v4
	v_pk_add_f32 v[4:5], v[10:11], v[8:9] neg_lo:[0,1] neg_hi:[0,1]
	s_nop 0
	v_add_f32_e32 v1, v1, v5
	v_add_f32_e32 v1, v4, v1
	;; [unrolled: 1-line block ×4, first 2 shown]
	v_sub_f32_e32 v4, v5, v23
	v_mul_f32_e32 v1, v18, v1
	v_sub_f32_e32 v4, v19, v4
	v_add_f32_e32 v1, v4, v1
	v_add_f32_e32 v6, v5, v1
	v_mul_f32_e32 v8, v6, v6
	v_fmamk_f32 v4, v8, 0x3e9b6dac, v48
	v_fmaak_f32 v55, v8, v4, 0x3f2aaada
	v_cvt_f32_i32_e32 v4, v16
	v_sub_f32_e32 v5, v6, v5
	v_sub_f32_e32 v1, v1, v5
	v_mul_f32_e32 v5, v6, v8
	v_pk_mul_f32 v[8:9], v[4:5], v[54:55]
	v_ldexp_f32 v7, v6, 1
	v_fma_f32 v6, v4, s1, -v8
	v_fmac_f32_e32 v6, 0xb102e308, v4
	v_pk_add_f32 v[4:5], v[8:9], v[6:7]
	v_ldexp_f32 v1, v1, 1
	v_sub_f32_e32 v7, v5, v7
	v_sub_f32_e32 v7, v9, v7
	v_add_f32_e32 v11, v1, v7
	v_mov_b32_e32 v10, v8
	v_pk_add_f32 v[8:9], v[4:5], v[8:9] neg_lo:[0,1] neg_hi:[0,1]
	v_pk_add_f32 v[16:17], v[4:5], v[10:11]
	v_mov_b32_e32 v7, v4
	v_mov_b32_e32 v9, v17
	v_pk_add_f32 v[18:19], v[6:7], v[8:9] neg_lo:[0,1] neg_hi:[0,1]
	v_pk_add_f32 v[6:7], v[6:7], v[8:9]
	v_mov_b32_e32 v10, v11
	v_mov_b32_e32 v8, v7
	v_pk_add_f32 v[24:25], v[8:9], v[4:5] neg_lo:[0,1] neg_hi:[0,1]
	v_mov_b32_e32 v6, v17
	v_mov_b32_e32 v1, v24
	v_pk_add_f32 v[26:27], v[16:17], v[0:1] neg_lo:[0,1] neg_hi:[0,1]
	v_mov_b32_e32 v16, v5
	v_mov_b32_e32 v17, v24
	;; [unrolled: 1-line block ×3, first 2 shown]
	v_pk_add_f32 v[6:7], v[6:7], v[16:17] neg_lo:[0,1] neg_hi:[0,1]
	v_mov_b32_e32 v11, v4
	v_pk_add_f32 v[4:5], v[10:11], v[6:7] neg_lo:[0,1] neg_hi:[0,1]
	v_mov_b32_e32 v26, v18
	v_pk_add_f32 v[6:7], v[26:27], v[4:5]
	s_mov_b32 s1, 0x7f800000
	v_mov_b32_e32 v10, v7
	v_pk_add_f32 v[10:11], v[6:7], v[10:11]
	v_cmp_eq_f32_e32 vcc, s1, v12
	v_pk_add_f32 v[8:9], v[8:9], v[10:11]
	v_mov_b32_e32 v5, v10
	v_mov_b32_e32 v7, v8
	v_pk_add_f32 v[16:17], v[6:7], v[18:19] neg_lo:[0,1] neg_hi:[0,1]
	s_or_b64 vcc, s[2:3], vcc
	v_sub_f32_e32 v1, v6, v16
	v_pk_add_f32 v[4:5], v[4:5], v[16:17] neg_lo:[0,1] neg_hi:[0,1]
	v_sub_f32_e32 v1, v18, v1
	v_add_f32_e32 v1, v4, v1
	v_add_f32_e32 v1, v1, v5
	;; [unrolled: 1-line block ×3, first 2 shown]
	v_cndmask_b32_e32 v23, v1, v12, vcc
.LBB147_39:                             ;   in Loop: Header=BB147_13 Depth=1
	s_or_b64 exec, exec, s[26:27]
	scratch_load_dwordx4 v[4:7], off, off offset:104 ; 16-byte Folded Reload
	s_waitcnt vmcnt(0)
	v_add_f32_e32 v8, s33, v7
	v_cmp_ge_f32_e32 vcc, s87, v8
	s_and_b64 s[2:3], s[84:85], vcc
	s_and_saveexec_b64 s[26:27], s[2:3]
	s_cbranch_execz .LBB147_41
; %bb.40:                               ;   in Loop: Header=BB147_13 Depth=1
	v_mul_f32_e32 v1, 0x3fb8aa3b, v8
	v_rndne_f32_e32 v4, v1
	s_mov_b32 s1, 0x3fb8aa3b
	v_sub_f32_e32 v5, v1, v4
	v_fma_f32 v1, v8, s1, -v1
	v_fmac_f32_e32 v1, 0x32a5705f, v8
	v_add_f32_e32 v1, v5, v1
	v_cvt_i32_f32_e32 v4, v4
	v_exp_f32_e32 v1, v1
	s_mov_b32 s1, 0xc2ce8ed0
	v_cmp_ngt_f32_e32 vcc, s1, v8
	s_mov_b32 s1, 0x42b17218
	v_ldexp_f32 v1, v1, v4
	v_cndmask_b32_e32 v1, 0, v1, vcc
	v_cmp_nlt_f32_e32 vcc, s1, v8
	s_mov_b32 s1, 0x3f2aaaab
	s_nop 0
	v_cndmask_b32_e32 v12, v49, v1, vcc
	v_add_f32_e32 v1, 1.0, v12
	v_add_f32_e32 v4, -1.0, v1
	v_sub_f32_e32 v5, v4, v1
	v_add_f32_e32 v5, 1.0, v5
	v_sub_f32_e32 v4, v12, v4
	v_add_f32_e32 v6, v4, v5
	v_frexp_mant_f32_e32 v7, v1
	v_cvt_f64_f32_e32 v[4:5], v1
	v_frexp_exp_i32_f64_e32 v4, v[4:5]
	v_cmp_gt_f32_e32 vcc, s1, v7
	s_mov_b32 s1, 0x3f317218
	v_cmp_gt_f32_e64 s[2:3], s6, v12
	v_subbrev_co_u32_e32 v16, vcc, 0, v4, vcc
	v_sub_u32_e32 v4, 0, v16
	v_ldexp_f32 v1, v1, v4
	v_ldexp_f32 v4, v6, v4
	v_add_f32_e32 v6, -1.0, v1
	v_add_f32_e32 v5, 1.0, v6
	v_sub_f32_e32 v5, v1, v5
	v_add_f32_e32 v7, v4, v5
	v_add_f32_e32 v5, 1.0, v1
	v_add_f32_e32 v8, -1.0, v5
	v_sub_f32_e32 v1, v1, v8
	v_add_f32_e32 v1, v4, v1
	v_add_f32_e32 v17, v5, v1
	v_rcp_f32_e32 v18, v17
	v_sub_f32_e32 v4, v5, v17
	v_add_f32_e32 v5, v6, v7
	v_add_f32_e32 v1, v1, v4
	v_mul_f32_e32 v24, v5, v18
	v_sub_f32_e32 v4, v6, v5
	v_mul_f32_e32 v6, v17, v24
	v_fma_f32 v8, v24, v17, -v6
	v_fmac_f32_e32 v8, v24, v1
	v_add_f32_e32 v19, v7, v4
	v_add_f32_e32 v4, v6, v8
	v_sub_f32_e32 v7, v5, v4
	v_pk_add_f32 v[10:11], v[4:5], v[6:7] neg_lo:[0,1] neg_hi:[0,1]
	v_mov_b32_e32 v9, v4
	v_pk_add_f32 v[4:5], v[10:11], v[8:9] neg_lo:[0,1] neg_hi:[0,1]
	s_nop 0
	v_add_f32_e32 v5, v19, v5
	v_add_f32_e32 v4, v4, v5
	v_add_f32_e32 v5, v7, v4
	v_mul_f32_e32 v19, v18, v5
	v_mul_f32_e32 v6, v17, v19
	v_fma_f32 v8, v19, v17, -v6
	v_fmac_f32_e32 v8, v19, v1
	v_sub_f32_e32 v1, v7, v5
	v_add_f32_e32 v1, v4, v1
	v_add_f32_e32 v4, v6, v8
	v_sub_f32_e32 v7, v5, v4
	v_pk_add_f32 v[10:11], v[4:5], v[6:7] neg_lo:[0,1] neg_hi:[0,1]
	v_mov_b32_e32 v9, v4
	v_pk_add_f32 v[4:5], v[10:11], v[8:9] neg_lo:[0,1] neg_hi:[0,1]
	s_nop 0
	v_add_f32_e32 v1, v1, v5
	v_add_f32_e32 v1, v4, v1
	;; [unrolled: 1-line block ×4, first 2 shown]
	v_sub_f32_e32 v4, v5, v24
	v_mul_f32_e32 v1, v18, v1
	v_sub_f32_e32 v4, v19, v4
	v_add_f32_e32 v1, v4, v1
	v_add_f32_e32 v6, v5, v1
	v_mul_f32_e32 v8, v6, v6
	v_fmamk_f32 v4, v8, 0x3e9b6dac, v48
	v_fmaak_f32 v55, v8, v4, 0x3f2aaada
	v_cvt_f32_i32_e32 v4, v16
	v_sub_f32_e32 v5, v6, v5
	v_sub_f32_e32 v1, v1, v5
	v_mul_f32_e32 v5, v6, v8
	v_pk_mul_f32 v[8:9], v[4:5], v[54:55]
	v_ldexp_f32 v7, v6, 1
	v_fma_f32 v6, v4, s1, -v8
	v_fmac_f32_e32 v6, 0xb102e308, v4
	v_pk_add_f32 v[4:5], v[8:9], v[6:7]
	v_ldexp_f32 v1, v1, 1
	v_sub_f32_e32 v7, v5, v7
	v_sub_f32_e32 v7, v9, v7
	v_add_f32_e32 v11, v1, v7
	v_mov_b32_e32 v10, v8
	v_pk_add_f32 v[8:9], v[4:5], v[8:9] neg_lo:[0,1] neg_hi:[0,1]
	v_pk_add_f32 v[16:17], v[4:5], v[10:11]
	v_mov_b32_e32 v7, v4
	v_mov_b32_e32 v9, v17
	v_pk_add_f32 v[18:19], v[6:7], v[8:9] neg_lo:[0,1] neg_hi:[0,1]
	v_pk_add_f32 v[6:7], v[6:7], v[8:9]
	v_mov_b32_e32 v10, v11
	v_mov_b32_e32 v8, v7
	v_pk_add_f32 v[24:25], v[8:9], v[4:5] neg_lo:[0,1] neg_hi:[0,1]
	v_mov_b32_e32 v6, v17
	v_mov_b32_e32 v1, v24
	v_pk_add_f32 v[26:27], v[16:17], v[0:1] neg_lo:[0,1] neg_hi:[0,1]
	v_mov_b32_e32 v16, v5
	v_mov_b32_e32 v17, v24
	;; [unrolled: 1-line block ×3, first 2 shown]
	v_pk_add_f32 v[6:7], v[6:7], v[16:17] neg_lo:[0,1] neg_hi:[0,1]
	v_mov_b32_e32 v11, v4
	v_pk_add_f32 v[4:5], v[10:11], v[6:7] neg_lo:[0,1] neg_hi:[0,1]
	v_mov_b32_e32 v26, v18
	v_pk_add_f32 v[6:7], v[26:27], v[4:5]
	s_mov_b32 s1, 0x7f800000
	v_mov_b32_e32 v10, v7
	v_pk_add_f32 v[10:11], v[6:7], v[10:11]
	v_cmp_eq_f32_e32 vcc, s1, v12
	v_pk_add_f32 v[8:9], v[8:9], v[10:11]
	v_mov_b32_e32 v5, v10
	v_mov_b32_e32 v7, v8
	v_pk_add_f32 v[16:17], v[6:7], v[18:19] neg_lo:[0,1] neg_hi:[0,1]
	s_or_b64 vcc, s[2:3], vcc
	v_sub_f32_e32 v1, v6, v16
	v_pk_add_f32 v[4:5], v[4:5], v[16:17] neg_lo:[0,1] neg_hi:[0,1]
	v_sub_f32_e32 v1, v18, v1
	v_add_f32_e32 v1, v4, v1
	v_add_f32_e32 v1, v1, v5
	;; [unrolled: 1-line block ×3, first 2 shown]
	v_cndmask_b32_e32 v8, v1, v12, vcc
.LBB147_41:                             ;   in Loop: Header=BB147_13 Depth=1
	s_or_b64 exec, exec, s[26:27]
	s_waitcnt lgkmcnt(1)
	v_add_f32_e32 v9, s33, v56
	v_cmp_ge_f32_e32 vcc, s87, v9
	s_and_b64 s[2:3], s[84:85], vcc
	s_and_saveexec_b64 s[26:27], s[2:3]
	s_cbranch_execz .LBB147_43
; %bb.42:                               ;   in Loop: Header=BB147_13 Depth=1
	v_mul_f32_e32 v1, 0x3fb8aa3b, v9
	v_rndne_f32_e32 v4, v1
	s_mov_b32 s1, 0x3fb8aa3b
	v_sub_f32_e32 v5, v1, v4
	v_fma_f32 v1, v9, s1, -v1
	v_fmac_f32_e32 v1, 0x32a5705f, v9
	v_add_f32_e32 v1, v5, v1
	v_cvt_i32_f32_e32 v4, v4
	v_exp_f32_e32 v1, v1
	s_mov_b32 s1, 0xc2ce8ed0
	v_cmp_ngt_f32_e32 vcc, s1, v9
	s_mov_b32 s1, 0x42b17218
	v_ldexp_f32 v1, v1, v4
	v_cndmask_b32_e32 v1, 0, v1, vcc
	v_cmp_nlt_f32_e32 vcc, s1, v9
	s_mov_b32 s1, 0x3f2aaaab
	s_nop 0
	v_cndmask_b32_e32 v9, v49, v1, vcc
	v_add_f32_e32 v1, 1.0, v9
	v_add_f32_e32 v4, -1.0, v1
	v_sub_f32_e32 v5, v4, v1
	v_add_f32_e32 v5, 1.0, v5
	v_sub_f32_e32 v4, v9, v4
	v_add_f32_e32 v6, v4, v5
	v_frexp_mant_f32_e32 v7, v1
	v_cvt_f64_f32_e32 v[4:5], v1
	v_frexp_exp_i32_f64_e32 v4, v[4:5]
	v_cmp_gt_f32_e32 vcc, s1, v7
	s_mov_b32 s1, 0x3f317218
	v_cmp_gt_f32_e64 s[2:3], s6, v9
	v_subbrev_co_u32_e32 v12, vcc, 0, v4, vcc
	v_sub_u32_e32 v4, 0, v12
	v_ldexp_f32 v1, v1, v4
	v_ldexp_f32 v4, v6, v4
	v_add_f32_e32 v6, -1.0, v1
	v_add_f32_e32 v5, 1.0, v6
	v_sub_f32_e32 v5, v1, v5
	v_add_f32_e32 v7, v4, v5
	v_add_f32_e32 v5, 1.0, v1
	v_add_f32_e32 v10, -1.0, v5
	v_sub_f32_e32 v1, v1, v10
	v_add_f32_e32 v1, v4, v1
	v_add_f32_e32 v18, v5, v1
	v_rcp_f32_e32 v19, v18
	v_sub_f32_e32 v4, v5, v18
	v_add_f32_e32 v5, v6, v7
	v_add_f32_e32 v1, v1, v4
	v_mul_f32_e32 v25, v5, v19
	v_sub_f32_e32 v4, v6, v5
	v_mul_f32_e32 v6, v18, v25
	v_fma_f32 v10, v25, v18, -v6
	v_fmac_f32_e32 v10, v25, v1
	v_add_f32_e32 v24, v7, v4
	v_add_f32_e32 v4, v6, v10
	v_sub_f32_e32 v7, v5, v4
	v_pk_add_f32 v[16:17], v[4:5], v[6:7] neg_lo:[0,1] neg_hi:[0,1]
	v_mov_b32_e32 v11, v4
	v_pk_add_f32 v[4:5], v[16:17], v[10:11] neg_lo:[0,1] neg_hi:[0,1]
	s_nop 0
	v_add_f32_e32 v5, v24, v5
	v_add_f32_e32 v4, v4, v5
	v_add_f32_e32 v5, v7, v4
	v_mul_f32_e32 v24, v19, v5
	v_mul_f32_e32 v6, v18, v24
	v_fma_f32 v10, v24, v18, -v6
	v_fmac_f32_e32 v10, v24, v1
	v_sub_f32_e32 v1, v7, v5
	v_add_f32_e32 v1, v4, v1
	v_add_f32_e32 v4, v6, v10
	v_sub_f32_e32 v7, v5, v4
	v_pk_add_f32 v[16:17], v[4:5], v[6:7] neg_lo:[0,1] neg_hi:[0,1]
	v_mov_b32_e32 v11, v4
	v_pk_add_f32 v[4:5], v[16:17], v[10:11] neg_lo:[0,1] neg_hi:[0,1]
	s_nop 0
	v_add_f32_e32 v1, v1, v5
	v_add_f32_e32 v1, v4, v1
	;; [unrolled: 1-line block ×4, first 2 shown]
	v_sub_f32_e32 v4, v5, v25
	v_mul_f32_e32 v1, v19, v1
	v_sub_f32_e32 v4, v24, v4
	v_add_f32_e32 v1, v4, v1
	v_add_f32_e32 v6, v5, v1
	v_mul_f32_e32 v10, v6, v6
	v_fmamk_f32 v4, v10, 0x3e9b6dac, v48
	v_fmaak_f32 v55, v10, v4, 0x3f2aaada
	v_cvt_f32_i32_e32 v4, v12
	v_sub_f32_e32 v5, v6, v5
	v_sub_f32_e32 v1, v1, v5
	v_mul_f32_e32 v5, v6, v10
	v_pk_mul_f32 v[10:11], v[4:5], v[54:55]
	v_ldexp_f32 v7, v6, 1
	v_fma_f32 v6, v4, s1, -v10
	v_fmac_f32_e32 v6, 0xb102e308, v4
	v_pk_add_f32 v[4:5], v[10:11], v[6:7]
	v_ldexp_f32 v1, v1, 1
	v_sub_f32_e32 v7, v5, v7
	v_sub_f32_e32 v7, v11, v7
	v_add_f32_e32 v17, v1, v7
	v_mov_b32_e32 v16, v10
	v_pk_add_f32 v[10:11], v[4:5], v[10:11] neg_lo:[0,1] neg_hi:[0,1]
	v_pk_add_f32 v[18:19], v[4:5], v[16:17]
	v_mov_b32_e32 v7, v4
	v_mov_b32_e32 v11, v19
	v_pk_add_f32 v[24:25], v[6:7], v[10:11] neg_lo:[0,1] neg_hi:[0,1]
	v_pk_add_f32 v[6:7], v[6:7], v[10:11]
	v_mov_b32_e32 v16, v17
	v_mov_b32_e32 v10, v7
	v_pk_add_f32 v[26:27], v[10:11], v[4:5] neg_lo:[0,1] neg_hi:[0,1]
	v_mov_b32_e32 v6, v19
	v_mov_b32_e32 v1, v26
	v_pk_add_f32 v[28:29], v[18:19], v[0:1] neg_lo:[0,1] neg_hi:[0,1]
	v_mov_b32_e32 v18, v5
	v_mov_b32_e32 v19, v26
	;; [unrolled: 1-line block ×3, first 2 shown]
	v_pk_add_f32 v[6:7], v[6:7], v[18:19] neg_lo:[0,1] neg_hi:[0,1]
	v_mov_b32_e32 v17, v4
	v_pk_add_f32 v[4:5], v[16:17], v[6:7] neg_lo:[0,1] neg_hi:[0,1]
	v_mov_b32_e32 v28, v24
	v_pk_add_f32 v[6:7], v[28:29], v[4:5]
	s_mov_b32 s1, 0x7f800000
	v_mov_b32_e32 v12, v7
	v_pk_add_f32 v[16:17], v[6:7], v[12:13]
	v_cmp_eq_f32_e32 vcc, s1, v9
	v_pk_add_f32 v[10:11], v[10:11], v[16:17]
	v_mov_b32_e32 v5, v16
	v_mov_b32_e32 v7, v10
	v_pk_add_f32 v[18:19], v[6:7], v[24:25] neg_lo:[0,1] neg_hi:[0,1]
	s_or_b64 vcc, s[2:3], vcc
	v_sub_f32_e32 v1, v6, v18
	v_pk_add_f32 v[4:5], v[4:5], v[18:19] neg_lo:[0,1] neg_hi:[0,1]
	v_sub_f32_e32 v1, v24, v1
	v_add_f32_e32 v1, v4, v1
	v_add_f32_e32 v1, v1, v5
	;; [unrolled: 1-line block ×3, first 2 shown]
	v_cndmask_b32_e32 v9, v1, v9, vcc
.LBB147_43:                             ;   in Loop: Header=BB147_13 Depth=1
	s_or_b64 exec, exec, s[26:27]
	v_add_f32_e32 v10, s33, v57
	v_cmp_ge_f32_e32 vcc, s87, v10
	s_and_b64 s[2:3], s[84:85], vcc
	s_and_saveexec_b64 s[26:27], s[2:3]
	s_cbranch_execz .LBB147_45
; %bb.44:                               ;   in Loop: Header=BB147_13 Depth=1
	v_mul_f32_e32 v1, 0x3fb8aa3b, v10
	v_rndne_f32_e32 v4, v1
	s_mov_b32 s1, 0x3fb8aa3b
	v_sub_f32_e32 v5, v1, v4
	v_fma_f32 v1, v10, s1, -v1
	v_fmac_f32_e32 v1, 0x32a5705f, v10
	v_add_f32_e32 v1, v5, v1
	v_cvt_i32_f32_e32 v4, v4
	v_exp_f32_e32 v1, v1
	s_mov_b32 s1, 0xc2ce8ed0
	v_cmp_ngt_f32_e32 vcc, s1, v10
	s_mov_b32 s1, 0x42b17218
	v_ldexp_f32 v1, v1, v4
	v_cndmask_b32_e32 v1, 0, v1, vcc
	v_cmp_nlt_f32_e32 vcc, s1, v10
	s_mov_b32 s1, 0x3f2aaaab
	s_nop 0
	v_cndmask_b32_e32 v30, v49, v1, vcc
	v_add_f32_e32 v1, 1.0, v30
	v_add_f32_e32 v4, -1.0, v1
	v_sub_f32_e32 v5, v4, v1
	v_add_f32_e32 v5, 1.0, v5
	v_sub_f32_e32 v4, v30, v4
	v_add_f32_e32 v6, v4, v5
	v_frexp_mant_f32_e32 v7, v1
	v_cvt_f64_f32_e32 v[4:5], v1
	v_frexp_exp_i32_f64_e32 v4, v[4:5]
	v_cmp_gt_f32_e32 vcc, s1, v7
	s_mov_b32 s1, 0x3f317218
	v_cmp_gt_f32_e64 s[2:3], s6, v30
	v_subbrev_co_u32_e32 v12, vcc, 0, v4, vcc
	v_sub_u32_e32 v4, 0, v12
	v_ldexp_f32 v1, v1, v4
	v_ldexp_f32 v4, v6, v4
	v_add_f32_e32 v6, -1.0, v1
	v_add_f32_e32 v5, 1.0, v6
	v_sub_f32_e32 v5, v1, v5
	v_add_f32_e32 v7, v4, v5
	v_add_f32_e32 v5, 1.0, v1
	v_add_f32_e32 v10, -1.0, v5
	v_sub_f32_e32 v1, v1, v10
	v_add_f32_e32 v1, v4, v1
	v_add_f32_e32 v18, v5, v1
	v_rcp_f32_e32 v19, v18
	v_sub_f32_e32 v4, v5, v18
	v_add_f32_e32 v5, v6, v7
	v_add_f32_e32 v1, v1, v4
	v_mul_f32_e32 v25, v5, v19
	v_sub_f32_e32 v4, v6, v5
	v_mul_f32_e32 v6, v18, v25
	v_fma_f32 v10, v25, v18, -v6
	v_fmac_f32_e32 v10, v25, v1
	v_add_f32_e32 v24, v7, v4
	v_add_f32_e32 v4, v6, v10
	v_sub_f32_e32 v7, v5, v4
	v_pk_add_f32 v[16:17], v[4:5], v[6:7] neg_lo:[0,1] neg_hi:[0,1]
	v_mov_b32_e32 v11, v4
	v_pk_add_f32 v[4:5], v[16:17], v[10:11] neg_lo:[0,1] neg_hi:[0,1]
	s_nop 0
	v_add_f32_e32 v5, v24, v5
	v_add_f32_e32 v4, v4, v5
	;; [unrolled: 1-line block ×3, first 2 shown]
	v_mul_f32_e32 v24, v19, v5
	v_mul_f32_e32 v6, v18, v24
	v_fma_f32 v10, v24, v18, -v6
	v_fmac_f32_e32 v10, v24, v1
	v_sub_f32_e32 v1, v7, v5
	v_add_f32_e32 v1, v4, v1
	v_add_f32_e32 v4, v6, v10
	v_sub_f32_e32 v7, v5, v4
	v_pk_add_f32 v[16:17], v[4:5], v[6:7] neg_lo:[0,1] neg_hi:[0,1]
	v_mov_b32_e32 v11, v4
	v_pk_add_f32 v[4:5], v[16:17], v[10:11] neg_lo:[0,1] neg_hi:[0,1]
	s_nop 0
	v_add_f32_e32 v1, v1, v5
	v_add_f32_e32 v1, v4, v1
	;; [unrolled: 1-line block ×4, first 2 shown]
	v_sub_f32_e32 v4, v5, v25
	v_mul_f32_e32 v1, v19, v1
	v_sub_f32_e32 v4, v24, v4
	v_add_f32_e32 v1, v4, v1
	v_add_f32_e32 v6, v5, v1
	v_mul_f32_e32 v10, v6, v6
	v_fmamk_f32 v4, v10, 0x3e9b6dac, v48
	v_fmaak_f32 v55, v10, v4, 0x3f2aaada
	v_cvt_f32_i32_e32 v4, v12
	v_sub_f32_e32 v5, v6, v5
	v_sub_f32_e32 v1, v1, v5
	v_mul_f32_e32 v5, v6, v10
	v_pk_mul_f32 v[10:11], v[4:5], v[54:55]
	v_ldexp_f32 v7, v6, 1
	v_fma_f32 v6, v4, s1, -v10
	v_fmac_f32_e32 v6, 0xb102e308, v4
	v_pk_add_f32 v[4:5], v[10:11], v[6:7]
	v_ldexp_f32 v1, v1, 1
	v_sub_f32_e32 v7, v5, v7
	v_sub_f32_e32 v7, v11, v7
	v_add_f32_e32 v17, v1, v7
	v_mov_b32_e32 v16, v10
	v_pk_add_f32 v[10:11], v[4:5], v[10:11] neg_lo:[0,1] neg_hi:[0,1]
	v_pk_add_f32 v[18:19], v[4:5], v[16:17]
	v_mov_b32_e32 v7, v4
	v_mov_b32_e32 v11, v19
	v_pk_add_f32 v[24:25], v[6:7], v[10:11] neg_lo:[0,1] neg_hi:[0,1]
	v_pk_add_f32 v[6:7], v[6:7], v[10:11]
	v_mov_b32_e32 v16, v17
	v_mov_b32_e32 v10, v7
	v_pk_add_f32 v[26:27], v[10:11], v[4:5] neg_lo:[0,1] neg_hi:[0,1]
	v_mov_b32_e32 v6, v19
	v_mov_b32_e32 v1, v26
	v_pk_add_f32 v[28:29], v[18:19], v[0:1] neg_lo:[0,1] neg_hi:[0,1]
	v_mov_b32_e32 v18, v5
	v_mov_b32_e32 v19, v26
	;; [unrolled: 1-line block ×3, first 2 shown]
	v_pk_add_f32 v[6:7], v[6:7], v[18:19] neg_lo:[0,1] neg_hi:[0,1]
	v_mov_b32_e32 v17, v4
	v_pk_add_f32 v[4:5], v[16:17], v[6:7] neg_lo:[0,1] neg_hi:[0,1]
	v_mov_b32_e32 v28, v24
	v_pk_add_f32 v[6:7], v[28:29], v[4:5]
	s_mov_b32 s1, 0x7f800000
	v_mov_b32_e32 v12, v7
	v_pk_add_f32 v[16:17], v[6:7], v[12:13]
	v_cmp_eq_f32_e32 vcc, s1, v30
	v_pk_add_f32 v[10:11], v[10:11], v[16:17]
	v_mov_b32_e32 v5, v16
	v_mov_b32_e32 v7, v10
	v_pk_add_f32 v[18:19], v[6:7], v[24:25] neg_lo:[0,1] neg_hi:[0,1]
	s_or_b64 vcc, s[2:3], vcc
	v_sub_f32_e32 v1, v6, v18
	v_pk_add_f32 v[4:5], v[4:5], v[18:19] neg_lo:[0,1] neg_hi:[0,1]
	v_sub_f32_e32 v1, v24, v1
	v_add_f32_e32 v1, v4, v1
	v_add_f32_e32 v1, v1, v5
	;; [unrolled: 1-line block ×3, first 2 shown]
	v_cndmask_b32_e32 v10, v1, v30, vcc
.LBB147_45:                             ;   in Loop: Header=BB147_13 Depth=1
	s_or_b64 exec, exec, s[26:27]
	v_add_f32_e32 v11, s33, v58
	v_cmp_ge_f32_e32 vcc, s87, v11
	s_and_b64 s[2:3], s[84:85], vcc
	s_and_saveexec_b64 s[26:27], s[2:3]
	s_cbranch_execz .LBB147_47
; %bb.46:                               ;   in Loop: Header=BB147_13 Depth=1
	v_mul_f32_e32 v1, 0x3fb8aa3b, v11
	v_rndne_f32_e32 v4, v1
	s_mov_b32 s1, 0x3fb8aa3b
	v_sub_f32_e32 v5, v1, v4
	v_fma_f32 v1, v11, s1, -v1
	v_fmac_f32_e32 v1, 0x32a5705f, v11
	v_add_f32_e32 v1, v5, v1
	v_cvt_i32_f32_e32 v4, v4
	v_exp_f32_e32 v1, v1
	s_mov_b32 s1, 0xc2ce8ed0
	v_cmp_ngt_f32_e32 vcc, s1, v11
	s_mov_b32 s1, 0x42b17218
	v_ldexp_f32 v1, v1, v4
	v_cndmask_b32_e32 v1, 0, v1, vcc
	v_cmp_nlt_f32_e32 vcc, s1, v11
	s_mov_b32 s1, 0x3f2aaaab
	s_nop 0
	v_cndmask_b32_e32 v11, v49, v1, vcc
	v_add_f32_e32 v1, 1.0, v11
	v_add_f32_e32 v4, -1.0, v1
	v_sub_f32_e32 v5, v4, v1
	v_add_f32_e32 v5, 1.0, v5
	v_sub_f32_e32 v4, v11, v4
	v_add_f32_e32 v6, v4, v5
	v_frexp_mant_f32_e32 v7, v1
	v_cvt_f64_f32_e32 v[4:5], v1
	v_frexp_exp_i32_f64_e32 v4, v[4:5]
	v_cmp_gt_f32_e32 vcc, s1, v7
	s_mov_b32 s1, 0x3f317218
	v_cmp_gt_f32_e64 s[2:3], s6, v11
	v_subbrev_co_u32_e32 v12, vcc, 0, v4, vcc
	v_sub_u32_e32 v4, 0, v12
	v_ldexp_f32 v1, v1, v4
	v_ldexp_f32 v4, v6, v4
	v_add_f32_e32 v6, -1.0, v1
	v_add_f32_e32 v5, 1.0, v6
	v_sub_f32_e32 v5, v1, v5
	v_add_f32_e32 v7, v4, v5
	v_add_f32_e32 v5, 1.0, v1
	v_add_f32_e32 v16, -1.0, v5
	v_sub_f32_e32 v1, v1, v16
	v_add_f32_e32 v1, v4, v1
	v_add_f32_e32 v24, v5, v1
	v_rcp_f32_e32 v25, v24
	v_sub_f32_e32 v4, v5, v24
	v_add_f32_e32 v5, v6, v7
	v_add_f32_e32 v1, v1, v4
	v_mul_f32_e32 v27, v5, v25
	v_sub_f32_e32 v4, v6, v5
	v_mul_f32_e32 v6, v24, v27
	v_fma_f32 v16, v27, v24, -v6
	v_fmac_f32_e32 v16, v27, v1
	v_add_f32_e32 v26, v7, v4
	v_add_f32_e32 v4, v6, v16
	v_sub_f32_e32 v7, v5, v4
	v_pk_add_f32 v[18:19], v[4:5], v[6:7] neg_lo:[0,1] neg_hi:[0,1]
	v_mov_b32_e32 v17, v4
	v_pk_add_f32 v[4:5], v[18:19], v[16:17] neg_lo:[0,1] neg_hi:[0,1]
	s_nop 0
	v_add_f32_e32 v5, v26, v5
	v_add_f32_e32 v4, v4, v5
	;; [unrolled: 1-line block ×3, first 2 shown]
	v_mul_f32_e32 v26, v25, v5
	v_mul_f32_e32 v6, v24, v26
	v_fma_f32 v16, v26, v24, -v6
	v_fmac_f32_e32 v16, v26, v1
	v_sub_f32_e32 v1, v7, v5
	v_add_f32_e32 v1, v4, v1
	v_add_f32_e32 v4, v6, v16
	v_sub_f32_e32 v7, v5, v4
	v_pk_add_f32 v[18:19], v[4:5], v[6:7] neg_lo:[0,1] neg_hi:[0,1]
	v_mov_b32_e32 v17, v4
	v_pk_add_f32 v[4:5], v[18:19], v[16:17] neg_lo:[0,1] neg_hi:[0,1]
	s_nop 0
	v_add_f32_e32 v1, v1, v5
	v_add_f32_e32 v1, v4, v1
	v_add_f32_e32 v5, v27, v26
	v_add_f32_e32 v1, v7, v1
	v_sub_f32_e32 v4, v5, v27
	v_mul_f32_e32 v1, v25, v1
	v_sub_f32_e32 v4, v26, v4
	v_add_f32_e32 v1, v4, v1
	v_add_f32_e32 v6, v5, v1
	v_mul_f32_e32 v16, v6, v6
	v_fmamk_f32 v4, v16, 0x3e9b6dac, v48
	v_fmaak_f32 v55, v16, v4, 0x3f2aaada
	v_cvt_f32_i32_e32 v4, v12
	v_sub_f32_e32 v5, v6, v5
	v_sub_f32_e32 v1, v1, v5
	v_mul_f32_e32 v5, v6, v16
	v_pk_mul_f32 v[16:17], v[4:5], v[54:55]
	v_ldexp_f32 v7, v6, 1
	v_fma_f32 v6, v4, s1, -v16
	v_fmac_f32_e32 v6, 0xb102e308, v4
	v_pk_add_f32 v[4:5], v[16:17], v[6:7]
	v_ldexp_f32 v1, v1, 1
	v_sub_f32_e32 v7, v5, v7
	v_sub_f32_e32 v7, v17, v7
	v_add_f32_e32 v19, v1, v7
	v_mov_b32_e32 v18, v16
	v_pk_add_f32 v[16:17], v[4:5], v[16:17] neg_lo:[0,1] neg_hi:[0,1]
	v_pk_add_f32 v[24:25], v[4:5], v[18:19]
	v_mov_b32_e32 v7, v4
	v_mov_b32_e32 v17, v25
	v_pk_add_f32 v[26:27], v[6:7], v[16:17] neg_lo:[0,1] neg_hi:[0,1]
	v_pk_add_f32 v[6:7], v[6:7], v[16:17]
	s_mov_b32 s1, 0x7f800000
	v_mov_b32_e32 v12, v7
	v_pk_add_f32 v[16:17], v[12:13], v[4:5] neg_lo:[0,1] neg_hi:[0,1]
	v_mov_b32_e32 v6, v25
	v_mov_b32_e32 v1, v16
	v_pk_add_f32 v[28:29], v[24:25], v[0:1] neg_lo:[0,1] neg_hi:[0,1]
	v_mov_b32_e32 v24, v5
	v_mov_b32_e32 v25, v16
	;; [unrolled: 1-line block ×3, first 2 shown]
	v_pk_add_f32 v[6:7], v[6:7], v[24:25] neg_lo:[0,1] neg_hi:[0,1]
	v_mov_b32_e32 v16, v19
	v_mov_b32_e32 v17, v4
	v_pk_add_f32 v[4:5], v[16:17], v[6:7] neg_lo:[0,1] neg_hi:[0,1]
	v_mov_b32_e32 v28, v26
	v_pk_add_f32 v[6:7], v[28:29], v[4:5]
	v_cmp_eq_f32_e32 vcc, s1, v11
	v_mov_b32_e32 v16, v7
	v_pk_add_f32 v[16:17], v[6:7], v[16:17]
	s_or_b64 vcc, s[2:3], vcc
	v_pk_add_f32 v[18:19], v[12:13], v[16:17]
	v_mov_b32_e32 v5, v16
	v_mov_b32_e32 v7, v18
	v_pk_add_f32 v[24:25], v[6:7], v[26:27] neg_lo:[0,1] neg_hi:[0,1]
	s_nop 0
	v_sub_f32_e32 v1, v6, v24
	v_pk_add_f32 v[4:5], v[4:5], v[24:25] neg_lo:[0,1] neg_hi:[0,1]
	v_sub_f32_e32 v1, v26, v1
	v_add_f32_e32 v1, v4, v1
	v_add_f32_e32 v1, v1, v5
	;; [unrolled: 1-line block ×3, first 2 shown]
	v_cndmask_b32_e32 v11, v1, v11, vcc
.LBB147_47:                             ;   in Loop: Header=BB147_13 Depth=1
	s_or_b64 exec, exec, s[26:27]
	v_add_f32_e32 v16, s33, v59
	v_cmp_ge_f32_e32 vcc, s87, v16
	s_and_b64 s[2:3], s[84:85], vcc
	s_and_saveexec_b64 s[26:27], s[2:3]
	s_cbranch_execz .LBB147_49
; %bb.48:                               ;   in Loop: Header=BB147_13 Depth=1
	v_mul_f32_e32 v1, 0x3fb8aa3b, v16
	v_rndne_f32_e32 v4, v1
	s_mov_b32 s1, 0x3fb8aa3b
	v_sub_f32_e32 v5, v1, v4
	v_fma_f32 v1, v16, s1, -v1
	v_fmac_f32_e32 v1, 0x32a5705f, v16
	v_add_f32_e32 v1, v5, v1
	v_cvt_i32_f32_e32 v4, v4
	v_exp_f32_e32 v1, v1
	s_mov_b32 s1, 0xc2ce8ed0
	v_cmp_ngt_f32_e32 vcc, s1, v16
	s_mov_b32 s1, 0x42b17218
	v_ldexp_f32 v1, v1, v4
	v_cndmask_b32_e32 v1, 0, v1, vcc
	v_cmp_nlt_f32_e32 vcc, s1, v16
	s_mov_b32 s1, 0x3f2aaaab
	s_nop 0
	v_cndmask_b32_e32 v30, v49, v1, vcc
	v_add_f32_e32 v1, 1.0, v30
	v_add_f32_e32 v4, -1.0, v1
	v_sub_f32_e32 v5, v4, v1
	v_add_f32_e32 v5, 1.0, v5
	v_sub_f32_e32 v4, v30, v4
	v_add_f32_e32 v6, v4, v5
	v_frexp_mant_f32_e32 v7, v1
	v_cvt_f64_f32_e32 v[4:5], v1
	v_frexp_exp_i32_f64_e32 v4, v[4:5]
	v_cmp_gt_f32_e32 vcc, s1, v7
	s_mov_b32 s1, 0x3f317218
	v_cmp_gt_f32_e64 s[2:3], s6, v30
	v_subbrev_co_u32_e32 v12, vcc, 0, v4, vcc
	v_sub_u32_e32 v4, 0, v12
	v_ldexp_f32 v1, v1, v4
	v_ldexp_f32 v4, v6, v4
	v_add_f32_e32 v6, -1.0, v1
	v_add_f32_e32 v5, 1.0, v6
	v_sub_f32_e32 v5, v1, v5
	v_add_f32_e32 v7, v4, v5
	v_add_f32_e32 v5, 1.0, v1
	v_add_f32_e32 v16, -1.0, v5
	v_sub_f32_e32 v1, v1, v16
	v_add_f32_e32 v1, v4, v1
	v_add_f32_e32 v24, v5, v1
	v_rcp_f32_e32 v25, v24
	v_sub_f32_e32 v4, v5, v24
	v_add_f32_e32 v5, v6, v7
	v_add_f32_e32 v1, v1, v4
	v_mul_f32_e32 v27, v5, v25
	v_sub_f32_e32 v4, v6, v5
	v_mul_f32_e32 v6, v24, v27
	v_fma_f32 v16, v27, v24, -v6
	v_fmac_f32_e32 v16, v27, v1
	v_add_f32_e32 v26, v7, v4
	v_add_f32_e32 v4, v6, v16
	v_sub_f32_e32 v7, v5, v4
	v_pk_add_f32 v[18:19], v[4:5], v[6:7] neg_lo:[0,1] neg_hi:[0,1]
	v_mov_b32_e32 v17, v4
	v_pk_add_f32 v[4:5], v[18:19], v[16:17] neg_lo:[0,1] neg_hi:[0,1]
	s_nop 0
	v_add_f32_e32 v5, v26, v5
	v_add_f32_e32 v4, v4, v5
	;; [unrolled: 1-line block ×3, first 2 shown]
	v_mul_f32_e32 v26, v25, v5
	v_mul_f32_e32 v6, v24, v26
	v_fma_f32 v16, v26, v24, -v6
	v_fmac_f32_e32 v16, v26, v1
	v_sub_f32_e32 v1, v7, v5
	v_add_f32_e32 v1, v4, v1
	v_add_f32_e32 v4, v6, v16
	v_sub_f32_e32 v7, v5, v4
	v_pk_add_f32 v[18:19], v[4:5], v[6:7] neg_lo:[0,1] neg_hi:[0,1]
	v_mov_b32_e32 v17, v4
	v_pk_add_f32 v[4:5], v[18:19], v[16:17] neg_lo:[0,1] neg_hi:[0,1]
	s_nop 0
	v_add_f32_e32 v1, v1, v5
	v_add_f32_e32 v1, v4, v1
	;; [unrolled: 1-line block ×4, first 2 shown]
	v_sub_f32_e32 v4, v5, v27
	v_mul_f32_e32 v1, v25, v1
	v_sub_f32_e32 v4, v26, v4
	v_add_f32_e32 v1, v4, v1
	v_add_f32_e32 v6, v5, v1
	v_mul_f32_e32 v16, v6, v6
	v_fmamk_f32 v4, v16, 0x3e9b6dac, v48
	v_fmaak_f32 v55, v16, v4, 0x3f2aaada
	v_cvt_f32_i32_e32 v4, v12
	v_sub_f32_e32 v5, v6, v5
	v_sub_f32_e32 v1, v1, v5
	v_mul_f32_e32 v5, v6, v16
	v_pk_mul_f32 v[16:17], v[4:5], v[54:55]
	v_ldexp_f32 v7, v6, 1
	v_fma_f32 v6, v4, s1, -v16
	v_fmac_f32_e32 v6, 0xb102e308, v4
	v_pk_add_f32 v[4:5], v[16:17], v[6:7]
	v_ldexp_f32 v1, v1, 1
	v_sub_f32_e32 v7, v5, v7
	v_sub_f32_e32 v7, v17, v7
	v_add_f32_e32 v19, v1, v7
	v_mov_b32_e32 v18, v16
	v_pk_add_f32 v[16:17], v[4:5], v[16:17] neg_lo:[0,1] neg_hi:[0,1]
	v_pk_add_f32 v[24:25], v[4:5], v[18:19]
	v_mov_b32_e32 v7, v4
	v_mov_b32_e32 v17, v25
	v_pk_add_f32 v[26:27], v[6:7], v[16:17] neg_lo:[0,1] neg_hi:[0,1]
	v_pk_add_f32 v[6:7], v[6:7], v[16:17]
	s_mov_b32 s1, 0x7f800000
	v_mov_b32_e32 v12, v7
	v_pk_add_f32 v[16:17], v[12:13], v[4:5] neg_lo:[0,1] neg_hi:[0,1]
	v_mov_b32_e32 v6, v25
	v_mov_b32_e32 v1, v16
	v_pk_add_f32 v[28:29], v[24:25], v[0:1] neg_lo:[0,1] neg_hi:[0,1]
	v_mov_b32_e32 v24, v5
	v_mov_b32_e32 v25, v16
	;; [unrolled: 1-line block ×3, first 2 shown]
	v_pk_add_f32 v[6:7], v[6:7], v[24:25] neg_lo:[0,1] neg_hi:[0,1]
	v_mov_b32_e32 v16, v19
	v_mov_b32_e32 v17, v4
	v_pk_add_f32 v[4:5], v[16:17], v[6:7] neg_lo:[0,1] neg_hi:[0,1]
	v_mov_b32_e32 v28, v26
	v_pk_add_f32 v[6:7], v[28:29], v[4:5]
	v_cmp_eq_f32_e32 vcc, s1, v30
	v_mov_b32_e32 v16, v7
	v_pk_add_f32 v[16:17], v[6:7], v[16:17]
	s_or_b64 vcc, s[2:3], vcc
	v_pk_add_f32 v[18:19], v[12:13], v[16:17]
	v_mov_b32_e32 v5, v16
	v_mov_b32_e32 v7, v18
	v_pk_add_f32 v[24:25], v[6:7], v[26:27] neg_lo:[0,1] neg_hi:[0,1]
	s_nop 0
	v_sub_f32_e32 v1, v6, v24
	v_pk_add_f32 v[4:5], v[4:5], v[24:25] neg_lo:[0,1] neg_hi:[0,1]
	v_sub_f32_e32 v1, v26, v1
	v_add_f32_e32 v1, v4, v1
	v_add_f32_e32 v1, v1, v5
	;; [unrolled: 1-line block ×3, first 2 shown]
	v_cndmask_b32_e32 v16, v1, v30, vcc
.LBB147_49:                             ;   in Loop: Header=BB147_13 Depth=1
	s_or_b64 exec, exec, s[26:27]
	s_waitcnt lgkmcnt(0)
	v_add_f32_e32 v17, s33, v50
	v_cmp_ge_f32_e32 vcc, s87, v17
	s_and_b64 s[2:3], s[84:85], vcc
	s_and_saveexec_b64 s[26:27], s[2:3]
	s_cbranch_execz .LBB147_51
; %bb.50:                               ;   in Loop: Header=BB147_13 Depth=1
	v_mul_f32_e32 v1, 0x3fb8aa3b, v17
	v_rndne_f32_e32 v4, v1
	s_mov_b32 s1, 0x3fb8aa3b
	v_sub_f32_e32 v5, v1, v4
	v_fma_f32 v1, v17, s1, -v1
	v_fmac_f32_e32 v1, 0x32a5705f, v17
	v_add_f32_e32 v1, v5, v1
	v_cvt_i32_f32_e32 v4, v4
	v_exp_f32_e32 v1, v1
	s_mov_b32 s1, 0xc2ce8ed0
	v_cmp_ngt_f32_e32 vcc, s1, v17
	s_mov_b32 s1, 0x42b17218
	v_ldexp_f32 v1, v1, v4
	v_cndmask_b32_e32 v1, 0, v1, vcc
	v_cmp_nlt_f32_e32 vcc, s1, v17
	s_mov_b32 s1, 0x3f2aaaab
	s_nop 0
	v_cndmask_b32_e32 v17, v49, v1, vcc
	v_add_f32_e32 v1, 1.0, v17
	v_add_f32_e32 v4, -1.0, v1
	v_sub_f32_e32 v5, v4, v1
	v_add_f32_e32 v5, 1.0, v5
	v_sub_f32_e32 v4, v17, v4
	v_add_f32_e32 v6, v4, v5
	v_frexp_mant_f32_e32 v7, v1
	v_cvt_f64_f32_e32 v[4:5], v1
	v_frexp_exp_i32_f64_e32 v4, v[4:5]
	v_cmp_gt_f32_e32 vcc, s1, v7
	s_mov_b32 s1, 0x3f317218
	v_cmp_gt_f32_e64 s[2:3], s6, v17
	v_subbrev_co_u32_e32 v12, vcc, 0, v4, vcc
	v_sub_u32_e32 v4, 0, v12
	v_ldexp_f32 v1, v1, v4
	v_ldexp_f32 v4, v6, v4
	v_add_f32_e32 v6, -1.0, v1
	v_add_f32_e32 v5, 1.0, v6
	v_sub_f32_e32 v5, v1, v5
	v_add_f32_e32 v7, v4, v5
	v_add_f32_e32 v5, 1.0, v1
	v_add_f32_e32 v18, -1.0, v5
	v_sub_f32_e32 v1, v1, v18
	v_add_f32_e32 v1, v4, v1
	v_add_f32_e32 v26, v5, v1
	v_rcp_f32_e32 v27, v26
	v_sub_f32_e32 v4, v5, v26
	v_add_f32_e32 v5, v6, v7
	v_add_f32_e32 v1, v1, v4
	v_mul_f32_e32 v29, v5, v27
	v_sub_f32_e32 v4, v6, v5
	v_mul_f32_e32 v6, v26, v29
	v_fma_f32 v18, v29, v26, -v6
	v_fmac_f32_e32 v18, v29, v1
	v_add_f32_e32 v28, v7, v4
	v_add_f32_e32 v4, v6, v18
	v_sub_f32_e32 v7, v5, v4
	v_pk_add_f32 v[24:25], v[4:5], v[6:7] neg_lo:[0,1] neg_hi:[0,1]
	v_mov_b32_e32 v19, v4
	v_pk_add_f32 v[4:5], v[24:25], v[18:19] neg_lo:[0,1] neg_hi:[0,1]
	s_nop 0
	v_add_f32_e32 v5, v28, v5
	v_add_f32_e32 v4, v4, v5
	;; [unrolled: 1-line block ×3, first 2 shown]
	v_mul_f32_e32 v28, v27, v5
	v_mul_f32_e32 v6, v26, v28
	v_fma_f32 v18, v28, v26, -v6
	v_fmac_f32_e32 v18, v28, v1
	v_sub_f32_e32 v1, v7, v5
	v_add_f32_e32 v1, v4, v1
	v_add_f32_e32 v4, v6, v18
	v_sub_f32_e32 v7, v5, v4
	v_pk_add_f32 v[24:25], v[4:5], v[6:7] neg_lo:[0,1] neg_hi:[0,1]
	v_mov_b32_e32 v19, v4
	v_pk_add_f32 v[4:5], v[24:25], v[18:19] neg_lo:[0,1] neg_hi:[0,1]
	s_nop 0
	v_add_f32_e32 v1, v1, v5
	v_add_f32_e32 v1, v4, v1
	;; [unrolled: 1-line block ×4, first 2 shown]
	v_sub_f32_e32 v4, v5, v29
	v_mul_f32_e32 v1, v27, v1
	v_sub_f32_e32 v4, v28, v4
	v_add_f32_e32 v1, v4, v1
	v_add_f32_e32 v6, v5, v1
	v_mul_f32_e32 v18, v6, v6
	v_fmamk_f32 v4, v18, 0x3e9b6dac, v48
	v_fmaak_f32 v55, v18, v4, 0x3f2aaada
	v_cvt_f32_i32_e32 v4, v12
	v_sub_f32_e32 v5, v6, v5
	v_sub_f32_e32 v1, v1, v5
	v_mul_f32_e32 v5, v6, v18
	v_pk_mul_f32 v[18:19], v[4:5], v[54:55]
	v_ldexp_f32 v7, v6, 1
	v_fma_f32 v6, v4, s1, -v18
	v_fmac_f32_e32 v6, 0xb102e308, v4
	v_pk_add_f32 v[4:5], v[18:19], v[6:7]
	v_ldexp_f32 v1, v1, 1
	v_sub_f32_e32 v7, v5, v7
	v_sub_f32_e32 v7, v19, v7
	v_add_f32_e32 v25, v1, v7
	v_mov_b32_e32 v24, v18
	v_pk_add_f32 v[18:19], v[4:5], v[18:19] neg_lo:[0,1] neg_hi:[0,1]
	v_pk_add_f32 v[26:27], v[4:5], v[24:25]
	v_mov_b32_e32 v7, v4
	v_mov_b32_e32 v19, v27
	v_pk_add_f32 v[28:29], v[6:7], v[18:19] neg_lo:[0,1] neg_hi:[0,1]
	v_pk_add_f32 v[6:7], v[6:7], v[18:19]
	s_mov_b32 s1, 0x7f800000
	v_mov_b32_e32 v12, v7
	v_pk_add_f32 v[18:19], v[12:13], v[4:5] neg_lo:[0,1] neg_hi:[0,1]
	v_mov_b32_e32 v6, v27
	v_mov_b32_e32 v1, v18
	v_pk_add_f32 v[30:31], v[26:27], v[0:1] neg_lo:[0,1] neg_hi:[0,1]
	v_mov_b32_e32 v26, v5
	v_mov_b32_e32 v27, v18
	;; [unrolled: 1-line block ×3, first 2 shown]
	v_pk_add_f32 v[6:7], v[6:7], v[26:27] neg_lo:[0,1] neg_hi:[0,1]
	v_mov_b32_e32 v18, v25
	v_mov_b32_e32 v19, v4
	v_pk_add_f32 v[4:5], v[18:19], v[6:7] neg_lo:[0,1] neg_hi:[0,1]
	v_mov_b32_e32 v30, v28
	v_pk_add_f32 v[6:7], v[30:31], v[4:5]
	v_cmp_eq_f32_e32 vcc, s1, v17
	v_mov_b32_e32 v18, v7
	v_pk_add_f32 v[18:19], v[6:7], v[18:19]
	s_or_b64 vcc, s[2:3], vcc
	v_pk_add_f32 v[24:25], v[12:13], v[18:19]
	v_mov_b32_e32 v5, v18
	v_mov_b32_e32 v7, v24
	v_pk_add_f32 v[26:27], v[6:7], v[28:29] neg_lo:[0,1] neg_hi:[0,1]
	s_nop 0
	v_sub_f32_e32 v1, v6, v26
	v_pk_add_f32 v[4:5], v[4:5], v[26:27] neg_lo:[0,1] neg_hi:[0,1]
	v_sub_f32_e32 v1, v28, v1
	v_add_f32_e32 v1, v4, v1
	v_add_f32_e32 v1, v1, v5
	;; [unrolled: 1-line block ×3, first 2 shown]
	v_cndmask_b32_e32 v17, v1, v17, vcc
.LBB147_51:                             ;   in Loop: Header=BB147_13 Depth=1
	s_or_b64 exec, exec, s[26:27]
	v_add_f32_e32 v18, s33, v51
	v_cmp_ge_f32_e32 vcc, s87, v18
	s_and_b64 s[2:3], s[84:85], vcc
	s_and_saveexec_b64 s[26:27], s[2:3]
	s_cbranch_execz .LBB147_53
; %bb.52:                               ;   in Loop: Header=BB147_13 Depth=1
	v_mul_f32_e32 v1, 0x3fb8aa3b, v18
	v_rndne_f32_e32 v4, v1
	s_mov_b32 s1, 0x3fb8aa3b
	v_sub_f32_e32 v5, v1, v4
	v_fma_f32 v1, v18, s1, -v1
	v_fmac_f32_e32 v1, 0x32a5705f, v18
	v_add_f32_e32 v1, v5, v1
	v_cvt_i32_f32_e32 v4, v4
	v_exp_f32_e32 v1, v1
	s_mov_b32 s1, 0xc2ce8ed0
	v_cmp_ngt_f32_e32 vcc, s1, v18
	s_mov_b32 s1, 0x42b17218
	v_ldexp_f32 v1, v1, v4
	v_cndmask_b32_e32 v1, 0, v1, vcc
	v_cmp_nlt_f32_e32 vcc, s1, v18
	s_mov_b32 s1, 0x3f2aaaab
	s_nop 0
	v_cndmask_b32_e32 v32, v49, v1, vcc
	v_add_f32_e32 v1, 1.0, v32
	v_add_f32_e32 v4, -1.0, v1
	v_sub_f32_e32 v5, v4, v1
	v_add_f32_e32 v5, 1.0, v5
	v_sub_f32_e32 v4, v32, v4
	v_add_f32_e32 v6, v4, v5
	v_frexp_mant_f32_e32 v7, v1
	v_cvt_f64_f32_e32 v[4:5], v1
	v_frexp_exp_i32_f64_e32 v4, v[4:5]
	v_cmp_gt_f32_e32 vcc, s1, v7
	s_mov_b32 s1, 0x3f317218
	v_cmp_gt_f32_e64 s[2:3], s6, v32
	v_subbrev_co_u32_e32 v12, vcc, 0, v4, vcc
	v_sub_u32_e32 v4, 0, v12
	v_ldexp_f32 v1, v1, v4
	v_ldexp_f32 v4, v6, v4
	v_add_f32_e32 v6, -1.0, v1
	v_add_f32_e32 v5, 1.0, v6
	v_sub_f32_e32 v5, v1, v5
	v_add_f32_e32 v7, v4, v5
	v_add_f32_e32 v5, 1.0, v1
	v_add_f32_e32 v18, -1.0, v5
	v_sub_f32_e32 v1, v1, v18
	v_add_f32_e32 v1, v4, v1
	v_add_f32_e32 v26, v5, v1
	v_rcp_f32_e32 v27, v26
	v_sub_f32_e32 v4, v5, v26
	v_add_f32_e32 v5, v6, v7
	v_add_f32_e32 v1, v1, v4
	v_mul_f32_e32 v29, v5, v27
	v_sub_f32_e32 v4, v6, v5
	v_mul_f32_e32 v6, v26, v29
	v_fma_f32 v18, v29, v26, -v6
	v_fmac_f32_e32 v18, v29, v1
	v_add_f32_e32 v28, v7, v4
	v_add_f32_e32 v4, v6, v18
	v_sub_f32_e32 v7, v5, v4
	v_pk_add_f32 v[24:25], v[4:5], v[6:7] neg_lo:[0,1] neg_hi:[0,1]
	v_mov_b32_e32 v19, v4
	v_pk_add_f32 v[4:5], v[24:25], v[18:19] neg_lo:[0,1] neg_hi:[0,1]
	s_nop 0
	v_add_f32_e32 v5, v28, v5
	v_add_f32_e32 v4, v4, v5
	;; [unrolled: 1-line block ×3, first 2 shown]
	v_mul_f32_e32 v28, v27, v5
	v_mul_f32_e32 v6, v26, v28
	v_fma_f32 v18, v28, v26, -v6
	v_fmac_f32_e32 v18, v28, v1
	v_sub_f32_e32 v1, v7, v5
	v_add_f32_e32 v1, v4, v1
	v_add_f32_e32 v4, v6, v18
	v_sub_f32_e32 v7, v5, v4
	v_pk_add_f32 v[24:25], v[4:5], v[6:7] neg_lo:[0,1] neg_hi:[0,1]
	v_mov_b32_e32 v19, v4
	v_pk_add_f32 v[4:5], v[24:25], v[18:19] neg_lo:[0,1] neg_hi:[0,1]
	s_nop 0
	v_add_f32_e32 v1, v1, v5
	v_add_f32_e32 v1, v4, v1
	;; [unrolled: 1-line block ×4, first 2 shown]
	v_sub_f32_e32 v4, v5, v29
	v_mul_f32_e32 v1, v27, v1
	v_sub_f32_e32 v4, v28, v4
	v_add_f32_e32 v1, v4, v1
	v_add_f32_e32 v6, v5, v1
	v_mul_f32_e32 v18, v6, v6
	v_fmamk_f32 v4, v18, 0x3e9b6dac, v48
	v_fmaak_f32 v55, v18, v4, 0x3f2aaada
	v_cvt_f32_i32_e32 v4, v12
	v_sub_f32_e32 v5, v6, v5
	v_sub_f32_e32 v1, v1, v5
	v_mul_f32_e32 v5, v6, v18
	v_pk_mul_f32 v[18:19], v[4:5], v[54:55]
	v_ldexp_f32 v7, v6, 1
	v_fma_f32 v6, v4, s1, -v18
	v_fmac_f32_e32 v6, 0xb102e308, v4
	v_pk_add_f32 v[4:5], v[18:19], v[6:7]
	v_ldexp_f32 v1, v1, 1
	v_sub_f32_e32 v7, v5, v7
	v_sub_f32_e32 v7, v19, v7
	v_add_f32_e32 v25, v1, v7
	v_mov_b32_e32 v24, v18
	v_pk_add_f32 v[18:19], v[4:5], v[18:19] neg_lo:[0,1] neg_hi:[0,1]
	v_pk_add_f32 v[26:27], v[4:5], v[24:25]
	v_mov_b32_e32 v7, v4
	v_mov_b32_e32 v19, v27
	v_pk_add_f32 v[28:29], v[6:7], v[18:19] neg_lo:[0,1] neg_hi:[0,1]
	v_pk_add_f32 v[6:7], v[6:7], v[18:19]
	s_mov_b32 s1, 0x7f800000
	v_mov_b32_e32 v12, v7
	v_pk_add_f32 v[18:19], v[12:13], v[4:5] neg_lo:[0,1] neg_hi:[0,1]
	v_mov_b32_e32 v6, v27
	v_mov_b32_e32 v1, v18
	v_pk_add_f32 v[30:31], v[26:27], v[0:1] neg_lo:[0,1] neg_hi:[0,1]
	v_mov_b32_e32 v26, v5
	v_mov_b32_e32 v27, v18
	;; [unrolled: 1-line block ×3, first 2 shown]
	v_pk_add_f32 v[6:7], v[6:7], v[26:27] neg_lo:[0,1] neg_hi:[0,1]
	v_mov_b32_e32 v18, v25
	v_mov_b32_e32 v19, v4
	v_pk_add_f32 v[4:5], v[18:19], v[6:7] neg_lo:[0,1] neg_hi:[0,1]
	v_mov_b32_e32 v30, v28
	v_pk_add_f32 v[6:7], v[30:31], v[4:5]
	v_cmp_eq_f32_e32 vcc, s1, v32
	v_mov_b32_e32 v18, v7
	v_pk_add_f32 v[18:19], v[6:7], v[18:19]
	s_or_b64 vcc, s[2:3], vcc
	v_pk_add_f32 v[24:25], v[12:13], v[18:19]
	v_mov_b32_e32 v5, v18
	v_mov_b32_e32 v7, v24
	v_pk_add_f32 v[26:27], v[6:7], v[28:29] neg_lo:[0,1] neg_hi:[0,1]
	s_nop 0
	v_sub_f32_e32 v1, v6, v26
	v_pk_add_f32 v[4:5], v[4:5], v[26:27] neg_lo:[0,1] neg_hi:[0,1]
	v_sub_f32_e32 v1, v28, v1
	v_add_f32_e32 v1, v4, v1
	v_add_f32_e32 v1, v1, v5
	;; [unrolled: 1-line block ×3, first 2 shown]
	v_cndmask_b32_e32 v18, v1, v32, vcc
.LBB147_53:                             ;   in Loop: Header=BB147_13 Depth=1
	s_or_b64 exec, exec, s[26:27]
	v_add_f32_e32 v19, s33, v52
	v_cmp_ge_f32_e32 vcc, s87, v19
	s_and_b64 s[2:3], s[84:85], vcc
	s_and_saveexec_b64 s[26:27], s[2:3]
	s_cbranch_execz .LBB147_55
; %bb.54:                               ;   in Loop: Header=BB147_13 Depth=1
	v_mul_f32_e32 v1, 0x3fb8aa3b, v19
	v_rndne_f32_e32 v4, v1
	s_mov_b32 s1, 0x3fb8aa3b
	v_sub_f32_e32 v5, v1, v4
	v_fma_f32 v1, v19, s1, -v1
	v_fmac_f32_e32 v1, 0x32a5705f, v19
	v_add_f32_e32 v1, v5, v1
	v_cvt_i32_f32_e32 v4, v4
	v_exp_f32_e32 v1, v1
	s_mov_b32 s1, 0xc2ce8ed0
	v_cmp_ngt_f32_e32 vcc, s1, v19
	s_mov_b32 s1, 0x42b17218
	v_ldexp_f32 v1, v1, v4
	v_cndmask_b32_e32 v1, 0, v1, vcc
	v_cmp_nlt_f32_e32 vcc, s1, v19
	s_mov_b32 s1, 0x3f2aaaab
	s_nop 0
	v_cndmask_b32_e32 v19, v49, v1, vcc
	v_add_f32_e32 v1, 1.0, v19
	v_add_f32_e32 v4, -1.0, v1
	v_sub_f32_e32 v5, v4, v1
	v_add_f32_e32 v5, 1.0, v5
	v_sub_f32_e32 v4, v19, v4
	v_add_f32_e32 v6, v4, v5
	v_frexp_mant_f32_e32 v7, v1
	v_cvt_f64_f32_e32 v[4:5], v1
	v_frexp_exp_i32_f64_e32 v4, v[4:5]
	v_cmp_gt_f32_e32 vcc, s1, v7
	s_mov_b32 s1, 0x3f317218
	v_cmp_gt_f32_e64 s[2:3], s6, v19
	v_subbrev_co_u32_e32 v12, vcc, 0, v4, vcc
	v_sub_u32_e32 v4, 0, v12
	v_ldexp_f32 v1, v1, v4
	v_ldexp_f32 v4, v6, v4
	v_add_f32_e32 v6, -1.0, v1
	v_add_f32_e32 v5, 1.0, v6
	v_sub_f32_e32 v5, v1, v5
	v_add_f32_e32 v7, v4, v5
	v_add_f32_e32 v5, 1.0, v1
	v_add_f32_e32 v24, -1.0, v5
	v_sub_f32_e32 v1, v1, v24
	v_add_f32_e32 v1, v4, v1
	v_add_f32_e32 v28, v5, v1
	v_rcp_f32_e32 v29, v28
	v_sub_f32_e32 v4, v5, v28
	v_add_f32_e32 v5, v6, v7
	v_add_f32_e32 v1, v1, v4
	v_mul_f32_e32 v31, v5, v29
	v_sub_f32_e32 v4, v6, v5
	v_mul_f32_e32 v6, v28, v31
	v_fma_f32 v24, v31, v28, -v6
	v_fmac_f32_e32 v24, v31, v1
	v_add_f32_e32 v30, v7, v4
	v_add_f32_e32 v4, v6, v24
	v_sub_f32_e32 v7, v5, v4
	v_pk_add_f32 v[26:27], v[4:5], v[6:7] neg_lo:[0,1] neg_hi:[0,1]
	v_mov_b32_e32 v25, v4
	v_pk_add_f32 v[4:5], v[26:27], v[24:25] neg_lo:[0,1] neg_hi:[0,1]
	s_nop 0
	v_add_f32_e32 v5, v30, v5
	v_add_f32_e32 v4, v4, v5
	;; [unrolled: 1-line block ×3, first 2 shown]
	v_mul_f32_e32 v30, v29, v5
	v_mul_f32_e32 v6, v28, v30
	v_fma_f32 v24, v30, v28, -v6
	v_fmac_f32_e32 v24, v30, v1
	v_sub_f32_e32 v1, v7, v5
	v_add_f32_e32 v1, v4, v1
	v_add_f32_e32 v4, v6, v24
	v_sub_f32_e32 v7, v5, v4
	v_pk_add_f32 v[26:27], v[4:5], v[6:7] neg_lo:[0,1] neg_hi:[0,1]
	v_mov_b32_e32 v25, v4
	v_pk_add_f32 v[4:5], v[26:27], v[24:25] neg_lo:[0,1] neg_hi:[0,1]
	s_nop 0
	v_add_f32_e32 v1, v1, v5
	v_add_f32_e32 v1, v4, v1
	;; [unrolled: 1-line block ×4, first 2 shown]
	v_sub_f32_e32 v4, v5, v31
	v_mul_f32_e32 v1, v29, v1
	v_sub_f32_e32 v4, v30, v4
	v_add_f32_e32 v1, v4, v1
	v_add_f32_e32 v6, v5, v1
	v_mul_f32_e32 v24, v6, v6
	v_fmamk_f32 v4, v24, 0x3e9b6dac, v48
	v_fmaak_f32 v55, v24, v4, 0x3f2aaada
	v_cvt_f32_i32_e32 v4, v12
	v_sub_f32_e32 v5, v6, v5
	v_sub_f32_e32 v1, v1, v5
	v_mul_f32_e32 v5, v6, v24
	v_pk_mul_f32 v[24:25], v[4:5], v[54:55]
	v_ldexp_f32 v7, v6, 1
	v_fma_f32 v6, v4, s1, -v24
	v_fmac_f32_e32 v6, 0xb102e308, v4
	v_pk_add_f32 v[4:5], v[24:25], v[6:7]
	v_ldexp_f32 v1, v1, 1
	v_sub_f32_e32 v7, v5, v7
	v_sub_f32_e32 v7, v25, v7
	v_add_f32_e32 v27, v1, v7
	v_mov_b32_e32 v26, v24
	v_pk_add_f32 v[24:25], v[4:5], v[24:25] neg_lo:[0,1] neg_hi:[0,1]
	v_pk_add_f32 v[28:29], v[4:5], v[26:27]
	v_mov_b32_e32 v7, v4
	v_mov_b32_e32 v25, v29
	v_pk_add_f32 v[30:31], v[6:7], v[24:25] neg_lo:[0,1] neg_hi:[0,1]
	v_pk_add_f32 v[6:7], v[6:7], v[24:25]
	s_mov_b32 s1, 0x7f800000
	v_mov_b32_e32 v12, v7
	v_pk_add_f32 v[24:25], v[12:13], v[4:5] neg_lo:[0,1] neg_hi:[0,1]
	v_mov_b32_e32 v6, v29
	v_mov_b32_e32 v1, v24
	v_pk_add_f32 v[32:33], v[28:29], v[0:1] neg_lo:[0,1] neg_hi:[0,1]
	v_mov_b32_e32 v28, v5
	v_mov_b32_e32 v29, v24
	;; [unrolled: 1-line block ×3, first 2 shown]
	v_pk_add_f32 v[6:7], v[6:7], v[28:29] neg_lo:[0,1] neg_hi:[0,1]
	v_mov_b32_e32 v24, v27
	v_mov_b32_e32 v25, v4
	v_pk_add_f32 v[4:5], v[24:25], v[6:7] neg_lo:[0,1] neg_hi:[0,1]
	v_mov_b32_e32 v32, v30
	v_pk_add_f32 v[6:7], v[32:33], v[4:5]
	v_cmp_eq_f32_e32 vcc, s1, v19
	v_mov_b32_e32 v24, v7
	v_pk_add_f32 v[24:25], v[6:7], v[24:25]
	s_or_b64 vcc, s[2:3], vcc
	v_pk_add_f32 v[26:27], v[12:13], v[24:25]
	v_mov_b32_e32 v5, v24
	v_mov_b32_e32 v7, v26
	v_pk_add_f32 v[28:29], v[6:7], v[30:31] neg_lo:[0,1] neg_hi:[0,1]
	s_nop 0
	v_sub_f32_e32 v1, v6, v28
	v_pk_add_f32 v[4:5], v[4:5], v[28:29] neg_lo:[0,1] neg_hi:[0,1]
	v_sub_f32_e32 v1, v30, v1
	v_add_f32_e32 v1, v4, v1
	v_add_f32_e32 v1, v1, v5
	;; [unrolled: 1-line block ×3, first 2 shown]
	v_cndmask_b32_e32 v19, v1, v19, vcc
.LBB147_55:                             ;   in Loop: Header=BB147_13 Depth=1
	s_or_b64 exec, exec, s[26:27]
	v_add_f32_e32 v85, s33, v53
	v_cmp_ge_f32_e32 vcc, s87, v85
	s_and_b64 s[2:3], s[84:85], vcc
	s_and_saveexec_b64 s[26:27], s[2:3]
	s_cbranch_execz .LBB147_57
; %bb.56:                               ;   in Loop: Header=BB147_13 Depth=1
	v_mul_f32_e32 v1, 0x3fb8aa3b, v85
	v_rndne_f32_e32 v4, v1
	s_mov_b32 s1, 0x3fb8aa3b
	v_sub_f32_e32 v5, v1, v4
	v_fma_f32 v1, v85, s1, -v1
	v_fmac_f32_e32 v1, 0x32a5705f, v85
	v_add_f32_e32 v1, v5, v1
	v_cvt_i32_f32_e32 v4, v4
	v_exp_f32_e32 v1, v1
	s_mov_b32 s1, 0xc2ce8ed0
	v_cmp_ngt_f32_e32 vcc, s1, v85
	s_mov_b32 s1, 0x42b17218
	v_ldexp_f32 v1, v1, v4
	v_cndmask_b32_e32 v1, 0, v1, vcc
	v_cmp_nlt_f32_e32 vcc, s1, v85
	s_mov_b32 s1, 0x3f2aaaab
	s_nop 0
	v_cndmask_b32_e32 v34, v49, v1, vcc
	v_add_f32_e32 v1, 1.0, v34
	v_add_f32_e32 v4, -1.0, v1
	v_sub_f32_e32 v5, v4, v1
	v_add_f32_e32 v5, 1.0, v5
	v_sub_f32_e32 v4, v34, v4
	v_add_f32_e32 v6, v4, v5
	v_frexp_mant_f32_e32 v7, v1
	v_cvt_f64_f32_e32 v[4:5], v1
	v_frexp_exp_i32_f64_e32 v4, v[4:5]
	v_cmp_gt_f32_e32 vcc, s1, v7
	s_mov_b32 s1, 0x3f317218
	v_cmp_gt_f32_e64 s[2:3], s6, v34
	v_subbrev_co_u32_e32 v12, vcc, 0, v4, vcc
	v_sub_u32_e32 v4, 0, v12
	v_ldexp_f32 v1, v1, v4
	v_ldexp_f32 v4, v6, v4
	v_add_f32_e32 v6, -1.0, v1
	v_add_f32_e32 v5, 1.0, v6
	v_sub_f32_e32 v5, v1, v5
	v_add_f32_e32 v7, v4, v5
	v_add_f32_e32 v5, 1.0, v1
	v_add_f32_e32 v24, -1.0, v5
	v_sub_f32_e32 v1, v1, v24
	v_add_f32_e32 v1, v4, v1
	v_add_f32_e32 v28, v5, v1
	v_rcp_f32_e32 v29, v28
	v_sub_f32_e32 v4, v5, v28
	v_add_f32_e32 v5, v6, v7
	v_add_f32_e32 v1, v1, v4
	v_mul_f32_e32 v31, v5, v29
	v_sub_f32_e32 v4, v6, v5
	v_mul_f32_e32 v6, v28, v31
	v_fma_f32 v24, v31, v28, -v6
	v_fmac_f32_e32 v24, v31, v1
	v_add_f32_e32 v30, v7, v4
	v_add_f32_e32 v4, v6, v24
	v_sub_f32_e32 v7, v5, v4
	v_pk_add_f32 v[26:27], v[4:5], v[6:7] neg_lo:[0,1] neg_hi:[0,1]
	v_mov_b32_e32 v25, v4
	v_pk_add_f32 v[4:5], v[26:27], v[24:25] neg_lo:[0,1] neg_hi:[0,1]
	s_nop 0
	v_add_f32_e32 v5, v30, v5
	v_add_f32_e32 v4, v4, v5
	v_add_f32_e32 v5, v7, v4
	v_mul_f32_e32 v30, v29, v5
	v_mul_f32_e32 v6, v28, v30
	v_fma_f32 v24, v30, v28, -v6
	v_fmac_f32_e32 v24, v30, v1
	v_sub_f32_e32 v1, v7, v5
	v_add_f32_e32 v1, v4, v1
	v_add_f32_e32 v4, v6, v24
	v_sub_f32_e32 v7, v5, v4
	v_pk_add_f32 v[26:27], v[4:5], v[6:7] neg_lo:[0,1] neg_hi:[0,1]
	v_mov_b32_e32 v25, v4
	v_pk_add_f32 v[4:5], v[26:27], v[24:25] neg_lo:[0,1] neg_hi:[0,1]
	s_nop 0
	v_add_f32_e32 v1, v1, v5
	v_add_f32_e32 v1, v4, v1
	;; [unrolled: 1-line block ×4, first 2 shown]
	v_sub_f32_e32 v4, v5, v31
	v_mul_f32_e32 v1, v29, v1
	v_sub_f32_e32 v4, v30, v4
	v_add_f32_e32 v1, v4, v1
	v_add_f32_e32 v6, v5, v1
	v_mul_f32_e32 v24, v6, v6
	v_fmamk_f32 v4, v24, 0x3e9b6dac, v48
	v_fmaak_f32 v55, v24, v4, 0x3f2aaada
	v_cvt_f32_i32_e32 v4, v12
	v_sub_f32_e32 v5, v6, v5
	v_sub_f32_e32 v1, v1, v5
	v_mul_f32_e32 v5, v6, v24
	v_pk_mul_f32 v[24:25], v[4:5], v[54:55]
	v_ldexp_f32 v7, v6, 1
	v_fma_f32 v6, v4, s1, -v24
	v_fmac_f32_e32 v6, 0xb102e308, v4
	v_pk_add_f32 v[4:5], v[24:25], v[6:7]
	v_ldexp_f32 v1, v1, 1
	v_sub_f32_e32 v7, v5, v7
	v_sub_f32_e32 v7, v25, v7
	v_add_f32_e32 v27, v1, v7
	v_mov_b32_e32 v26, v24
	v_pk_add_f32 v[24:25], v[4:5], v[24:25] neg_lo:[0,1] neg_hi:[0,1]
	v_pk_add_f32 v[28:29], v[4:5], v[26:27]
	v_mov_b32_e32 v7, v4
	v_mov_b32_e32 v25, v29
	v_pk_add_f32 v[30:31], v[6:7], v[24:25] neg_lo:[0,1] neg_hi:[0,1]
	v_pk_add_f32 v[6:7], v[6:7], v[24:25]
	s_mov_b32 s1, 0x7f800000
	v_mov_b32_e32 v12, v7
	v_pk_add_f32 v[24:25], v[12:13], v[4:5] neg_lo:[0,1] neg_hi:[0,1]
	v_mov_b32_e32 v6, v29
	v_mov_b32_e32 v1, v24
	v_pk_add_f32 v[32:33], v[28:29], v[0:1] neg_lo:[0,1] neg_hi:[0,1]
	v_mov_b32_e32 v28, v5
	v_mov_b32_e32 v29, v24
	;; [unrolled: 1-line block ×3, first 2 shown]
	v_pk_add_f32 v[6:7], v[6:7], v[28:29] neg_lo:[0,1] neg_hi:[0,1]
	v_mov_b32_e32 v24, v27
	v_mov_b32_e32 v25, v4
	v_pk_add_f32 v[4:5], v[24:25], v[6:7] neg_lo:[0,1] neg_hi:[0,1]
	v_mov_b32_e32 v32, v30
	v_pk_add_f32 v[6:7], v[32:33], v[4:5]
	v_cmp_eq_f32_e32 vcc, s1, v34
	v_mov_b32_e32 v24, v7
	v_pk_add_f32 v[24:25], v[6:7], v[24:25]
	s_or_b64 vcc, s[2:3], vcc
	v_pk_add_f32 v[26:27], v[12:13], v[24:25]
	v_mov_b32_e32 v5, v24
	v_mov_b32_e32 v7, v26
	v_pk_add_f32 v[28:29], v[6:7], v[30:31] neg_lo:[0,1] neg_hi:[0,1]
	s_nop 0
	v_sub_f32_e32 v1, v6, v28
	v_pk_add_f32 v[4:5], v[4:5], v[28:29] neg_lo:[0,1] neg_hi:[0,1]
	v_sub_f32_e32 v1, v30, v1
	v_add_f32_e32 v1, v4, v1
	v_add_f32_e32 v1, v1, v5
	;; [unrolled: 1-line block ×3, first 2 shown]
	v_cndmask_b32_e32 v85, v1, v34, vcc
.LBB147_57:                             ;   in Loop: Header=BB147_13 Depth=1
	s_or_b64 exec, exec, s[26:27]
	v_readlane_b32 s26, v95, 4
	v_readlane_b32 s27, v95, 5
	v_mul_f32_e32 v34, s86, v62
	v_mul_f32_e32 v33, s86, v61
	;; [unrolled: 1-line block ×15, first 2 shown]
	s_lshl_b32 s2, s0, 10
	v_mul_f32_e32 v35, s86, v63
	s_and_b64 vcc, exec, s[26:27]
	s_waitcnt lgkmcnt(0)
	; wave barrier
	s_cbranch_vccz .LBB147_12
; %bb.58:                               ;   in Loop: Header=BB147_13 Depth=1
	v_mul_f32_e32 v1, v63, v85
	scratch_store_dwordx4 off, v[56:59], off offset:160 ; 16-byte Folded Spill
	scratch_store_dwordx2 off, v[54:55], off offset:152 ; 8-byte Folded Spill
	scratch_store_dwordx4 off, v[50:53], off offset:136 ; 16-byte Folded Spill
	scratch_store_dword off, v1, off offset:20 ; 4-byte Folded Spill
	v_mul_f32_e32 v1, v62, v19
	scratch_store_dword off, v1, off offset:24 ; 4-byte Folded Spill
	v_mul_f32_e32 v1, v61, v18
	scratch_store_dword off, v1, off offset:28 ; 4-byte Folded Spill
	scratch_store_dwordx4 off, v[60:63], off offset:176 ; 16-byte Folded Spill
	v_mul_f32_e32 v1, v60, v17
	scratch_store_dword off, v1, off offset:32 ; 4-byte Folded Spill
	v_mul_f32_e32 v1, v67, v16
	scratch_store_dword off, v1, off offset:36 ; 4-byte Folded Spill
	v_mul_f32_e32 v1, v66, v11
	scratch_store_dword off, v1, off offset:40 ; 4-byte Folded Spill
	v_mul_f32_e32 v1, v65, v10
	scratch_store_dword off, v1, off offset:44 ; 4-byte Folded Spill
	scratch_store_dwordx4 off, v[64:67], off offset:192 ; 16-byte Folded Spill
	v_mul_f32_e32 v1, v64, v9
	scratch_store_dword off, v1, off offset:48 ; 4-byte Folded Spill
	v_mul_f32_e32 v1, v71, v8
	;; [unrolled: 9-line block ×3, first 2 shown]
	scratch_store_dword off, v1, off offset:68 ; 4-byte Folded Spill
	v_mul_f32_e32 v1, v74, v2
	scratch_store_dword off, v1, off offset:72 ; 4-byte Folded Spill
	v_mul_f32_e32 v1, v73, v15
	scratch_store_dword off, v1, off offset:76 ; 4-byte Folded Spill
	scratch_store_dwordx4 off, v[72:75], off offset:224 ; 16-byte Folded Spill
	scratch_load_dword v1, off, off offset:16 ; 4-byte Folded Reload
	v_readlane_b32 s60, v95, 6
	s_sub_i32 s1, s60, s2
	s_cmp_lg_u32 s0, 0
	v_readlane_b32 s3, v95, 9
	s_cselect_b64 s[90:91], -1, 0
	s_cmp_eq_u32 s0, s3
	s_cselect_b64 s[92:93], -1, 0
	s_mov_b64 s[4:5], s[28:29]
	v_readlane_b32 s61, v95, 7
	s_mov_b32 s80, 0
	v_lshl_add_u64 v[86:87], s[66:67], 0, v[80:81]
	s_mov_b32 s94, s80
	s_mov_b32 s96, s80
	;; [unrolled: 1-line block ×4, first 2 shown]
	v_lshl_add_u64 v[88:89], s[70:71], 0, v[80:81]
	s_waitcnt vmcnt(0)
	v_mul_f32_e32 v1, v72, v1
	scratch_store_dword off, v1, off offset:80 ; 4-byte Folded Spill
	scratch_load_dword v1, off, off offset:248 ; 4-byte Folded Reload
	s_waitcnt vmcnt(0)
	v_cmp_gt_u32_e32 vcc, s1, v1
	scratch_load_dword v1, off, off offset:252 ; 4-byte Folded Reload
	s_or_b64 s[26:27], s[88:89], vcc
	s_waitcnt vmcnt(0)
	v_cmp_gt_u32_e32 vcc, s1, v1
	scratch_load_dword v1, off, off offset:256 ; 4-byte Folded Reload
	s_or_b64 s[28:29], s[88:89], vcc
	;; [unrolled: 4-line block ×15, first 2 shown]
	s_waitcnt vmcnt(0)
	v_cmp_gt_u32_e32 vcc, s1, v1
	s_or_b64 s[58:59], s[88:89], vcc
	v_readlane_b32 s1, v95, 10
	s_branch .LBB147_60
.LBB147_59:                             ;   in Loop: Header=BB147_60 Depth=2
	s_or_b64 exec, exec, s[78:79]
	v_mul_f32_e32 v12, v84, v12
	v_fma_f32 v14, v84, v94, v76
	v_cndmask_b32_e64 v76, v14, v76, s[24:25]
	v_cndmask_b32_e64 v12, v12, v84, s[24:25]
	s_waitcnt lgkmcnt(0)
	v_fmac_f32_e32 v76, v66, v12
	v_fmac_f32_e32 v77, v76, v7
	;; [unrolled: 1-line block ×16, first 2 shown]
	s_add_i32 s1, s1, 8
	s_add_i32 s3, s3, -1
	s_add_i32 s98, s98, s62
	s_add_i32 s96, s96, s72
	;; [unrolled: 1-line block ×4, first 2 shown]
	v_pk_fma_f32 v[44:45], v[60:61], v[76:77], v[44:45]
	v_pk_fma_f32 v[46:47], v[62:63], v[78:79], v[46:47]
	;; [unrolled: 1-line block ×7, first 2 shown]
	s_cmp_eq_u32 s3, 0
	v_pk_fma_f32 v[34:35], v[50:51], v[64:65], v[34:35]
	s_cbranch_scc1 .LBB147_11
.LBB147_60:                             ;   Parent Loop BB147_13 Depth=1
                                        ; =>  This Inner Loop Header: Depth=2
	s_lshl_b64 s[78:79], s[80:81], 2
	s_add_u32 s78, s63, s78
	s_mov_b32 s95, s81
	s_addc_u32 s79, s64, s79
	v_lshl_add_u64 v[24:25], s[94:95], 2, v[86:87]
	global_load_dword v1, v81, s[78:79]
	global_load_dwordx4 v[4:7], v[24:25], off
	scratch_load_dword v12, off, off        ; 4-byte Folded Reload
	s_mov_b32 s97, s81
	s_andn2_b64 vcc, exec, s[90:91]
	s_waitcnt vmcnt(0)
	ds_write_b128 v12, v[4:7]
	global_load_dwordx4 v[4:7], v[24:25], off offset:1024
	scratch_load_dword v14, off, off offset:4 ; 4-byte Folded Reload
	s_waitcnt vmcnt(0)
	ds_write_b128 v14, v[4:7] offset:1024
	global_load_dwordx4 v[4:7], v[24:25], off offset:2048
	scratch_load_dword v14, off, off offset:8 ; 4-byte Folded Reload
	s_waitcnt vmcnt(0)
	ds_write_b128 v14, v[4:7] offset:2048
	global_load_dwordx4 v[4:7], v[24:25], off offset:3072
	scratch_load_dword v14, off, off offset:12 ; 4-byte Folded Reload
	v_lshl_add_u64 v[24:25], s[96:97], 2, v[88:89]
	s_waitcnt vmcnt(0)
	ds_write_b128 v14, v[4:7] offset:3072
	; wave barrier
	ds_read_b128 v[76:79], v3
	ds_read_b128 v[72:75], v3 offset:16
	ds_read_b128 v[68:71], v3 offset:32
	;; [unrolled: 1-line block ×3, first 2 shown]
	global_load_dwordx4 v[4:7], v[24:25], off
	s_waitcnt vmcnt(0)
	ds_write_b128 v12, v[4:7] offset:4224
	global_load_dwordx4 v[4:7], v[24:25], off offset:1024
	scratch_load_dword v12, off, off offset:84 ; 4-byte Folded Reload
	s_waitcnt vmcnt(0)
	ds_write_b128 v12, v[4:7] offset:1024
	global_load_dwordx4 v[4:7], v[24:25], off offset:2048
	scratch_load_dword v12, off, off offset:88 ; 4-byte Folded Reload
	;; [unrolled: 4-line block ×3, first 2 shown]
	s_waitcnt vmcnt(0)
	ds_write_b128 v12, v[4:7] offset:3072
	; wave barrier
	scratch_load_dword v4, off, off offset:96 ; 4-byte Folded Reload
	ds_read_b128 v[60:63], v3 offset:4224
	s_waitcnt vmcnt(0)
	ds_read_b128 v[56:59], v4 offset:16
	ds_read_b128 v[52:55], v4 offset:32
	;; [unrolled: 1-line block ×3, first 2 shown]
	s_cbranch_vccnz .LBB147_62
; %bb.61:                               ;   in Loop: Header=BB147_60 Depth=2
	v_mov_b32_e32 v4, s1
	ds_read_b64 v[90:91], v4
	s_cbranch_execz .LBB147_63
	s_branch .LBB147_66
.LBB147_62:                             ;   in Loop: Header=BB147_60 Depth=2
                                        ; implicit-def: $vgpr91
.LBB147_63:                             ;   in Loop: Header=BB147_60 Depth=2
	s_andn2_b64 vcc, exec, s[76:77]
	s_waitcnt lgkmcnt(0)
	v_mov_b32_e32 v91, 0
	s_cbranch_vccnz .LBB147_65
; %bb.64:                               ;   in Loop: Header=BB147_60 Depth=2
	s_mov_b32 s99, s81
	s_lshl_b64 s[78:79], s[98:99], 2
	s_add_u32 s78, s69, s78
	s_addc_u32 s79, s73, s79
	global_load_dword v91, v81, s[78:79]
.LBB147_65:                             ;   in Loop: Header=BB147_60 Depth=2
	v_mov_b32_e32 v90, 1.0
.LBB147_66:                             ;   in Loop: Header=BB147_60 Depth=2
	scratch_load_dword v5, off, off offset:16 ; 4-byte Folded Reload
	scratch_load_dword v14, off, off offset:28 ; 4-byte Folded Reload
	v_mul_f32_e32 v1, 0x3fb8aa3b, v1
	v_mul_f32_e32 v12, v1, v17
	s_waitcnt vmcnt(1)
	v_mul_f32_e32 v4, v1, v5
	v_cmp_gt_f32_e32 vcc, s7, v4
	s_nop 1
	v_cndmask_b32_e32 v4, 0, v0, vcc
	v_fmac_f32_e32 v4, v1, v5
	scratch_load_dword v5, off, off offset:80 ; 4-byte Folded Reload
	v_exp_f32_e32 v4, v4
	v_cndmask_b32_e32 v6, 1.0, v13, vcc
	v_mul_f32_e32 v4, v4, v6
	v_mul_f32_e32 v6, v1, v15
	v_cmp_gt_f32_e32 vcc, s7, v6
	v_cndmask_b32_e64 v84, 1.0, v4, s[26:27]
	s_waitcnt vmcnt(0) lgkmcnt(11)
	v_mul_f32_e32 v5, v76, v5
	v_cndmask_b32_e64 v76, 0, v5, s[26:27]
	scratch_load_dword v5, off, off offset:76 ; 4-byte Folded Reload
	v_cndmask_b32_e32 v6, 0, v0, vcc
	v_fmac_f32_e32 v6, v1, v15
	v_exp_f32_e32 v6, v6
	v_cndmask_b32_e32 v4, 1.0, v13, vcc
	v_mul_f32_e32 v4, v6, v4
	v_mul_f32_e32 v6, v1, v2
	v_cmp_gt_f32_e32 vcc, s7, v6
	v_cndmask_b32_e64 v7, 1.0, v4, s[28:29]
	s_waitcnt vmcnt(0)
	v_mul_f32_e32 v5, v77, v5
	v_cndmask_b32_e64 v77, 0, v5, s[28:29]
	scratch_load_dword v5, off, off offset:72 ; 4-byte Folded Reload
	v_cndmask_b32_e32 v6, 0, v0, vcc
	v_fmac_f32_e32 v6, v1, v2
	v_exp_f32_e32 v6, v6
	v_cndmask_b32_e32 v4, 1.0, v13, vcc
	v_mul_f32_e32 v4, v6, v4
	v_mul_f32_e32 v6, v1, v20
	v_cmp_gt_f32_e32 vcc, s7, v6
	v_cndmask_b32_e64 v24, 1.0, v4, s[30:31]
	s_waitcnt vmcnt(0)
	;; [unrolled: 12-line block ×3, first 2 shown]
	v_mul_f32_e32 v5, v79, v5
	v_cndmask_b32_e64 v79, 0, v5, s[34:35]
	scratch_load_dword v5, off, off offset:64 ; 4-byte Folded Reload
	v_cndmask_b32_e32 v6, 0, v0, vcc
	v_fmac_f32_e32 v6, v1, v21
	v_exp_f32_e32 v6, v6
	v_cndmask_b32_e32 v4, 1.0, v13, vcc
	v_mul_f32_e32 v4, v6, v4
	v_mul_f32_e32 v6, v1, v22
	v_cmp_gt_f32_e32 vcc, s7, v6
	v_cndmask_b32_e64 v26, 1.0, v4, s[36:37]
	s_waitcnt vmcnt(0) lgkmcnt(10)
	v_mul_f32_e32 v5, v72, v5
	v_cndmask_b32_e64 v72, 0, v5, s[36:37]
	scratch_load_dword v5, off, off offset:60 ; 4-byte Folded Reload
	v_cndmask_b32_e32 v6, 0, v0, vcc
	v_fmac_f32_e32 v6, v1, v22
	v_exp_f32_e32 v6, v6
	v_cndmask_b32_e32 v4, 1.0, v13, vcc
	v_mul_f32_e32 v4, v6, v4
	v_mul_f32_e32 v6, v1, v23
	v_cmp_gt_f32_e32 vcc, s7, v6
	v_cndmask_b32_e64 v27, 1.0, v4, s[38:39]
	s_waitcnt vmcnt(0)
	v_mul_f32_e32 v5, v73, v5
	v_cndmask_b32_e64 v73, 0, v5, s[38:39]
	scratch_load_dword v5, off, off offset:56 ; 4-byte Folded Reload
	v_cndmask_b32_e32 v6, 0, v0, vcc
	v_fmac_f32_e32 v6, v1, v23
	v_exp_f32_e32 v6, v6
	v_cndmask_b32_e32 v4, 1.0, v13, vcc
	v_mul_f32_e32 v4, v6, v4
	v_mul_f32_e32 v6, v1, v8
	v_cmp_gt_f32_e32 vcc, s7, v6
	v_cndmask_b32_e64 v28, 1.0, v4, s[40:41]
	s_waitcnt vmcnt(0)
	;; [unrolled: 12-line block ×3, first 2 shown]
	v_mul_f32_e32 v5, v75, v5
	v_cndmask_b32_e64 v75, 0, v5, s[42:43]
	scratch_load_dword v5, off, off offset:48 ; 4-byte Folded Reload
	v_cndmask_b32_e32 v6, 0, v0, vcc
	v_fmac_f32_e32 v6, v1, v9
	v_exp_f32_e32 v6, v6
	v_cndmask_b32_e32 v4, 1.0, v13, vcc
	v_mul_f32_e32 v4, v6, v4
	v_mul_f32_e32 v6, v1, v10
	v_cmp_gt_f32_e32 vcc, s7, v6
	v_cndmask_b32_e64 v30, 1.0, v4, s[44:45]
	s_waitcnt vmcnt(0) lgkmcnt(9)
	v_mul_f32_e32 v5, v68, v5
	v_cndmask_b32_e64 v68, 0, v5, s[44:45]
	scratch_load_dword v5, off, off offset:44 ; 4-byte Folded Reload
	v_cndmask_b32_e32 v6, 0, v0, vcc
	v_fmac_f32_e32 v6, v1, v10
	v_exp_f32_e32 v6, v6
	v_cndmask_b32_e32 v4, 1.0, v13, vcc
	v_mul_f32_e32 v4, v6, v4
	v_mul_f32_e32 v6, v1, v11
	v_cmp_gt_f32_e32 vcc, s7, v6
	v_cndmask_b32_e64 v31, 1.0, v4, s[46:47]
	s_waitcnt vmcnt(0)
	v_mul_f32_e32 v5, v69, v5
	v_cndmask_b32_e64 v69, 0, v5, s[46:47]
	scratch_load_dword v5, off, off offset:40 ; 4-byte Folded Reload
	v_cndmask_b32_e32 v6, 0, v0, vcc
	v_fmac_f32_e32 v6, v1, v11
	v_exp_f32_e32 v6, v6
	v_cndmask_b32_e32 v4, 1.0, v13, vcc
	v_mul_f32_e32 v4, v6, v4
	v_mul_f32_e32 v6, v1, v16
	v_cmp_gt_f32_e32 vcc, s7, v6
	v_cndmask_b32_e64 v4, 1.0, v4, s[48:49]
	s_waitcnt vmcnt(0)
	v_mul_f32_e32 v5, v70, v5
	v_cndmask_b32_e32 v6, 0, v0, vcc
	v_fmac_f32_e32 v6, v1, v16
	v_exp_f32_e32 v6, v6
	v_cndmask_b32_e64 v70, 0, v5, s[48:49]
	v_cndmask_b32_e32 v5, 1.0, v13, vcc
	v_cmp_gt_f32_e32 vcc, s7, v12
	v_mul_f32_e32 v5, v6, v5
	scratch_load_dword v6, off, off offset:36 ; 4-byte Folded Reload
	v_cndmask_b32_e32 v12, 0, v0, vcc
	v_fmac_f32_e32 v12, v1, v17
	v_exp_f32_e32 v12, v12
	v_cndmask_b32_e64 v5, 1.0, v5, s[50:51]
	s_waitcnt vmcnt(0)
	v_mul_f32_e32 v6, v71, v6
	v_cndmask_b32_e64 v71, 0, v6, s[50:51]
	v_cndmask_b32_e32 v6, 1.0, v13, vcc
	v_mul_f32_e32 v6, v12, v6
	scratch_load_dword v12, off, off offset:32 ; 4-byte Folded Reload
	v_cndmask_b32_e64 v6, 1.0, v6, s[52:53]
	s_waitcnt vmcnt(0) lgkmcnt(8)
	v_mul_f32_e32 v12, v64, v12
	v_mul_f32_e32 v64, v1, v18
	v_cmp_gt_f32_e32 vcc, s7, v64
	v_cndmask_b32_e64 v92, 0, v12, s[52:53]
	s_nop 0
	v_cndmask_b32_e32 v64, 0, v0, vcc
	v_fmac_f32_e32 v64, v1, v18
	v_exp_f32_e32 v64, v64
	v_cndmask_b32_e32 v12, 1.0, v13, vcc
	v_mul_f32_e32 v12, v64, v12
	v_mul_f32_e32 v64, v65, v14
	;; [unrolled: 1-line block ×3, first 2 shown]
	v_cmp_gt_f32_e32 vcc, s7, v65
	v_cndmask_b32_e64 v82, 1.0, v12, s[54:55]
	scratch_load_dword v14, off, off offset:24 ; 4-byte Folded Reload
	v_cndmask_b32_e32 v65, 0, v0, vcc
	v_fmac_f32_e32 v65, v1, v19
	v_exp_f32_e32 v65, v65
	v_cndmask_b32_e32 v12, 1.0, v13, vcc
	v_cndmask_b32_e64 v93, 0, v64, s[54:55]
	v_mul_f32_e32 v12, v65, v12
	v_mul_f32_e32 v65, v1, v85
	v_cmp_gt_f32_e32 vcc, s7, v65
	v_cndmask_b32_e64 v83, 1.0, v12, s[56:57]
	s_nop 0
	v_cndmask_b32_e32 v65, 0, v0, vcc
	v_fmac_f32_e32 v65, v1, v85
	v_exp_f32_e32 v1, v65
	v_cndmask_b32_e32 v12, 1.0, v13, vcc
	v_mul_f32_e32 v1, v1, v12
	scratch_load_dword v12, off, off offset:20 ; 4-byte Folded Reload
	v_cndmask_b32_e64 v1, 1.0, v1, s[58:59]
	s_waitcnt vmcnt(1)
	v_mul_f32_e32 v64, v66, v14
	v_fma_f32 v66, v7, v76, v77
	v_fma_f32 v66, v66, v24, v78
	;; [unrolled: 1-line block ×12, first 2 shown]
	v_cndmask_b32_e64 v64, 0, v64, s[56:57]
	v_fma_f32 v66, v66, v82, v93
	s_waitcnt vmcnt(0)
	v_mul_f32_e32 v12, v67, v12
	v_cndmask_b32_e64 v65, 0, v12, s[58:59]
	v_mul_f32_e32 v12, v7, v84
	v_mul_f32_e32 v12, v12, v24
	;; [unrolled: 1-line block ×14, first 2 shown]
	v_fma_f32 v67, v66, v83, v64
	v_mul_f32_e32 v66, v12, v1
	v_fma_f32 v14, v67, v1, v65
	s_nop 0
	v_mov_b32_dpp v94, v66 row_shr:1 row_mask:0xf bank_mask:0xf
	v_mov_b32_dpp v12, v14 row_shr:1 row_mask:0xf bank_mask:0xf
	s_and_saveexec_b64 s[78:79], s[8:9]
; %bb.67:                               ;   in Loop: Header=BB147_60 Depth=2
	v_mul_f32_e32 v94, v66, v94
	v_fmac_f32_e32 v14, v66, v12
	v_mov_b32_e32 v66, v94
; %bb.68:                               ;   in Loop: Header=BB147_60 Depth=2
	s_or_b64 exec, exec, s[78:79]
	s_nop 0
	v_mov_b32_dpp v12, v66 row_shr:2 row_mask:0xf bank_mask:0xf
	v_mov_b32_dpp v94, v14 row_shr:2 row_mask:0xf bank_mask:0xf
	s_and_saveexec_b64 s[78:79], s[10:11]
; %bb.69:                               ;   in Loop: Header=BB147_60 Depth=2
	v_fmac_f32_e32 v14, v66, v94
	v_mul_f32_e32 v66, v66, v12
; %bb.70:                               ;   in Loop: Header=BB147_60 Depth=2
	s_or_b64 exec, exec, s[78:79]
	s_nop 0
	v_mov_b32_dpp v12, v66 row_shr:4 row_mask:0xf bank_mask:0xf
	v_mov_b32_dpp v94, v14 row_shr:4 row_mask:0xf bank_mask:0xf
	s_and_saveexec_b64 s[78:79], s[12:13]
; %bb.71:                               ;   in Loop: Header=BB147_60 Depth=2
	v_fmac_f32_e32 v14, v66, v94
	v_mul_f32_e32 v66, v66, v12
	;; [unrolled: 9-line block ×3, first 2 shown]
; %bb.74:                               ;   in Loop: Header=BB147_60 Depth=2
	s_or_b64 exec, exec, s[78:79]
	s_nop 0
	v_mov_b32_dpp v12, v66 row_bcast:15 row_mask:0xf bank_mask:0xf
	v_mov_b32_dpp v94, v14 row_bcast:15 row_mask:0xf bank_mask:0xf
	s_and_saveexec_b64 s[78:79], s[16:17]
; %bb.75:                               ;   in Loop: Header=BB147_60 Depth=2
	v_fmac_f32_e32 v14, v66, v94
	v_mul_f32_e32 v66, v66, v12
; %bb.76:                               ;   in Loop: Header=BB147_60 Depth=2
	s_or_b64 exec, exec, s[78:79]
	s_nop 0
	v_mov_b32_dpp v12, v66 row_bcast:31 row_mask:0xf bank_mask:0xf
	v_mov_b32_dpp v94, v14 row_bcast:31 row_mask:0xf bank_mask:0xf
	v_mov_b32_e32 v67, v14
	v_mul_f32_e32 v12, v66, v12
	v_fmac_f32_e32 v67, v66, v94
	v_cndmask_b32_e64 v66, v66, v12, s[18:19]
	v_cndmask_b32_e64 v67, v14, v67, s[18:19]
	s_and_saveexec_b64 s[78:79], s[20:21]
	s_cbranch_execz .LBB147_78
; %bb.77:                               ;   in Loop: Header=BB147_60 Depth=2
	ds_write_b64 v81, v[66:67] offset:8448
.LBB147_78:                             ;   in Loop: Header=BB147_60 Depth=2
	s_or_b64 exec, exec, s[78:79]
	scratch_load_dword v14, off, off offset:100 ; 4-byte Folded Reload
	s_waitcnt lgkmcnt(0)
	; wave barrier
	s_waitcnt vmcnt(0) lgkmcnt(0)
	ds_bpermute_b32 v12, v14, v66
	ds_bpermute_b32 v94, v14, v67
	v_mov_b32_e32 v67, v91
	s_and_saveexec_b64 s[78:79], s[22:23]
	s_cbranch_execz .LBB147_82
; %bb.79:                               ;   in Loop: Header=BB147_60 Depth=2
	ds_read_b64 v[66:67], v81 offset:8448
	s_and_saveexec_b64 vcc, s[24:25]
	s_cbranch_execz .LBB147_81
; %bb.80:                               ;   in Loop: Header=BB147_60 Depth=2
	ds_write_b64 v81, v[90:91] offset:8448
.LBB147_81:                             ;   in Loop: Header=BB147_60 Depth=2
	s_or_b64 exec, exec, vcc
	s_waitcnt lgkmcnt(0)
	v_fmac_f32_e32 v67, v91, v66
	v_mul_f32_e32 v90, v90, v66
	v_mov_b32_e32 v91, v67
.LBB147_82:                             ;   in Loop: Header=BB147_60 Depth=2
	s_or_b64 exec, exec, s[78:79]
	s_waitcnt lgkmcnt(0)
	; wave barrier
	s_waitcnt lgkmcnt(0)
	ds_read_b32 v66, v81 offset:8452
	s_and_saveexec_b64 s[78:79], s[24:25]
	s_cbranch_execz .LBB147_59
; %bb.83:                               ;   in Loop: Header=BB147_60 Depth=2
	v_mov_b32_e32 v14, s1
	s_andn2_b64 vcc, exec, s[92:93]
	ds_write_b64 v14, v[90:91]
	s_cbranch_vccnz .LBB147_59
; %bb.84:                               ;   in Loop: Header=BB147_60 Depth=2
	s_mov_b32 s99, s81
	s_lshl_b64 s[60:61], s[98:99], 2
	s_add_u32 s60, s69, s60
	s_addc_u32 s61, s73, s61
	global_store_dword v81, v67, s[60:61]
	s_branch .LBB147_59
.LBB147_85:                             ;   in Loop: Header=BB147_13 Depth=1
	global_load_dwordx4 v[72:75], v[32:33], off
	s_or_b64 exec, exec, s[2:3]
	s_and_saveexec_b64 s[2:3], s[28:29]
	s_cbranch_execz .LBB147_15
.LBB147_86:                             ;   in Loop: Header=BB147_13 Depth=1
	global_load_dwordx4 v[68:71], v[32:33], off offset:1024
	s_or_b64 exec, exec, s[2:3]
	s_and_saveexec_b64 s[2:3], s[4:5]
	s_cbranch_execnz .LBB147_16
	s_branch .LBB147_17
.LBB147_87:                             ;   in Loop: Header=BB147_13 Depth=1
	global_load_dwordx4 v[8:11], v[32:33], off
	s_or_b64 exec, exec, s[2:3]
	s_and_saveexec_b64 s[2:3], s[28:29]
	s_cbranch_execz .LBB147_21
.LBB147_88:                             ;   in Loop: Header=BB147_13 Depth=1
	global_load_dwordx4 v[4:7], v[32:33], off offset:1024
	s_waitcnt vmcnt(0)
	scratch_store_dwordx4 off, v[4:7], off offset:104 ; 16-byte Folded Spill
	s_or_b64 exec, exec, s[2:3]
	s_and_saveexec_b64 s[2:3], s[4:5]
	s_cbranch_execnz .LBB147_22
	s_branch .LBB147_23
.LBB147_89:
	s_endpgm
	.section	.rodata,"a",@progbits
	.p2align	6, 0x0
	.amdhsa_kernel _Z25selective_scan_fwd_kernelI32Selective_Scan_fwd_kernel_traitsILi64ELi16ELi1ELb1ELb1ELb1ELb0ELb0EfffEEv13SSMParamsBase
		.amdhsa_group_segment_fixed_size 0
		.amdhsa_private_segment_fixed_size 316
		.amdhsa_kernarg_size 248
		.amdhsa_user_sgpr_count 2
		.amdhsa_user_sgpr_dispatch_ptr 0
		.amdhsa_user_sgpr_queue_ptr 0
		.amdhsa_user_sgpr_kernarg_segment_ptr 1
		.amdhsa_user_sgpr_dispatch_id 0
		.amdhsa_user_sgpr_kernarg_preload_length 0
		.amdhsa_user_sgpr_kernarg_preload_offset 0
		.amdhsa_user_sgpr_private_segment_size 0
		.amdhsa_uses_dynamic_stack 0
		.amdhsa_enable_private_segment 1
		.amdhsa_system_sgpr_workgroup_id_x 1
		.amdhsa_system_sgpr_workgroup_id_y 1
		.amdhsa_system_sgpr_workgroup_id_z 0
		.amdhsa_system_sgpr_workgroup_info 0
		.amdhsa_system_vgpr_workitem_id 0
		.amdhsa_next_free_vgpr 96
		.amdhsa_next_free_sgpr 100
		.amdhsa_accum_offset 96
		.amdhsa_reserve_vcc 1
		.amdhsa_float_round_mode_32 0
		.amdhsa_float_round_mode_16_64 0
		.amdhsa_float_denorm_mode_32 3
		.amdhsa_float_denorm_mode_16_64 3
		.amdhsa_dx10_clamp 1
		.amdhsa_ieee_mode 1
		.amdhsa_fp16_overflow 0
		.amdhsa_tg_split 0
		.amdhsa_exception_fp_ieee_invalid_op 0
		.amdhsa_exception_fp_denorm_src 0
		.amdhsa_exception_fp_ieee_div_zero 0
		.amdhsa_exception_fp_ieee_overflow 0
		.amdhsa_exception_fp_ieee_underflow 0
		.amdhsa_exception_fp_ieee_inexact 0
		.amdhsa_exception_int_div_zero 0
	.end_amdhsa_kernel
	.section	.text._Z25selective_scan_fwd_kernelI32Selective_Scan_fwd_kernel_traitsILi64ELi16ELi1ELb1ELb1ELb1ELb0ELb0EfffEEv13SSMParamsBase,"axG",@progbits,_Z25selective_scan_fwd_kernelI32Selective_Scan_fwd_kernel_traitsILi64ELi16ELi1ELb1ELb1ELb1ELb0ELb0EfffEEv13SSMParamsBase,comdat
.Lfunc_end147:
	.size	_Z25selective_scan_fwd_kernelI32Selective_Scan_fwd_kernel_traitsILi64ELi16ELi1ELb1ELb1ELb1ELb0ELb0EfffEEv13SSMParamsBase, .Lfunc_end147-_Z25selective_scan_fwd_kernelI32Selective_Scan_fwd_kernel_traitsILi64ELi16ELi1ELb1ELb1ELb1ELb0ELb0EfffEEv13SSMParamsBase
                                        ; -- End function
	.section	.AMDGPU.csdata,"",@progbits
; Kernel info:
; codeLenInByte = 17216
; NumSgprs: 106
; NumVgprs: 96
; NumAgprs: 0
; TotalNumVgprs: 96
; ScratchSize: 316
; MemoryBound: 1
; FloatMode: 240
; IeeeMode: 1
; LDSByteSize: 0 bytes/workgroup (compile time only)
; SGPRBlocks: 13
; VGPRBlocks: 11
; NumSGPRsForWavesPerEU: 106
; NumVGPRsForWavesPerEU: 96
; AccumOffset: 96
; Occupancy: 5
; WaveLimiterHint : 1
; COMPUTE_PGM_RSRC2:SCRATCH_EN: 1
; COMPUTE_PGM_RSRC2:USER_SGPR: 2
; COMPUTE_PGM_RSRC2:TRAP_HANDLER: 0
; COMPUTE_PGM_RSRC2:TGID_X_EN: 1
; COMPUTE_PGM_RSRC2:TGID_Y_EN: 1
; COMPUTE_PGM_RSRC2:TGID_Z_EN: 0
; COMPUTE_PGM_RSRC2:TIDIG_COMP_CNT: 0
; COMPUTE_PGM_RSRC3_GFX90A:ACCUM_OFFSET: 23
; COMPUTE_PGM_RSRC3_GFX90A:TG_SPLIT: 0
	.section	.text._Z25selective_scan_fwd_kernelI32Selective_Scan_fwd_kernel_traitsILi64ELi16ELi1ELb0ELb1ELb1ELb1ELb1EfffEEv13SSMParamsBase,"axG",@progbits,_Z25selective_scan_fwd_kernelI32Selective_Scan_fwd_kernel_traitsILi64ELi16ELi1ELb0ELb1ELb1ELb1ELb1EfffEEv13SSMParamsBase,comdat
	.protected	_Z25selective_scan_fwd_kernelI32Selective_Scan_fwd_kernel_traitsILi64ELi16ELi1ELb0ELb1ELb1ELb1ELb1EfffEEv13SSMParamsBase ; -- Begin function _Z25selective_scan_fwd_kernelI32Selective_Scan_fwd_kernel_traitsILi64ELi16ELi1ELb0ELb1ELb1ELb1ELb1EfffEEv13SSMParamsBase
	.globl	_Z25selective_scan_fwd_kernelI32Selective_Scan_fwd_kernel_traitsILi64ELi16ELi1ELb0ELb1ELb1ELb1ELb1EfffEEv13SSMParamsBase
	.p2align	8
	.type	_Z25selective_scan_fwd_kernelI32Selective_Scan_fwd_kernel_traitsILi64ELi16ELi1ELb0ELb1ELb1ELb1ELb1EfffEEv13SSMParamsBase,@function
_Z25selective_scan_fwd_kernelI32Selective_Scan_fwd_kernel_traitsILi64ELi16ELi1ELb0ELb1ELb1ELb1ELb1EfffEEv13SSMParamsBase: ; @_Z25selective_scan_fwd_kernelI32Selective_Scan_fwd_kernel_traitsILi64ELi16ELi1ELb0ELb1ELb1ELb1ELb1EfffEEv13SSMParamsBase
; %bb.0:
	s_load_dword s34, s[0:1], 0x18
	s_load_dwordx4 s[4:7], s[0:1], 0xe8
	s_load_dwordx8 s[20:27], s[0:1], 0xc8
	s_mov_b32 s28, s3
	s_ashr_i32 s3, s2, 31
	s_lshl_b64 s[8:9], s[2:3], 2
	s_waitcnt lgkmcnt(0)
	s_abs_i32 s33, s34
	v_cvt_f32_u32_e32 v1, s33
	s_add_u32 s30, s26, s8
	s_addc_u32 s31, s27, s9
	s_cmp_eq_u64 s[6:7], 0
	v_rcp_iflag_f32_e32 v1, v1
                                        ; implicit-def: $vgpr95 : SGPR spill to VGPR lane
	s_nop 0
	v_mul_f32_e32 v1, 0x4f7ffffe, v1
	v_cvt_u32_f32_e32 v1, v1
	s_nop 0
	v_readfirstlane_b32 s35, v1
	s_cbranch_scc1 .LBB148_2
; %bb.1:
	s_add_u32 s6, s6, s2
	s_addc_u32 s7, s7, s3
	v_mov_b32_e32 v1, 0
	global_load_ubyte v1, v1, s[6:7]
	s_waitcnt vmcnt(0)
	v_and_b32_e32 v1, 1, v1
	v_cmp_eq_u32_e64 s[6:7], 1, v1
	s_branch .LBB148_3
.LBB148_2:
	s_mov_b64 s[6:7], 0
.LBB148_3:
	s_nop 0
	v_writelane_b32 v95, s6, 0
	s_cmp_eq_u64 s[4:5], 0
	s_nop 0
	v_writelane_b32 v95, s7, 1
	s_load_dwordx2 s[6:7], s[0:1], 0x20
	s_cbranch_scc1 .LBB148_5
; %bb.4:
	s_add_u32 s2, s4, s8
	s_addc_u32 s3, s5, s9
	s_load_dword s2, s[2:3], 0x0
	s_waitcnt lgkmcnt(0)
	s_ashr_i32 s3, s2, 31
.LBB148_5:
	s_waitcnt lgkmcnt(0)
	s_cmp_eq_u64 s[6:7], s[2:3]
	s_cbranch_scc1 .LBB148_298
; %bb.6:
	s_load_dwordx16 s[36:51], s[0:1], 0x88
	s_load_dwordx2 s[26:27], s[30:31], 0x0
	s_mov_b32 s3, 0
	s_mov_b32 s56, 0
	v_writelane_b32 v95, s3, 2
	s_waitcnt lgkmcnt(0)
	s_cmp_eq_u64 s[42:43], 0
	s_cbranch_scc1 .LBB148_8
; %bb.7:
	s_ashr_i32 s29, s28, 31
	s_lshl_b64 s[30:31], s[28:29], 2
	s_add_u32 s10, s42, s30
	s_addc_u32 s11, s43, s31
	s_load_dword s3, s[10:11], 0x0
	s_waitcnt lgkmcnt(0)
	v_writelane_b32 v95, s3, 2
.LBB148_8:
	s_cmp_eq_u64 s[48:49], 0
	s_cbranch_scc1 .LBB148_10
; %bb.9:
	s_ashr_i32 s29, s28, 31
	s_lshl_b64 s[10:11], s[28:29], 2
	s_add_u32 s10, s48, s10
	s_addc_u32 s11, s49, s11
	s_load_dword s56, s[10:11], 0x0
.LBB148_10:
	s_sub_i32 s27, s27, s26
	s_cmp_lt_i32 s27, 1
	s_cbranch_scc1 .LBB148_298
; %bb.11:
	s_sub_i32 s3, 0, s33
	s_mul_i32 s3, s3, s35
	s_mul_hi_u32 s3, s35, s3
	s_abs_i32 s10, s28
	s_add_i32 s35, s35, s3
	s_mul_hi_u32 s3, s10, s35
	s_ashr_i32 s11, s28, 31
	s_ashr_i32 s16, s34, 31
	s_xor_b32 s11, s11, s16
	s_mul_i32 s16, s3, s33
	s_sub_i32 s10, s10, s16
	s_add_i32 s16, s3, 1
	s_sub_i32 s17, s10, s33
	s_load_dwordx8 s[60:67], s[0:1], 0x2c
	s_load_dwordx8 s[68:75], s[0:1], 0x4c
	s_cmp_ge_u32 s10, s33
	s_cselect_b32 s3, s16, s3
	s_cselect_b32 s10, s17, s10
	s_add_i32 s16, s3, 1
	s_cmp_ge_u32 s10, s33
	s_cselect_b32 s3, s16, s3
	s_xor_b32 s3, s3, s11
	s_waitcnt lgkmcnt(0)
	s_mul_i32 s84, s26, s70
	s_mov_b32 s85, 0
	s_sub_i32 s3, s3, s11
	s_lshl_b64 s[10:11], s[84:85], 2
	s_add_u32 s12, s44, s10
	s_mul_i32 s84, s71, s28
	s_addc_u32 s13, s45, s11
	s_lshl_b64 s[10:11], s[84:85], 2
	s_add_u32 s30, s12, s10
	s_mul_i32 s84, s26, s72
	s_addc_u32 s31, s13, s11
	;; [unrolled: 4-line block ×3, first 2 shown]
	s_lshl_b64 s[10:11], s[84:85], 2
	s_add_u32 s4, s12, s10
	s_addc_u32 s5, s13, s11
	s_mul_i32 s84, s60, s28
	v_writelane_b32 v95, s4, 3
	s_lshl_b64 s[10:11], s[84:85], 2
	s_mul_i32 s84, s26, s62
	v_writelane_b32 v95, s5, 4
	s_add_u32 s4, s36, s10
	v_writelane_b32 v95, s4, 5
	s_addc_u32 s4, s37, s11
	v_writelane_b32 v95, s4, 6
	s_lshl_b64 s[4:5], s[84:85], 2
	s_add_u32 s6, s38, s4
	s_mul_i32 s84, s3, s65
	v_mbcnt_lo_u32_b32 v1, -1, 0
	s_addc_u32 s7, s39, s5
	s_lshl_b64 s[4:5], s[84:85], 2
	v_mbcnt_hi_u32_b32 v22, -1, v1
	s_add_u32 s58, s6, s4
	v_writelane_b32 v95, s60, 7
	s_mul_i32 s84, s26, s66
	v_add_u32_e32 v1, 64, v22
	s_addc_u32 s59, s7, s5
	s_lshl_b64 s[6:7], s[84:85], 2
	scratch_store_dword off, v1, off offset:212 ; 4-byte Folded Spill
	v_lshrrev_b32_e32 v1, 5, v1
	s_add_u32 s4, s40, s6
	v_add_lshl_u32 v3, v1, v22, 2
	s_addc_u32 s9, s41, s7
	s_load_dwordx2 s[6:7], s[0:1], 0x7c
	s_load_dwordx4 s[12:15], s[0:1], 0x6c
	v_or_b32_e32 v4, 0x80, v22
	v_add_u32_e32 v1, 0, v3
	scratch_store_dword off, v1, off offset:4 ; 4-byte Folded Spill
	scratch_store_dword off, v4, off offset:216 ; 4-byte Folded Spill
	v_lshrrev_b32_e32 v1, 5, v4
	v_add_lshl_u32 v4, v1, v22, 2
	v_writelane_b32 v95, s61, 8
	s_mul_i32 s84, s3, s69
	v_add_u32_e32 v5, 0xc0, v22
	v_add_u32_e32 v1, 0, v4
	v_writelane_b32 v95, s62, 9
	s_lshl_b64 s[10:11], s[84:85], 2
	scratch_store_dword off, v1, off offset:8 ; 4-byte Folded Spill
	scratch_store_dword off, v5, off offset:220 ; 4-byte Folded Spill
	v_lshrrev_b32_e32 v1, 5, v5
	v_writelane_b32 v95, s63, 10
	s_add_u32 s8, s4, s10
	s_waitcnt lgkmcnt(0)
	s_mul_i32 s84, s2, s6
	v_add_lshl_u32 v5, v1, v22, 2
	v_writelane_b32 v95, s64, 11
	s_addc_u32 s9, s9, s11
	s_lshl_b64 s[2:3], s[84:85], 2
	v_or_b32_e32 v6, 0x100, v22
	v_add_u32_e32 v1, 0, v5
	v_writelane_b32 v95, s65, 12
	s_mul_i32 s84, s7, s28
	s_add_u32 s4, s20, s2
	scratch_store_dword off, v1, off offset:12 ; 4-byte Folded Spill
	scratch_store_dword off, v6, off offset:224 ; 4-byte Folded Spill
	v_lshrrev_b32_e32 v1, 5, v6
	v_writelane_b32 v95, s66, 13
	s_addc_u32 s6, s21, s3
	s_lshl_b64 s[2:3], s[84:85], 2
	v_add_lshl_u32 v6, v1, v22, 2
	v_writelane_b32 v95, s67, 14
	s_add_u32 s2, s4, s2
	v_add_u32_e32 v7, 0x140, v22
	v_add_u32_e32 v1, 0, v6
	v_writelane_b32 v95, s2, 15
	s_load_dword s2, s[0:1], 0x28
	s_load_dword s4, s[0:1], 0xc
	scratch_store_dword off, v1, off offset:16 ; 4-byte Folded Spill
	scratch_store_dword off, v7, off offset:228 ; 4-byte Folded Spill
	v_lshrrev_b32_e32 v1, 5, v7
	v_add_lshl_u32 v7, v1, v22, 2
	s_addc_u32 s3, s6, s3
	v_or_b32_e32 v8, 0x180, v22
	v_add_u32_e32 v1, 0, v7
	v_writelane_b32 v95, s3, 16
	s_add_i32 s3, s27, 0x7ff
	scratch_store_dword off, v1, off offset:20 ; 4-byte Folded Spill
	scratch_store_dword off, v8, off offset:232 ; 4-byte Folded Spill
	v_lshrrev_b32_e32 v1, 5, v8
	s_lshr_b32 s3, s3, 11
	v_add_lshl_u32 v8, v1, v22, 2
	s_waitcnt lgkmcnt(0)
	s_bitcmp1_b32 s2, 0
	v_add_u32_e32 v9, 0x1c0, v22
	v_add_u32_e32 v1, 0, v8
	s_cselect_b64 s[6:7], -1, 0
	scratch_store_dword off, v1, off offset:24 ; 4-byte Folded Spill
	scratch_store_dword off, v9, off offset:236 ; 4-byte Folded Spill
	v_lshrrev_b32_e32 v1, 5, v9
	v_writelane_b32 v95, s6, 17
	v_add_lshl_u32 v9, v1, v22, 2
	s_cmp_gt_i32 s4, 0
	v_writelane_b32 v95, s7, 18
	v_or_b32_e32 v10, 0x200, v22
	v_add_u32_e32 v1, 0, v9
	v_writelane_b32 v95, s4, 19
	s_cselect_b64 s[4:5], -1, 0
	scratch_store_dword off, v1, off offset:28 ; 4-byte Folded Spill
	scratch_store_dword off, v10, off offset:240 ; 4-byte Folded Spill
	v_lshrrev_b32_e32 v1, 5, v10
	v_writelane_b32 v95, s4, 20
	s_add_i32 s16, 0, 0x1080
	s_and_b32 s2, s27, 0x3ff
	v_add_lshl_u32 v10, v1, v22, 2
	v_writelane_b32 v95, s5, 21
	s_cmp_eq_u32 s2, 0
	v_add_u32_e32 v11, 0x240, v22
	v_add_u32_e32 v1, 0, v10
	v_writelane_b32 v95, s27, 22
	s_cselect_b64 s[4:5], -1, 0
	scratch_store_dword off, v1, off offset:32 ; 4-byte Folded Spill
	scratch_store_dword off, v11, off offset:244 ; 4-byte Folded Spill
	v_lshrrev_b32_e32 v1, 5, v11
	v_writelane_b32 v95, s4, 23
	v_add_lshl_u32 v11, v1, v22, 2
	v_or_b32_e32 v12, 0x280, v22
	v_writelane_b32 v95, s5, 24
	v_add_u32_e32 v1, 0, v11
	s_mul_i32 s84, s26, s12
	v_writelane_b32 v95, s3, 25
	s_add_i32 s2, s3, -1
	scratch_store_dword off, v1, off offset:36 ; 4-byte Folded Spill
	scratch_store_dword off, v12, off offset:248 ; 4-byte Folded Spill
	v_lshrrev_b32_e32 v1, 5, v12
	v_writelane_b32 v95, s2, 26
	s_lshl_b64 s[2:3], s[84:85], 2
	v_add_lshl_u32 v12, v1, v22, 2
	s_add_u32 s4, s50, s2
	s_mul_i32 s84, s13, s28
	v_add_u32_e32 v13, 0x2c0, v22
	v_add_u32_e32 v1, 0, v12
	s_addc_u32 s6, s51, s3
	s_lshl_b64 s[2:3], s[84:85], 2
	s_mul_i32 s84, s26, s74
	v_writelane_b32 v95, s68, 27
	scratch_store_dword off, v1, off offset:40 ; 4-byte Folded Spill
	scratch_store_dword off, v13, off offset:252 ; 4-byte Folded Spill
	v_lshrrev_b32_e32 v1, 5, v13
	v_writelane_b32 v95, s69, 28
	v_add_lshl_u32 v13, v1, v22, 2
	v_writelane_b32 v95, s70, 29
	v_or_b32_e32 v14, 0x300, v22
	v_add_u32_e32 v1, 0, v13
	v_writelane_b32 v95, s71, 30
	s_load_dword s0, s[0:1], 0x84
	scratch_store_dword off, v1, off offset:44 ; 4-byte Folded Spill
	scratch_store_dword off, v14, off offset:256 ; 4-byte Folded Spill
	v_lshrrev_b32_e32 v1, 5, v14
	v_writelane_b32 v95, s72, 31
	v_add_lshl_u32 v14, v1, v22, 2
	v_writelane_b32 v95, s73, 32
	v_add_u32_e32 v1, 0, v14
	v_writelane_b32 v95, s74, 33
	v_add_u32_e32 v15, 0x340, v22
	scratch_store_dword off, v1, off offset:48 ; 4-byte Folded Spill
	scratch_store_dword off, v15, off offset:260 ; 4-byte Folded Spill
	v_lshlrev_b32_e32 v1, 4, v22
	v_bfe_u32 v16, v22, 1, 27
	v_writelane_b32 v95, s75, 34
	v_add_lshl_u32 v16, v16, v1, 2
	v_and_b32_e32 v1, 15, v22
	v_add_u32_e32 v3, s16, v3
	s_waitcnt lgkmcnt(0)
	v_writelane_b32 v95, s0, 35
	v_cmp_ne_u32_e64 s[0:1], 0, v1
	scratch_store_dword off, v3, off offset:128 ; 4-byte Folded Spill
	v_add_u32_e32 v3, s16, v4
	v_writelane_b32 v95, s0, 36
	scratch_store_dword off, v3, off offset:132 ; 4-byte Folded Spill
	v_add_u32_e32 v3, s16, v5
	v_writelane_b32 v95, s1, 37
	v_cmp_lt_u32_e64 s[0:1], 1, v1
	scratch_store_dword off, v3, off offset:136 ; 4-byte Folded Spill
	v_add_u32_e32 v3, s16, v6
	s_add_u32 s18, s4, s2
	v_writelane_b32 v95, s0, 38
	scratch_store_dword off, v3, off offset:140 ; 4-byte Folded Spill
	v_add_u32_e32 v3, s16, v7
	s_addc_u32 s19, s6, s3
	s_lshl_b64 s[2:3], s[84:85], 2
	v_writelane_b32 v95, s1, 39
	v_cmp_lt_u32_e64 s[0:1], 3, v1
	scratch_store_dword off, v3, off offset:144 ; 4-byte Folded Spill
	v_add_u32_e32 v3, s16, v8
	s_add_u32 s4, s22, s2
	s_mul_i32 s84, s75, s28
	v_writelane_b32 v95, s0, 40
	scratch_store_dword off, v3, off offset:148 ; 4-byte Folded Spill
	v_add_u32_e32 v3, s16, v9
	s_addc_u32 s6, s23, s3
	s_lshl_b64 s[2:3], s[84:85], 2
	v_writelane_b32 v95, s1, 41
	v_cmp_lt_u32_e64 s[0:1], 7, v1
	scratch_store_dword off, v3, off offset:152 ; 4-byte Folded Spill
	v_add_u32_e32 v3, s16, v10
	s_add_u32 s20, s4, s2
	s_mul_i32 s84, s26, s14
	v_lshrrev_b32_e32 v2, 5, v22
	v_writelane_b32 v95, s0, 42
	scratch_store_dword off, v3, off offset:156 ; 4-byte Folded Spill
	v_add_u32_e32 v3, s16, v11
	s_addc_u32 s21, s6, s3
	s_lshl_b64 s[2:3], s[84:85], 2
	v_writelane_b32 v95, s1, 43
	s_mul_i32 s84, s15, s28
	v_cmp_eq_u32_e64 s[0:1], 63, v0
	v_cmp_gt_u32_e64 s[12:13], 64, v0
	v_cmp_eq_u32_e64 s[14:15], 0, v0
	v_lshlrev_b32_e32 v21, 4, v0
	v_add_u32_e32 v0, v2, v22
	scratch_store_dword off, v3, off offset:160 ; 4-byte Folded Spill
	v_add_u32_e32 v3, s16, v12
	v_or_b32_e32 v19, 0x380, v22
	v_lshrrev_b32_e32 v15, 5, v15
	v_lshl_add_u32 v0, v0, 2, 0
	scratch_store_dword off, v3, off offset:164 ; 4-byte Folded Spill
	v_add_u32_e32 v3, s16, v13
	scratch_store_dword off, v19, off offset:264 ; 4-byte Folded Spill
	v_lshrrev_b32_e32 v19, 5, v19
	scratch_store_dword off, v0, off        ; 4-byte Folded Spill
	v_add_lshl_u32 v0, v15, v22, 2
	scratch_store_dword off, v3, off offset:168 ; 4-byte Folded Spill
	v_add_u32_e32 v3, s16, v14
	v_add_lshl_u32 v2, v19, v22, 2
	scratch_store_dword off, v3, off offset:172 ; 4-byte Folded Spill
	v_add_u32_e32 v3, 0, v0
	v_add_u32_e32 v0, s16, v0
	scratch_store_dword off, v0, off offset:176 ; 4-byte Folded Spill
	v_add_u32_e32 v0, 0, v2
	scratch_store_dword off, v0, off offset:56 ; 4-byte Folded Spill
	v_add_u32_e32 v0, s16, v2
	v_or_b32_e32 v2, 1, v21
	scratch_store_dword off, v2, off offset:300 ; 4-byte Folded Spill
                                        ; implicit-def: $vgpr2
	v_add_u32_e32 v20, 0x3c0, v22
	v_or_b32_e32 v2, 2, v21
	scratch_store_dword off, v2, off offset:304 ; 4-byte Folded Spill
	v_or_b32_e32 v2, 3, v21
	scratch_store_dword off, v2, off offset:308 ; 4-byte Folded Spill
	;; [unrolled: 2-line block ×5, first 2 shown]
	v_lshrrev_b32_e32 v20, 5, v20
	scratch_store_dword off, v2, off offset:320 ; 4-byte Folded Spill
	v_or_b32_e32 v2, 7, v21
	v_add_lshl_u32 v15, v20, v22, 2
	scratch_store_dword off, v2, off offset:324 ; 4-byte Folded Spill
	v_or_b32_e32 v2, 8, v21
	scratch_store_dword off, v0, off offset:180 ; 4-byte Folded Spill
	v_add_u32_e32 v0, 0, v15
	scratch_store_dword off, v2, off offset:328 ; 4-byte Folded Spill
	v_or_b32_e32 v2, 9, v21
	v_add_u32_e32 v17, -1, v22
	v_and_b32_e32 v18, 64, v22
	scratch_store_dword off, v0, off offset:60 ; 4-byte Folded Spill
	v_add_u32_e32 v0, s16, v15
	scratch_store_dword off, v2, off offset:332 ; 4-byte Folded Spill
	v_or_b32_e32 v2, 10, v21
	scratch_store_dword off, v0, off offset:184 ; 4-byte Folded Spill
	v_add_u32_e32 v0, s16, v16
	v_cmp_lt_i32_e32 vcc, v17, v18
	scratch_store_dword off, v2, off offset:336 ; 4-byte Folded Spill
	v_or_b32_e32 v2, 11, v21
	scratch_store_dword off, v0, off offset:188 ; 4-byte Folded Spill
	v_cndmask_b32_e32 v0, v17, v22, vcc
	scratch_store_dword off, v2, off offset:340 ; 4-byte Folded Spill
	v_or_b32_e32 v2, 12, v21
	s_add_u32 s22, s24, s2
	v_and_b32_e32 v1, 16, v22
	v_writelane_b32 v95, s0, 44
	v_lshlrev_b32_e32 v0, 2, v0
	scratch_store_dword off, v2, off offset:344 ; 4-byte Folded Spill
	v_or_b32_e32 v2, 13, v21
	s_addc_u32 s23, s25, s3
	v_cmp_ne_u32_e64 s[2:3], 0, v1
	v_writelane_b32 v95, s1, 45
	v_mov_b32_e32 v1, 0
	scratch_store_dword off, v0, off offset:192 ; 4-byte Folded Spill
	v_mov_b32_e32 v0, v22
	s_lshl_b64 s[0:1], s[84:85], 2
	scratch_store_dword off, v2, off offset:348 ; 4-byte Folded Spill
	v_or_b32_e32 v2, 14, v21
	scratch_store_dword off, v3, off offset:52 ; 4-byte Folded Spill
	scratch_store_dwordx2 off, v[0:1], off offset:204 ; 8-byte Folded Spill
	v_lshlrev_b32_e32 v0, 2, v22
	s_add_u32 s0, s22, s0
	scratch_store_dword off, v2, off offset:352 ; 4-byte Folded Spill
	scratch_store_dword off, v21, off offset:296 ; 4-byte Folded Spill
	v_or_b32_e32 v2, 15, v21
	s_addc_u32 s1, s23, s1
	s_add_i32 s4, 0, 0x2108
	scratch_store_dword off, v2, off offset:356 ; 4-byte Folded Spill
	v_lshl_add_u64 v[2:3], s[18:19], 0, v[0:1]
	v_writelane_b32 v95, s4, 46
	scratch_store_dwordx2 off, v[2:3], off offset:272 ; 8-byte Folded Spill
	v_lshl_add_u64 v[2:3], s[20:21], 0, v[0:1]
	v_add_u32_e32 v23, 0, v16
	v_cmp_lt_u32_e64 s[16:17], 31, v22
	s_mov_b32 s33, 0xc2fc0000
	s_mov_b32 s7, 0
	v_mov_b32_e32 v56, 0x7f800000
	v_mov_b32_e32 v68, 0x42800000
	v_mov_b32_e32 v69, 0x1f800000
	scratch_store_dwordx2 off, v[2:3], off offset:280 ; 8-byte Folded Spill
	v_lshl_add_u64 v[2:3], s[0:1], 0, v[0:1]
	v_mov_b32_e32 v0, 0x3f317218
	v_writelane_b32 v95, s56, 47
	scratch_store_dwordx2 off, v[2:3], off offset:288 ; 8-byte Folded Spill
	scratch_store_dwordx2 off, v[0:1], off offset:196 ; 8-byte Folded Spill
	s_branch .LBB148_13
.LBB148_12:                             ;   in Loop: Header=BB148_13 Depth=1
	s_or_b64 exec, exec, s[18:19]
	v_readlane_b32 s0, v95, 3
	v_readlane_b32 s1, v95, 4
	s_add_u32 s0, s0, 0x1000
	s_addc_u32 s1, s1, 0
	v_writelane_b32 v95, s0, 3
	s_nop 1
	v_writelane_b32 v95, s1, 4
	s_nop 0
	v_readlane_b32 s30, v95, 50
	v_readlane_b32 s31, v95, 51
	s_add_u32 s30, s30, 0x1000
	s_addc_u32 s31, s31, 0
	s_add_u32 s58, s58, 0x1000
	s_addc_u32 s59, s59, 0
	;; [unrolled: 2-line block ×3, first 2 shown]
	s_add_i32 s7, s7, 1
	v_readlane_b32 s0, v95, 25
	s_cmp_lg_u32 s7, s0
	s_cbranch_scc0 .LBB148_298
.LBB148_13:                             ; =>This Loop Header: Depth=1
                                        ;     Child Loop BB148_110 Depth 2
	s_waitcnt lgkmcnt(0)
	; wave barrier
	s_waitcnt vmcnt(63) expcnt(7) lgkmcnt(15)
	scratch_load_dwordx2 v[2:3], off, off offset:204 ; 8-byte Folded Reload
	s_lshl_b32 s6, s7, 10
	s_mov_b32 s4, s6
	v_readlane_b32 s0, v95, 22
	v_writelane_b32 v95, s4, 48
	s_sub_i32 s82, s0, s6
	s_waitcnt vmcnt(0) lgkmcnt(1)
	v_mov_b32_e32 v4, v2
	v_writelane_b32 v95, s5, 49
	s_waitcnt lgkmcnt(0)
	v_lshlrev_b32_e32 v0, 2, v4
	v_writelane_b32 v95, s30, 50
	v_cmp_gt_u32_e64 s[18:19], s82, v4
	v_mov_b32_e32 v4, 0
	v_writelane_b32 v95, s31, 51
	v_lshl_add_u64 v[2:3], s[30:31], 0, v[0:1]
	s_and_saveexec_b64 s[20:21], s[18:19]
	s_cbranch_execz .LBB148_15
; %bb.14:                               ;   in Loop: Header=BB148_13 Depth=1
	global_load_dword v4, v[2:3], off
.LBB148_15:                             ;   in Loop: Header=BB148_13 Depth=1
	s_or_b64 exec, exec, s[20:21]
	scratch_load_dword v5, off, off offset:212 ; 4-byte Folded Reload
	v_mov_b32_e32 v6, 0
	s_waitcnt vmcnt(0)
	v_cmp_gt_u32_e64 s[20:21], s82, v5
	v_mov_b32_e32 v5, 0
	s_and_saveexec_b64 s[22:23], s[20:21]
	s_cbranch_execz .LBB148_17
; %bb.16:                               ;   in Loop: Header=BB148_13 Depth=1
	global_load_dword v6, v[2:3], off offset:256
.LBB148_17:                             ;   in Loop: Header=BB148_13 Depth=1
	s_or_b64 exec, exec, s[22:23]
	scratch_load_dword v7, off, off offset:216 ; 4-byte Folded Reload
	s_waitcnt vmcnt(0)
	v_cmp_gt_u32_e64 s[22:23], s82, v7
	s_and_saveexec_b64 s[24:25], s[22:23]
	s_cbranch_execz .LBB148_19
; %bb.18:                               ;   in Loop: Header=BB148_13 Depth=1
	global_load_dword v5, v[2:3], off offset:512
.LBB148_19:                             ;   in Loop: Header=BB148_13 Depth=1
	s_or_b64 exec, exec, s[24:25]
	scratch_load_dword v7, off, off offset:220 ; 4-byte Folded Reload
	v_mov_b32_e32 v8, 0
	s_waitcnt vmcnt(0)
	v_cmp_gt_u32_e64 s[24:25], s82, v7
	v_mov_b32_e32 v7, 0
	s_and_saveexec_b64 s[26:27], s[24:25]
	s_cbranch_execz .LBB148_21
; %bb.20:                               ;   in Loop: Header=BB148_13 Depth=1
	global_load_dword v8, v[2:3], off offset:768
.LBB148_21:                             ;   in Loop: Header=BB148_13 Depth=1
	s_or_b64 exec, exec, s[26:27]
	scratch_load_dword v9, off, off offset:224 ; 4-byte Folded Reload
	s_waitcnt vmcnt(0)
	v_cmp_gt_u32_e64 s[26:27], s82, v9
	s_and_saveexec_b64 s[28:29], s[26:27]
	s_cbranch_execz .LBB148_23
; %bb.22:                               ;   in Loop: Header=BB148_13 Depth=1
	global_load_dword v7, v[2:3], off offset:1024
.LBB148_23:                             ;   in Loop: Header=BB148_13 Depth=1
	;; [unrolled: 20-line block ×7, first 2 shown]
	s_or_b64 exec, exec, s[50:51]
	scratch_load_dword v18, off, off offset:268 ; 4-byte Folded Reload
	v_mov_b32_e32 v20, 0
	s_waitcnt vmcnt(0)
	v_cmp_gt_u32_e64 s[50:51], s82, v18
	v_mov_b32_e32 v18, 0
	s_and_saveexec_b64 s[52:53], s[50:51]
	s_cbranch_execz .LBB148_45
; %bb.44:                               ;   in Loop: Header=BB148_13 Depth=1
	global_load_dword v20, v[2:3], off offset:3840
.LBB148_45:                             ;   in Loop: Header=BB148_13 Depth=1
	s_or_b64 exec, exec, s[52:53]
	scratch_load_dword v2, off, off         ; 4-byte Folded Reload
	v_readlane_b32 s0, v95, 3
	v_readlane_b32 s1, v95, 4
	s_waitcnt vmcnt(0)
	ds_write_b32 v2, v4
	scratch_load_dword v2, off, off offset:4 ; 4-byte Folded Reload
	v_lshl_add_u64 v[28:29], s[0:1], 0, v[0:1]
	s_waitcnt vmcnt(0)
	ds_write_b32 v2, v6 offset:256
	scratch_load_dword v2, off, off offset:8 ; 4-byte Folded Reload
	s_waitcnt vmcnt(0)
	ds_write_b32 v2, v5 offset:512
	scratch_load_dword v2, off, off offset:12 ; 4-byte Folded Reload
	;; [unrolled: 3-line block ×14, first 2 shown]
	s_waitcnt vmcnt(0)
	ds_write_b32 v2, v20 offset:3840
	; wave barrier
	ds_read2_b32 v[2:3], v23 offset1:1
	ds_read2_b32 v[4:5], v23 offset0:2 offset1:3
	ds_read2_b32 v[6:7], v23 offset0:4 offset1:5
	ds_read2_b32 v[8:9], v23 offset0:6 offset1:7
	ds_read2_b32 v[10:11], v23 offset0:8 offset1:9
	ds_read2_b32 v[12:13], v23 offset0:10 offset1:11
	ds_read2_b32 v[14:15], v23 offset0:12 offset1:13
	ds_read2_b32 v[16:17], v23 offset0:14 offset1:15
	s_waitcnt lgkmcnt(0)
	; wave barrier
	s_waitcnt lgkmcnt(0)
	s_and_saveexec_b64 s[52:53], s[18:19]
	s_cbranch_execz .LBB148_47
; %bb.46:                               ;   in Loop: Header=BB148_13 Depth=1
	global_load_dword v18, v[28:29], off
.LBB148_47:                             ;   in Loop: Header=BB148_13 Depth=1
	s_or_b64 exec, exec, s[52:53]
	v_mov_b32_e32 v19, 0
	v_mov_b32_e32 v20, 0
	s_and_saveexec_b64 s[52:53], s[20:21]
	s_cbranch_execz .LBB148_49
; %bb.48:                               ;   in Loop: Header=BB148_13 Depth=1
	global_load_dword v20, v[28:29], off offset:256
.LBB148_49:                             ;   in Loop: Header=BB148_13 Depth=1
	s_or_b64 exec, exec, s[52:53]
	s_and_saveexec_b64 s[52:53], s[22:23]
	s_cbranch_execz .LBB148_51
; %bb.50:                               ;   in Loop: Header=BB148_13 Depth=1
	global_load_dword v19, v[28:29], off offset:512
.LBB148_51:                             ;   in Loop: Header=BB148_13 Depth=1
	s_or_b64 exec, exec, s[52:53]
	v_mov_b32_e32 v21, 0
	v_mov_b32_e32 v22, 0
	s_and_saveexec_b64 s[52:53], s[24:25]
	s_cbranch_execz .LBB148_53
; %bb.52:                               ;   in Loop: Header=BB148_13 Depth=1
	global_load_dword v22, v[28:29], off offset:768
.LBB148_53:                             ;   in Loop: Header=BB148_13 Depth=1
	s_or_b64 exec, exec, s[52:53]
	s_and_saveexec_b64 s[52:53], s[26:27]
	s_cbranch_execz .LBB148_55
; %bb.54:                               ;   in Loop: Header=BB148_13 Depth=1
	global_load_dword v21, v[28:29], off offset:1024
.LBB148_55:                             ;   in Loop: Header=BB148_13 Depth=1
	;; [unrolled: 14-line block ×6, first 2 shown]
	s_or_b64 exec, exec, s[52:53]
	v_mov_b32_e32 v35, 0
	v_mov_b32_e32 v36, 0
	s_and_saveexec_b64 s[52:53], s[46:47]
	s_cbranch_execnz .LBB148_250
; %bb.72:                               ;   in Loop: Header=BB148_13 Depth=1
	s_or_b64 exec, exec, s[52:53]
	s_and_saveexec_b64 s[52:53], s[48:49]
	s_cbranch_execnz .LBB148_251
.LBB148_73:                             ;   in Loop: Header=BB148_13 Depth=1
	s_or_b64 exec, exec, s[52:53]
	v_mov_b32_e32 v37, 0
	s_and_saveexec_b64 s[52:53], s[50:51]
	s_cbranch_execz .LBB148_75
.LBB148_74:                             ;   in Loop: Header=BB148_13 Depth=1
	global_load_dword v37, v[28:29], off offset:3840
.LBB148_75:                             ;   in Loop: Header=BB148_13 Depth=1
	s_or_b64 exec, exec, s[52:53]
	scratch_load_dword v24, off, off        ; 4-byte Folded Reload
	s_mov_b32 s0, 0x41a00000
	s_waitcnt vmcnt(0)
	ds_write_b32 v24, v18
	scratch_load_dword v18, off, off offset:4 ; 4-byte Folded Reload
	s_waitcnt vmcnt(0)
	ds_write_b32 v18, v20 offset:256
	scratch_load_dword v18, off, off offset:8 ; 4-byte Folded Reload
	s_waitcnt vmcnt(0)
	ds_write_b32 v18, v19 offset:512
	;; [unrolled: 3-line block ×15, first 2 shown]
	; wave barrier
	ds_read2_b32 v[42:43], v23 offset1:1
	ds_read2_b32 v[40:41], v23 offset0:2 offset1:3
	ds_read2_b32 v[38:39], v23 offset0:4 offset1:5
	;; [unrolled: 1-line block ×7, first 2 shown]
	s_waitcnt lgkmcnt(7)
	v_add_f32_e32 v70, s56, v42
	v_cmp_ge_f32_e32 vcc, s0, v70
	v_readlane_b32 s0, v95, 17
	v_readlane_b32 s1, v95, 18
	s_and_b64 s[0:1], s[0:1], vcc
	s_and_saveexec_b64 s[54:55], s[0:1]
	s_cbranch_execz .LBB148_77
; %bb.76:                               ;   in Loop: Header=BB148_13 Depth=1
	v_mul_f32_e32 v18, 0x3fb8aa3b, v70
	v_rndne_f32_e32 v19, v18
	s_mov_b32 s0, 0x3fb8aa3b
	v_sub_f32_e32 v20, v18, v19
	v_fma_f32 v18, v70, s0, -v18
	v_fmac_f32_e32 v18, 0x32a5705f, v70
	v_add_f32_e32 v18, v20, v18
	v_cvt_i32_f32_e32 v19, v19
	v_exp_f32_e32 v18, v18
	s_mov_b32 s0, 0xc2ce8ed0
	v_cmp_ngt_f32_e32 vcc, s0, v70
	s_mov_b32 s0, 0x42b17218
	v_ldexp_f32 v18, v18, v19
	v_cndmask_b32_e32 v18, 0, v18, vcc
	v_cmp_nlt_f32_e32 vcc, s0, v70
	s_mov_b32 s0, 0x3f2aaaab
	s_nop 0
	v_cndmask_b32_e32 v42, v56, v18, vcc
	v_add_f32_e32 v20, 1.0, v42
	v_add_f32_e32 v18, -1.0, v20
	v_sub_f32_e32 v19, v18, v20
	v_add_f32_e32 v19, 1.0, v19
	v_sub_f32_e32 v18, v42, v18
	v_add_f32_e32 v21, v18, v19
	v_frexp_mant_f32_e32 v22, v20
	v_cvt_f64_f32_e32 v[18:19], v20
	v_frexp_exp_i32_f64_e32 v18, v[18:19]
	v_cmp_gt_f32_e32 vcc, s0, v22
	s_mov_b32 s0, 0x3f317218
	s_nop 0
	v_subbrev_co_u32_e32 v22, vcc, 0, v18, vcc
	v_sub_u32_e32 v18, 0, v22
	v_ldexp_f32 v19, v20, v18
	v_add_f32_e32 v20, -1.0, v19
	v_add_f32_e32 v25, 1.0, v19
	v_ldexp_f32 v18, v21, v18
	v_add_f32_e32 v21, 1.0, v20
	v_add_f32_e32 v26, -1.0, v25
	v_sub_f32_e32 v21, v19, v21
	v_sub_f32_e32 v19, v19, v26
	v_add_f32_e32 v21, v18, v21
	v_add_f32_e32 v18, v18, v19
	;; [unrolled: 1-line block ×3, first 2 shown]
	v_rcp_f32_e32 v47, v46
	v_sub_f32_e32 v19, v25, v46
	v_add_f32_e32 v25, v18, v19
	v_add_f32_e32 v19, v20, v21
	v_mul_f32_e32 v49, v19, v47
	v_sub_f32_e32 v18, v20, v19
	v_mul_f32_e32 v20, v46, v49
	v_fma_f32 v26, v49, v46, -v20
	v_fmac_f32_e32 v26, v49, v25
	v_add_f32_e32 v48, v21, v18
	v_add_f32_e32 v18, v20, v26
	v_sub_f32_e32 v21, v19, v18
	v_pk_add_f32 v[44:45], v[18:19], v[20:21] neg_lo:[0,1] neg_hi:[0,1]
	v_mov_b32_e32 v27, v18
	v_pk_add_f32 v[18:19], v[44:45], v[26:27] neg_lo:[0,1] neg_hi:[0,1]
	s_nop 0
	v_add_f32_e32 v19, v48, v19
	v_add_f32_e32 v18, v18, v19
	;; [unrolled: 1-line block ×3, first 2 shown]
	v_mul_f32_e32 v48, v47, v19
	v_mul_f32_e32 v20, v46, v48
	v_fma_f32 v26, v48, v46, -v20
	v_fmac_f32_e32 v26, v48, v25
	v_sub_f32_e32 v21, v21, v19
	v_add_f32_e32 v25, v18, v21
	v_add_f32_e32 v18, v20, v26
	v_sub_f32_e32 v21, v19, v18
	v_pk_add_f32 v[44:45], v[18:19], v[20:21] neg_lo:[0,1] neg_hi:[0,1]
	v_mov_b32_e32 v27, v18
	v_pk_add_f32 v[18:19], v[44:45], v[26:27] neg_lo:[0,1] neg_hi:[0,1]
	scratch_load_dwordx2 v[44:45], off, off offset:196 ; 8-byte Folded Reload
	v_add_f32_e32 v19, v25, v19
	v_add_f32_e32 v18, v18, v19
	v_add_f32_e32 v19, v49, v48
	v_add_f32_e32 v18, v21, v18
	v_sub_f32_e32 v20, v19, v49
	v_mul_f32_e32 v18, v47, v18
	v_sub_f32_e32 v20, v48, v20
	v_add_f32_e32 v20, v20, v18
	v_add_f32_e32 v25, v19, v20
	v_mul_f32_e32 v26, v25, v25
	v_mov_b32_e32 v18, 0x3ecc95a3
	v_fmamk_f32 v18, v26, 0x3e9b6dac, v18
	s_waitcnt vmcnt(0)
	v_fmaak_f32 v45, v26, v18, 0x3f2aaada
	v_cvt_f32_i32_e32 v18, v22
	v_sub_f32_e32 v19, v25, v19
	v_sub_f32_e32 v19, v20, v19
	v_ldexp_f32 v22, v19, 1
	v_mul_f32_e32 v19, v25, v26
	v_ldexp_f32 v21, v25, 1
	v_mov_b32_e32 v20, v44
	v_pk_mul_f32 v[26:27], v[18:19], v[44:45]
	scratch_store_dwordx2 off, v[20:21], off offset:196 ; 8-byte Folded Spill
	v_fma_f32 v20, v18, s0, -v26
	v_fmac_f32_e32 v20, 0xb102e308, v18
	v_pk_add_f32 v[18:19], v[26:27], v[20:21]
	v_mov_b32_e32 v44, v26
	v_sub_f32_e32 v21, v19, v21
	v_sub_f32_e32 v21, v27, v21
	v_add_f32_e32 v45, v22, v21
	v_pk_add_f32 v[26:27], v[18:19], v[26:27] neg_lo:[0,1] neg_hi:[0,1]
	v_pk_add_f32 v[46:47], v[18:19], v[44:45]
	v_mov_b32_e32 v21, v18
	v_mov_b32_e32 v27, v47
	v_pk_add_f32 v[48:49], v[20:21], v[26:27] neg_lo:[0,1] neg_hi:[0,1]
	v_pk_add_f32 v[20:21], v[20:21], v[26:27]
	s_mov_b32 s0, 0x7f800000
	v_mov_b32_e32 v22, v21
	v_pk_add_f32 v[26:27], v[22:23], v[18:19] neg_lo:[0,1] neg_hi:[0,1]
	v_mov_b32_e32 v20, v47
	v_mov_b32_e32 v25, v26
	v_pk_add_f32 v[50:51], v[46:47], v[24:25] neg_lo:[0,1] neg_hi:[0,1]
	v_mov_b32_e32 v46, v19
	v_mov_b32_e32 v47, v26
	;; [unrolled: 1-line block ×3, first 2 shown]
	v_pk_add_f32 v[20:21], v[20:21], v[46:47] neg_lo:[0,1] neg_hi:[0,1]
	v_mov_b32_e32 v26, v45
	v_mov_b32_e32 v27, v18
	v_pk_add_f32 v[18:19], v[26:27], v[20:21] neg_lo:[0,1] neg_hi:[0,1]
	v_mov_b32_e32 v50, v48
	v_pk_add_f32 v[20:21], v[50:51], v[18:19]
	v_cmp_eq_f32_e32 vcc, s0, v42
	v_mov_b32_e32 v26, v21
	v_pk_add_f32 v[26:27], v[20:21], v[26:27]
	s_mov_b32 s0, 0x33800000
	v_pk_add_f32 v[44:45], v[22:23], v[26:27]
	v_mov_b32_e32 v19, v26
	v_mov_b32_e32 v21, v44
	v_pk_add_f32 v[46:47], v[20:21], v[48:49] neg_lo:[0,1] neg_hi:[0,1]
	v_cmp_gt_f32_e64 s[52:53], s0, v42
	v_sub_f32_e32 v20, v20, v46
	v_pk_add_f32 v[18:19], v[18:19], v[46:47] neg_lo:[0,1] neg_hi:[0,1]
	v_sub_f32_e32 v20, v48, v20
	v_add_f32_e32 v18, v18, v20
	v_add_f32_e32 v18, v18, v19
	;; [unrolled: 1-line block ×3, first 2 shown]
	s_or_b64 vcc, s[52:53], vcc
	v_cndmask_b32_e32 v70, v18, v42, vcc
.LBB148_77:                             ;   in Loop: Header=BB148_13 Depth=1
	s_or_b64 exec, exec, s[54:55]
	v_add_f32_e32 v71, s56, v43
	s_mov_b32 s0, 0x41a00000
	v_cmp_ge_f32_e32 vcc, s0, v71
	v_readlane_b32 s0, v95, 17
	v_readlane_b32 s1, v95, 18
	s_and_b64 s[0:1], s[0:1], vcc
	s_and_saveexec_b64 s[54:55], s[0:1]
	s_cbranch_execz .LBB148_79
; %bb.78:                               ;   in Loop: Header=BB148_13 Depth=1
	v_mul_f32_e32 v18, 0x3fb8aa3b, v71
	v_rndne_f32_e32 v19, v18
	s_mov_b32 s0, 0x3fb8aa3b
	v_sub_f32_e32 v20, v18, v19
	v_fma_f32 v18, v71, s0, -v18
	v_fmac_f32_e32 v18, 0x32a5705f, v71
	v_add_f32_e32 v18, v20, v18
	v_cvt_i32_f32_e32 v19, v19
	v_exp_f32_e32 v18, v18
	s_mov_b32 s0, 0xc2ce8ed0
	v_cmp_ngt_f32_e32 vcc, s0, v71
	s_mov_b32 s0, 0x42b17218
	v_ldexp_f32 v18, v18, v19
	v_cndmask_b32_e32 v18, 0, v18, vcc
	v_cmp_nlt_f32_e32 vcc, s0, v71
	s_mov_b32 s0, 0x3f2aaaab
	s_nop 0
	v_cndmask_b32_e32 v50, v56, v18, vcc
	v_add_f32_e32 v20, 1.0, v50
	v_add_f32_e32 v18, -1.0, v20
	v_sub_f32_e32 v19, v18, v20
	v_add_f32_e32 v19, 1.0, v19
	v_sub_f32_e32 v18, v50, v18
	v_add_f32_e32 v21, v18, v19
	v_frexp_mant_f32_e32 v22, v20
	v_cvt_f64_f32_e32 v[18:19], v20
	v_frexp_exp_i32_f64_e32 v18, v[18:19]
	v_cmp_gt_f32_e32 vcc, s0, v22
	s_mov_b32 s0, 0x3f317218
	s_nop 0
	v_subbrev_co_u32_e32 v22, vcc, 0, v18, vcc
	v_sub_u32_e32 v18, 0, v22
	v_ldexp_f32 v19, v20, v18
	v_add_f32_e32 v20, -1.0, v19
	v_add_f32_e32 v25, 1.0, v19
	v_ldexp_f32 v18, v21, v18
	v_add_f32_e32 v21, 1.0, v20
	v_add_f32_e32 v26, -1.0, v25
	v_sub_f32_e32 v21, v19, v21
	v_sub_f32_e32 v19, v19, v26
	v_add_f32_e32 v21, v18, v21
	v_add_f32_e32 v18, v18, v19
	;; [unrolled: 1-line block ×3, first 2 shown]
	v_rcp_f32_e32 v45, v44
	v_sub_f32_e32 v19, v25, v44
	v_add_f32_e32 v25, v18, v19
	v_add_f32_e32 v19, v20, v21
	v_mul_f32_e32 v47, v19, v45
	v_sub_f32_e32 v18, v20, v19
	v_mul_f32_e32 v20, v44, v47
	v_fma_f32 v26, v47, v44, -v20
	v_fmac_f32_e32 v26, v47, v25
	v_add_f32_e32 v46, v21, v18
	v_add_f32_e32 v18, v20, v26
	v_sub_f32_e32 v21, v19, v18
	v_pk_add_f32 v[42:43], v[18:19], v[20:21] neg_lo:[0,1] neg_hi:[0,1]
	v_mov_b32_e32 v27, v18
	v_pk_add_f32 v[18:19], v[42:43], v[26:27] neg_lo:[0,1] neg_hi:[0,1]
	s_nop 0
	v_add_f32_e32 v19, v46, v19
	v_add_f32_e32 v18, v18, v19
	;; [unrolled: 1-line block ×3, first 2 shown]
	v_mul_f32_e32 v46, v45, v19
	v_mul_f32_e32 v20, v44, v46
	v_fma_f32 v26, v46, v44, -v20
	v_fmac_f32_e32 v26, v46, v25
	v_sub_f32_e32 v21, v21, v19
	v_add_f32_e32 v25, v18, v21
	v_add_f32_e32 v18, v20, v26
	v_sub_f32_e32 v21, v19, v18
	v_pk_add_f32 v[42:43], v[18:19], v[20:21] neg_lo:[0,1] neg_hi:[0,1]
	v_mov_b32_e32 v27, v18
	v_pk_add_f32 v[18:19], v[42:43], v[26:27] neg_lo:[0,1] neg_hi:[0,1]
	scratch_load_dwordx2 v[42:43], off, off offset:196 ; 8-byte Folded Reload
	v_add_f32_e32 v19, v25, v19
	v_add_f32_e32 v18, v18, v19
	v_add_f32_e32 v19, v47, v46
	v_add_f32_e32 v18, v21, v18
	v_sub_f32_e32 v20, v19, v47
	v_mul_f32_e32 v18, v45, v18
	v_sub_f32_e32 v20, v46, v20
	v_add_f32_e32 v20, v20, v18
	v_add_f32_e32 v25, v19, v20
	v_mul_f32_e32 v26, v25, v25
	v_mov_b32_e32 v18, 0x3ecc95a3
	v_fmamk_f32 v18, v26, 0x3e9b6dac, v18
	s_waitcnt vmcnt(0)
	v_fmaak_f32 v43, v26, v18, 0x3f2aaada
	v_cvt_f32_i32_e32 v18, v22
	v_sub_f32_e32 v19, v25, v19
	v_sub_f32_e32 v19, v20, v19
	v_ldexp_f32 v22, v19, 1
	v_mul_f32_e32 v19, v25, v26
	v_ldexp_f32 v21, v25, 1
	v_mov_b32_e32 v20, v42
	v_pk_mul_f32 v[26:27], v[18:19], v[42:43]
	scratch_store_dwordx2 off, v[20:21], off offset:196 ; 8-byte Folded Spill
	v_fma_f32 v20, v18, s0, -v26
	v_fmac_f32_e32 v20, 0xb102e308, v18
	v_pk_add_f32 v[18:19], v[26:27], v[20:21]
	v_mov_b32_e32 v42, v26
	v_sub_f32_e32 v21, v19, v21
	v_sub_f32_e32 v21, v27, v21
	v_add_f32_e32 v43, v22, v21
	v_pk_add_f32 v[26:27], v[18:19], v[26:27] neg_lo:[0,1] neg_hi:[0,1]
	v_pk_add_f32 v[44:45], v[18:19], v[42:43]
	v_mov_b32_e32 v21, v18
	v_mov_b32_e32 v27, v45
	v_pk_add_f32 v[46:47], v[20:21], v[26:27] neg_lo:[0,1] neg_hi:[0,1]
	v_pk_add_f32 v[20:21], v[20:21], v[26:27]
	s_mov_b32 s0, 0x7f800000
	v_mov_b32_e32 v22, v21
	v_pk_add_f32 v[26:27], v[22:23], v[18:19] neg_lo:[0,1] neg_hi:[0,1]
	v_mov_b32_e32 v20, v45
	v_mov_b32_e32 v25, v26
	v_pk_add_f32 v[48:49], v[44:45], v[24:25] neg_lo:[0,1] neg_hi:[0,1]
	v_mov_b32_e32 v44, v19
	v_mov_b32_e32 v45, v26
	;; [unrolled: 1-line block ×3, first 2 shown]
	v_pk_add_f32 v[20:21], v[20:21], v[44:45] neg_lo:[0,1] neg_hi:[0,1]
	v_mov_b32_e32 v26, v43
	v_mov_b32_e32 v27, v18
	v_pk_add_f32 v[18:19], v[26:27], v[20:21] neg_lo:[0,1] neg_hi:[0,1]
	v_mov_b32_e32 v48, v46
	v_pk_add_f32 v[20:21], v[48:49], v[18:19]
	v_cmp_eq_f32_e32 vcc, s0, v50
	v_mov_b32_e32 v26, v21
	v_pk_add_f32 v[26:27], v[20:21], v[26:27]
	s_mov_b32 s0, 0x33800000
	v_pk_add_f32 v[42:43], v[22:23], v[26:27]
	v_mov_b32_e32 v19, v26
	v_mov_b32_e32 v21, v42
	v_pk_add_f32 v[44:45], v[20:21], v[46:47] neg_lo:[0,1] neg_hi:[0,1]
	v_cmp_gt_f32_e64 s[52:53], s0, v50
	v_sub_f32_e32 v20, v20, v44
	v_pk_add_f32 v[18:19], v[18:19], v[44:45] neg_lo:[0,1] neg_hi:[0,1]
	v_sub_f32_e32 v20, v46, v20
	v_add_f32_e32 v18, v18, v20
	v_add_f32_e32 v18, v18, v19
	;; [unrolled: 1-line block ×3, first 2 shown]
	s_or_b64 vcc, s[52:53], vcc
	v_cndmask_b32_e32 v71, v18, v50, vcc
.LBB148_79:                             ;   in Loop: Header=BB148_13 Depth=1
	s_or_b64 exec, exec, s[54:55]
	s_waitcnt lgkmcnt(6)
	v_add_f32_e32 v72, s56, v40
	s_mov_b32 s0, 0x41a00000
	v_cmp_ge_f32_e32 vcc, s0, v72
	v_readlane_b32 s0, v95, 17
	v_readlane_b32 s1, v95, 18
	s_and_b64 s[0:1], s[0:1], vcc
	s_and_saveexec_b64 s[54:55], s[0:1]
	s_cbranch_execz .LBB148_81
; %bb.80:                               ;   in Loop: Header=BB148_13 Depth=1
	v_mul_f32_e32 v18, 0x3fb8aa3b, v72
	v_rndne_f32_e32 v19, v18
	s_mov_b32 s0, 0x3fb8aa3b
	v_sub_f32_e32 v20, v18, v19
	v_fma_f32 v18, v72, s0, -v18
	v_fmac_f32_e32 v18, 0x32a5705f, v72
	v_add_f32_e32 v18, v20, v18
	v_cvt_i32_f32_e32 v19, v19
	v_exp_f32_e32 v18, v18
	s_mov_b32 s0, 0xc2ce8ed0
	v_cmp_ngt_f32_e32 vcc, s0, v72
	s_mov_b32 s0, 0x42b17218
	v_ldexp_f32 v18, v18, v19
	v_cndmask_b32_e32 v18, 0, v18, vcc
	v_cmp_nlt_f32_e32 vcc, s0, v72
	s_mov_b32 s0, 0x3f2aaaab
	s_nop 0
	v_cndmask_b32_e32 v40, v56, v18, vcc
	v_add_f32_e32 v20, 1.0, v40
	v_add_f32_e32 v18, -1.0, v20
	v_sub_f32_e32 v19, v18, v20
	v_add_f32_e32 v19, 1.0, v19
	v_sub_f32_e32 v18, v40, v18
	v_add_f32_e32 v21, v18, v19
	v_frexp_mant_f32_e32 v22, v20
	v_cvt_f64_f32_e32 v[18:19], v20
	v_frexp_exp_i32_f64_e32 v18, v[18:19]
	v_cmp_gt_f32_e32 vcc, s0, v22
	s_mov_b32 s0, 0x3f317218
	s_nop 0
	v_subbrev_co_u32_e32 v22, vcc, 0, v18, vcc
	v_sub_u32_e32 v18, 0, v22
	v_ldexp_f32 v19, v20, v18
	v_add_f32_e32 v20, -1.0, v19
	v_add_f32_e32 v25, 1.0, v19
	v_ldexp_f32 v18, v21, v18
	v_add_f32_e32 v21, 1.0, v20
	v_add_f32_e32 v26, -1.0, v25
	v_sub_f32_e32 v21, v19, v21
	v_sub_f32_e32 v19, v19, v26
	v_add_f32_e32 v21, v18, v21
	v_add_f32_e32 v18, v18, v19
	;; [unrolled: 1-line block ×3, first 2 shown]
	v_rcp_f32_e32 v45, v44
	v_sub_f32_e32 v19, v25, v44
	v_add_f32_e32 v25, v18, v19
	v_add_f32_e32 v19, v20, v21
	v_mul_f32_e32 v47, v19, v45
	v_sub_f32_e32 v18, v20, v19
	v_mul_f32_e32 v20, v44, v47
	v_fma_f32 v26, v47, v44, -v20
	v_fmac_f32_e32 v26, v47, v25
	v_add_f32_e32 v46, v21, v18
	v_add_f32_e32 v18, v20, v26
	v_sub_f32_e32 v21, v19, v18
	v_pk_add_f32 v[42:43], v[18:19], v[20:21] neg_lo:[0,1] neg_hi:[0,1]
	v_mov_b32_e32 v27, v18
	v_pk_add_f32 v[18:19], v[42:43], v[26:27] neg_lo:[0,1] neg_hi:[0,1]
	s_nop 0
	v_add_f32_e32 v19, v46, v19
	v_add_f32_e32 v18, v18, v19
	;; [unrolled: 1-line block ×3, first 2 shown]
	v_mul_f32_e32 v46, v45, v19
	v_mul_f32_e32 v20, v44, v46
	v_fma_f32 v26, v46, v44, -v20
	v_fmac_f32_e32 v26, v46, v25
	v_sub_f32_e32 v21, v21, v19
	v_add_f32_e32 v25, v18, v21
	v_add_f32_e32 v18, v20, v26
	v_sub_f32_e32 v21, v19, v18
	v_pk_add_f32 v[42:43], v[18:19], v[20:21] neg_lo:[0,1] neg_hi:[0,1]
	v_mov_b32_e32 v27, v18
	v_pk_add_f32 v[18:19], v[42:43], v[26:27] neg_lo:[0,1] neg_hi:[0,1]
	scratch_load_dwordx2 v[42:43], off, off offset:196 ; 8-byte Folded Reload
	v_add_f32_e32 v19, v25, v19
	v_add_f32_e32 v18, v18, v19
	;; [unrolled: 1-line block ×4, first 2 shown]
	v_sub_f32_e32 v20, v19, v47
	v_mul_f32_e32 v18, v45, v18
	v_sub_f32_e32 v20, v46, v20
	v_add_f32_e32 v20, v20, v18
	v_add_f32_e32 v25, v19, v20
	v_mul_f32_e32 v26, v25, v25
	v_mov_b32_e32 v18, 0x3ecc95a3
	v_fmamk_f32 v18, v26, 0x3e9b6dac, v18
	s_waitcnt vmcnt(0)
	v_fmaak_f32 v43, v26, v18, 0x3f2aaada
	v_cvt_f32_i32_e32 v18, v22
	v_sub_f32_e32 v19, v25, v19
	v_sub_f32_e32 v19, v20, v19
	v_ldexp_f32 v22, v19, 1
	v_mul_f32_e32 v19, v25, v26
	v_ldexp_f32 v21, v25, 1
	v_mov_b32_e32 v20, v42
	v_pk_mul_f32 v[26:27], v[18:19], v[42:43]
	scratch_store_dwordx2 off, v[20:21], off offset:196 ; 8-byte Folded Spill
	v_fma_f32 v20, v18, s0, -v26
	v_fmac_f32_e32 v20, 0xb102e308, v18
	v_pk_add_f32 v[18:19], v[26:27], v[20:21]
	v_mov_b32_e32 v42, v26
	v_sub_f32_e32 v21, v19, v21
	v_sub_f32_e32 v21, v27, v21
	v_add_f32_e32 v43, v22, v21
	v_pk_add_f32 v[26:27], v[18:19], v[26:27] neg_lo:[0,1] neg_hi:[0,1]
	v_pk_add_f32 v[44:45], v[18:19], v[42:43]
	v_mov_b32_e32 v21, v18
	v_mov_b32_e32 v27, v45
	v_pk_add_f32 v[46:47], v[20:21], v[26:27] neg_lo:[0,1] neg_hi:[0,1]
	v_pk_add_f32 v[20:21], v[20:21], v[26:27]
	s_mov_b32 s0, 0x7f800000
	v_mov_b32_e32 v22, v21
	v_pk_add_f32 v[26:27], v[22:23], v[18:19] neg_lo:[0,1] neg_hi:[0,1]
	v_mov_b32_e32 v20, v45
	v_mov_b32_e32 v25, v26
	v_pk_add_f32 v[48:49], v[44:45], v[24:25] neg_lo:[0,1] neg_hi:[0,1]
	v_mov_b32_e32 v44, v19
	v_mov_b32_e32 v45, v26
	v_mov_b32_e32 v47, v21
	v_pk_add_f32 v[20:21], v[20:21], v[44:45] neg_lo:[0,1] neg_hi:[0,1]
	v_mov_b32_e32 v26, v43
	v_mov_b32_e32 v27, v18
	v_pk_add_f32 v[18:19], v[26:27], v[20:21] neg_lo:[0,1] neg_hi:[0,1]
	v_mov_b32_e32 v48, v46
	v_pk_add_f32 v[20:21], v[48:49], v[18:19]
	v_cmp_eq_f32_e32 vcc, s0, v40
	v_mov_b32_e32 v26, v21
	v_pk_add_f32 v[26:27], v[20:21], v[26:27]
	s_mov_b32 s0, 0x33800000
	v_pk_add_f32 v[42:43], v[22:23], v[26:27]
	v_mov_b32_e32 v19, v26
	v_mov_b32_e32 v21, v42
	v_pk_add_f32 v[44:45], v[20:21], v[46:47] neg_lo:[0,1] neg_hi:[0,1]
	v_cmp_gt_f32_e64 s[52:53], s0, v40
	v_sub_f32_e32 v20, v20, v44
	v_pk_add_f32 v[18:19], v[18:19], v[44:45] neg_lo:[0,1] neg_hi:[0,1]
	v_sub_f32_e32 v20, v46, v20
	v_add_f32_e32 v18, v18, v20
	v_add_f32_e32 v18, v18, v19
	;; [unrolled: 1-line block ×3, first 2 shown]
	s_or_b64 vcc, s[52:53], vcc
	v_cndmask_b32_e32 v72, v18, v40, vcc
.LBB148_81:                             ;   in Loop: Header=BB148_13 Depth=1
	s_or_b64 exec, exec, s[54:55]
	v_add_f32_e32 v73, s56, v41
	s_mov_b32 s0, 0x41a00000
	v_cmp_ge_f32_e32 vcc, s0, v73
	v_readlane_b32 s0, v95, 17
	v_readlane_b32 s1, v95, 18
	s_and_b64 s[0:1], s[0:1], vcc
	s_and_saveexec_b64 s[54:55], s[0:1]
	s_cbranch_execz .LBB148_83
; %bb.82:                               ;   in Loop: Header=BB148_13 Depth=1
	v_mul_f32_e32 v18, 0x3fb8aa3b, v73
	v_rndne_f32_e32 v19, v18
	s_mov_b32 s0, 0x3fb8aa3b
	v_sub_f32_e32 v20, v18, v19
	v_fma_f32 v18, v73, s0, -v18
	v_fmac_f32_e32 v18, 0x32a5705f, v73
	v_add_f32_e32 v18, v20, v18
	v_cvt_i32_f32_e32 v19, v19
	v_exp_f32_e32 v18, v18
	s_mov_b32 s0, 0xc2ce8ed0
	v_cmp_ngt_f32_e32 vcc, s0, v73
	s_mov_b32 s0, 0x42b17218
	v_ldexp_f32 v18, v18, v19
	v_cndmask_b32_e32 v18, 0, v18, vcc
	v_cmp_nlt_f32_e32 vcc, s0, v73
	s_mov_b32 s0, 0x3f2aaaab
	s_nop 0
	v_cndmask_b32_e32 v48, v56, v18, vcc
	v_add_f32_e32 v20, 1.0, v48
	v_add_f32_e32 v18, -1.0, v20
	v_sub_f32_e32 v19, v18, v20
	v_add_f32_e32 v19, 1.0, v19
	v_sub_f32_e32 v18, v48, v18
	v_add_f32_e32 v21, v18, v19
	v_frexp_mant_f32_e32 v22, v20
	v_cvt_f64_f32_e32 v[18:19], v20
	v_frexp_exp_i32_f64_e32 v18, v[18:19]
	v_cmp_gt_f32_e32 vcc, s0, v22
	s_mov_b32 s0, 0x3f317218
	s_nop 0
	v_subbrev_co_u32_e32 v22, vcc, 0, v18, vcc
	v_sub_u32_e32 v18, 0, v22
	v_ldexp_f32 v19, v20, v18
	v_add_f32_e32 v20, -1.0, v19
	v_add_f32_e32 v25, 1.0, v19
	v_ldexp_f32 v18, v21, v18
	v_add_f32_e32 v21, 1.0, v20
	v_add_f32_e32 v26, -1.0, v25
	v_sub_f32_e32 v21, v19, v21
	v_sub_f32_e32 v19, v19, v26
	v_add_f32_e32 v21, v18, v21
	v_add_f32_e32 v18, v18, v19
	;; [unrolled: 1-line block ×3, first 2 shown]
	v_rcp_f32_e32 v43, v42
	v_sub_f32_e32 v19, v25, v42
	v_add_f32_e32 v25, v18, v19
	v_add_f32_e32 v19, v20, v21
	v_mul_f32_e32 v45, v19, v43
	v_sub_f32_e32 v18, v20, v19
	v_mul_f32_e32 v20, v42, v45
	v_fma_f32 v26, v45, v42, -v20
	v_fmac_f32_e32 v26, v45, v25
	v_add_f32_e32 v44, v21, v18
	v_add_f32_e32 v18, v20, v26
	v_sub_f32_e32 v21, v19, v18
	v_pk_add_f32 v[40:41], v[18:19], v[20:21] neg_lo:[0,1] neg_hi:[0,1]
	v_mov_b32_e32 v27, v18
	v_pk_add_f32 v[18:19], v[40:41], v[26:27] neg_lo:[0,1] neg_hi:[0,1]
	s_nop 0
	v_add_f32_e32 v19, v44, v19
	v_add_f32_e32 v18, v18, v19
	;; [unrolled: 1-line block ×3, first 2 shown]
	v_mul_f32_e32 v44, v43, v19
	v_mul_f32_e32 v20, v42, v44
	v_fma_f32 v26, v44, v42, -v20
	v_fmac_f32_e32 v26, v44, v25
	v_sub_f32_e32 v21, v21, v19
	v_add_f32_e32 v25, v18, v21
	v_add_f32_e32 v18, v20, v26
	v_sub_f32_e32 v21, v19, v18
	v_pk_add_f32 v[40:41], v[18:19], v[20:21] neg_lo:[0,1] neg_hi:[0,1]
	v_mov_b32_e32 v27, v18
	v_pk_add_f32 v[18:19], v[40:41], v[26:27] neg_lo:[0,1] neg_hi:[0,1]
	scratch_load_dwordx2 v[40:41], off, off offset:196 ; 8-byte Folded Reload
	v_add_f32_e32 v19, v25, v19
	v_add_f32_e32 v18, v18, v19
	;; [unrolled: 1-line block ×4, first 2 shown]
	v_sub_f32_e32 v20, v19, v45
	v_mul_f32_e32 v18, v43, v18
	v_sub_f32_e32 v20, v44, v20
	v_add_f32_e32 v20, v20, v18
	v_add_f32_e32 v25, v19, v20
	v_mul_f32_e32 v26, v25, v25
	v_mov_b32_e32 v18, 0x3ecc95a3
	v_fmamk_f32 v18, v26, 0x3e9b6dac, v18
	s_waitcnt vmcnt(0)
	v_fmaak_f32 v41, v26, v18, 0x3f2aaada
	v_cvt_f32_i32_e32 v18, v22
	v_sub_f32_e32 v19, v25, v19
	v_sub_f32_e32 v19, v20, v19
	v_ldexp_f32 v22, v19, 1
	v_mul_f32_e32 v19, v25, v26
	v_ldexp_f32 v21, v25, 1
	v_mov_b32_e32 v20, v40
	v_pk_mul_f32 v[26:27], v[18:19], v[40:41]
	scratch_store_dwordx2 off, v[20:21], off offset:196 ; 8-byte Folded Spill
	v_fma_f32 v20, v18, s0, -v26
	v_fmac_f32_e32 v20, 0xb102e308, v18
	v_pk_add_f32 v[18:19], v[26:27], v[20:21]
	v_mov_b32_e32 v40, v26
	v_sub_f32_e32 v21, v19, v21
	v_sub_f32_e32 v21, v27, v21
	v_add_f32_e32 v41, v22, v21
	v_pk_add_f32 v[26:27], v[18:19], v[26:27] neg_lo:[0,1] neg_hi:[0,1]
	v_pk_add_f32 v[42:43], v[18:19], v[40:41]
	v_mov_b32_e32 v21, v18
	v_mov_b32_e32 v27, v43
	v_pk_add_f32 v[44:45], v[20:21], v[26:27] neg_lo:[0,1] neg_hi:[0,1]
	v_pk_add_f32 v[20:21], v[20:21], v[26:27]
	s_mov_b32 s0, 0x7f800000
	v_mov_b32_e32 v22, v21
	v_pk_add_f32 v[26:27], v[22:23], v[18:19] neg_lo:[0,1] neg_hi:[0,1]
	v_mov_b32_e32 v20, v43
	v_mov_b32_e32 v25, v26
	v_pk_add_f32 v[46:47], v[42:43], v[24:25] neg_lo:[0,1] neg_hi:[0,1]
	v_mov_b32_e32 v42, v19
	v_mov_b32_e32 v43, v26
	;; [unrolled: 1-line block ×3, first 2 shown]
	v_pk_add_f32 v[20:21], v[20:21], v[42:43] neg_lo:[0,1] neg_hi:[0,1]
	v_mov_b32_e32 v26, v41
	v_mov_b32_e32 v27, v18
	v_pk_add_f32 v[18:19], v[26:27], v[20:21] neg_lo:[0,1] neg_hi:[0,1]
	v_mov_b32_e32 v46, v44
	v_pk_add_f32 v[20:21], v[46:47], v[18:19]
	v_cmp_eq_f32_e32 vcc, s0, v48
	v_mov_b32_e32 v26, v21
	v_pk_add_f32 v[26:27], v[20:21], v[26:27]
	s_mov_b32 s0, 0x33800000
	v_pk_add_f32 v[40:41], v[22:23], v[26:27]
	v_mov_b32_e32 v19, v26
	v_mov_b32_e32 v21, v40
	v_pk_add_f32 v[42:43], v[20:21], v[44:45] neg_lo:[0,1] neg_hi:[0,1]
	v_cmp_gt_f32_e64 s[52:53], s0, v48
	v_sub_f32_e32 v20, v20, v42
	v_pk_add_f32 v[18:19], v[18:19], v[42:43] neg_lo:[0,1] neg_hi:[0,1]
	v_sub_f32_e32 v20, v44, v20
	v_add_f32_e32 v18, v18, v20
	v_add_f32_e32 v18, v18, v19
	;; [unrolled: 1-line block ×3, first 2 shown]
	s_or_b64 vcc, s[52:53], vcc
	v_cndmask_b32_e32 v73, v18, v48, vcc
.LBB148_83:                             ;   in Loop: Header=BB148_13 Depth=1
	s_or_b64 exec, exec, s[54:55]
	s_waitcnt lgkmcnt(5)
	v_add_f32_e32 v74, s56, v38
	s_mov_b32 s0, 0x41a00000
	v_cmp_ge_f32_e32 vcc, s0, v74
	v_readlane_b32 s0, v95, 17
	v_readlane_b32 s1, v95, 18
	s_and_b64 s[0:1], s[0:1], vcc
	s_and_saveexec_b64 s[54:55], s[0:1]
	s_cbranch_execz .LBB148_85
; %bb.84:                               ;   in Loop: Header=BB148_13 Depth=1
	v_mul_f32_e32 v18, 0x3fb8aa3b, v74
	v_rndne_f32_e32 v19, v18
	s_mov_b32 s0, 0x3fb8aa3b
	v_sub_f32_e32 v20, v18, v19
	v_fma_f32 v18, v74, s0, -v18
	v_fmac_f32_e32 v18, 0x32a5705f, v74
	v_add_f32_e32 v18, v20, v18
	v_cvt_i32_f32_e32 v19, v19
	v_exp_f32_e32 v18, v18
	s_mov_b32 s0, 0xc2ce8ed0
	v_cmp_ngt_f32_e32 vcc, s0, v74
	s_mov_b32 s0, 0x42b17218
	v_ldexp_f32 v18, v18, v19
	v_cndmask_b32_e32 v18, 0, v18, vcc
	v_cmp_nlt_f32_e32 vcc, s0, v74
	s_mov_b32 s0, 0x3f2aaaab
	s_nop 0
	v_cndmask_b32_e32 v38, v56, v18, vcc
	v_add_f32_e32 v20, 1.0, v38
	v_add_f32_e32 v18, -1.0, v20
	v_sub_f32_e32 v19, v18, v20
	v_add_f32_e32 v19, 1.0, v19
	v_sub_f32_e32 v18, v38, v18
	v_add_f32_e32 v21, v18, v19
	v_frexp_mant_f32_e32 v22, v20
	v_cvt_f64_f32_e32 v[18:19], v20
	v_frexp_exp_i32_f64_e32 v18, v[18:19]
	v_cmp_gt_f32_e32 vcc, s0, v22
	s_mov_b32 s0, 0x3f317218
	s_nop 0
	v_subbrev_co_u32_e32 v22, vcc, 0, v18, vcc
	v_sub_u32_e32 v18, 0, v22
	v_ldexp_f32 v19, v20, v18
	v_add_f32_e32 v20, -1.0, v19
	v_add_f32_e32 v25, 1.0, v19
	v_ldexp_f32 v18, v21, v18
	v_add_f32_e32 v21, 1.0, v20
	v_add_f32_e32 v26, -1.0, v25
	v_sub_f32_e32 v21, v19, v21
	v_sub_f32_e32 v19, v19, v26
	v_add_f32_e32 v21, v18, v21
	v_add_f32_e32 v18, v18, v19
	;; [unrolled: 1-line block ×3, first 2 shown]
	v_rcp_f32_e32 v43, v42
	v_sub_f32_e32 v19, v25, v42
	v_add_f32_e32 v25, v18, v19
	v_add_f32_e32 v19, v20, v21
	v_mul_f32_e32 v45, v19, v43
	v_sub_f32_e32 v18, v20, v19
	v_mul_f32_e32 v20, v42, v45
	v_fma_f32 v26, v45, v42, -v20
	v_fmac_f32_e32 v26, v45, v25
	v_add_f32_e32 v44, v21, v18
	v_add_f32_e32 v18, v20, v26
	v_sub_f32_e32 v21, v19, v18
	v_pk_add_f32 v[40:41], v[18:19], v[20:21] neg_lo:[0,1] neg_hi:[0,1]
	v_mov_b32_e32 v27, v18
	v_pk_add_f32 v[18:19], v[40:41], v[26:27] neg_lo:[0,1] neg_hi:[0,1]
	s_nop 0
	v_add_f32_e32 v19, v44, v19
	v_add_f32_e32 v18, v18, v19
	;; [unrolled: 1-line block ×3, first 2 shown]
	v_mul_f32_e32 v44, v43, v19
	v_mul_f32_e32 v20, v42, v44
	v_fma_f32 v26, v44, v42, -v20
	v_fmac_f32_e32 v26, v44, v25
	v_sub_f32_e32 v21, v21, v19
	v_add_f32_e32 v25, v18, v21
	v_add_f32_e32 v18, v20, v26
	v_sub_f32_e32 v21, v19, v18
	v_pk_add_f32 v[40:41], v[18:19], v[20:21] neg_lo:[0,1] neg_hi:[0,1]
	v_mov_b32_e32 v27, v18
	v_pk_add_f32 v[18:19], v[40:41], v[26:27] neg_lo:[0,1] neg_hi:[0,1]
	scratch_load_dwordx2 v[40:41], off, off offset:196 ; 8-byte Folded Reload
	v_add_f32_e32 v19, v25, v19
	v_add_f32_e32 v18, v18, v19
	;; [unrolled: 1-line block ×4, first 2 shown]
	v_sub_f32_e32 v20, v19, v45
	v_mul_f32_e32 v18, v43, v18
	v_sub_f32_e32 v20, v44, v20
	v_add_f32_e32 v20, v20, v18
	v_add_f32_e32 v25, v19, v20
	v_mul_f32_e32 v26, v25, v25
	v_mov_b32_e32 v18, 0x3ecc95a3
	v_fmamk_f32 v18, v26, 0x3e9b6dac, v18
	s_waitcnt vmcnt(0)
	v_fmaak_f32 v41, v26, v18, 0x3f2aaada
	v_cvt_f32_i32_e32 v18, v22
	v_sub_f32_e32 v19, v25, v19
	v_sub_f32_e32 v19, v20, v19
	v_ldexp_f32 v22, v19, 1
	v_mul_f32_e32 v19, v25, v26
	v_ldexp_f32 v21, v25, 1
	v_mov_b32_e32 v20, v40
	v_pk_mul_f32 v[26:27], v[18:19], v[40:41]
	scratch_store_dwordx2 off, v[20:21], off offset:196 ; 8-byte Folded Spill
	v_fma_f32 v20, v18, s0, -v26
	v_fmac_f32_e32 v20, 0xb102e308, v18
	v_pk_add_f32 v[18:19], v[26:27], v[20:21]
	v_mov_b32_e32 v40, v26
	v_sub_f32_e32 v21, v19, v21
	v_sub_f32_e32 v21, v27, v21
	v_add_f32_e32 v41, v22, v21
	v_pk_add_f32 v[26:27], v[18:19], v[26:27] neg_lo:[0,1] neg_hi:[0,1]
	v_pk_add_f32 v[42:43], v[18:19], v[40:41]
	v_mov_b32_e32 v21, v18
	v_mov_b32_e32 v27, v43
	v_pk_add_f32 v[44:45], v[20:21], v[26:27] neg_lo:[0,1] neg_hi:[0,1]
	v_pk_add_f32 v[20:21], v[20:21], v[26:27]
	s_mov_b32 s0, 0x7f800000
	v_mov_b32_e32 v22, v21
	v_pk_add_f32 v[26:27], v[22:23], v[18:19] neg_lo:[0,1] neg_hi:[0,1]
	v_mov_b32_e32 v20, v43
	v_mov_b32_e32 v25, v26
	v_pk_add_f32 v[46:47], v[42:43], v[24:25] neg_lo:[0,1] neg_hi:[0,1]
	v_mov_b32_e32 v42, v19
	v_mov_b32_e32 v43, v26
	;; [unrolled: 1-line block ×3, first 2 shown]
	v_pk_add_f32 v[20:21], v[20:21], v[42:43] neg_lo:[0,1] neg_hi:[0,1]
	v_mov_b32_e32 v26, v41
	v_mov_b32_e32 v27, v18
	v_pk_add_f32 v[18:19], v[26:27], v[20:21] neg_lo:[0,1] neg_hi:[0,1]
	v_mov_b32_e32 v46, v44
	v_pk_add_f32 v[20:21], v[46:47], v[18:19]
	v_cmp_eq_f32_e32 vcc, s0, v38
	v_mov_b32_e32 v26, v21
	v_pk_add_f32 v[26:27], v[20:21], v[26:27]
	s_mov_b32 s0, 0x33800000
	v_pk_add_f32 v[40:41], v[22:23], v[26:27]
	v_mov_b32_e32 v19, v26
	v_mov_b32_e32 v21, v40
	v_pk_add_f32 v[42:43], v[20:21], v[44:45] neg_lo:[0,1] neg_hi:[0,1]
	v_cmp_gt_f32_e64 s[52:53], s0, v38
	v_sub_f32_e32 v20, v20, v42
	v_pk_add_f32 v[18:19], v[18:19], v[42:43] neg_lo:[0,1] neg_hi:[0,1]
	v_sub_f32_e32 v20, v44, v20
	v_add_f32_e32 v18, v18, v20
	v_add_f32_e32 v18, v18, v19
	;; [unrolled: 1-line block ×3, first 2 shown]
	s_or_b64 vcc, s[52:53], vcc
	v_cndmask_b32_e32 v74, v18, v38, vcc
.LBB148_85:                             ;   in Loop: Header=BB148_13 Depth=1
	s_or_b64 exec, exec, s[54:55]
	v_add_f32_e32 v75, s56, v39
	s_mov_b32 s0, 0x41a00000
	v_cmp_ge_f32_e32 vcc, s0, v75
	v_readlane_b32 s0, v95, 17
	v_readlane_b32 s1, v95, 18
	s_and_b64 s[0:1], s[0:1], vcc
	s_and_saveexec_b64 s[54:55], s[0:1]
	s_cbranch_execz .LBB148_87
; %bb.86:                               ;   in Loop: Header=BB148_13 Depth=1
	v_mul_f32_e32 v18, 0x3fb8aa3b, v75
	v_rndne_f32_e32 v19, v18
	s_mov_b32 s0, 0x3fb8aa3b
	v_sub_f32_e32 v20, v18, v19
	v_fma_f32 v18, v75, s0, -v18
	v_fmac_f32_e32 v18, 0x32a5705f, v75
	v_add_f32_e32 v18, v20, v18
	v_cvt_i32_f32_e32 v19, v19
	v_exp_f32_e32 v18, v18
	s_mov_b32 s0, 0xc2ce8ed0
	v_cmp_ngt_f32_e32 vcc, s0, v75
	s_mov_b32 s0, 0x42b17218
	v_ldexp_f32 v18, v18, v19
	v_cndmask_b32_e32 v18, 0, v18, vcc
	v_cmp_nlt_f32_e32 vcc, s0, v75
	s_mov_b32 s0, 0x3f2aaaab
	s_nop 0
	v_cndmask_b32_e32 v46, v56, v18, vcc
	v_add_f32_e32 v20, 1.0, v46
	v_add_f32_e32 v18, -1.0, v20
	v_sub_f32_e32 v19, v18, v20
	v_add_f32_e32 v19, 1.0, v19
	v_sub_f32_e32 v18, v46, v18
	v_add_f32_e32 v21, v18, v19
	v_frexp_mant_f32_e32 v22, v20
	v_cvt_f64_f32_e32 v[18:19], v20
	v_frexp_exp_i32_f64_e32 v18, v[18:19]
	v_cmp_gt_f32_e32 vcc, s0, v22
	s_mov_b32 s0, 0x3f317218
	s_nop 0
	v_subbrev_co_u32_e32 v22, vcc, 0, v18, vcc
	v_sub_u32_e32 v18, 0, v22
	v_ldexp_f32 v19, v20, v18
	v_add_f32_e32 v20, -1.0, v19
	v_add_f32_e32 v25, 1.0, v19
	v_ldexp_f32 v18, v21, v18
	v_add_f32_e32 v21, 1.0, v20
	v_add_f32_e32 v26, -1.0, v25
	v_sub_f32_e32 v21, v19, v21
	v_sub_f32_e32 v19, v19, v26
	v_add_f32_e32 v21, v18, v21
	v_add_f32_e32 v18, v18, v19
	;; [unrolled: 1-line block ×3, first 2 shown]
	v_rcp_f32_e32 v41, v40
	v_sub_f32_e32 v19, v25, v40
	v_add_f32_e32 v25, v18, v19
	v_add_f32_e32 v19, v20, v21
	v_mul_f32_e32 v43, v19, v41
	v_sub_f32_e32 v18, v20, v19
	v_mul_f32_e32 v20, v40, v43
	v_fma_f32 v26, v43, v40, -v20
	v_fmac_f32_e32 v26, v43, v25
	v_add_f32_e32 v42, v21, v18
	v_add_f32_e32 v18, v20, v26
	v_sub_f32_e32 v21, v19, v18
	v_pk_add_f32 v[38:39], v[18:19], v[20:21] neg_lo:[0,1] neg_hi:[0,1]
	v_mov_b32_e32 v27, v18
	v_pk_add_f32 v[18:19], v[38:39], v[26:27] neg_lo:[0,1] neg_hi:[0,1]
	s_nop 0
	v_add_f32_e32 v19, v42, v19
	v_add_f32_e32 v18, v18, v19
	;; [unrolled: 1-line block ×3, first 2 shown]
	v_mul_f32_e32 v42, v41, v19
	v_mul_f32_e32 v20, v40, v42
	v_fma_f32 v26, v42, v40, -v20
	v_fmac_f32_e32 v26, v42, v25
	v_sub_f32_e32 v21, v21, v19
	v_add_f32_e32 v25, v18, v21
	v_add_f32_e32 v18, v20, v26
	v_sub_f32_e32 v21, v19, v18
	v_pk_add_f32 v[38:39], v[18:19], v[20:21] neg_lo:[0,1] neg_hi:[0,1]
	v_mov_b32_e32 v27, v18
	v_pk_add_f32 v[18:19], v[38:39], v[26:27] neg_lo:[0,1] neg_hi:[0,1]
	scratch_load_dwordx2 v[38:39], off, off offset:196 ; 8-byte Folded Reload
	v_add_f32_e32 v19, v25, v19
	v_add_f32_e32 v18, v18, v19
	;; [unrolled: 1-line block ×4, first 2 shown]
	v_sub_f32_e32 v20, v19, v43
	v_mul_f32_e32 v18, v41, v18
	v_sub_f32_e32 v20, v42, v20
	v_add_f32_e32 v20, v20, v18
	v_add_f32_e32 v25, v19, v20
	v_mul_f32_e32 v26, v25, v25
	v_mov_b32_e32 v18, 0x3ecc95a3
	v_fmamk_f32 v18, v26, 0x3e9b6dac, v18
	s_waitcnt vmcnt(0)
	v_fmaak_f32 v39, v26, v18, 0x3f2aaada
	v_cvt_f32_i32_e32 v18, v22
	v_sub_f32_e32 v19, v25, v19
	v_sub_f32_e32 v19, v20, v19
	v_ldexp_f32 v22, v19, 1
	v_mul_f32_e32 v19, v25, v26
	v_ldexp_f32 v21, v25, 1
	v_mov_b32_e32 v20, v38
	v_pk_mul_f32 v[26:27], v[18:19], v[38:39]
	scratch_store_dwordx2 off, v[20:21], off offset:196 ; 8-byte Folded Spill
	v_fma_f32 v20, v18, s0, -v26
	v_fmac_f32_e32 v20, 0xb102e308, v18
	v_pk_add_f32 v[18:19], v[26:27], v[20:21]
	v_mov_b32_e32 v38, v26
	v_sub_f32_e32 v21, v19, v21
	v_sub_f32_e32 v21, v27, v21
	v_add_f32_e32 v39, v22, v21
	v_pk_add_f32 v[26:27], v[18:19], v[26:27] neg_lo:[0,1] neg_hi:[0,1]
	v_pk_add_f32 v[40:41], v[18:19], v[38:39]
	v_mov_b32_e32 v21, v18
	v_mov_b32_e32 v27, v41
	v_pk_add_f32 v[42:43], v[20:21], v[26:27] neg_lo:[0,1] neg_hi:[0,1]
	v_pk_add_f32 v[20:21], v[20:21], v[26:27]
	s_mov_b32 s0, 0x7f800000
	v_mov_b32_e32 v22, v21
	v_pk_add_f32 v[26:27], v[22:23], v[18:19] neg_lo:[0,1] neg_hi:[0,1]
	v_mov_b32_e32 v20, v41
	v_mov_b32_e32 v25, v26
	v_pk_add_f32 v[44:45], v[40:41], v[24:25] neg_lo:[0,1] neg_hi:[0,1]
	v_mov_b32_e32 v40, v19
	v_mov_b32_e32 v41, v26
	;; [unrolled: 1-line block ×3, first 2 shown]
	v_pk_add_f32 v[20:21], v[20:21], v[40:41] neg_lo:[0,1] neg_hi:[0,1]
	v_mov_b32_e32 v26, v39
	v_mov_b32_e32 v27, v18
	v_pk_add_f32 v[18:19], v[26:27], v[20:21] neg_lo:[0,1] neg_hi:[0,1]
	v_mov_b32_e32 v44, v42
	v_pk_add_f32 v[20:21], v[44:45], v[18:19]
	v_cmp_eq_f32_e32 vcc, s0, v46
	v_mov_b32_e32 v26, v21
	v_pk_add_f32 v[26:27], v[20:21], v[26:27]
	s_mov_b32 s0, 0x33800000
	v_pk_add_f32 v[38:39], v[22:23], v[26:27]
	v_mov_b32_e32 v19, v26
	v_mov_b32_e32 v21, v38
	v_pk_add_f32 v[40:41], v[20:21], v[42:43] neg_lo:[0,1] neg_hi:[0,1]
	v_cmp_gt_f32_e64 s[52:53], s0, v46
	v_sub_f32_e32 v20, v20, v40
	v_pk_add_f32 v[18:19], v[18:19], v[40:41] neg_lo:[0,1] neg_hi:[0,1]
	v_sub_f32_e32 v20, v42, v20
	v_add_f32_e32 v18, v18, v20
	v_add_f32_e32 v18, v18, v19
	;; [unrolled: 1-line block ×3, first 2 shown]
	s_or_b64 vcc, s[52:53], vcc
	v_cndmask_b32_e32 v75, v18, v46, vcc
.LBB148_87:                             ;   in Loop: Header=BB148_13 Depth=1
	s_or_b64 exec, exec, s[54:55]
	s_waitcnt lgkmcnt(4)
	v_add_f32_e32 v76, s56, v36
	s_mov_b32 s0, 0x41a00000
	v_cmp_ge_f32_e32 vcc, s0, v76
	v_readlane_b32 s0, v95, 17
	v_readlane_b32 s1, v95, 18
	s_and_b64 s[0:1], s[0:1], vcc
	s_and_saveexec_b64 s[54:55], s[0:1]
	s_cbranch_execz .LBB148_89
; %bb.88:                               ;   in Loop: Header=BB148_13 Depth=1
	v_mul_f32_e32 v18, 0x3fb8aa3b, v76
	v_rndne_f32_e32 v19, v18
	s_mov_b32 s0, 0x3fb8aa3b
	v_sub_f32_e32 v20, v18, v19
	v_fma_f32 v18, v76, s0, -v18
	v_fmac_f32_e32 v18, 0x32a5705f, v76
	v_add_f32_e32 v18, v20, v18
	v_cvt_i32_f32_e32 v19, v19
	v_exp_f32_e32 v18, v18
	s_mov_b32 s0, 0xc2ce8ed0
	v_cmp_ngt_f32_e32 vcc, s0, v76
	s_mov_b32 s0, 0x42b17218
	v_ldexp_f32 v18, v18, v19
	v_cndmask_b32_e32 v18, 0, v18, vcc
	v_cmp_nlt_f32_e32 vcc, s0, v76
	s_mov_b32 s0, 0x3f2aaaab
	s_nop 0
	v_cndmask_b32_e32 v36, v56, v18, vcc
	v_add_f32_e32 v20, 1.0, v36
	v_add_f32_e32 v18, -1.0, v20
	v_sub_f32_e32 v19, v18, v20
	v_add_f32_e32 v19, 1.0, v19
	v_sub_f32_e32 v18, v36, v18
	v_add_f32_e32 v21, v18, v19
	v_frexp_mant_f32_e32 v22, v20
	v_cvt_f64_f32_e32 v[18:19], v20
	v_frexp_exp_i32_f64_e32 v18, v[18:19]
	v_cmp_gt_f32_e32 vcc, s0, v22
	s_mov_b32 s0, 0x3f317218
	s_nop 0
	v_subbrev_co_u32_e32 v22, vcc, 0, v18, vcc
	v_sub_u32_e32 v18, 0, v22
	v_ldexp_f32 v19, v20, v18
	v_add_f32_e32 v20, -1.0, v19
	v_add_f32_e32 v25, 1.0, v19
	v_ldexp_f32 v18, v21, v18
	v_add_f32_e32 v21, 1.0, v20
	v_add_f32_e32 v26, -1.0, v25
	v_sub_f32_e32 v21, v19, v21
	v_sub_f32_e32 v19, v19, v26
	v_add_f32_e32 v21, v18, v21
	v_add_f32_e32 v18, v18, v19
	;; [unrolled: 1-line block ×3, first 2 shown]
	v_rcp_f32_e32 v41, v40
	v_sub_f32_e32 v19, v25, v40
	v_add_f32_e32 v25, v18, v19
	v_add_f32_e32 v19, v20, v21
	v_mul_f32_e32 v43, v19, v41
	v_sub_f32_e32 v18, v20, v19
	v_mul_f32_e32 v20, v40, v43
	v_fma_f32 v26, v43, v40, -v20
	v_fmac_f32_e32 v26, v43, v25
	v_add_f32_e32 v42, v21, v18
	v_add_f32_e32 v18, v20, v26
	v_sub_f32_e32 v21, v19, v18
	v_pk_add_f32 v[38:39], v[18:19], v[20:21] neg_lo:[0,1] neg_hi:[0,1]
	v_mov_b32_e32 v27, v18
	v_pk_add_f32 v[18:19], v[38:39], v[26:27] neg_lo:[0,1] neg_hi:[0,1]
	s_nop 0
	v_add_f32_e32 v19, v42, v19
	v_add_f32_e32 v18, v18, v19
	;; [unrolled: 1-line block ×3, first 2 shown]
	v_mul_f32_e32 v42, v41, v19
	v_mul_f32_e32 v20, v40, v42
	v_fma_f32 v26, v42, v40, -v20
	v_fmac_f32_e32 v26, v42, v25
	v_sub_f32_e32 v21, v21, v19
	v_add_f32_e32 v25, v18, v21
	v_add_f32_e32 v18, v20, v26
	v_sub_f32_e32 v21, v19, v18
	v_pk_add_f32 v[38:39], v[18:19], v[20:21] neg_lo:[0,1] neg_hi:[0,1]
	v_mov_b32_e32 v27, v18
	v_pk_add_f32 v[18:19], v[38:39], v[26:27] neg_lo:[0,1] neg_hi:[0,1]
	scratch_load_dwordx2 v[38:39], off, off offset:196 ; 8-byte Folded Reload
	v_add_f32_e32 v19, v25, v19
	v_add_f32_e32 v18, v18, v19
	;; [unrolled: 1-line block ×4, first 2 shown]
	v_sub_f32_e32 v20, v19, v43
	v_mul_f32_e32 v18, v41, v18
	v_sub_f32_e32 v20, v42, v20
	v_add_f32_e32 v20, v20, v18
	v_add_f32_e32 v25, v19, v20
	v_mul_f32_e32 v26, v25, v25
	v_mov_b32_e32 v18, 0x3ecc95a3
	v_fmamk_f32 v18, v26, 0x3e9b6dac, v18
	s_waitcnt vmcnt(0)
	v_fmaak_f32 v39, v26, v18, 0x3f2aaada
	v_cvt_f32_i32_e32 v18, v22
	v_sub_f32_e32 v19, v25, v19
	v_sub_f32_e32 v19, v20, v19
	v_ldexp_f32 v22, v19, 1
	v_mul_f32_e32 v19, v25, v26
	v_ldexp_f32 v21, v25, 1
	v_mov_b32_e32 v20, v38
	v_pk_mul_f32 v[26:27], v[18:19], v[38:39]
	scratch_store_dwordx2 off, v[20:21], off offset:196 ; 8-byte Folded Spill
	v_fma_f32 v20, v18, s0, -v26
	v_fmac_f32_e32 v20, 0xb102e308, v18
	v_pk_add_f32 v[18:19], v[26:27], v[20:21]
	v_mov_b32_e32 v38, v26
	v_sub_f32_e32 v21, v19, v21
	v_sub_f32_e32 v21, v27, v21
	v_add_f32_e32 v39, v22, v21
	v_pk_add_f32 v[26:27], v[18:19], v[26:27] neg_lo:[0,1] neg_hi:[0,1]
	v_pk_add_f32 v[40:41], v[18:19], v[38:39]
	v_mov_b32_e32 v21, v18
	v_mov_b32_e32 v27, v41
	v_pk_add_f32 v[42:43], v[20:21], v[26:27] neg_lo:[0,1] neg_hi:[0,1]
	v_pk_add_f32 v[20:21], v[20:21], v[26:27]
	s_mov_b32 s0, 0x7f800000
	v_mov_b32_e32 v22, v21
	v_pk_add_f32 v[26:27], v[22:23], v[18:19] neg_lo:[0,1] neg_hi:[0,1]
	v_mov_b32_e32 v20, v41
	v_mov_b32_e32 v25, v26
	v_pk_add_f32 v[44:45], v[40:41], v[24:25] neg_lo:[0,1] neg_hi:[0,1]
	v_mov_b32_e32 v40, v19
	v_mov_b32_e32 v41, v26
	;; [unrolled: 1-line block ×3, first 2 shown]
	v_pk_add_f32 v[20:21], v[20:21], v[40:41] neg_lo:[0,1] neg_hi:[0,1]
	v_mov_b32_e32 v26, v39
	v_mov_b32_e32 v27, v18
	v_pk_add_f32 v[18:19], v[26:27], v[20:21] neg_lo:[0,1] neg_hi:[0,1]
	v_mov_b32_e32 v44, v42
	v_pk_add_f32 v[20:21], v[44:45], v[18:19]
	v_cmp_eq_f32_e32 vcc, s0, v36
	v_mov_b32_e32 v26, v21
	v_pk_add_f32 v[26:27], v[20:21], v[26:27]
	s_mov_b32 s0, 0x33800000
	v_pk_add_f32 v[38:39], v[22:23], v[26:27]
	v_mov_b32_e32 v19, v26
	v_mov_b32_e32 v21, v38
	v_pk_add_f32 v[40:41], v[20:21], v[42:43] neg_lo:[0,1] neg_hi:[0,1]
	v_cmp_gt_f32_e64 s[52:53], s0, v36
	v_sub_f32_e32 v20, v20, v40
	v_pk_add_f32 v[18:19], v[18:19], v[40:41] neg_lo:[0,1] neg_hi:[0,1]
	v_sub_f32_e32 v20, v42, v20
	v_add_f32_e32 v18, v18, v20
	v_add_f32_e32 v18, v18, v19
	;; [unrolled: 1-line block ×3, first 2 shown]
	s_or_b64 vcc, s[52:53], vcc
	v_cndmask_b32_e32 v76, v18, v36, vcc
.LBB148_89:                             ;   in Loop: Header=BB148_13 Depth=1
	s_or_b64 exec, exec, s[54:55]
	v_add_f32_e32 v77, s56, v37
	s_mov_b32 s0, 0x41a00000
	v_cmp_ge_f32_e32 vcc, s0, v77
	v_readlane_b32 s0, v95, 17
	v_readlane_b32 s1, v95, 18
	s_and_b64 s[0:1], s[0:1], vcc
	s_and_saveexec_b64 s[54:55], s[0:1]
	s_cbranch_execz .LBB148_91
; %bb.90:                               ;   in Loop: Header=BB148_13 Depth=1
	v_mul_f32_e32 v18, 0x3fb8aa3b, v77
	v_rndne_f32_e32 v19, v18
	s_mov_b32 s0, 0x3fb8aa3b
	v_sub_f32_e32 v20, v18, v19
	v_fma_f32 v18, v77, s0, -v18
	v_fmac_f32_e32 v18, 0x32a5705f, v77
	v_add_f32_e32 v18, v20, v18
	v_cvt_i32_f32_e32 v19, v19
	v_exp_f32_e32 v18, v18
	s_mov_b32 s0, 0xc2ce8ed0
	v_cmp_ngt_f32_e32 vcc, s0, v77
	s_mov_b32 s0, 0x42b17218
	v_ldexp_f32 v18, v18, v19
	v_cndmask_b32_e32 v18, 0, v18, vcc
	v_cmp_nlt_f32_e32 vcc, s0, v77
	s_mov_b32 s0, 0x3f2aaaab
	s_nop 0
	v_cndmask_b32_e32 v44, v56, v18, vcc
	v_add_f32_e32 v20, 1.0, v44
	v_add_f32_e32 v18, -1.0, v20
	v_sub_f32_e32 v19, v18, v20
	v_add_f32_e32 v19, 1.0, v19
	v_sub_f32_e32 v18, v44, v18
	v_add_f32_e32 v21, v18, v19
	v_frexp_mant_f32_e32 v22, v20
	v_cvt_f64_f32_e32 v[18:19], v20
	v_frexp_exp_i32_f64_e32 v18, v[18:19]
	v_cmp_gt_f32_e32 vcc, s0, v22
	s_mov_b32 s0, 0x3f317218
	s_nop 0
	v_subbrev_co_u32_e32 v22, vcc, 0, v18, vcc
	v_sub_u32_e32 v18, 0, v22
	v_ldexp_f32 v19, v20, v18
	v_add_f32_e32 v20, -1.0, v19
	v_add_f32_e32 v25, 1.0, v19
	v_ldexp_f32 v18, v21, v18
	v_add_f32_e32 v21, 1.0, v20
	v_add_f32_e32 v26, -1.0, v25
	v_sub_f32_e32 v21, v19, v21
	v_sub_f32_e32 v19, v19, v26
	v_add_f32_e32 v21, v18, v21
	v_add_f32_e32 v18, v18, v19
	v_add_f32_e32 v38, v25, v18
	v_rcp_f32_e32 v39, v38
	v_sub_f32_e32 v19, v25, v38
	v_add_f32_e32 v25, v18, v19
	v_add_f32_e32 v19, v20, v21
	v_mul_f32_e32 v41, v19, v39
	v_sub_f32_e32 v18, v20, v19
	v_mul_f32_e32 v20, v38, v41
	v_fma_f32 v26, v41, v38, -v20
	v_fmac_f32_e32 v26, v41, v25
	v_add_f32_e32 v40, v21, v18
	v_add_f32_e32 v18, v20, v26
	v_sub_f32_e32 v21, v19, v18
	v_pk_add_f32 v[36:37], v[18:19], v[20:21] neg_lo:[0,1] neg_hi:[0,1]
	v_mov_b32_e32 v27, v18
	v_pk_add_f32 v[18:19], v[36:37], v[26:27] neg_lo:[0,1] neg_hi:[0,1]
	s_nop 0
	v_add_f32_e32 v19, v40, v19
	v_add_f32_e32 v18, v18, v19
	;; [unrolled: 1-line block ×3, first 2 shown]
	v_mul_f32_e32 v40, v39, v19
	v_mul_f32_e32 v20, v38, v40
	v_fma_f32 v26, v40, v38, -v20
	v_fmac_f32_e32 v26, v40, v25
	v_sub_f32_e32 v21, v21, v19
	v_add_f32_e32 v25, v18, v21
	v_add_f32_e32 v18, v20, v26
	v_sub_f32_e32 v21, v19, v18
	v_pk_add_f32 v[36:37], v[18:19], v[20:21] neg_lo:[0,1] neg_hi:[0,1]
	v_mov_b32_e32 v27, v18
	v_pk_add_f32 v[18:19], v[36:37], v[26:27] neg_lo:[0,1] neg_hi:[0,1]
	scratch_load_dwordx2 v[36:37], off, off offset:196 ; 8-byte Folded Reload
	v_add_f32_e32 v19, v25, v19
	v_add_f32_e32 v18, v18, v19
	;; [unrolled: 1-line block ×4, first 2 shown]
	v_sub_f32_e32 v20, v19, v41
	v_mul_f32_e32 v18, v39, v18
	v_sub_f32_e32 v20, v40, v20
	v_add_f32_e32 v20, v20, v18
	v_add_f32_e32 v25, v19, v20
	v_mul_f32_e32 v26, v25, v25
	v_mov_b32_e32 v18, 0x3ecc95a3
	v_fmamk_f32 v18, v26, 0x3e9b6dac, v18
	s_waitcnt vmcnt(0)
	v_fmaak_f32 v37, v26, v18, 0x3f2aaada
	v_cvt_f32_i32_e32 v18, v22
	v_sub_f32_e32 v19, v25, v19
	v_sub_f32_e32 v19, v20, v19
	v_ldexp_f32 v22, v19, 1
	v_mul_f32_e32 v19, v25, v26
	v_ldexp_f32 v21, v25, 1
	v_mov_b32_e32 v20, v36
	v_pk_mul_f32 v[26:27], v[18:19], v[36:37]
	scratch_store_dwordx2 off, v[20:21], off offset:196 ; 8-byte Folded Spill
	v_fma_f32 v20, v18, s0, -v26
	v_fmac_f32_e32 v20, 0xb102e308, v18
	v_pk_add_f32 v[18:19], v[26:27], v[20:21]
	v_mov_b32_e32 v36, v26
	v_sub_f32_e32 v21, v19, v21
	v_sub_f32_e32 v21, v27, v21
	v_add_f32_e32 v37, v22, v21
	v_pk_add_f32 v[26:27], v[18:19], v[26:27] neg_lo:[0,1] neg_hi:[0,1]
	v_pk_add_f32 v[38:39], v[18:19], v[36:37]
	v_mov_b32_e32 v21, v18
	v_mov_b32_e32 v27, v39
	v_pk_add_f32 v[40:41], v[20:21], v[26:27] neg_lo:[0,1] neg_hi:[0,1]
	v_pk_add_f32 v[20:21], v[20:21], v[26:27]
	s_mov_b32 s0, 0x7f800000
	v_mov_b32_e32 v22, v21
	v_pk_add_f32 v[26:27], v[22:23], v[18:19] neg_lo:[0,1] neg_hi:[0,1]
	v_mov_b32_e32 v20, v39
	v_mov_b32_e32 v25, v26
	v_pk_add_f32 v[42:43], v[38:39], v[24:25] neg_lo:[0,1] neg_hi:[0,1]
	v_mov_b32_e32 v38, v19
	v_mov_b32_e32 v39, v26
	;; [unrolled: 1-line block ×3, first 2 shown]
	v_pk_add_f32 v[20:21], v[20:21], v[38:39] neg_lo:[0,1] neg_hi:[0,1]
	v_mov_b32_e32 v26, v37
	v_mov_b32_e32 v27, v18
	v_pk_add_f32 v[18:19], v[26:27], v[20:21] neg_lo:[0,1] neg_hi:[0,1]
	v_mov_b32_e32 v42, v40
	v_pk_add_f32 v[20:21], v[42:43], v[18:19]
	v_cmp_eq_f32_e32 vcc, s0, v44
	v_mov_b32_e32 v26, v21
	v_pk_add_f32 v[26:27], v[20:21], v[26:27]
	s_mov_b32 s0, 0x33800000
	v_pk_add_f32 v[36:37], v[22:23], v[26:27]
	v_mov_b32_e32 v19, v26
	v_mov_b32_e32 v21, v36
	v_pk_add_f32 v[38:39], v[20:21], v[40:41] neg_lo:[0,1] neg_hi:[0,1]
	v_cmp_gt_f32_e64 s[52:53], s0, v44
	v_sub_f32_e32 v20, v20, v38
	v_pk_add_f32 v[18:19], v[18:19], v[38:39] neg_lo:[0,1] neg_hi:[0,1]
	v_sub_f32_e32 v20, v40, v20
	v_add_f32_e32 v18, v18, v20
	v_add_f32_e32 v18, v18, v19
	v_add_f32_e32 v18, v36, v18
	s_or_b64 vcc, s[52:53], vcc
	v_cndmask_b32_e32 v77, v18, v44, vcc
.LBB148_91:                             ;   in Loop: Header=BB148_13 Depth=1
	s_or_b64 exec, exec, s[54:55]
	s_waitcnt lgkmcnt(3)
	v_add_f32_e32 v78, s56, v34
	s_mov_b32 s0, 0x41a00000
	v_cmp_ge_f32_e32 vcc, s0, v78
	v_readlane_b32 s0, v95, 17
	v_readlane_b32 s1, v95, 18
	s_and_b64 s[0:1], s[0:1], vcc
	s_and_saveexec_b64 s[54:55], s[0:1]
	s_cbranch_execz .LBB148_93
; %bb.92:                               ;   in Loop: Header=BB148_13 Depth=1
	v_mul_f32_e32 v18, 0x3fb8aa3b, v78
	v_rndne_f32_e32 v19, v18
	s_mov_b32 s0, 0x3fb8aa3b
	v_sub_f32_e32 v20, v18, v19
	v_fma_f32 v18, v78, s0, -v18
	v_fmac_f32_e32 v18, 0x32a5705f, v78
	v_add_f32_e32 v18, v20, v18
	v_cvt_i32_f32_e32 v19, v19
	v_exp_f32_e32 v18, v18
	s_mov_b32 s0, 0xc2ce8ed0
	v_cmp_ngt_f32_e32 vcc, s0, v78
	s_mov_b32 s0, 0x42b17218
	v_ldexp_f32 v18, v18, v19
	v_cndmask_b32_e32 v18, 0, v18, vcc
	v_cmp_nlt_f32_e32 vcc, s0, v78
	s_mov_b32 s0, 0x3f2aaaab
	s_nop 0
	v_cndmask_b32_e32 v34, v56, v18, vcc
	v_add_f32_e32 v20, 1.0, v34
	v_add_f32_e32 v18, -1.0, v20
	v_sub_f32_e32 v19, v18, v20
	v_add_f32_e32 v19, 1.0, v19
	v_sub_f32_e32 v18, v34, v18
	v_add_f32_e32 v21, v18, v19
	v_frexp_mant_f32_e32 v22, v20
	v_cvt_f64_f32_e32 v[18:19], v20
	v_frexp_exp_i32_f64_e32 v18, v[18:19]
	v_cmp_gt_f32_e32 vcc, s0, v22
	s_mov_b32 s0, 0x3f317218
	s_nop 0
	v_subbrev_co_u32_e32 v22, vcc, 0, v18, vcc
	v_sub_u32_e32 v18, 0, v22
	v_ldexp_f32 v19, v20, v18
	v_add_f32_e32 v20, -1.0, v19
	v_add_f32_e32 v25, 1.0, v19
	v_ldexp_f32 v18, v21, v18
	v_add_f32_e32 v21, 1.0, v20
	v_add_f32_e32 v26, -1.0, v25
	v_sub_f32_e32 v21, v19, v21
	v_sub_f32_e32 v19, v19, v26
	v_add_f32_e32 v21, v18, v21
	v_add_f32_e32 v18, v18, v19
	;; [unrolled: 1-line block ×3, first 2 shown]
	v_rcp_f32_e32 v39, v38
	v_sub_f32_e32 v19, v25, v38
	v_add_f32_e32 v25, v18, v19
	v_add_f32_e32 v19, v20, v21
	v_mul_f32_e32 v41, v19, v39
	v_sub_f32_e32 v18, v20, v19
	v_mul_f32_e32 v20, v38, v41
	v_fma_f32 v26, v41, v38, -v20
	v_fmac_f32_e32 v26, v41, v25
	v_add_f32_e32 v40, v21, v18
	v_add_f32_e32 v18, v20, v26
	v_sub_f32_e32 v21, v19, v18
	v_pk_add_f32 v[36:37], v[18:19], v[20:21] neg_lo:[0,1] neg_hi:[0,1]
	v_mov_b32_e32 v27, v18
	v_pk_add_f32 v[18:19], v[36:37], v[26:27] neg_lo:[0,1] neg_hi:[0,1]
	s_nop 0
	v_add_f32_e32 v19, v40, v19
	v_add_f32_e32 v18, v18, v19
	;; [unrolled: 1-line block ×3, first 2 shown]
	v_mul_f32_e32 v40, v39, v19
	v_mul_f32_e32 v20, v38, v40
	v_fma_f32 v26, v40, v38, -v20
	v_fmac_f32_e32 v26, v40, v25
	v_sub_f32_e32 v21, v21, v19
	v_add_f32_e32 v25, v18, v21
	v_add_f32_e32 v18, v20, v26
	v_sub_f32_e32 v21, v19, v18
	v_pk_add_f32 v[36:37], v[18:19], v[20:21] neg_lo:[0,1] neg_hi:[0,1]
	v_mov_b32_e32 v27, v18
	v_pk_add_f32 v[18:19], v[36:37], v[26:27] neg_lo:[0,1] neg_hi:[0,1]
	scratch_load_dwordx2 v[36:37], off, off offset:196 ; 8-byte Folded Reload
	v_add_f32_e32 v19, v25, v19
	v_add_f32_e32 v18, v18, v19
	;; [unrolled: 1-line block ×4, first 2 shown]
	v_sub_f32_e32 v20, v19, v41
	v_mul_f32_e32 v18, v39, v18
	v_sub_f32_e32 v20, v40, v20
	v_add_f32_e32 v20, v20, v18
	v_add_f32_e32 v25, v19, v20
	v_mul_f32_e32 v26, v25, v25
	v_mov_b32_e32 v18, 0x3ecc95a3
	v_fmamk_f32 v18, v26, 0x3e9b6dac, v18
	s_waitcnt vmcnt(0)
	v_fmaak_f32 v37, v26, v18, 0x3f2aaada
	v_cvt_f32_i32_e32 v18, v22
	v_sub_f32_e32 v19, v25, v19
	v_sub_f32_e32 v19, v20, v19
	v_ldexp_f32 v22, v19, 1
	v_mul_f32_e32 v19, v25, v26
	v_ldexp_f32 v21, v25, 1
	v_mov_b32_e32 v20, v36
	v_pk_mul_f32 v[26:27], v[18:19], v[36:37]
	scratch_store_dwordx2 off, v[20:21], off offset:196 ; 8-byte Folded Spill
	v_fma_f32 v20, v18, s0, -v26
	v_fmac_f32_e32 v20, 0xb102e308, v18
	v_pk_add_f32 v[18:19], v[26:27], v[20:21]
	v_mov_b32_e32 v36, v26
	v_sub_f32_e32 v21, v19, v21
	v_sub_f32_e32 v21, v27, v21
	v_add_f32_e32 v37, v22, v21
	v_pk_add_f32 v[26:27], v[18:19], v[26:27] neg_lo:[0,1] neg_hi:[0,1]
	v_pk_add_f32 v[38:39], v[18:19], v[36:37]
	v_mov_b32_e32 v21, v18
	v_mov_b32_e32 v27, v39
	v_pk_add_f32 v[40:41], v[20:21], v[26:27] neg_lo:[0,1] neg_hi:[0,1]
	v_pk_add_f32 v[20:21], v[20:21], v[26:27]
	s_mov_b32 s0, 0x7f800000
	v_mov_b32_e32 v22, v21
	v_pk_add_f32 v[26:27], v[22:23], v[18:19] neg_lo:[0,1] neg_hi:[0,1]
	v_mov_b32_e32 v20, v39
	v_mov_b32_e32 v25, v26
	v_pk_add_f32 v[42:43], v[38:39], v[24:25] neg_lo:[0,1] neg_hi:[0,1]
	v_mov_b32_e32 v38, v19
	v_mov_b32_e32 v39, v26
	;; [unrolled: 1-line block ×3, first 2 shown]
	v_pk_add_f32 v[20:21], v[20:21], v[38:39] neg_lo:[0,1] neg_hi:[0,1]
	v_mov_b32_e32 v26, v37
	v_mov_b32_e32 v27, v18
	v_pk_add_f32 v[18:19], v[26:27], v[20:21] neg_lo:[0,1] neg_hi:[0,1]
	v_mov_b32_e32 v42, v40
	v_pk_add_f32 v[20:21], v[42:43], v[18:19]
	v_cmp_eq_f32_e32 vcc, s0, v34
	v_mov_b32_e32 v26, v21
	v_pk_add_f32 v[26:27], v[20:21], v[26:27]
	s_mov_b32 s0, 0x33800000
	v_pk_add_f32 v[36:37], v[22:23], v[26:27]
	v_mov_b32_e32 v19, v26
	v_mov_b32_e32 v21, v36
	v_pk_add_f32 v[38:39], v[20:21], v[40:41] neg_lo:[0,1] neg_hi:[0,1]
	v_cmp_gt_f32_e64 s[52:53], s0, v34
	v_sub_f32_e32 v20, v20, v38
	v_pk_add_f32 v[18:19], v[18:19], v[38:39] neg_lo:[0,1] neg_hi:[0,1]
	v_sub_f32_e32 v20, v40, v20
	v_add_f32_e32 v18, v18, v20
	v_add_f32_e32 v18, v18, v19
	;; [unrolled: 1-line block ×3, first 2 shown]
	s_or_b64 vcc, s[52:53], vcc
	v_cndmask_b32_e32 v78, v18, v34, vcc
.LBB148_93:                             ;   in Loop: Header=BB148_13 Depth=1
	s_or_b64 exec, exec, s[54:55]
	v_add_f32_e32 v79, s56, v35
	s_mov_b32 s0, 0x41a00000
	v_cmp_ge_f32_e32 vcc, s0, v79
	v_readlane_b32 s0, v95, 17
	v_readlane_b32 s1, v95, 18
	s_and_b64 s[0:1], s[0:1], vcc
	s_and_saveexec_b64 s[54:55], s[0:1]
	s_cbranch_execz .LBB148_95
; %bb.94:                               ;   in Loop: Header=BB148_13 Depth=1
	v_mul_f32_e32 v18, 0x3fb8aa3b, v79
	v_rndne_f32_e32 v19, v18
	s_mov_b32 s0, 0x3fb8aa3b
	v_sub_f32_e32 v20, v18, v19
	v_fma_f32 v18, v79, s0, -v18
	v_fmac_f32_e32 v18, 0x32a5705f, v79
	v_add_f32_e32 v18, v20, v18
	v_cvt_i32_f32_e32 v19, v19
	v_exp_f32_e32 v18, v18
	s_mov_b32 s0, 0xc2ce8ed0
	v_cmp_ngt_f32_e32 vcc, s0, v79
	s_mov_b32 s0, 0x42b17218
	v_ldexp_f32 v18, v18, v19
	v_cndmask_b32_e32 v18, 0, v18, vcc
	v_cmp_nlt_f32_e32 vcc, s0, v79
	s_mov_b32 s0, 0x3f2aaaab
	s_nop 0
	v_cndmask_b32_e32 v42, v56, v18, vcc
	v_add_f32_e32 v20, 1.0, v42
	v_add_f32_e32 v18, -1.0, v20
	v_sub_f32_e32 v19, v18, v20
	v_add_f32_e32 v19, 1.0, v19
	v_sub_f32_e32 v18, v42, v18
	v_add_f32_e32 v21, v18, v19
	v_frexp_mant_f32_e32 v22, v20
	v_cvt_f64_f32_e32 v[18:19], v20
	v_frexp_exp_i32_f64_e32 v18, v[18:19]
	v_cmp_gt_f32_e32 vcc, s0, v22
	s_mov_b32 s0, 0x3f317218
	s_nop 0
	v_subbrev_co_u32_e32 v22, vcc, 0, v18, vcc
	v_sub_u32_e32 v18, 0, v22
	v_ldexp_f32 v19, v20, v18
	v_add_f32_e32 v20, -1.0, v19
	v_add_f32_e32 v25, 1.0, v19
	v_ldexp_f32 v18, v21, v18
	v_add_f32_e32 v21, 1.0, v20
	v_add_f32_e32 v26, -1.0, v25
	v_sub_f32_e32 v21, v19, v21
	v_sub_f32_e32 v19, v19, v26
	v_add_f32_e32 v21, v18, v21
	v_add_f32_e32 v18, v18, v19
	;; [unrolled: 1-line block ×3, first 2 shown]
	v_rcp_f32_e32 v37, v36
	v_sub_f32_e32 v19, v25, v36
	v_add_f32_e32 v25, v18, v19
	v_add_f32_e32 v19, v20, v21
	v_mul_f32_e32 v39, v19, v37
	v_sub_f32_e32 v18, v20, v19
	v_mul_f32_e32 v20, v36, v39
	v_fma_f32 v26, v39, v36, -v20
	v_fmac_f32_e32 v26, v39, v25
	v_add_f32_e32 v38, v21, v18
	v_add_f32_e32 v18, v20, v26
	v_sub_f32_e32 v21, v19, v18
	v_pk_add_f32 v[34:35], v[18:19], v[20:21] neg_lo:[0,1] neg_hi:[0,1]
	v_mov_b32_e32 v27, v18
	v_pk_add_f32 v[18:19], v[34:35], v[26:27] neg_lo:[0,1] neg_hi:[0,1]
	s_nop 0
	v_add_f32_e32 v19, v38, v19
	v_add_f32_e32 v18, v18, v19
	;; [unrolled: 1-line block ×3, first 2 shown]
	v_mul_f32_e32 v38, v37, v19
	v_mul_f32_e32 v20, v36, v38
	v_fma_f32 v26, v38, v36, -v20
	v_fmac_f32_e32 v26, v38, v25
	v_sub_f32_e32 v21, v21, v19
	v_add_f32_e32 v25, v18, v21
	v_add_f32_e32 v18, v20, v26
	v_sub_f32_e32 v21, v19, v18
	v_pk_add_f32 v[34:35], v[18:19], v[20:21] neg_lo:[0,1] neg_hi:[0,1]
	v_mov_b32_e32 v27, v18
	v_pk_add_f32 v[18:19], v[34:35], v[26:27] neg_lo:[0,1] neg_hi:[0,1]
	scratch_load_dwordx2 v[34:35], off, off offset:196 ; 8-byte Folded Reload
	v_add_f32_e32 v19, v25, v19
	v_add_f32_e32 v18, v18, v19
	;; [unrolled: 1-line block ×4, first 2 shown]
	v_sub_f32_e32 v20, v19, v39
	v_mul_f32_e32 v18, v37, v18
	v_sub_f32_e32 v20, v38, v20
	v_add_f32_e32 v20, v20, v18
	v_add_f32_e32 v25, v19, v20
	v_mul_f32_e32 v26, v25, v25
	v_mov_b32_e32 v18, 0x3ecc95a3
	v_fmamk_f32 v18, v26, 0x3e9b6dac, v18
	s_waitcnt vmcnt(0)
	v_fmaak_f32 v35, v26, v18, 0x3f2aaada
	v_cvt_f32_i32_e32 v18, v22
	v_sub_f32_e32 v19, v25, v19
	v_sub_f32_e32 v19, v20, v19
	v_ldexp_f32 v22, v19, 1
	v_mul_f32_e32 v19, v25, v26
	v_ldexp_f32 v21, v25, 1
	v_mov_b32_e32 v20, v34
	v_pk_mul_f32 v[26:27], v[18:19], v[34:35]
	scratch_store_dwordx2 off, v[20:21], off offset:196 ; 8-byte Folded Spill
	v_fma_f32 v20, v18, s0, -v26
	v_fmac_f32_e32 v20, 0xb102e308, v18
	v_pk_add_f32 v[18:19], v[26:27], v[20:21]
	v_mov_b32_e32 v34, v26
	v_sub_f32_e32 v21, v19, v21
	v_sub_f32_e32 v21, v27, v21
	v_add_f32_e32 v35, v22, v21
	v_pk_add_f32 v[26:27], v[18:19], v[26:27] neg_lo:[0,1] neg_hi:[0,1]
	v_pk_add_f32 v[36:37], v[18:19], v[34:35]
	v_mov_b32_e32 v21, v18
	v_mov_b32_e32 v27, v37
	v_pk_add_f32 v[38:39], v[20:21], v[26:27] neg_lo:[0,1] neg_hi:[0,1]
	v_pk_add_f32 v[20:21], v[20:21], v[26:27]
	s_mov_b32 s0, 0x7f800000
	v_mov_b32_e32 v22, v21
	v_pk_add_f32 v[26:27], v[22:23], v[18:19] neg_lo:[0,1] neg_hi:[0,1]
	v_mov_b32_e32 v20, v37
	v_mov_b32_e32 v25, v26
	v_pk_add_f32 v[40:41], v[36:37], v[24:25] neg_lo:[0,1] neg_hi:[0,1]
	v_mov_b32_e32 v36, v19
	v_mov_b32_e32 v37, v26
	;; [unrolled: 1-line block ×3, first 2 shown]
	v_pk_add_f32 v[20:21], v[20:21], v[36:37] neg_lo:[0,1] neg_hi:[0,1]
	v_mov_b32_e32 v26, v35
	v_mov_b32_e32 v27, v18
	v_pk_add_f32 v[18:19], v[26:27], v[20:21] neg_lo:[0,1] neg_hi:[0,1]
	v_mov_b32_e32 v40, v38
	v_pk_add_f32 v[20:21], v[40:41], v[18:19]
	v_cmp_eq_f32_e32 vcc, s0, v42
	v_mov_b32_e32 v26, v21
	v_pk_add_f32 v[26:27], v[20:21], v[26:27]
	s_mov_b32 s0, 0x33800000
	v_pk_add_f32 v[34:35], v[22:23], v[26:27]
	v_mov_b32_e32 v19, v26
	v_mov_b32_e32 v21, v34
	v_pk_add_f32 v[36:37], v[20:21], v[38:39] neg_lo:[0,1] neg_hi:[0,1]
	v_cmp_gt_f32_e64 s[52:53], s0, v42
	v_sub_f32_e32 v20, v20, v36
	v_pk_add_f32 v[18:19], v[18:19], v[36:37] neg_lo:[0,1] neg_hi:[0,1]
	v_sub_f32_e32 v20, v38, v20
	v_add_f32_e32 v18, v18, v20
	v_add_f32_e32 v18, v18, v19
	;; [unrolled: 1-line block ×3, first 2 shown]
	s_or_b64 vcc, s[52:53], vcc
	v_cndmask_b32_e32 v79, v18, v42, vcc
.LBB148_95:                             ;   in Loop: Header=BB148_13 Depth=1
	s_or_b64 exec, exec, s[54:55]
	s_waitcnt lgkmcnt(2)
	v_add_f32_e32 v81, s56, v32
	s_mov_b32 s0, 0x41a00000
	v_cmp_ge_f32_e32 vcc, s0, v81
	v_readlane_b32 s0, v95, 17
	v_readlane_b32 s1, v95, 18
	s_and_b64 s[0:1], s[0:1], vcc
	s_and_saveexec_b64 s[54:55], s[0:1]
	s_cbranch_execz .LBB148_97
; %bb.96:                               ;   in Loop: Header=BB148_13 Depth=1
	v_mul_f32_e32 v18, 0x3fb8aa3b, v81
	v_rndne_f32_e32 v19, v18
	s_mov_b32 s0, 0x3fb8aa3b
	v_sub_f32_e32 v20, v18, v19
	v_fma_f32 v18, v81, s0, -v18
	v_fmac_f32_e32 v18, 0x32a5705f, v81
	v_add_f32_e32 v18, v20, v18
	v_cvt_i32_f32_e32 v19, v19
	v_exp_f32_e32 v18, v18
	s_mov_b32 s0, 0xc2ce8ed0
	v_cmp_ngt_f32_e32 vcc, s0, v81
	s_mov_b32 s0, 0x42b17218
	v_ldexp_f32 v18, v18, v19
	v_cndmask_b32_e32 v18, 0, v18, vcc
	v_cmp_nlt_f32_e32 vcc, s0, v81
	s_mov_b32 s0, 0x3f2aaaab
	s_nop 0
	v_cndmask_b32_e32 v32, v56, v18, vcc
	v_add_f32_e32 v20, 1.0, v32
	v_add_f32_e32 v18, -1.0, v20
	v_sub_f32_e32 v19, v18, v20
	v_add_f32_e32 v19, 1.0, v19
	v_sub_f32_e32 v18, v32, v18
	v_add_f32_e32 v21, v18, v19
	v_frexp_mant_f32_e32 v22, v20
	v_cvt_f64_f32_e32 v[18:19], v20
	v_frexp_exp_i32_f64_e32 v18, v[18:19]
	v_cmp_gt_f32_e32 vcc, s0, v22
	s_mov_b32 s0, 0x3f317218
	s_nop 0
	v_subbrev_co_u32_e32 v22, vcc, 0, v18, vcc
	v_sub_u32_e32 v18, 0, v22
	v_ldexp_f32 v19, v20, v18
	v_add_f32_e32 v20, -1.0, v19
	v_add_f32_e32 v25, 1.0, v19
	v_ldexp_f32 v18, v21, v18
	v_add_f32_e32 v21, 1.0, v20
	v_add_f32_e32 v26, -1.0, v25
	v_sub_f32_e32 v21, v19, v21
	v_sub_f32_e32 v19, v19, v26
	v_add_f32_e32 v21, v18, v21
	v_add_f32_e32 v18, v18, v19
	;; [unrolled: 1-line block ×3, first 2 shown]
	v_rcp_f32_e32 v37, v36
	v_sub_f32_e32 v19, v25, v36
	v_add_f32_e32 v25, v18, v19
	v_add_f32_e32 v19, v20, v21
	v_mul_f32_e32 v39, v19, v37
	v_sub_f32_e32 v18, v20, v19
	v_mul_f32_e32 v20, v36, v39
	v_fma_f32 v26, v39, v36, -v20
	v_fmac_f32_e32 v26, v39, v25
	v_add_f32_e32 v38, v21, v18
	v_add_f32_e32 v18, v20, v26
	v_sub_f32_e32 v21, v19, v18
	v_pk_add_f32 v[34:35], v[18:19], v[20:21] neg_lo:[0,1] neg_hi:[0,1]
	v_mov_b32_e32 v27, v18
	v_pk_add_f32 v[18:19], v[34:35], v[26:27] neg_lo:[0,1] neg_hi:[0,1]
	s_nop 0
	v_add_f32_e32 v19, v38, v19
	v_add_f32_e32 v18, v18, v19
	;; [unrolled: 1-line block ×3, first 2 shown]
	v_mul_f32_e32 v38, v37, v19
	v_mul_f32_e32 v20, v36, v38
	v_fma_f32 v26, v38, v36, -v20
	v_fmac_f32_e32 v26, v38, v25
	v_sub_f32_e32 v21, v21, v19
	v_add_f32_e32 v25, v18, v21
	v_add_f32_e32 v18, v20, v26
	v_sub_f32_e32 v21, v19, v18
	v_pk_add_f32 v[34:35], v[18:19], v[20:21] neg_lo:[0,1] neg_hi:[0,1]
	v_mov_b32_e32 v27, v18
	v_pk_add_f32 v[18:19], v[34:35], v[26:27] neg_lo:[0,1] neg_hi:[0,1]
	scratch_load_dwordx2 v[34:35], off, off offset:196 ; 8-byte Folded Reload
	v_add_f32_e32 v19, v25, v19
	v_add_f32_e32 v18, v18, v19
	;; [unrolled: 1-line block ×4, first 2 shown]
	v_sub_f32_e32 v20, v19, v39
	v_mul_f32_e32 v18, v37, v18
	v_sub_f32_e32 v20, v38, v20
	v_add_f32_e32 v20, v20, v18
	v_add_f32_e32 v25, v19, v20
	v_mul_f32_e32 v26, v25, v25
	v_mov_b32_e32 v18, 0x3ecc95a3
	v_fmamk_f32 v18, v26, 0x3e9b6dac, v18
	s_waitcnt vmcnt(0)
	v_fmaak_f32 v35, v26, v18, 0x3f2aaada
	v_cvt_f32_i32_e32 v18, v22
	v_sub_f32_e32 v19, v25, v19
	v_sub_f32_e32 v19, v20, v19
	v_ldexp_f32 v22, v19, 1
	v_mul_f32_e32 v19, v25, v26
	v_ldexp_f32 v21, v25, 1
	v_mov_b32_e32 v20, v34
	v_pk_mul_f32 v[26:27], v[18:19], v[34:35]
	scratch_store_dwordx2 off, v[20:21], off offset:196 ; 8-byte Folded Spill
	v_fma_f32 v20, v18, s0, -v26
	v_fmac_f32_e32 v20, 0xb102e308, v18
	v_pk_add_f32 v[18:19], v[26:27], v[20:21]
	v_mov_b32_e32 v34, v26
	v_sub_f32_e32 v21, v19, v21
	v_sub_f32_e32 v21, v27, v21
	v_add_f32_e32 v35, v22, v21
	v_pk_add_f32 v[26:27], v[18:19], v[26:27] neg_lo:[0,1] neg_hi:[0,1]
	v_pk_add_f32 v[36:37], v[18:19], v[34:35]
	v_mov_b32_e32 v21, v18
	v_mov_b32_e32 v27, v37
	v_pk_add_f32 v[38:39], v[20:21], v[26:27] neg_lo:[0,1] neg_hi:[0,1]
	v_pk_add_f32 v[20:21], v[20:21], v[26:27]
	s_mov_b32 s0, 0x7f800000
	v_mov_b32_e32 v22, v21
	v_pk_add_f32 v[26:27], v[22:23], v[18:19] neg_lo:[0,1] neg_hi:[0,1]
	v_mov_b32_e32 v20, v37
	v_mov_b32_e32 v25, v26
	v_pk_add_f32 v[40:41], v[36:37], v[24:25] neg_lo:[0,1] neg_hi:[0,1]
	v_mov_b32_e32 v36, v19
	v_mov_b32_e32 v37, v26
	;; [unrolled: 1-line block ×3, first 2 shown]
	v_pk_add_f32 v[20:21], v[20:21], v[36:37] neg_lo:[0,1] neg_hi:[0,1]
	v_mov_b32_e32 v26, v35
	v_mov_b32_e32 v27, v18
	v_pk_add_f32 v[18:19], v[26:27], v[20:21] neg_lo:[0,1] neg_hi:[0,1]
	v_mov_b32_e32 v40, v38
	v_pk_add_f32 v[20:21], v[40:41], v[18:19]
	v_cmp_eq_f32_e32 vcc, s0, v32
	v_mov_b32_e32 v26, v21
	v_pk_add_f32 v[26:27], v[20:21], v[26:27]
	s_mov_b32 s0, 0x33800000
	v_pk_add_f32 v[34:35], v[22:23], v[26:27]
	v_mov_b32_e32 v19, v26
	v_mov_b32_e32 v21, v34
	v_pk_add_f32 v[36:37], v[20:21], v[38:39] neg_lo:[0,1] neg_hi:[0,1]
	v_cmp_gt_f32_e64 s[52:53], s0, v32
	v_sub_f32_e32 v20, v20, v36
	v_pk_add_f32 v[18:19], v[18:19], v[36:37] neg_lo:[0,1] neg_hi:[0,1]
	v_sub_f32_e32 v20, v38, v20
	v_add_f32_e32 v18, v18, v20
	v_add_f32_e32 v18, v18, v19
	;; [unrolled: 1-line block ×3, first 2 shown]
	s_or_b64 vcc, s[52:53], vcc
	v_cndmask_b32_e32 v81, v18, v32, vcc
.LBB148_97:                             ;   in Loop: Header=BB148_13 Depth=1
	s_or_b64 exec, exec, s[54:55]
	v_add_f32_e32 v20, s56, v33
	s_mov_b32 s0, 0x41a00000
	v_cmp_ge_f32_e32 vcc, s0, v20
	v_readlane_b32 s0, v95, 17
	v_readlane_b32 s1, v95, 18
	s_and_b64 s[0:1], s[0:1], vcc
	s_and_saveexec_b64 s[54:55], s[0:1]
	s_cbranch_execz .LBB148_99
; %bb.98:                               ;   in Loop: Header=BB148_13 Depth=1
	v_mul_f32_e32 v18, 0x3fb8aa3b, v20
	v_rndne_f32_e32 v19, v18
	s_mov_b32 s0, 0x3fb8aa3b
	v_sub_f32_e32 v21, v18, v19
	v_fma_f32 v18, v20, s0, -v18
	v_fmac_f32_e32 v18, 0x32a5705f, v20
	v_add_f32_e32 v18, v21, v18
	v_cvt_i32_f32_e32 v19, v19
	v_exp_f32_e32 v18, v18
	s_mov_b32 s0, 0xc2ce8ed0
	v_cmp_ngt_f32_e32 vcc, s0, v20
	s_mov_b32 s0, 0x42b17218
	v_ldexp_f32 v18, v18, v19
	v_cndmask_b32_e32 v18, 0, v18, vcc
	v_cmp_nlt_f32_e32 vcc, s0, v20
	s_mov_b32 s0, 0x3f2aaaab
	s_nop 0
	v_cndmask_b32_e32 v40, v56, v18, vcc
	v_add_f32_e32 v20, 1.0, v40
	v_add_f32_e32 v18, -1.0, v20
	v_sub_f32_e32 v19, v18, v20
	v_add_f32_e32 v19, 1.0, v19
	v_sub_f32_e32 v18, v40, v18
	v_add_f32_e32 v21, v18, v19
	v_frexp_mant_f32_e32 v22, v20
	v_cvt_f64_f32_e32 v[18:19], v20
	v_frexp_exp_i32_f64_e32 v18, v[18:19]
	v_cmp_gt_f32_e32 vcc, s0, v22
	s_mov_b32 s0, 0x3f317218
	s_nop 0
	v_subbrev_co_u32_e32 v22, vcc, 0, v18, vcc
	v_sub_u32_e32 v18, 0, v22
	v_ldexp_f32 v19, v20, v18
	v_add_f32_e32 v20, -1.0, v19
	v_add_f32_e32 v25, 1.0, v19
	v_ldexp_f32 v18, v21, v18
	v_add_f32_e32 v21, 1.0, v20
	v_add_f32_e32 v26, -1.0, v25
	v_sub_f32_e32 v21, v19, v21
	v_sub_f32_e32 v19, v19, v26
	v_add_f32_e32 v21, v18, v21
	v_add_f32_e32 v18, v18, v19
	v_add_f32_e32 v34, v25, v18
	v_rcp_f32_e32 v35, v34
	v_sub_f32_e32 v19, v25, v34
	v_add_f32_e32 v25, v18, v19
	v_add_f32_e32 v19, v20, v21
	v_mul_f32_e32 v37, v19, v35
	v_sub_f32_e32 v18, v20, v19
	v_mul_f32_e32 v20, v34, v37
	v_fma_f32 v26, v37, v34, -v20
	v_fmac_f32_e32 v26, v37, v25
	v_add_f32_e32 v36, v21, v18
	v_add_f32_e32 v18, v20, v26
	v_sub_f32_e32 v21, v19, v18
	v_pk_add_f32 v[32:33], v[18:19], v[20:21] neg_lo:[0,1] neg_hi:[0,1]
	v_mov_b32_e32 v27, v18
	v_pk_add_f32 v[18:19], v[32:33], v[26:27] neg_lo:[0,1] neg_hi:[0,1]
	s_nop 0
	v_add_f32_e32 v19, v36, v19
	v_add_f32_e32 v18, v18, v19
	;; [unrolled: 1-line block ×3, first 2 shown]
	v_mul_f32_e32 v36, v35, v19
	v_mul_f32_e32 v20, v34, v36
	v_fma_f32 v26, v36, v34, -v20
	v_fmac_f32_e32 v26, v36, v25
	v_sub_f32_e32 v21, v21, v19
	v_add_f32_e32 v25, v18, v21
	v_add_f32_e32 v18, v20, v26
	v_sub_f32_e32 v21, v19, v18
	v_pk_add_f32 v[32:33], v[18:19], v[20:21] neg_lo:[0,1] neg_hi:[0,1]
	v_mov_b32_e32 v27, v18
	v_pk_add_f32 v[18:19], v[32:33], v[26:27] neg_lo:[0,1] neg_hi:[0,1]
	scratch_load_dwordx2 v[32:33], off, off offset:196 ; 8-byte Folded Reload
	v_add_f32_e32 v19, v25, v19
	v_add_f32_e32 v18, v18, v19
	;; [unrolled: 1-line block ×4, first 2 shown]
	v_sub_f32_e32 v20, v19, v37
	v_mul_f32_e32 v18, v35, v18
	v_sub_f32_e32 v20, v36, v20
	v_add_f32_e32 v20, v20, v18
	v_add_f32_e32 v25, v19, v20
	v_mul_f32_e32 v26, v25, v25
	v_mov_b32_e32 v18, 0x3ecc95a3
	v_fmamk_f32 v18, v26, 0x3e9b6dac, v18
	s_waitcnt vmcnt(0)
	v_fmaak_f32 v33, v26, v18, 0x3f2aaada
	v_cvt_f32_i32_e32 v18, v22
	v_sub_f32_e32 v19, v25, v19
	v_sub_f32_e32 v19, v20, v19
	v_ldexp_f32 v22, v19, 1
	v_mul_f32_e32 v19, v25, v26
	v_ldexp_f32 v21, v25, 1
	v_mov_b32_e32 v20, v32
	v_pk_mul_f32 v[26:27], v[18:19], v[32:33]
	scratch_store_dwordx2 off, v[20:21], off offset:196 ; 8-byte Folded Spill
	v_fma_f32 v20, v18, s0, -v26
	v_fmac_f32_e32 v20, 0xb102e308, v18
	v_pk_add_f32 v[18:19], v[26:27], v[20:21]
	v_mov_b32_e32 v32, v26
	v_sub_f32_e32 v21, v19, v21
	v_sub_f32_e32 v21, v27, v21
	v_add_f32_e32 v33, v22, v21
	v_pk_add_f32 v[26:27], v[18:19], v[26:27] neg_lo:[0,1] neg_hi:[0,1]
	v_pk_add_f32 v[34:35], v[18:19], v[32:33]
	v_mov_b32_e32 v21, v18
	v_mov_b32_e32 v27, v35
	v_pk_add_f32 v[36:37], v[20:21], v[26:27] neg_lo:[0,1] neg_hi:[0,1]
	v_pk_add_f32 v[20:21], v[20:21], v[26:27]
	s_mov_b32 s0, 0x7f800000
	v_mov_b32_e32 v22, v21
	v_pk_add_f32 v[26:27], v[22:23], v[18:19] neg_lo:[0,1] neg_hi:[0,1]
	v_mov_b32_e32 v20, v35
	v_mov_b32_e32 v25, v26
	v_pk_add_f32 v[38:39], v[34:35], v[24:25] neg_lo:[0,1] neg_hi:[0,1]
	v_mov_b32_e32 v34, v19
	v_mov_b32_e32 v35, v26
	;; [unrolled: 1-line block ×3, first 2 shown]
	v_pk_add_f32 v[20:21], v[20:21], v[34:35] neg_lo:[0,1] neg_hi:[0,1]
	v_mov_b32_e32 v26, v33
	v_mov_b32_e32 v27, v18
	v_pk_add_f32 v[18:19], v[26:27], v[20:21] neg_lo:[0,1] neg_hi:[0,1]
	v_mov_b32_e32 v38, v36
	v_pk_add_f32 v[20:21], v[38:39], v[18:19]
	v_cmp_eq_f32_e32 vcc, s0, v40
	v_mov_b32_e32 v26, v21
	v_pk_add_f32 v[26:27], v[20:21], v[26:27]
	s_mov_b32 s0, 0x33800000
	v_pk_add_f32 v[32:33], v[22:23], v[26:27]
	v_mov_b32_e32 v19, v26
	v_mov_b32_e32 v21, v32
	v_pk_add_f32 v[34:35], v[20:21], v[36:37] neg_lo:[0,1] neg_hi:[0,1]
	v_cmp_gt_f32_e64 s[52:53], s0, v40
	v_sub_f32_e32 v20, v20, v34
	v_pk_add_f32 v[18:19], v[18:19], v[34:35] neg_lo:[0,1] neg_hi:[0,1]
	v_sub_f32_e32 v20, v36, v20
	v_add_f32_e32 v18, v18, v20
	v_add_f32_e32 v18, v18, v19
	;; [unrolled: 1-line block ×3, first 2 shown]
	s_or_b64 vcc, s[52:53], vcc
	v_cndmask_b32_e32 v20, v18, v40, vcc
.LBB148_99:                             ;   in Loop: Header=BB148_13 Depth=1
	s_or_b64 exec, exec, s[54:55]
	s_waitcnt lgkmcnt(1)
	v_add_f32_e32 v22, s56, v30
	s_mov_b32 s0, 0x41a00000
	v_cmp_ge_f32_e32 vcc, s0, v22
	v_readlane_b32 s0, v95, 17
	v_readlane_b32 s1, v95, 18
	s_and_b64 s[0:1], s[0:1], vcc
	s_and_saveexec_b64 s[54:55], s[0:1]
	s_cbranch_execz .LBB148_101
; %bb.100:                              ;   in Loop: Header=BB148_13 Depth=1
	v_mul_f32_e32 v18, 0x3fb8aa3b, v22
	v_rndne_f32_e32 v19, v18
	s_mov_b32 s0, 0x3fb8aa3b
	v_sub_f32_e32 v21, v18, v19
	v_fma_f32 v18, v22, s0, -v18
	v_fmac_f32_e32 v18, 0x32a5705f, v22
	v_add_f32_e32 v18, v21, v18
	v_cvt_i32_f32_e32 v19, v19
	v_exp_f32_e32 v18, v18
	s_mov_b32 s0, 0xc2ce8ed0
	v_cmp_ngt_f32_e32 vcc, s0, v22
	s_mov_b32 s0, 0x42b17218
	v_ldexp_f32 v18, v18, v19
	v_cndmask_b32_e32 v18, 0, v18, vcc
	v_cmp_nlt_f32_e32 vcc, s0, v22
	s_mov_b32 s0, 0x3f2aaaab
	s_nop 0
	v_cndmask_b32_e32 v25, v56, v18, vcc
	v_add_f32_e32 v21, 1.0, v25
	v_add_f32_e32 v18, -1.0, v21
	v_sub_f32_e32 v19, v18, v21
	v_add_f32_e32 v19, 1.0, v19
	v_sub_f32_e32 v18, v25, v18
	v_add_f32_e32 v22, v18, v19
	v_frexp_mant_f32_e32 v26, v21
	v_cvt_f64_f32_e32 v[18:19], v21
	v_frexp_exp_i32_f64_e32 v18, v[18:19]
	v_cmp_gt_f32_e32 vcc, s0, v26
	s_mov_b32 s0, 0x3f317218
	s_nop 0
	v_subbrev_co_u32_e32 v30, vcc, 0, v18, vcc
	v_sub_u32_e32 v18, 0, v30
	v_ldexp_f32 v19, v21, v18
	v_add_f32_e32 v21, -1.0, v19
	v_add_f32_e32 v26, 1.0, v19
	v_ldexp_f32 v18, v22, v18
	v_add_f32_e32 v22, 1.0, v21
	v_add_f32_e32 v27, -1.0, v26
	v_sub_f32_e32 v22, v19, v22
	v_sub_f32_e32 v19, v19, v27
	v_add_f32_e32 v22, v18, v22
	v_add_f32_e32 v18, v18, v19
	;; [unrolled: 1-line block ×3, first 2 shown]
	v_rcp_f32_e32 v38, v36
	v_sub_f32_e32 v19, v26, v36
	v_add_f32_e32 v37, v18, v19
	v_add_f32_e32 v19, v21, v22
	v_sub_f32_e32 v18, v21, v19
	v_add_f32_e32 v21, v22, v18
	v_mul_f32_e32 v22, v19, v38
	v_mul_f32_e32 v26, v36, v22
	v_fma_f32 v32, v22, v36, -v26
	v_fmac_f32_e32 v32, v22, v37
	v_add_f32_e32 v18, v26, v32
	v_sub_f32_e32 v27, v19, v18
	v_pk_add_f32 v[34:35], v[18:19], v[26:27] neg_lo:[0,1] neg_hi:[0,1]
	v_mov_b32_e32 v33, v18
	v_pk_add_f32 v[18:19], v[34:35], v[32:33] neg_lo:[0,1] neg_hi:[0,1]
	s_nop 0
	v_add_f32_e32 v19, v21, v19
	v_add_f32_e32 v18, v18, v19
	;; [unrolled: 1-line block ×3, first 2 shown]
	v_mul_f32_e32 v21, v38, v19
	v_mul_f32_e32 v26, v36, v21
	v_fma_f32 v32, v21, v36, -v26
	v_fmac_f32_e32 v32, v21, v37
	v_sub_f32_e32 v27, v27, v19
	v_add_f32_e32 v36, v18, v27
	v_add_f32_e32 v18, v26, v32
	v_sub_f32_e32 v27, v19, v18
	v_pk_add_f32 v[34:35], v[18:19], v[26:27] neg_lo:[0,1] neg_hi:[0,1]
	v_mov_b32_e32 v33, v18
	v_pk_add_f32 v[18:19], v[34:35], v[32:33] neg_lo:[0,1] neg_hi:[0,1]
	scratch_load_dwordx2 v[32:33], off, off offset:196 ; 8-byte Folded Reload
	v_add_f32_e32 v19, v36, v19
	v_add_f32_e32 v18, v18, v19
	;; [unrolled: 1-line block ×4, first 2 shown]
	v_sub_f32_e32 v22, v19, v22
	v_mul_f32_e32 v18, v38, v18
	v_sub_f32_e32 v21, v21, v22
	v_add_f32_e32 v21, v21, v18
	v_add_f32_e32 v22, v19, v21
	v_mul_f32_e32 v26, v22, v22
	v_mov_b32_e32 v18, 0x3ecc95a3
	v_fmamk_f32 v18, v26, 0x3e9b6dac, v18
	s_waitcnt vmcnt(0)
	v_fmaak_f32 v33, v26, v18, 0x3f2aaada
	v_cvt_f32_i32_e32 v18, v30
	v_sub_f32_e32 v19, v22, v19
	v_sub_f32_e32 v19, v21, v19
	v_ldexp_f32 v21, v19, 1
	v_mul_f32_e32 v19, v22, v26
	v_ldexp_f32 v27, v22, 1
	v_mov_b32_e32 v22, v32
	v_pk_mul_f32 v[32:33], v[18:19], v[32:33]
	scratch_store_dwordx2 off, v[22:23], off offset:196 ; 8-byte Folded Spill
	v_fma_f32 v26, v18, s0, -v32
	v_fmac_f32_e32 v26, 0xb102e308, v18
	v_pk_add_f32 v[18:19], v[32:33], v[26:27]
	v_mov_b32_e32 v34, v32
	v_sub_f32_e32 v22, v19, v27
	v_sub_f32_e32 v22, v33, v22
	v_add_f32_e32 v35, v21, v22
	v_pk_add_f32 v[32:33], v[18:19], v[32:33] neg_lo:[0,1] neg_hi:[0,1]
	v_pk_add_f32 v[36:37], v[18:19], v[34:35]
	v_mov_b32_e32 v27, v18
	v_mov_b32_e32 v33, v37
	v_pk_add_f32 v[38:39], v[26:27], v[32:33] neg_lo:[0,1] neg_hi:[0,1]
	v_pk_add_f32 v[26:27], v[26:27], v[32:33]
	s_mov_b32 s0, 0x7f800000
	v_mov_b32_e32 v22, v27
	v_pk_add_f32 v[32:33], v[22:23], v[18:19] neg_lo:[0,1] neg_hi:[0,1]
	v_mov_b32_e32 v26, v37
	v_mov_b32_e32 v21, v32
	v_pk_add_f32 v[40:41], v[36:37], v[20:21] neg_lo:[0,1] neg_hi:[0,1]
	v_mov_b32_e32 v36, v19
	v_mov_b32_e32 v37, v32
	;; [unrolled: 1-line block ×3, first 2 shown]
	v_pk_add_f32 v[26:27], v[26:27], v[36:37] neg_lo:[0,1] neg_hi:[0,1]
	v_mov_b32_e32 v32, v35
	v_mov_b32_e32 v33, v18
	v_pk_add_f32 v[18:19], v[32:33], v[26:27] neg_lo:[0,1] neg_hi:[0,1]
	v_mov_b32_e32 v40, v38
	v_pk_add_f32 v[26:27], v[40:41], v[18:19]
	v_cmp_eq_f32_e32 vcc, s0, v25
	v_mov_b32_e32 v30, v27
	v_pk_add_f32 v[32:33], v[26:27], v[30:31]
	s_mov_b32 s0, 0x33800000
	v_pk_add_f32 v[34:35], v[22:23], v[32:33]
	v_mov_b32_e32 v19, v32
	v_mov_b32_e32 v27, v34
	v_pk_add_f32 v[36:37], v[26:27], v[38:39] neg_lo:[0,1] neg_hi:[0,1]
	v_cmp_gt_f32_e64 s[52:53], s0, v25
	v_sub_f32_e32 v21, v26, v36
	v_pk_add_f32 v[18:19], v[18:19], v[36:37] neg_lo:[0,1] neg_hi:[0,1]
	v_sub_f32_e32 v21, v38, v21
	v_add_f32_e32 v18, v18, v21
	v_add_f32_e32 v18, v18, v19
	;; [unrolled: 1-line block ×3, first 2 shown]
	s_or_b64 vcc, s[52:53], vcc
	v_cndmask_b32_e32 v22, v18, v25, vcc
.LBB148_101:                            ;   in Loop: Header=BB148_13 Depth=1
	s_or_b64 exec, exec, s[54:55]
	v_add_f32_e32 v18, s56, v31
	s_mov_b32 s0, 0x41a00000
	v_cmp_ge_f32_e32 vcc, s0, v18
	v_readlane_b32 s0, v95, 17
	v_readlane_b32 s1, v95, 18
	s_and_b64 s[0:1], s[0:1], vcc
	s_and_saveexec_b64 s[54:55], s[0:1]
	s_cbranch_execz .LBB148_103
; %bb.102:                              ;   in Loop: Header=BB148_13 Depth=1
	v_mul_f32_e32 v19, 0x3fb8aa3b, v18
	v_rndne_f32_e32 v21, v19
	s_mov_b32 s0, 0x3fb8aa3b
	v_sub_f32_e32 v25, v19, v21
	v_fma_f32 v19, v18, s0, -v19
	v_fmac_f32_e32 v19, 0x32a5705f, v18
	v_add_f32_e32 v19, v25, v19
	v_cvt_i32_f32_e32 v21, v21
	v_exp_f32_e32 v19, v19
	s_mov_b32 s0, 0xc2ce8ed0
	v_cmp_ngt_f32_e32 vcc, s0, v18
	s_mov_b32 s0, 0x42b17218
	v_ldexp_f32 v19, v19, v21
	v_cndmask_b32_e32 v19, 0, v19, vcc
	v_cmp_nlt_f32_e32 vcc, s0, v18
	s_mov_b32 s0, 0x3f2aaaab
	s_nop 0
	v_cndmask_b32_e32 v25, v56, v19, vcc
	v_add_f32_e32 v21, 1.0, v25
	v_add_f32_e32 v18, -1.0, v21
	v_sub_f32_e32 v19, v18, v21
	v_add_f32_e32 v19, 1.0, v19
	v_sub_f32_e32 v18, v25, v18
	v_add_f32_e32 v26, v18, v19
	v_frexp_mant_f32_e32 v27, v21
	v_cvt_f64_f32_e32 v[18:19], v21
	v_frexp_exp_i32_f64_e32 v18, v[18:19]
	v_cmp_gt_f32_e32 vcc, s0, v27
	s_mov_b32 s0, 0x3f317218
	s_nop 0
	v_subbrev_co_u32_e32 v34, vcc, 0, v18, vcc
	v_sub_u32_e32 v18, 0, v34
	v_ldexp_f32 v19, v21, v18
	v_add_f32_e32 v21, -1.0, v19
	v_add_f32_e32 v27, 1.0, v19
	v_ldexp_f32 v18, v26, v18
	v_add_f32_e32 v26, 1.0, v21
	v_add_f32_e32 v30, -1.0, v27
	v_sub_f32_e32 v26, v19, v26
	v_sub_f32_e32 v19, v19, v30
	v_add_f32_e32 v26, v18, v26
	v_add_f32_e32 v18, v18, v19
	;; [unrolled: 1-line block ×3, first 2 shown]
	v_rcp_f32_e32 v37, v35
	v_sub_f32_e32 v19, v27, v35
	v_add_f32_e32 v36, v18, v19
	v_add_f32_e32 v19, v21, v26
	v_sub_f32_e32 v18, v21, v19
	v_mul_f32_e32 v38, v19, v37
	v_add_f32_e32 v21, v26, v18
	v_mul_f32_e32 v26, v35, v38
	v_fma_f32 v30, v38, v35, -v26
	v_fmac_f32_e32 v30, v38, v36
	v_add_f32_e32 v18, v26, v30
	v_sub_f32_e32 v27, v19, v18
	v_pk_add_f32 v[32:33], v[18:19], v[26:27] neg_lo:[0,1] neg_hi:[0,1]
	v_mov_b32_e32 v31, v18
	v_pk_add_f32 v[18:19], v[32:33], v[30:31] neg_lo:[0,1] neg_hi:[0,1]
	s_nop 0
	v_add_f32_e32 v19, v21, v19
	v_add_f32_e32 v18, v18, v19
	;; [unrolled: 1-line block ×3, first 2 shown]
	v_mul_f32_e32 v21, v37, v19
	v_mul_f32_e32 v26, v35, v21
	v_fma_f32 v30, v21, v35, -v26
	v_fmac_f32_e32 v30, v21, v36
	v_sub_f32_e32 v27, v27, v19
	v_add_f32_e32 v35, v18, v27
	v_add_f32_e32 v18, v26, v30
	v_sub_f32_e32 v27, v19, v18
	v_pk_add_f32 v[32:33], v[18:19], v[26:27] neg_lo:[0,1] neg_hi:[0,1]
	v_mov_b32_e32 v31, v18
	v_pk_add_f32 v[18:19], v[32:33], v[30:31] neg_lo:[0,1] neg_hi:[0,1]
	scratch_load_dwordx2 v[32:33], off, off offset:196 ; 8-byte Folded Reload
	v_add_f32_e32 v19, v35, v19
	v_add_f32_e32 v18, v18, v19
	;; [unrolled: 1-line block ×4, first 2 shown]
	v_sub_f32_e32 v26, v19, v38
	v_mul_f32_e32 v18, v37, v18
	v_sub_f32_e32 v21, v21, v26
	v_add_f32_e32 v21, v21, v18
	v_add_f32_e32 v26, v19, v21
	v_mul_f32_e32 v30, v26, v26
	v_mov_b32_e32 v18, 0x3ecc95a3
	v_fmamk_f32 v18, v30, 0x3e9b6dac, v18
	s_waitcnt vmcnt(0)
	v_fmaak_f32 v33, v30, v18, 0x3f2aaada
	v_cvt_f32_i32_e32 v18, v34
	v_sub_f32_e32 v19, v26, v19
	v_sub_f32_e32 v19, v21, v19
	v_ldexp_f32 v21, v19, 1
	v_mul_f32_e32 v19, v26, v30
	v_ldexp_f32 v27, v26, 1
	v_pk_mul_f32 v[30:31], v[18:19], v[32:33]
	s_nop 0
	v_fma_f32 v26, v18, s0, -v30
	v_fmac_f32_e32 v26, 0xb102e308, v18
	v_pk_add_f32 v[18:19], v[30:31], v[26:27]
	v_mov_b32_e32 v24, v32
	v_sub_f32_e32 v27, v19, v27
	v_sub_f32_e32 v27, v31, v27
	v_add_f32_e32 v33, v21, v27
	v_mov_b32_e32 v32, v30
	v_pk_add_f32 v[30:31], v[18:19], v[30:31] neg_lo:[0,1] neg_hi:[0,1]
	v_pk_add_f32 v[34:35], v[18:19], v[32:33]
	v_mov_b32_e32 v27, v18
	v_mov_b32_e32 v31, v35
	v_pk_add_f32 v[36:37], v[26:27], v[30:31] neg_lo:[0,1] neg_hi:[0,1]
	v_pk_add_f32 v[26:27], v[26:27], v[30:31]
	v_mov_b32_e32 v32, v33
	v_mov_b32_e32 v30, v27
	v_pk_add_f32 v[38:39], v[30:31], v[18:19] neg_lo:[0,1] neg_hi:[0,1]
	v_mov_b32_e32 v26, v35
	v_mov_b32_e32 v21, v38
	v_pk_add_f32 v[40:41], v[34:35], v[20:21] neg_lo:[0,1] neg_hi:[0,1]
	v_mov_b32_e32 v34, v19
	v_mov_b32_e32 v35, v38
	;; [unrolled: 1-line block ×3, first 2 shown]
	v_pk_add_f32 v[26:27], v[26:27], v[34:35] neg_lo:[0,1] neg_hi:[0,1]
	v_mov_b32_e32 v33, v18
	v_pk_add_f32 v[18:19], v[32:33], v[26:27] neg_lo:[0,1] neg_hi:[0,1]
	v_mov_b32_e32 v40, v36
	v_pk_add_f32 v[26:27], v[40:41], v[18:19]
	s_mov_b32 s0, 0x7f800000
	v_mov_b32_e32 v32, v27
	v_pk_add_f32 v[32:33], v[26:27], v[32:33]
	v_cmp_eq_f32_e32 vcc, s0, v25
	v_pk_add_f32 v[30:31], v[30:31], v[32:33]
	v_mov_b32_e32 v19, v32
	v_mov_b32_e32 v27, v30
	v_pk_add_f32 v[34:35], v[26:27], v[36:37] neg_lo:[0,1] neg_hi:[0,1]
	s_mov_b32 s0, 0x33800000
	v_sub_f32_e32 v21, v26, v34
	v_pk_add_f32 v[18:19], v[18:19], v[34:35] neg_lo:[0,1] neg_hi:[0,1]
	v_sub_f32_e32 v21, v36, v21
	v_add_f32_e32 v18, v18, v21
	v_add_f32_e32 v18, v18, v19
	v_cmp_gt_f32_e64 s[52:53], s0, v25
	v_add_f32_e32 v18, v30, v18
	s_or_b64 vcc, s[52:53], vcc
	v_cndmask_b32_e32 v18, v18, v25, vcc
	scratch_store_dwordx2 off, v[24:25], off offset:196 ; 8-byte Folded Spill
.LBB148_103:                            ;   in Loop: Header=BB148_13 Depth=1
	s_or_b64 exec, exec, s[54:55]
	s_waitcnt lgkmcnt(0)
	v_add_f32_e32 v82, s56, v28
	s_mov_b32 s0, 0x41a00000
	v_cmp_ge_f32_e32 vcc, s0, v82
	v_readlane_b32 s0, v95, 17
	v_readlane_b32 s1, v95, 18
	s_and_b64 s[0:1], s[0:1], vcc
	s_and_saveexec_b64 s[54:55], s[0:1]
	s_cbranch_execz .LBB148_105
; %bb.104:                              ;   in Loop: Header=BB148_13 Depth=1
	v_mul_f32_e32 v19, 0x3fb8aa3b, v82
	v_rndne_f32_e32 v21, v19
	s_mov_b32 s0, 0x3fb8aa3b
	v_sub_f32_e32 v25, v19, v21
	v_fma_f32 v19, v82, s0, -v19
	v_fmac_f32_e32 v19, 0x32a5705f, v82
	v_add_f32_e32 v19, v25, v19
	v_cvt_i32_f32_e32 v21, v21
	v_exp_f32_e32 v19, v19
	s_mov_b32 s0, 0xc2ce8ed0
	v_cmp_ngt_f32_e32 vcc, s0, v82
	s_mov_b32 s0, 0x42b17218
	v_ldexp_f32 v19, v19, v21
	v_cndmask_b32_e32 v19, 0, v19, vcc
	v_cmp_nlt_f32_e32 vcc, s0, v82
	s_mov_b32 s0, 0x3f2aaaab
	v_mov_b32_e32 v24, 0x3ecc95a3
	v_cndmask_b32_e32 v21, v56, v19, vcc
	v_add_f32_e32 v19, 1.0, v21
	v_add_f32_e32 v25, -1.0, v19
	v_sub_f32_e32 v26, v25, v19
	v_add_f32_e32 v26, 1.0, v26
	v_sub_f32_e32 v25, v21, v25
	v_add_f32_e32 v25, v25, v26
	v_frexp_mant_f32_e32 v28, v19
	v_cvt_f64_f32_e32 v[26:27], v19
	v_frexp_exp_i32_f64_e32 v26, v[26:27]
	v_cmp_gt_f32_e32 vcc, s0, v28
	s_mov_b32 s0, 0x3f317218
	s_nop 0
	v_subbrev_co_u32_e32 v28, vcc, 0, v26, vcc
	v_sub_u32_e32 v26, 0, v28
	v_ldexp_f32 v19, v19, v26
	v_ldexp_f32 v25, v25, v26
	v_add_f32_e32 v26, -1.0, v19
	v_add_f32_e32 v27, 1.0, v26
	v_sub_f32_e32 v27, v19, v27
	v_add_f32_e32 v30, v25, v27
	v_add_f32_e32 v27, 1.0, v19
	v_add_f32_e32 v31, -1.0, v27
	v_sub_f32_e32 v19, v19, v31
	v_add_f32_e32 v19, v25, v19
	v_add_f32_e32 v25, v27, v19
	v_rcp_f32_e32 v36, v25
	v_sub_f32_e32 v27, v27, v25
	v_add_f32_e32 v19, v19, v27
	v_add_f32_e32 v27, v26, v30
	v_sub_f32_e32 v26, v26, v27
	v_mul_f32_e32 v38, v27, v36
	v_add_f32_e32 v37, v30, v26
	v_mul_f32_e32 v30, v25, v38
	v_fma_f32 v32, v38, v25, -v30
	v_fmac_f32_e32 v32, v38, v19
	v_add_f32_e32 v26, v30, v32
	v_sub_f32_e32 v31, v27, v26
	v_pk_add_f32 v[34:35], v[26:27], v[30:31] neg_lo:[0,1] neg_hi:[0,1]
	v_mov_b32_e32 v33, v26
	v_pk_add_f32 v[26:27], v[34:35], v[32:33] neg_lo:[0,1] neg_hi:[0,1]
	s_nop 0
	v_add_f32_e32 v27, v37, v27
	v_add_f32_e32 v26, v26, v27
	;; [unrolled: 1-line block ×3, first 2 shown]
	v_mul_f32_e32 v37, v36, v27
	v_mul_f32_e32 v30, v25, v37
	v_fma_f32 v32, v37, v25, -v30
	v_fmac_f32_e32 v32, v37, v19
	v_sub_f32_e32 v19, v31, v27
	v_add_f32_e32 v19, v26, v19
	v_add_f32_e32 v26, v30, v32
	v_sub_f32_e32 v31, v27, v26
	v_pk_add_f32 v[34:35], v[26:27], v[30:31] neg_lo:[0,1] neg_hi:[0,1]
	v_mov_b32_e32 v33, v26
	v_pk_add_f32 v[26:27], v[34:35], v[32:33] neg_lo:[0,1] neg_hi:[0,1]
	scratch_load_dwordx2 v[32:33], off, off offset:196 ; 8-byte Folded Reload
	v_add_f32_e32 v19, v19, v27
	v_add_f32_e32 v19, v26, v19
	;; [unrolled: 1-line block ×4, first 2 shown]
	v_sub_f32_e32 v26, v25, v38
	v_mul_f32_e32 v19, v36, v19
	v_sub_f32_e32 v26, v37, v26
	v_add_f32_e32 v19, v26, v19
	v_add_f32_e32 v27, v25, v19
	v_mul_f32_e32 v30, v27, v27
	v_fmamk_f32 v26, v30, 0x3e9b6dac, v24
	s_waitcnt vmcnt(0)
	v_fmaak_f32 v33, v30, v26, 0x3f2aaada
	v_cvt_f32_i32_e32 v26, v28
	v_sub_f32_e32 v25, v27, v25
	v_ldexp_f32 v31, v27, 1
	v_mul_f32_e32 v27, v27, v30
	v_sub_f32_e32 v19, v19, v25
	v_ldexp_f32 v19, v19, 1
	v_mov_b32_e32 v24, v32
	v_pk_mul_f32 v[32:33], v[26:27], v[32:33]
	scratch_store_dwordx2 off, v[24:25], off offset:196 ; 8-byte Folded Spill
	v_fma_f32 v30, v26, s0, -v32
	v_fmac_f32_e32 v30, 0xb102e308, v26
	v_pk_add_f32 v[26:27], v[32:33], v[30:31]
	v_mov_b32_e32 v34, v32
	v_sub_f32_e32 v25, v27, v31
	v_sub_f32_e32 v25, v33, v25
	v_add_f32_e32 v35, v19, v25
	v_pk_add_f32 v[32:33], v[26:27], v[32:33] neg_lo:[0,1] neg_hi:[0,1]
	v_pk_add_f32 v[36:37], v[26:27], v[34:35]
	v_mov_b32_e32 v31, v26
	v_mov_b32_e32 v33, v37
	v_pk_add_f32 v[38:39], v[30:31], v[32:33] neg_lo:[0,1] neg_hi:[0,1]
	v_pk_add_f32 v[30:31], v[30:31], v[32:33]
	s_mov_b32 s0, 0x7f800000
	v_mov_b32_e32 v28, v31
	v_pk_add_f32 v[32:33], v[28:29], v[26:27] neg_lo:[0,1] neg_hi:[0,1]
	v_mov_b32_e32 v30, v37
	v_mov_b32_e32 v19, v32
	v_pk_add_f32 v[40:41], v[36:37], v[18:19] neg_lo:[0,1] neg_hi:[0,1]
	v_mov_b32_e32 v36, v27
	v_mov_b32_e32 v37, v32
	;; [unrolled: 1-line block ×3, first 2 shown]
	v_pk_add_f32 v[30:31], v[30:31], v[36:37] neg_lo:[0,1] neg_hi:[0,1]
	v_mov_b32_e32 v32, v35
	v_mov_b32_e32 v33, v26
	v_pk_add_f32 v[26:27], v[32:33], v[30:31] neg_lo:[0,1] neg_hi:[0,1]
	v_mov_b32_e32 v40, v38
	v_pk_add_f32 v[30:31], v[40:41], v[26:27]
	v_cmp_eq_f32_e32 vcc, s0, v21
	v_mov_b32_e32 v32, v31
	v_pk_add_f32 v[32:33], v[30:31], v[32:33]
	s_mov_b32 s0, 0x33800000
	v_pk_add_f32 v[34:35], v[28:29], v[32:33]
	v_mov_b32_e32 v27, v32
	v_mov_b32_e32 v31, v34
	v_pk_add_f32 v[36:37], v[30:31], v[38:39] neg_lo:[0,1] neg_hi:[0,1]
	v_cmp_gt_f32_e64 s[52:53], s0, v21
	v_sub_f32_e32 v19, v30, v36
	v_pk_add_f32 v[26:27], v[26:27], v[36:37] neg_lo:[0,1] neg_hi:[0,1]
	v_sub_f32_e32 v19, v38, v19
	v_add_f32_e32 v19, v26, v19
	v_add_f32_e32 v19, v19, v27
	v_add_f32_e32 v19, v34, v19
	s_or_b64 vcc, s[52:53], vcc
	v_cndmask_b32_e32 v82, v19, v21, vcc
.LBB148_105:                            ;   in Loop: Header=BB148_13 Depth=1
	s_or_b64 exec, exec, s[54:55]
	v_add_f32_e32 v27, s56, v29
	s_mov_b32 s0, 0x41a00000
	v_cmp_ge_f32_e32 vcc, s0, v27
	v_readlane_b32 s0, v95, 17
	v_readlane_b32 s1, v95, 18
	s_and_b64 s[0:1], s[0:1], vcc
	s_and_saveexec_b64 s[54:55], s[0:1]
	s_cbranch_execz .LBB148_107
; %bb.106:                              ;   in Loop: Header=BB148_13 Depth=1
	v_mul_f32_e32 v19, 0x3fb8aa3b, v27
	v_rndne_f32_e32 v21, v19
	s_mov_b32 s0, 0x3fb8aa3b
	v_sub_f32_e32 v25, v19, v21
	v_fma_f32 v19, v27, s0, -v19
	v_fmac_f32_e32 v19, 0x32a5705f, v27
	v_add_f32_e32 v19, v25, v19
	v_cvt_i32_f32_e32 v21, v21
	v_exp_f32_e32 v19, v19
	s_mov_b32 s0, 0xc2ce8ed0
	v_cmp_ngt_f32_e32 vcc, s0, v27
	s_mov_b32 s0, 0x42b17218
	v_ldexp_f32 v19, v19, v21
	v_cndmask_b32_e32 v19, 0, v19, vcc
	v_cmp_nlt_f32_e32 vcc, s0, v27
	s_mov_b32 s0, 0x3f2aaaab
	v_mov_b32_e32 v24, 0x3ecc95a3
	v_cndmask_b32_e32 v21, v56, v19, vcc
	v_add_f32_e32 v19, 1.0, v21
	v_add_f32_e32 v25, -1.0, v19
	v_sub_f32_e32 v26, v25, v19
	v_add_f32_e32 v26, 1.0, v26
	v_sub_f32_e32 v25, v21, v25
	v_add_f32_e32 v25, v25, v26
	v_frexp_mant_f32_e32 v28, v19
	v_cvt_f64_f32_e32 v[26:27], v19
	v_frexp_exp_i32_f64_e32 v26, v[26:27]
	v_cmp_gt_f32_e32 vcc, s0, v28
	s_mov_b32 s0, 0x3f317218
	s_nop 0
	v_subbrev_co_u32_e32 v34, vcc, 0, v26, vcc
	v_sub_u32_e32 v26, 0, v34
	v_ldexp_f32 v19, v19, v26
	v_ldexp_f32 v25, v25, v26
	v_add_f32_e32 v26, -1.0, v19
	v_add_f32_e32 v27, 1.0, v26
	v_sub_f32_e32 v27, v19, v27
	v_add_f32_e32 v28, v25, v27
	v_add_f32_e32 v27, 1.0, v19
	v_add_f32_e32 v29, -1.0, v27
	v_sub_f32_e32 v19, v19, v29
	v_add_f32_e32 v19, v25, v19
	v_add_f32_e32 v25, v27, v19
	v_rcp_f32_e32 v35, v25
	v_sub_f32_e32 v27, v27, v25
	v_add_f32_e32 v19, v19, v27
	v_add_f32_e32 v27, v26, v28
	v_sub_f32_e32 v26, v26, v27
	v_mul_f32_e32 v37, v27, v35
	v_add_f32_e32 v36, v28, v26
	v_mul_f32_e32 v28, v25, v37
	v_fma_f32 v30, v37, v25, -v28
	v_fmac_f32_e32 v30, v37, v19
	v_add_f32_e32 v26, v28, v30
	v_sub_f32_e32 v29, v27, v26
	v_pk_add_f32 v[32:33], v[26:27], v[28:29] neg_lo:[0,1] neg_hi:[0,1]
	v_mov_b32_e32 v31, v26
	v_pk_add_f32 v[26:27], v[32:33], v[30:31] neg_lo:[0,1] neg_hi:[0,1]
	s_nop 0
	v_add_f32_e32 v27, v36, v27
	v_add_f32_e32 v26, v26, v27
	;; [unrolled: 1-line block ×3, first 2 shown]
	v_mul_f32_e32 v36, v35, v27
	v_mul_f32_e32 v28, v25, v36
	v_fma_f32 v30, v36, v25, -v28
	v_fmac_f32_e32 v30, v36, v19
	v_sub_f32_e32 v19, v29, v27
	v_add_f32_e32 v19, v26, v19
	v_add_f32_e32 v26, v28, v30
	v_sub_f32_e32 v29, v27, v26
	v_pk_add_f32 v[32:33], v[26:27], v[28:29] neg_lo:[0,1] neg_hi:[0,1]
	v_mov_b32_e32 v31, v26
	v_pk_add_f32 v[26:27], v[32:33], v[30:31] neg_lo:[0,1] neg_hi:[0,1]
	scratch_load_dwordx2 v[30:31], off, off offset:196 ; 8-byte Folded Reload
	v_add_f32_e32 v19, v19, v27
	v_add_f32_e32 v19, v26, v19
	;; [unrolled: 1-line block ×4, first 2 shown]
	v_sub_f32_e32 v26, v25, v37
	v_mul_f32_e32 v19, v35, v19
	v_sub_f32_e32 v26, v36, v26
	v_add_f32_e32 v19, v26, v19
	v_add_f32_e32 v27, v25, v19
	v_mul_f32_e32 v28, v27, v27
	v_fmamk_f32 v26, v28, 0x3e9b6dac, v24
	s_waitcnt vmcnt(0)
	v_fmaak_f32 v31, v28, v26, 0x3f2aaada
	v_cvt_f32_i32_e32 v26, v34
	v_sub_f32_e32 v25, v27, v25
	v_ldexp_f32 v29, v27, 1
	v_mul_f32_e32 v27, v27, v28
	v_sub_f32_e32 v19, v19, v25
	v_ldexp_f32 v19, v19, 1
	v_mov_b32_e32 v24, v30
	v_pk_mul_f32 v[30:31], v[26:27], v[30:31]
	scratch_store_dwordx2 off, v[24:25], off offset:196 ; 8-byte Folded Spill
	v_fma_f32 v28, v26, s0, -v30
	v_fmac_f32_e32 v28, 0xb102e308, v26
	v_pk_add_f32 v[26:27], v[30:31], v[28:29]
	v_mov_b32_e32 v32, v30
	v_sub_f32_e32 v25, v27, v29
	v_sub_f32_e32 v25, v31, v25
	v_add_f32_e32 v33, v19, v25
	v_pk_add_f32 v[30:31], v[26:27], v[30:31] neg_lo:[0,1] neg_hi:[0,1]
	v_pk_add_f32 v[34:35], v[26:27], v[32:33]
	v_mov_b32_e32 v29, v26
	v_mov_b32_e32 v31, v35
	v_pk_add_f32 v[36:37], v[28:29], v[30:31] neg_lo:[0,1] neg_hi:[0,1]
	v_pk_add_f32 v[28:29], v[28:29], v[30:31]
	v_mov_b32_e32 v32, v33
	v_mov_b32_e32 v30, v29
	v_pk_add_f32 v[38:39], v[30:31], v[26:27] neg_lo:[0,1] neg_hi:[0,1]
	v_mov_b32_e32 v28, v35
	v_mov_b32_e32 v19, v38
	v_pk_add_f32 v[40:41], v[34:35], v[18:19] neg_lo:[0,1] neg_hi:[0,1]
	v_mov_b32_e32 v34, v27
	v_mov_b32_e32 v35, v38
	;; [unrolled: 1-line block ×3, first 2 shown]
	v_pk_add_f32 v[28:29], v[28:29], v[34:35] neg_lo:[0,1] neg_hi:[0,1]
	v_mov_b32_e32 v33, v26
	v_pk_add_f32 v[26:27], v[32:33], v[28:29] neg_lo:[0,1] neg_hi:[0,1]
	v_mov_b32_e32 v40, v36
	v_pk_add_f32 v[28:29], v[40:41], v[26:27]
	s_mov_b32 s0, 0x7f800000
	v_mov_b32_e32 v32, v29
	v_pk_add_f32 v[32:33], v[28:29], v[32:33]
	v_cmp_eq_f32_e32 vcc, s0, v21
	v_pk_add_f32 v[30:31], v[30:31], v[32:33]
	v_mov_b32_e32 v27, v32
	v_mov_b32_e32 v29, v30
	v_pk_add_f32 v[34:35], v[28:29], v[36:37] neg_lo:[0,1] neg_hi:[0,1]
	s_mov_b32 s0, 0x33800000
	v_sub_f32_e32 v19, v28, v34
	v_pk_add_f32 v[26:27], v[26:27], v[34:35] neg_lo:[0,1] neg_hi:[0,1]
	v_sub_f32_e32 v19, v36, v19
	v_add_f32_e32 v19, v26, v19
	v_add_f32_e32 v19, v19, v27
	v_cmp_gt_f32_e64 s[52:53], s0, v21
	v_add_f32_e32 v19, v30, v19
	s_or_b64 vcc, s[52:53], vcc
	v_cndmask_b32_e32 v27, v19, v21, vcc
.LBB148_107:                            ;   in Loop: Header=BB148_13 Depth=1
	s_or_b64 exec, exec, s[54:55]
	v_readlane_b32 s0, v95, 2
	s_waitcnt lgkmcnt(0)
	; wave barrier
	s_nop 0
	v_mul_f32_e32 v28, s0, v16
	v_mul_f32_e32 v31, s0, v15
	;; [unrolled: 1-line block ×16, first 2 shown]
	v_readlane_b32 s0, v95, 20
	v_readlane_b32 s1, v95, 21
	s_and_b64 vcc, exec, s[0:1]
	s_cbranch_vccz .LBB148_200
; %bb.108:                              ;   in Loop: Header=BB148_13 Depth=1
	v_writelane_b32 v95, s58, 52
	s_cmp_lg_u32 s7, 0
	s_cselect_b64 s[86:87], -1, 0
	v_writelane_b32 v95, s59, 53
	v_lshl_add_u64 v[44:45], s[58:59], 0, v[0:1]
	v_writelane_b32 v95, s8, 54
	s_mov_b32 s84, 0
	v_mul_f32_e32 v17, v17, v27
	v_lshl_add_u64 v[46:47], s[8:9], 0, v[0:1]
	v_mul_f32_e32 v0, v16, v82
	scratch_store_dword off, v0, off offset:68 ; 4-byte Folded Spill
	v_mul_f32_e32 v0, v15, v18
	scratch_store_dword off, v0, off offset:72 ; 4-byte Folded Spill
	;; [unrolled: 2-line block ×15, first 2 shown]
	scratch_load_dword v0, off, off offset:296 ; 4-byte Folded Reload
	v_writelane_b32 v95, s9, 55
	s_mov_b32 s90, s84
	v_readlane_b32 s0, v95, 26
	v_writelane_b32 v95, s7, 56
	s_cmp_eq_u32 s7, s0
	v_readlane_b32 s0, v95, 23
	v_readlane_b32 s1, v95, 24
	s_cselect_b64 s[88:89], -1, 0
	s_mov_b32 s92, s84
	s_mov_b32 s94, s84
	scratch_store_dword off, v17, off offset:64 ; 4-byte Folded Spill
	s_waitcnt vmcnt(1)
	v_cmp_gt_u32_e32 vcc, s82, v0
	scratch_load_dword v0, off, off offset:300 ; 4-byte Folded Reload
	s_or_b64 s[52:53], s[0:1], vcc
	s_waitcnt vmcnt(0)
	v_cmp_gt_u32_e32 vcc, s82, v0
	scratch_load_dword v0, off, off offset:304 ; 4-byte Folded Reload
	s_or_b64 s[54:55], s[0:1], vcc
	;; [unrolled: 4-line block ×15, first 2 shown]
	s_waitcnt vmcnt(0)
	v_cmp_gt_u32_e32 vcc, s82, v0
	s_or_b64 s[82:83], s[0:1], vcc
	v_readlane_b32 s0, v95, 19
	v_readlane_b32 s1, v95, 46
	s_branch .LBB148_110
.LBB148_109:                            ;   in Loop: Header=BB148_110 Depth=2
	s_or_b64 exec, exec, s[96:97]
	v_mul_f32_e32 v21, v19, v21
	v_fma_f32 v24, v19, v25, v50
	v_cndmask_b32_e64 v50, v24, v50, s[14:15]
	v_cndmask_b32_e64 v19, v21, v19, s[14:15]
	s_waitcnt lgkmcnt(0)
	v_fmac_f32_e32 v50, v66, v19
	v_fmac_f32_e32 v51, v50, v26
	;; [unrolled: 1-line block ×11, first 2 shown]
	v_readlane_b32 s4, v95, 35
	v_fmac_f32_e32 v61, v60, v91
	s_add_i32 s94, s94, s4
	v_readlane_b32 s4, v95, 27
	v_fmac_f32_e32 v56, v61, v92
	v_readlane_b32 s5, v95, 28
	v_readlane_b32 s6, v95, 29
	;; [unrolled: 1-line block ×7, first 2 shown]
	v_fmac_f32_e32 v57, v56, v93
	s_add_i32 s92, s92, s4
	v_readlane_b32 s4, v95, 7
	v_fmac_f32_e32 v48, v57, v80
	v_readlane_b32 s5, v95, 8
	v_readlane_b32 s8, v95, 11
	v_fmac_f32_e32 v49, v48, v94
	s_add_i32 s1, s1, 8
	s_add_i32 s0, s0, -1
	s_add_i32 s90, s90, s8
	s_add_i32 s84, s84, s5
	v_pk_fma_f32 v[42:43], v[16:17], v[50:51], v[42:43]
	v_pk_fma_f32 v[40:41], v[14:15], v[54:55], v[40:41]
	;; [unrolled: 1-line block ×7, first 2 shown]
	s_cmp_eq_u32 s0, 0
	v_pk_fma_f32 v[28:29], v[2:3], v[48:49], v[28:29]
	v_readlane_b32 s6, v95, 9
	v_readlane_b32 s7, v95, 10
	;; [unrolled: 1-line block ×5, first 2 shown]
	s_mov_b32 s93, s5
	s_mov_b32 s96, s8
	s_cbranch_scc1 .LBB148_199
.LBB148_110:                            ;   Parent Loop BB148_13 Depth=1
                                        ; =>  This Inner Loop Header: Depth=2
	s_lshl_b64 s[96:97], s[84:85], 2
	v_readlane_b32 s4, v95, 5
	s_add_u32 s96, s4, s96
	v_readlane_b32 s4, v95, 6
	s_addc_u32 s97, s4, s97
	global_load_dword v66, v1, s[96:97]
	s_mov_b32 s91, s85
	v_lshl_add_u64 v[2:3], s[90:91], 2, v[44:45]
	v_mov_b32_e32 v0, 0
	v_mov_b32_e32 v4, 0
	s_and_saveexec_b64 s[96:97], s[18:19]
	s_cbranch_execz .LBB148_112
; %bb.111:                              ;   in Loop: Header=BB148_110 Depth=2
	global_load_dword v4, v[2:3], off
.LBB148_112:                            ;   in Loop: Header=BB148_110 Depth=2
	s_or_b64 exec, exec, s[96:97]
	s_and_saveexec_b64 s[96:97], s[20:21]
	s_cbranch_execz .LBB148_114
; %bb.113:                              ;   in Loop: Header=BB148_110 Depth=2
	global_load_dword v0, v[2:3], off offset:256
.LBB148_114:                            ;   in Loop: Header=BB148_110 Depth=2
	s_or_b64 exec, exec, s[96:97]
	v_mov_b32_e32 v5, 0
	v_mov_b32_e32 v6, 0
	s_and_saveexec_b64 s[96:97], s[22:23]
	s_cbranch_execz .LBB148_116
; %bb.115:                              ;   in Loop: Header=BB148_110 Depth=2
	global_load_dword v6, v[2:3], off offset:512
.LBB148_116:                            ;   in Loop: Header=BB148_110 Depth=2
	s_or_b64 exec, exec, s[96:97]
	s_and_saveexec_b64 s[96:97], s[24:25]
	s_cbranch_execz .LBB148_118
; %bb.117:                              ;   in Loop: Header=BB148_110 Depth=2
	global_load_dword v5, v[2:3], off offset:768
.LBB148_118:                            ;   in Loop: Header=BB148_110 Depth=2
	s_or_b64 exec, exec, s[96:97]
	v_mov_b32_e32 v7, 0
	v_mov_b32_e32 v8, 0
	s_and_saveexec_b64 s[96:97], s[26:27]
	s_cbranch_execz .LBB148_120
; %bb.119:                              ;   in Loop: Header=BB148_110 Depth=2
	global_load_dword v8, v[2:3], off offset:1024
.LBB148_120:                            ;   in Loop: Header=BB148_110 Depth=2
	;; [unrolled: 14-line block ×7, first 2 shown]
	s_or_b64 exec, exec, s[96:97]
	s_and_saveexec_b64 s[96:97], s[50:51]
	s_cbranch_execz .LBB148_142
; %bb.141:                              ;   in Loop: Header=BB148_110 Depth=2
	global_load_dword v17, v[2:3], off offset:3840
.LBB148_142:                            ;   in Loop: Header=BB148_110 Depth=2
	s_or_b64 exec, exec, s[96:97]
	scratch_load_dword v2, off, off         ; 4-byte Folded Reload
	s_mov_b32 s93, s85
	s_waitcnt vmcnt(0)
	ds_write_b32 v2, v4
	scratch_load_dword v2, off, off offset:4 ; 4-byte Folded Reload
	v_mov_b32_e32 v4, 0
	s_waitcnt vmcnt(0)
	ds_write_b32 v2, v0 offset:256
	scratch_load_dword v0, off, off offset:8 ; 4-byte Folded Reload
	v_lshl_add_u64 v[2:3], s[92:93], 2, v[46:47]
	s_waitcnt vmcnt(0)
	ds_write_b32 v0, v6 offset:512
	scratch_load_dword v0, off, off offset:12 ; 4-byte Folded Reload
	s_waitcnt vmcnt(0)
	ds_write_b32 v0, v5 offset:768
	scratch_load_dword v0, off, off offset:16 ; 4-byte Folded Reload
	;; [unrolled: 3-line block ×13, first 2 shown]
	s_waitcnt vmcnt(0)
	ds_write_b32 v0, v17 offset:3840
	; wave barrier
	ds_read2_b32 v[50:51], v23 offset1:1
	ds_read2_b32 v[54:55], v23 offset0:2 offset1:3
	ds_read2_b32 v[58:59], v23 offset0:4 offset1:5
	;; [unrolled: 1-line block ×7, first 2 shown]
	v_mov_b32_e32 v0, 0
	s_and_saveexec_b64 s[96:97], s[18:19]
	s_cbranch_execz .LBB148_144
; %bb.143:                              ;   in Loop: Header=BB148_110 Depth=2
	global_load_dword v4, v[2:3], off
.LBB148_144:                            ;   in Loop: Header=BB148_110 Depth=2
	s_or_b64 exec, exec, s[96:97]
	s_and_saveexec_b64 s[96:97], s[20:21]
	s_cbranch_execz .LBB148_146
; %bb.145:                              ;   in Loop: Header=BB148_110 Depth=2
	global_load_dword v0, v[2:3], off offset:256
.LBB148_146:                            ;   in Loop: Header=BB148_110 Depth=2
	s_or_b64 exec, exec, s[96:97]
	v_mov_b32_e32 v5, 0
	v_mov_b32_e32 v6, 0
	s_and_saveexec_b64 s[96:97], s[22:23]
	s_cbranch_execz .LBB148_148
; %bb.147:                              ;   in Loop: Header=BB148_110 Depth=2
	global_load_dword v6, v[2:3], off offset:512
.LBB148_148:                            ;   in Loop: Header=BB148_110 Depth=2
	s_or_b64 exec, exec, s[96:97]
	s_and_saveexec_b64 s[96:97], s[24:25]
	s_cbranch_execz .LBB148_150
; %bb.149:                              ;   in Loop: Header=BB148_110 Depth=2
	global_load_dword v5, v[2:3], off offset:768
.LBB148_150:                            ;   in Loop: Header=BB148_110 Depth=2
	s_or_b64 exec, exec, s[96:97]
	v_mov_b32_e32 v7, 0
	v_mov_b32_e32 v8, 0
	s_and_saveexec_b64 s[96:97], s[26:27]
	s_cbranch_execz .LBB148_152
; %bb.151:                              ;   in Loop: Header=BB148_110 Depth=2
	global_load_dword v8, v[2:3], off offset:1024
.LBB148_152:                            ;   in Loop: Header=BB148_110 Depth=2
	;; [unrolled: 14-line block ×7, first 2 shown]
	s_or_b64 exec, exec, s[96:97]
	s_and_saveexec_b64 s[96:97], s[50:51]
	s_cbranch_execz .LBB148_174
; %bb.173:                              ;   in Loop: Header=BB148_110 Depth=2
	global_load_dword v17, v[2:3], off offset:3840
.LBB148_174:                            ;   in Loop: Header=BB148_110 Depth=2
	s_or_b64 exec, exec, s[96:97]
	scratch_load_dword v2, off, off         ; 4-byte Folded Reload
	s_andn2_b64 vcc, exec, s[86:87]
	s_waitcnt vmcnt(0)
	ds_write_b32 v2, v4 offset:4224
	scratch_load_dword v2, off, off offset:128 ; 4-byte Folded Reload
	s_waitcnt vmcnt(0)
	ds_write_b32 v2, v0 offset:256
	scratch_load_dword v0, off, off offset:132 ; 4-byte Folded Reload
	s_waitcnt vmcnt(0)
	ds_write_b32 v0, v6 offset:512
	scratch_load_dword v0, off, off offset:136 ; 4-byte Folded Reload
	s_waitcnt vmcnt(0)
	ds_write_b32 v0, v5 offset:768
	scratch_load_dword v0, off, off offset:140 ; 4-byte Folded Reload
	s_waitcnt vmcnt(0)
	ds_write_b32 v0, v8 offset:1024
	scratch_load_dword v0, off, off offset:144 ; 4-byte Folded Reload
	s_waitcnt vmcnt(0)
	ds_write_b32 v0, v7 offset:1280
	scratch_load_dword v0, off, off offset:148 ; 4-byte Folded Reload
	s_waitcnt vmcnt(0)
	ds_write_b32 v0, v10 offset:1536
	scratch_load_dword v0, off, off offset:152 ; 4-byte Folded Reload
	s_waitcnt vmcnt(0)
	ds_write_b32 v0, v9 offset:1792
	scratch_load_dword v0, off, off offset:156 ; 4-byte Folded Reload
	s_waitcnt vmcnt(0)
	ds_write_b32 v0, v12 offset:2048
	scratch_load_dword v0, off, off offset:160 ; 4-byte Folded Reload
	s_waitcnt vmcnt(0)
	ds_write_b32 v0, v11 offset:2304
	scratch_load_dword v0, off, off offset:164 ; 4-byte Folded Reload
	s_waitcnt vmcnt(0)
	ds_write_b32 v0, v14 offset:2560
	scratch_load_dword v0, off, off offset:168 ; 4-byte Folded Reload
	s_waitcnt vmcnt(0)
	ds_write_b32 v0, v13 offset:2816
	scratch_load_dword v0, off, off offset:172 ; 4-byte Folded Reload
	s_waitcnt vmcnt(0)
	ds_write_b32 v0, v16 offset:3072
	scratch_load_dword v0, off, off offset:176 ; 4-byte Folded Reload
	s_waitcnt vmcnt(0)
	ds_write_b32 v0, v15 offset:3328
	scratch_load_dword v0, off, off offset:180 ; 4-byte Folded Reload
	s_waitcnt vmcnt(0)
	ds_write_b32 v0, v19 offset:3584
	scratch_load_dword v0, off, off offset:184 ; 4-byte Folded Reload
	s_waitcnt vmcnt(0)
	ds_write_b32 v0, v17 offset:3840
	; wave barrier
	scratch_load_dword v2, off, off offset:188 ; 4-byte Folded Reload
	v_add_u32_e32 v0, 0x1080, v23
	s_waitcnt vmcnt(0)
	ds_read2_b32 v[14:15], v2 offset0:2 offset1:3
	ds_read2_b32 v[12:13], v2 offset0:4 offset1:5
	;; [unrolled: 1-line block ×6, first 2 shown]
	ds_read2_b32 v[16:17], v0 offset1:1
	ds_read2_b32 v[2:3], v2 offset0:14 offset1:15
	s_cbranch_vccnz .LBB148_176
; %bb.175:                              ;   in Loop: Header=BB148_110 Depth=2
	v_mov_b32_e32 v0, s1
	ds_read_b64 v[52:53], v0
	s_cbranch_execz .LBB148_177
	s_branch .LBB148_180
.LBB148_176:                            ;   in Loop: Header=BB148_110 Depth=2
                                        ; implicit-def: $vgpr53
.LBB148_177:                            ;   in Loop: Header=BB148_110 Depth=2
	v_readlane_b32 s96, v95, 0
	v_readlane_b32 s97, v95, 1
	s_andn2_b64 vcc, exec, s[96:97]
	s_waitcnt lgkmcnt(0)
	v_mov_b32_e32 v53, 0
	s_cbranch_vccnz .LBB148_179
; %bb.178:                              ;   in Loop: Header=BB148_110 Depth=2
	s_mov_b32 s95, s85
	s_lshl_b64 s[96:97], s[94:95], 2
	v_readlane_b32 s4, v95, 15
	s_add_u32 s96, s4, s96
	v_readlane_b32 s4, v95, 16
	s_addc_u32 s97, s4, s97
	global_load_dword v53, v1, s[96:97]
.LBB148_179:                            ;   in Loop: Header=BB148_110 Depth=2
	v_mov_b32_e32 v52, 1.0
.LBB148_180:                            ;   in Loop: Header=BB148_110 Depth=2
	scratch_load_dword v19, off, off offset:124 ; 4-byte Folded Reload
	v_mul_f32_e32 v66, 0x3fb8aa3b, v66
	v_mul_f32_e32 v0, v66, v70
	v_cmp_gt_f32_e32 vcc, s33, v0
	v_mul_f32_e32 v25, v66, v72
	v_readlane_b32 s4, v95, 36
	v_cndmask_b32_e32 v0, 0, v68, vcc
	v_fmac_f32_e32 v0, v66, v70
	v_exp_f32_e32 v0, v0
	v_cndmask_b32_e32 v21, 1.0, v69, vcc
	v_readlane_b32 s5, v95, 37
	scratch_load_dword v24, off, off offset:108 ; 4-byte Folded Reload
	v_mul_f32_e32 v0, v0, v21
	v_mul_f32_e32 v21, v66, v71
	v_cmp_gt_f32_e32 vcc, s33, v21
	s_waitcnt vmcnt(1) lgkmcnt(14)
	v_mul_f32_e32 v19, v50, v19
	v_cndmask_b32_e32 v21, 0, v68, vcc
	v_fmac_f32_e32 v21, v66, v71
	v_exp_f32_e32 v21, v21
	v_cndmask_b32_e64 v50, 0, v19, s[52:53]
	v_cndmask_b32_e64 v19, 1.0, v0, s[52:53]
	v_cndmask_b32_e32 v0, 1.0, v69, vcc
	v_mul_f32_e32 v0, v21, v0
	scratch_load_dword v21, off, off offset:120 ; 4-byte Folded Reload
	v_cmp_gt_f32_e32 vcc, s33, v25
	v_cndmask_b32_e64 v26, 1.0, v0, s[54:55]
	s_waitcnt vmcnt(0)
	v_mul_f32_e32 v21, v51, v21
	v_cndmask_b32_e64 v51, 0, v21, s[54:55]
	scratch_load_dword v21, off, off offset:116 ; 4-byte Folded Reload
	v_cndmask_b32_e32 v25, 0, v68, vcc
	v_fmac_f32_e32 v25, v66, v72
	v_exp_f32_e32 v25, v25
	v_cndmask_b32_e32 v0, 1.0, v69, vcc
	v_mul_f32_e32 v0, v25, v0
	v_mul_f32_e32 v25, v66, v73
	v_cmp_gt_f32_e32 vcc, s33, v25
	v_cndmask_b32_e64 v83, 1.0, v0, s[56:57]
	s_waitcnt vmcnt(0)
	v_mul_f32_e32 v21, v54, v21
	v_cndmask_b32_e64 v54, 0, v21, s[56:57]
	scratch_load_dword v21, off, off offset:112 ; 4-byte Folded Reload
	v_cndmask_b32_e32 v25, 0, v68, vcc
	v_fmac_f32_e32 v25, v66, v73
	v_exp_f32_e32 v25, v25
	v_cndmask_b32_e32 v0, 1.0, v69, vcc
	v_mul_f32_e32 v0, v25, v0
	v_mul_f32_e32 v25, v66, v74
	v_cmp_gt_f32_e32 vcc, s33, v25
	v_cndmask_b32_e64 v0, 1.0, v0, s[58:59]
	s_waitcnt vmcnt(0)
	v_mul_f32_e32 v21, v55, v21
	v_cndmask_b32_e32 v25, 0, v68, vcc
	v_fmac_f32_e32 v25, v66, v74
	v_exp_f32_e32 v25, v25
	v_cndmask_b32_e64 v55, 0, v21, s[58:59]
	v_cndmask_b32_e32 v21, 1.0, v69, vcc
	v_mul_f32_e32 v21, v25, v21
	v_mul_f32_e32 v25, v58, v24
	scratch_load_dword v24, off, off offset:104 ; 4-byte Folded Reload
	v_mul_f32_e32 v58, v66, v75
	v_cmp_gt_f32_e32 vcc, s33, v58
	v_cndmask_b32_e64 v84, 1.0, v21, s[60:61]
	s_nop 0
	v_cndmask_b32_e32 v58, 0, v68, vcc
	v_fmac_f32_e32 v58, v66, v75
	v_exp_f32_e32 v67, v58
	v_cndmask_b32_e64 v58, 0, v25, s[60:61]
	v_cndmask_b32_e32 v21, 1.0, v69, vcc
	v_mul_f32_e32 v21, v67, v21
	v_cndmask_b32_e64 v85, 1.0, v21, s[62:63]
	s_waitcnt vmcnt(0)
	v_mul_f32_e32 v25, v59, v24
	scratch_load_dword v24, off, off offset:100 ; 4-byte Folded Reload
	v_mul_f32_e32 v59, v66, v76
	v_cmp_gt_f32_e32 vcc, s33, v59
	s_nop 1
	v_cndmask_b32_e32 v59, 0, v68, vcc
	v_fmac_f32_e32 v59, v66, v76
	v_exp_f32_e32 v67, v59
	v_cndmask_b32_e64 v59, 0, v25, s[62:63]
	v_cndmask_b32_e32 v21, 1.0, v69, vcc
	v_mul_f32_e32 v21, v67, v21
	v_cndmask_b32_e64 v86, 1.0, v21, s[64:65]
	s_waitcnt vmcnt(0)
	v_mul_f32_e32 v25, v62, v24
	scratch_load_dword v24, off, off offset:96 ; 4-byte Folded Reload
	v_mul_f32_e32 v62, v66, v77
	v_cmp_gt_f32_e32 vcc, s33, v62
	;; [unrolled: 13-line block ×10, first 2 shown]
	s_nop 1
	v_cndmask_b32_e32 v48, 0, v68, vcc
	v_fmac_f32_e32 v48, v66, v27
	v_exp_f32_e32 v66, v48
	v_cndmask_b32_e32 v21, 1.0, v69, vcc
	v_cndmask_b32_e64 v48, 0, v25, s[80:81]
	v_mul_f32_e32 v21, v66, v21
	v_cndmask_b32_e64 v94, 1.0, v21, s[82:83]
	v_mul_f32_e32 v21, v26, v19
	v_mul_f32_e32 v21, v21, v83
	;; [unrolled: 1-line block ×15, first 2 shown]
	s_waitcnt vmcnt(0)
	v_mul_f32_e32 v25, v49, v24
	v_cndmask_b32_e64 v49, 0, v25, s[82:83]
	v_fma_f32 v25, v26, v50, v51
	v_fma_f32 v25, v25, v83, v54
	;; [unrolled: 1-line block ×15, first 2 shown]
	s_nop 0
	v_mov_b32_dpp v25, v66 row_shr:1 row_mask:0xf bank_mask:0xf
	v_mov_b32_dpp v21, v24 row_shr:1 row_mask:0xf bank_mask:0xf
	s_and_saveexec_b64 s[96:97], s[4:5]
; %bb.181:                              ;   in Loop: Header=BB148_110 Depth=2
	v_mul_f32_e32 v25, v66, v25
	v_fmac_f32_e32 v24, v66, v21
	v_mov_b32_e32 v66, v25
; %bb.182:                              ;   in Loop: Header=BB148_110 Depth=2
	s_or_b64 exec, exec, s[96:97]
	v_readlane_b32 s4, v95, 38
	v_mov_b32_dpp v21, v66 row_shr:2 row_mask:0xf bank_mask:0xf
	v_mov_b32_dpp v25, v24 row_shr:2 row_mask:0xf bank_mask:0xf
	v_readlane_b32 s5, v95, 39
	s_and_saveexec_b64 s[96:97], s[4:5]
; %bb.183:                              ;   in Loop: Header=BB148_110 Depth=2
	v_fmac_f32_e32 v24, v66, v25
	v_mul_f32_e32 v66, v66, v21
; %bb.184:                              ;   in Loop: Header=BB148_110 Depth=2
	s_or_b64 exec, exec, s[96:97]
	v_readlane_b32 s4, v95, 40
	v_mov_b32_dpp v21, v66 row_shr:4 row_mask:0xf bank_mask:0xf
	v_mov_b32_dpp v25, v24 row_shr:4 row_mask:0xf bank_mask:0xf
	v_readlane_b32 s5, v95, 41
	s_and_saveexec_b64 s[96:97], s[4:5]
; %bb.185:                              ;   in Loop: Header=BB148_110 Depth=2
	v_fmac_f32_e32 v24, v66, v25
	v_mul_f32_e32 v66, v66, v21
; %bb.186:                              ;   in Loop: Header=BB148_110 Depth=2
	s_or_b64 exec, exec, s[96:97]
	v_readlane_b32 s4, v95, 42
	v_mov_b32_dpp v21, v66 row_shr:8 row_mask:0xf bank_mask:0xf
	v_mov_b32_dpp v25, v24 row_shr:8 row_mask:0xf bank_mask:0xf
	v_readlane_b32 s5, v95, 43
	s_and_saveexec_b64 s[96:97], s[4:5]
; %bb.187:                              ;   in Loop: Header=BB148_110 Depth=2
	v_fmac_f32_e32 v24, v66, v25
	v_mul_f32_e32 v66, v66, v21
; %bb.188:                              ;   in Loop: Header=BB148_110 Depth=2
	s_or_b64 exec, exec, s[96:97]
	s_nop 0
	v_mov_b32_dpp v21, v66 row_bcast:15 row_mask:0xf bank_mask:0xf
	v_mov_b32_dpp v25, v24 row_bcast:15 row_mask:0xf bank_mask:0xf
	s_and_saveexec_b64 s[96:97], s[2:3]
; %bb.189:                              ;   in Loop: Header=BB148_110 Depth=2
	v_fmac_f32_e32 v24, v66, v25
	v_mul_f32_e32 v66, v66, v21
; %bb.190:                              ;   in Loop: Header=BB148_110 Depth=2
	s_or_b64 exec, exec, s[96:97]
	s_nop 0
	v_mov_b32_dpp v21, v66 row_bcast:31 row_mask:0xf bank_mask:0xf
	v_mov_b32_dpp v25, v24 row_bcast:31 row_mask:0xf bank_mask:0xf
	v_mov_b32_e32 v67, v24
	v_mul_f32_e32 v21, v66, v21
	v_fmac_f32_e32 v67, v66, v25
	v_readlane_b32 s4, v95, 44
	v_cndmask_b32_e64 v66, v66, v21, s[16:17]
	v_cndmask_b32_e64 v67, v24, v67, s[16:17]
	v_readlane_b32 s5, v95, 45
	s_and_saveexec_b64 s[96:97], s[4:5]
	s_cbranch_execz .LBB148_192
; %bb.191:                              ;   in Loop: Header=BB148_110 Depth=2
	ds_write_b64 v1, v[66:67] offset:8448
.LBB148_192:                            ;   in Loop: Header=BB148_110 Depth=2
	s_or_b64 exec, exec, s[96:97]
	scratch_load_dword v24, off, off offset:192 ; 4-byte Folded Reload
	s_waitcnt lgkmcnt(0)
	; wave barrier
	s_waitcnt vmcnt(0) lgkmcnt(0)
	ds_bpermute_b32 v21, v24, v66
	ds_bpermute_b32 v25, v24, v67
	v_mov_b32_e32 v67, v53
	s_and_saveexec_b64 s[96:97], s[12:13]
	s_cbranch_execz .LBB148_196
; %bb.193:                              ;   in Loop: Header=BB148_110 Depth=2
	ds_read_b64 v[66:67], v1 offset:8448
	s_and_saveexec_b64 s[98:99], s[14:15]
	s_cbranch_execz .LBB148_195
; %bb.194:                              ;   in Loop: Header=BB148_110 Depth=2
	ds_write_b64 v1, v[52:53] offset:8448
.LBB148_195:                            ;   in Loop: Header=BB148_110 Depth=2
	s_or_b64 exec, exec, s[98:99]
	s_waitcnt lgkmcnt(0)
	v_fmac_f32_e32 v67, v53, v66
	v_mul_f32_e32 v52, v52, v66
	v_mov_b32_e32 v53, v67
.LBB148_196:                            ;   in Loop: Header=BB148_110 Depth=2
	s_or_b64 exec, exec, s[96:97]
	s_waitcnt lgkmcnt(0)
	; wave barrier
	s_waitcnt lgkmcnt(0)
	ds_read_b32 v66, v1 offset:8452
	s_and_saveexec_b64 s[96:97], s[14:15]
	s_cbranch_execz .LBB148_109
; %bb.197:                              ;   in Loop: Header=BB148_110 Depth=2
	v_mov_b32_e32 v24, s1
	s_andn2_b64 vcc, exec, s[88:89]
	ds_write_b64 v24, v[52:53]
	s_cbranch_vccnz .LBB148_109
; %bb.198:                              ;   in Loop: Header=BB148_110 Depth=2
	s_mov_b32 s95, s85
	s_lshl_b64 s[98:99], s[94:95], 2
	v_readlane_b32 s4, v95, 15
	s_add_u32 s98, s4, s98
	v_readlane_b32 s4, v95, 16
	s_addc_u32 s99, s4, s99
	global_store_dword v1, v67, s[98:99]
	s_branch .LBB148_109
.LBB148_199:                            ;   in Loop: Header=BB148_13 Depth=1
	v_readlane_b32 s58, v95, 52
	v_readlane_b32 s8, v95, 54
	;; [unrolled: 1-line block ×6, first 2 shown]
.LBB148_200:                            ;   in Loop: Header=BB148_13 Depth=1
	s_waitcnt lgkmcnt(0)
	; wave barrier
	ds_write2_b32 v23, v42, v43 offset1:1
	ds_write2_b32 v23, v40, v41 offset0:2 offset1:3
	ds_write2_b32 v23, v38, v39 offset0:4 offset1:5
	;; [unrolled: 1-line block ×7, first 2 shown]
	; wave barrier
	scratch_load_dword v0, off, off offset:4 ; 4-byte Folded Reload
	scratch_load_dwordx2 v[2:3], off, off offset:272 ; 8-byte Folded Reload
	v_readlane_b32 s0, v95, 48
	v_readlane_b32 s1, v95, 49
	s_mov_b32 s1, s85
	s_mov_b64 s[10:11], s[0:1]
	s_waitcnt vmcnt(1)
	ds_read_b32 v17, v0 offset:256
	scratch_load_dword v0, off, off offset:8 ; 4-byte Folded Reload
	s_waitcnt vmcnt(1)
	v_lshl_add_u64 v[2:3], s[0:1], 2, v[2:3]
	s_waitcnt vmcnt(0)
	ds_read_b32 v16, v0 offset:512
	scratch_load_dword v0, off, off offset:12 ; 4-byte Folded Reload
	s_waitcnt vmcnt(0)
	ds_read_b32 v15, v0 offset:768
	scratch_load_dword v0, off, off offset:16 ; 4-byte Folded Reload
	s_waitcnt vmcnt(0)
	ds_read_b32 v14, v0 offset:1024
	scratch_load_dword v0, off, off offset:20 ; 4-byte Folded Reload
	s_waitcnt vmcnt(0)
	ds_read_b32 v13, v0 offset:1280
	scratch_load_dword v0, off, off offset:24 ; 4-byte Folded Reload
	s_waitcnt vmcnt(0)
	ds_read_b32 v12, v0 offset:1536
	scratch_load_dword v0, off, off offset:28 ; 4-byte Folded Reload
	s_waitcnt vmcnt(0)
	ds_read_b32 v11, v0 offset:1792
	scratch_load_dword v0, off, off offset:32 ; 4-byte Folded Reload
	s_waitcnt vmcnt(0)
	ds_read_b32 v10, v0 offset:2048
	scratch_load_dword v0, off, off offset:36 ; 4-byte Folded Reload
	s_waitcnt vmcnt(0)
	ds_read_b32 v9, v0 offset:2304
	scratch_load_dword v0, off, off offset:40 ; 4-byte Folded Reload
	s_waitcnt vmcnt(0)
	ds_read_b32 v8, v0 offset:2560
	scratch_load_dword v0, off, off offset:44 ; 4-byte Folded Reload
	s_waitcnt vmcnt(0)
	ds_read_b32 v7, v0 offset:2816
	scratch_load_dword v0, off, off offset:48 ; 4-byte Folded Reload
	s_waitcnt vmcnt(0)
	ds_read_b32 v6, v0 offset:3072
	scratch_load_dword v0, off, off offset:52 ; 4-byte Folded Reload
	s_waitcnt vmcnt(0)
	ds_read_b32 v5, v0 offset:3328
	scratch_load_dword v0, off, off offset:56 ; 4-byte Folded Reload
	s_waitcnt vmcnt(0)
	ds_read_b32 v4, v0 offset:3584
	scratch_load_dword v0, off, off offset:60 ; 4-byte Folded Reload
	s_waitcnt vmcnt(0)
	ds_read_b32 v0, v0 offset:3840
	s_and_saveexec_b64 s[52:53], s[18:19]
	s_cbranch_execnz .LBB148_252
; %bb.201:                              ;   in Loop: Header=BB148_13 Depth=1
	s_or_b64 exec, exec, s[52:53]
	s_and_saveexec_b64 s[52:53], s[20:21]
	s_cbranch_execnz .LBB148_253
.LBB148_202:                            ;   in Loop: Header=BB148_13 Depth=1
	s_or_b64 exec, exec, s[52:53]
	s_and_saveexec_b64 s[52:53], s[22:23]
	s_cbranch_execnz .LBB148_254
.LBB148_203:                            ;   in Loop: Header=BB148_13 Depth=1
	s_or_b64 exec, exec, s[52:53]
	s_and_saveexec_b64 s[52:53], s[24:25]
	s_cbranch_execnz .LBB148_255
.LBB148_204:                            ;   in Loop: Header=BB148_13 Depth=1
	s_or_b64 exec, exec, s[52:53]
	s_and_saveexec_b64 s[52:53], s[26:27]
	s_cbranch_execnz .LBB148_256
.LBB148_205:                            ;   in Loop: Header=BB148_13 Depth=1
	s_or_b64 exec, exec, s[52:53]
	s_and_saveexec_b64 s[52:53], s[28:29]
	s_cbranch_execnz .LBB148_257
.LBB148_206:                            ;   in Loop: Header=BB148_13 Depth=1
	s_or_b64 exec, exec, s[52:53]
	s_and_saveexec_b64 s[52:53], s[30:31]
	s_cbranch_execnz .LBB148_258
.LBB148_207:                            ;   in Loop: Header=BB148_13 Depth=1
	s_or_b64 exec, exec, s[52:53]
	s_and_saveexec_b64 s[52:53], s[34:35]
	s_cbranch_execnz .LBB148_259
.LBB148_208:                            ;   in Loop: Header=BB148_13 Depth=1
	s_or_b64 exec, exec, s[52:53]
	s_and_saveexec_b64 s[52:53], s[36:37]
	s_cbranch_execnz .LBB148_260
.LBB148_209:                            ;   in Loop: Header=BB148_13 Depth=1
	s_or_b64 exec, exec, s[52:53]
	s_and_saveexec_b64 s[52:53], s[38:39]
	s_cbranch_execnz .LBB148_261
.LBB148_210:                            ;   in Loop: Header=BB148_13 Depth=1
	s_or_b64 exec, exec, s[52:53]
	s_and_saveexec_b64 s[52:53], s[40:41]
	s_cbranch_execnz .LBB148_262
.LBB148_211:                            ;   in Loop: Header=BB148_13 Depth=1
	s_or_b64 exec, exec, s[52:53]
	s_and_saveexec_b64 s[52:53], s[42:43]
	s_cbranch_execnz .LBB148_263
.LBB148_212:                            ;   in Loop: Header=BB148_13 Depth=1
	s_or_b64 exec, exec, s[52:53]
	s_and_saveexec_b64 s[52:53], s[44:45]
	s_cbranch_execnz .LBB148_264
.LBB148_213:                            ;   in Loop: Header=BB148_13 Depth=1
	s_or_b64 exec, exec, s[52:53]
	s_and_saveexec_b64 s[52:53], s[46:47]
	s_cbranch_execnz .LBB148_265
.LBB148_214:                            ;   in Loop: Header=BB148_13 Depth=1
	s_or_b64 exec, exec, s[52:53]
	s_and_saveexec_b64 s[52:53], s[48:49]
	s_cbranch_execnz .LBB148_266
.LBB148_215:                            ;   in Loop: Header=BB148_13 Depth=1
	s_or_b64 exec, exec, s[52:53]
	s_and_saveexec_b64 s[52:53], s[50:51]
	s_cbranch_execz .LBB148_217
.LBB148_216:                            ;   in Loop: Header=BB148_13 Depth=1
	s_waitcnt lgkmcnt(0)
	global_store_dword v[2:3], v0, off offset:3840
.LBB148_217:                            ;   in Loop: Header=BB148_13 Depth=1
	s_or_b64 exec, exec, s[52:53]
	s_waitcnt lgkmcnt(0)
	; wave barrier
	s_waitcnt lgkmcnt(0)
	scratch_load_dwordx2 v[2:3], off, off offset:280 ; 8-byte Folded Reload
	s_mov_b32 s84, s85
	s_mov_b32 s86, s85
	;; [unrolled: 1-line block ×15, first 2 shown]
	v_mov_b32_e32 v0, 0
	s_waitcnt vmcnt(0)
	v_lshl_add_u64 v[44:45], s[10:11], 2, v[2:3]
	v_mov_b64_e32 v[2:3], s[84:85]
	v_mov_b64_e32 v[4:5], s[86:87]
	;; [unrolled: 1-line block ×8, first 2 shown]
	s_and_saveexec_b64 s[52:53], s[18:19]
	s_cbranch_execnz .LBB148_267
; %bb.218:                              ;   in Loop: Header=BB148_13 Depth=1
	s_or_b64 exec, exec, s[52:53]
	s_and_saveexec_b64 s[52:53], s[20:21]
	s_cbranch_execnz .LBB148_268
.LBB148_219:                            ;   in Loop: Header=BB148_13 Depth=1
	s_or_b64 exec, exec, s[52:53]
	s_and_saveexec_b64 s[52:53], s[22:23]
	s_cbranch_execnz .LBB148_269
.LBB148_220:                            ;   in Loop: Header=BB148_13 Depth=1
	s_or_b64 exec, exec, s[52:53]
	s_and_saveexec_b64 s[52:53], s[24:25]
	s_cbranch_execnz .LBB148_270
.LBB148_221:                            ;   in Loop: Header=BB148_13 Depth=1
	s_or_b64 exec, exec, s[52:53]
	s_and_saveexec_b64 s[52:53], s[26:27]
	s_cbranch_execnz .LBB148_271
.LBB148_222:                            ;   in Loop: Header=BB148_13 Depth=1
	s_or_b64 exec, exec, s[52:53]
	s_and_saveexec_b64 s[52:53], s[28:29]
	s_cbranch_execnz .LBB148_272
.LBB148_223:                            ;   in Loop: Header=BB148_13 Depth=1
	s_or_b64 exec, exec, s[52:53]
	s_and_saveexec_b64 s[52:53], s[30:31]
	s_cbranch_execnz .LBB148_273
.LBB148_224:                            ;   in Loop: Header=BB148_13 Depth=1
	s_or_b64 exec, exec, s[52:53]
	s_and_saveexec_b64 s[52:53], s[34:35]
	s_cbranch_execnz .LBB148_274
.LBB148_225:                            ;   in Loop: Header=BB148_13 Depth=1
	s_or_b64 exec, exec, s[52:53]
	s_and_saveexec_b64 s[52:53], s[36:37]
	s_cbranch_execnz .LBB148_275
.LBB148_226:                            ;   in Loop: Header=BB148_13 Depth=1
	s_or_b64 exec, exec, s[52:53]
	s_and_saveexec_b64 s[52:53], s[38:39]
	s_cbranch_execnz .LBB148_276
.LBB148_227:                            ;   in Loop: Header=BB148_13 Depth=1
	s_or_b64 exec, exec, s[52:53]
	s_and_saveexec_b64 s[52:53], s[40:41]
	s_cbranch_execnz .LBB148_277
.LBB148_228:                            ;   in Loop: Header=BB148_13 Depth=1
	s_or_b64 exec, exec, s[52:53]
	s_and_saveexec_b64 s[52:53], s[42:43]
	s_cbranch_execnz .LBB148_278
.LBB148_229:                            ;   in Loop: Header=BB148_13 Depth=1
	s_or_b64 exec, exec, s[52:53]
	s_and_saveexec_b64 s[52:53], s[44:45]
	s_cbranch_execnz .LBB148_279
.LBB148_230:                            ;   in Loop: Header=BB148_13 Depth=1
	s_or_b64 exec, exec, s[52:53]
	s_and_saveexec_b64 s[52:53], s[46:47]
	s_cbranch_execnz .LBB148_280
.LBB148_231:                            ;   in Loop: Header=BB148_13 Depth=1
	s_or_b64 exec, exec, s[52:53]
	s_and_saveexec_b64 s[52:53], s[48:49]
	s_cbranch_execnz .LBB148_281
.LBB148_232:                            ;   in Loop: Header=BB148_13 Depth=1
	s_or_b64 exec, exec, s[52:53]
	s_and_saveexec_b64 s[52:53], s[50:51]
	s_cbranch_execz .LBB148_234
.LBB148_233:                            ;   in Loop: Header=BB148_13 Depth=1
	global_load_dword v17, v[44:45], off offset:3840
.LBB148_234:                            ;   in Loop: Header=BB148_13 Depth=1
	s_or_b64 exec, exec, s[52:53]
	scratch_load_dword v2, off, off         ; 4-byte Folded Reload
	scratch_load_dword v24, off, off offset:4 ; 4-byte Folded Reload
	scratch_load_dword v26, off, off offset:8 ; 4-byte Folded Reload
	scratch_load_dword v27, off, off offset:12 ; 4-byte Folded Reload
	scratch_load_dword v44, off, off offset:16 ; 4-byte Folded Reload
	scratch_load_dword v45, off, off offset:20 ; 4-byte Folded Reload
	scratch_load_dword v46, off, off offset:24 ; 4-byte Folded Reload
	scratch_load_dword v47, off, off offset:28 ; 4-byte Folded Reload
	scratch_load_dword v48, off, off offset:32 ; 4-byte Folded Reload
	scratch_load_dword v49, off, off offset:36 ; 4-byte Folded Reload
	scratch_load_dword v50, off, off offset:40 ; 4-byte Folded Reload
	scratch_load_dword v51, off, off offset:44 ; 4-byte Folded Reload
	scratch_load_dword v52, off, off offset:48 ; 4-byte Folded Reload
	scratch_load_dword v53, off, off offset:52 ; 4-byte Folded Reload
	scratch_load_dword v54, off, off offset:56 ; 4-byte Folded Reload
	scratch_load_dword v55, off, off offset:60 ; 4-byte Folded Reload
	s_mov_b32 s4, 0xbfb8aa3b
	s_mov_b32 s5, 0x42ce8ed0
	;; [unrolled: 1-line block ×3, first 2 shown]
	v_mov_b32_e32 v22, 0x7f800000
	v_mov_b32_e32 v56, 0x7f800000
	s_waitcnt vmcnt(15)
	ds_write_b32 v2, v0
	s_waitcnt vmcnt(14)
	ds_write_b32 v24, v3 offset:256
	s_waitcnt vmcnt(13)
	ds_write_b32 v26, v4 offset:512
	;; [unrolled: 2-line block ×15, first 2 shown]
	; wave barrier
	ds_read2_b32 v[2:3], v23 offset1:1
	s_waitcnt lgkmcnt(0)
	v_mul_f32_e32 v0, 0xbfb8aa3b, v3
	v_rndne_f32_e32 v4, v0
	v_sub_f32_e32 v5, v0, v4
	v_fma_f32 v0, v3, s4, -v0
	v_fmac_f32_e32 v0, 0xb2a5705f, v3
	v_add_f32_e32 v0, v5, v0
	v_exp_f32_e32 v0, v0
	v_cvt_i32_f32_e32 v4, v4
	v_cmp_nlt_f32_e32 vcc, s5, v3
	v_ldexp_f32 v0, v0, v4
	s_nop 0
	v_cndmask_b32_e32 v0, 0, v0, vcc
	v_cmp_ngt_f32_e32 vcc, s6, v3
	s_nop 1
	v_cndmask_b32_e32 v5, v22, v0, vcc
	v_mul_f32_e32 v0, 0xbfb8aa3b, v2
	v_rndne_f32_e32 v4, v0
	v_sub_f32_e32 v6, v0, v4
	v_fma_f32 v0, v2, s4, -v0
	v_fmac_f32_e32 v0, 0xb2a5705f, v2
	v_add_f32_e32 v0, v6, v0
	v_exp_f32_e32 v0, v0
	v_cvt_i32_f32_e32 v4, v4
	v_cmp_nlt_f32_e32 vcc, s5, v2
	v_ldexp_f32 v0, v0, v4
	s_nop 0
	v_cndmask_b32_e32 v0, 0, v0, vcc
	v_cmp_ngt_f32_e32 vcc, s6, v2
	s_nop 1
	v_cndmask_b32_e32 v4, v22, v0, vcc
	v_pk_add_f32 v[4:5], v[4:5], 1.0 op_sel_hi:[1,0]
	s_nop 0
	v_div_scale_f32 v0, s[0:1], v5, v5, v3
	v_rcp_f32_e32 v6, v0
	s_nop 0
	v_fma_f32 v7, -v0, v6, 1.0
	v_fmac_f32_e32 v6, v7, v6
	v_div_scale_f32 v7, vcc, v3, v5, v3
	v_mul_f32_e32 v8, v7, v6
	v_fma_f32 v9, -v0, v8, v7
	v_fmac_f32_e32 v8, v9, v6
	v_fma_f32 v0, -v0, v8, v7
	v_div_fmas_f32 v0, v0, v6, v8
	v_div_fixup_f32 v3, v0, v5, v3
	v_div_scale_f32 v0, s[0:1], v4, v4, v2
	v_rcp_f32_e32 v5, v0
	s_nop 0
	v_fma_f32 v6, -v0, v5, 1.0
	v_fmac_f32_e32 v5, v6, v5
	v_div_scale_f32 v6, vcc, v2, v4, v2
	v_mul_f32_e32 v7, v6, v5
	v_fma_f32 v8, -v0, v7, v6
	v_fmac_f32_e32 v7, v8, v5
	v_fma_f32 v0, -v0, v7, v6
	v_div_fmas_f32 v0, v0, v5, v7
	v_div_fixup_f32 v2, v0, v4, v2
	ds_read2_b32 v[4:5], v23 offset0:2 offset1:3
	v_pk_mul_f32 v[2:3], v[2:3], v[42:43]
	s_waitcnt lgkmcnt(0)
	v_mul_f32_e32 v0, 0xbfb8aa3b, v5
	v_rndne_f32_e32 v6, v0
	v_sub_f32_e32 v7, v0, v6
	v_fma_f32 v0, v5, s4, -v0
	v_fmac_f32_e32 v0, 0xb2a5705f, v5
	v_add_f32_e32 v0, v7, v0
	v_exp_f32_e32 v0, v0
	v_cvt_i32_f32_e32 v6, v6
	v_cmp_nlt_f32_e32 vcc, s5, v5
	v_ldexp_f32 v0, v0, v6
	s_nop 0
	v_cndmask_b32_e32 v0, 0, v0, vcc
	v_cmp_ngt_f32_e32 vcc, s6, v5
	s_nop 1
	v_cndmask_b32_e32 v7, v22, v0, vcc
	v_mul_f32_e32 v0, 0xbfb8aa3b, v4
	v_rndne_f32_e32 v6, v0
	v_sub_f32_e32 v8, v0, v6
	v_fma_f32 v0, v4, s4, -v0
	v_fmac_f32_e32 v0, 0xb2a5705f, v4
	v_add_f32_e32 v0, v8, v0
	v_exp_f32_e32 v0, v0
	v_cvt_i32_f32_e32 v6, v6
	v_cmp_nlt_f32_e32 vcc, s5, v4
	v_ldexp_f32 v0, v0, v6
	s_nop 0
	v_cndmask_b32_e32 v0, 0, v0, vcc
	v_cmp_ngt_f32_e32 vcc, s6, v4
	s_nop 1
	v_cndmask_b32_e32 v6, v22, v0, vcc
	v_pk_add_f32 v[6:7], v[6:7], 1.0 op_sel_hi:[1,0]
	s_nop 0
	v_div_scale_f32 v0, s[0:1], v7, v7, v5
	v_rcp_f32_e32 v8, v0
	s_nop 0
	v_fma_f32 v9, -v0, v8, 1.0
	v_fmac_f32_e32 v8, v9, v8
	v_div_scale_f32 v9, vcc, v5, v7, v5
	v_mul_f32_e32 v10, v9, v8
	v_fma_f32 v11, -v0, v10, v9
	v_fmac_f32_e32 v10, v11, v8
	v_fma_f32 v0, -v0, v10, v9
	v_div_fmas_f32 v0, v0, v8, v10
	v_div_fixup_f32 v5, v0, v7, v5
	v_div_scale_f32 v0, s[0:1], v6, v6, v4
	v_rcp_f32_e32 v7, v0
	s_nop 0
	v_fma_f32 v8, -v0, v7, 1.0
	v_fmac_f32_e32 v7, v8, v7
	v_div_scale_f32 v8, vcc, v4, v6, v4
	v_mul_f32_e32 v9, v8, v7
	v_fma_f32 v10, -v0, v9, v8
	v_fmac_f32_e32 v9, v10, v7
	v_fma_f32 v0, -v0, v9, v8
	v_div_fmas_f32 v0, v0, v7, v9
	v_div_fixup_f32 v4, v0, v6, v4
	ds_read2_b32 v[6:7], v23 offset0:4 offset1:5
	v_pk_mul_f32 v[4:5], v[4:5], v[40:41]
	;; [unrolled: 59-line block ×7, first 2 shown]
	s_waitcnt lgkmcnt(0)
	; wave barrier
	s_waitcnt lgkmcnt(0)
	v_mul_f32_e32 v0, 0xbfb8aa3b, v17
	v_rndne_f32_e32 v18, v0
	v_sub_f32_e32 v19, v0, v18
	v_fma_f32 v0, v17, s4, -v0
	v_fmac_f32_e32 v0, 0xb2a5705f, v17
	v_add_f32_e32 v0, v19, v0
	v_exp_f32_e32 v0, v0
	v_cvt_i32_f32_e32 v18, v18
	v_cmp_nlt_f32_e32 vcc, s5, v17
	v_ldexp_f32 v0, v0, v18
	s_nop 0
	v_cndmask_b32_e32 v0, 0, v0, vcc
	v_cmp_ngt_f32_e32 vcc, s6, v17
	s_nop 1
	v_cndmask_b32_e32 v19, v22, v0, vcc
	v_mul_f32_e32 v0, 0xbfb8aa3b, v16
	v_rndne_f32_e32 v18, v0
	v_sub_f32_e32 v20, v0, v18
	v_fma_f32 v0, v16, s4, -v0
	v_fmac_f32_e32 v0, 0xb2a5705f, v16
	v_add_f32_e32 v0, v20, v0
	v_exp_f32_e32 v0, v0
	v_cvt_i32_f32_e32 v18, v18
	v_cmp_nlt_f32_e32 vcc, s5, v16
	v_ldexp_f32 v0, v0, v18
	s_nop 0
	v_cndmask_b32_e32 v0, 0, v0, vcc
	v_cmp_ngt_f32_e32 vcc, s6, v16
	s_nop 1
	v_cndmask_b32_e32 v18, v22, v0, vcc
	v_pk_add_f32 v[18:19], v[18:19], 1.0 op_sel_hi:[1,0]
	s_nop 0
	v_div_scale_f32 v0, s[0:1], v19, v19, v17
	v_rcp_f32_e32 v20, v0
	s_nop 0
	v_fma_f32 v21, -v0, v20, 1.0
	v_fmac_f32_e32 v20, v21, v20
	v_div_scale_f32 v21, vcc, v17, v19, v17
	v_mul_f32_e32 v22, v21, v20
	v_fma_f32 v25, -v0, v22, v21
	v_fmac_f32_e32 v22, v25, v20
	v_fma_f32 v0, -v0, v22, v21
	v_div_fmas_f32 v0, v0, v20, v22
	v_div_fixup_f32 v17, v0, v19, v17
	v_div_scale_f32 v0, s[0:1], v18, v18, v16
	v_rcp_f32_e32 v19, v0
	s_nop 0
	v_fma_f32 v20, -v0, v19, 1.0
	v_fmac_f32_e32 v19, v20, v19
	v_div_scale_f32 v20, vcc, v16, v18, v16
	v_mul_f32_e32 v21, v20, v19
	v_fma_f32 v22, -v0, v21, v20
	v_fmac_f32_e32 v21, v22, v19
	v_fma_f32 v0, -v0, v21, v20
	v_div_fmas_f32 v0, v0, v19, v21
	v_div_fixup_f32 v16, v0, v18, v16
	v_pk_mul_f32 v[16:17], v[16:17], v[28:29]
	ds_write2_b32 v23, v2, v3 offset1:1
	ds_write2_b32 v23, v4, v5 offset0:2 offset1:3
	ds_write2_b32 v23, v6, v7 offset0:4 offset1:5
	;; [unrolled: 1-line block ×7, first 2 shown]
	; wave barrier
	ds_read_b32 v17, v24 offset:256
	ds_read_b32 v16, v26 offset:512
	;; [unrolled: 1-line block ×15, first 2 shown]
	scratch_load_dwordx2 v[2:3], off, off offset:288 ; 8-byte Folded Reload
	s_waitcnt vmcnt(0)
	v_lshl_add_u64 v[2:3], s[10:11], 2, v[2:3]
	s_and_saveexec_b64 s[52:53], s[18:19]
	s_cbranch_execnz .LBB148_282
; %bb.235:                              ;   in Loop: Header=BB148_13 Depth=1
	s_or_b64 exec, exec, s[52:53]
	s_and_saveexec_b64 s[18:19], s[20:21]
	s_cbranch_execnz .LBB148_283
.LBB148_236:                            ;   in Loop: Header=BB148_13 Depth=1
	s_or_b64 exec, exec, s[18:19]
	s_and_saveexec_b64 s[18:19], s[22:23]
	s_cbranch_execnz .LBB148_284
.LBB148_237:                            ;   in Loop: Header=BB148_13 Depth=1
	s_or_b64 exec, exec, s[18:19]
	s_and_saveexec_b64 s[18:19], s[24:25]
	s_cbranch_execnz .LBB148_285
.LBB148_238:                            ;   in Loop: Header=BB148_13 Depth=1
	s_or_b64 exec, exec, s[18:19]
	s_and_saveexec_b64 s[18:19], s[26:27]
	s_cbranch_execnz .LBB148_286
.LBB148_239:                            ;   in Loop: Header=BB148_13 Depth=1
	s_or_b64 exec, exec, s[18:19]
	s_and_saveexec_b64 s[18:19], s[28:29]
	s_cbranch_execnz .LBB148_287
.LBB148_240:                            ;   in Loop: Header=BB148_13 Depth=1
	s_or_b64 exec, exec, s[18:19]
	s_and_saveexec_b64 s[18:19], s[30:31]
	s_cbranch_execnz .LBB148_288
.LBB148_241:                            ;   in Loop: Header=BB148_13 Depth=1
	s_or_b64 exec, exec, s[18:19]
	s_and_saveexec_b64 s[18:19], s[34:35]
	s_cbranch_execnz .LBB148_289
.LBB148_242:                            ;   in Loop: Header=BB148_13 Depth=1
	s_or_b64 exec, exec, s[18:19]
	s_and_saveexec_b64 s[18:19], s[36:37]
	s_cbranch_execnz .LBB148_290
.LBB148_243:                            ;   in Loop: Header=BB148_13 Depth=1
	s_or_b64 exec, exec, s[18:19]
	s_and_saveexec_b64 s[18:19], s[38:39]
	s_cbranch_execnz .LBB148_291
.LBB148_244:                            ;   in Loop: Header=BB148_13 Depth=1
	s_or_b64 exec, exec, s[18:19]
	s_and_saveexec_b64 s[18:19], s[40:41]
	s_cbranch_execnz .LBB148_292
.LBB148_245:                            ;   in Loop: Header=BB148_13 Depth=1
	s_or_b64 exec, exec, s[18:19]
	s_and_saveexec_b64 s[18:19], s[42:43]
	s_cbranch_execnz .LBB148_293
.LBB148_246:                            ;   in Loop: Header=BB148_13 Depth=1
	s_or_b64 exec, exec, s[18:19]
	s_and_saveexec_b64 s[18:19], s[44:45]
	s_cbranch_execnz .LBB148_294
.LBB148_247:                            ;   in Loop: Header=BB148_13 Depth=1
	s_or_b64 exec, exec, s[18:19]
	s_and_saveexec_b64 s[18:19], s[46:47]
	s_cbranch_execnz .LBB148_295
.LBB148_248:                            ;   in Loop: Header=BB148_13 Depth=1
	s_or_b64 exec, exec, s[18:19]
	s_and_saveexec_b64 s[18:19], s[48:49]
	s_cbranch_execnz .LBB148_296
.LBB148_249:                            ;   in Loop: Header=BB148_13 Depth=1
	s_or_b64 exec, exec, s[18:19]
	s_and_saveexec_b64 s[18:19], s[50:51]
	s_cbranch_execz .LBB148_12
	s_branch .LBB148_297
.LBB148_250:                            ;   in Loop: Header=BB148_13 Depth=1
	global_load_dword v36, v[28:29], off offset:3328
	s_or_b64 exec, exec, s[52:53]
	s_and_saveexec_b64 s[52:53], s[48:49]
	s_cbranch_execz .LBB148_73
.LBB148_251:                            ;   in Loop: Header=BB148_13 Depth=1
	global_load_dword v35, v[28:29], off offset:3584
	s_or_b64 exec, exec, s[52:53]
	v_mov_b32_e32 v37, 0
	s_and_saveexec_b64 s[52:53], s[50:51]
	s_cbranch_execnz .LBB148_74
	s_branch .LBB148_75
.LBB148_252:                            ;   in Loop: Header=BB148_13 Depth=1
	scratch_load_dword v18, off, off        ; 4-byte Folded Reload
	s_waitcnt vmcnt(0)
	ds_read_b32 v18, v18
	s_waitcnt lgkmcnt(0)
	global_store_dword v[2:3], v18, off
	s_or_b64 exec, exec, s[52:53]
	s_and_saveexec_b64 s[52:53], s[20:21]
	s_cbranch_execz .LBB148_202
.LBB148_253:                            ;   in Loop: Header=BB148_13 Depth=1
	s_waitcnt lgkmcnt(14)
	global_store_dword v[2:3], v17, off offset:256
	s_or_b64 exec, exec, s[52:53]
	s_and_saveexec_b64 s[52:53], s[22:23]
	s_cbranch_execz .LBB148_203
.LBB148_254:                            ;   in Loop: Header=BB148_13 Depth=1
	s_waitcnt lgkmcnt(13)
	global_store_dword v[2:3], v16, off offset:512
	s_or_b64 exec, exec, s[52:53]
	s_and_saveexec_b64 s[52:53], s[24:25]
	s_cbranch_execz .LBB148_204
.LBB148_255:                            ;   in Loop: Header=BB148_13 Depth=1
	s_waitcnt lgkmcnt(12)
	global_store_dword v[2:3], v15, off offset:768
	s_or_b64 exec, exec, s[52:53]
	s_and_saveexec_b64 s[52:53], s[26:27]
	s_cbranch_execz .LBB148_205
.LBB148_256:                            ;   in Loop: Header=BB148_13 Depth=1
	s_waitcnt lgkmcnt(11)
	global_store_dword v[2:3], v14, off offset:1024
	s_or_b64 exec, exec, s[52:53]
	s_and_saveexec_b64 s[52:53], s[28:29]
	s_cbranch_execz .LBB148_206
.LBB148_257:                            ;   in Loop: Header=BB148_13 Depth=1
	s_waitcnt lgkmcnt(10)
	global_store_dword v[2:3], v13, off offset:1280
	s_or_b64 exec, exec, s[52:53]
	s_and_saveexec_b64 s[52:53], s[30:31]
	s_cbranch_execz .LBB148_207
.LBB148_258:                            ;   in Loop: Header=BB148_13 Depth=1
	s_waitcnt lgkmcnt(9)
	global_store_dword v[2:3], v12, off offset:1536
	s_or_b64 exec, exec, s[52:53]
	s_and_saveexec_b64 s[52:53], s[34:35]
	s_cbranch_execz .LBB148_208
.LBB148_259:                            ;   in Loop: Header=BB148_13 Depth=1
	s_waitcnt lgkmcnt(8)
	global_store_dword v[2:3], v11, off offset:1792
	s_or_b64 exec, exec, s[52:53]
	s_and_saveexec_b64 s[52:53], s[36:37]
	s_cbranch_execz .LBB148_209
.LBB148_260:                            ;   in Loop: Header=BB148_13 Depth=1
	s_waitcnt lgkmcnt(7)
	global_store_dword v[2:3], v10, off offset:2048
	s_or_b64 exec, exec, s[52:53]
	s_and_saveexec_b64 s[52:53], s[38:39]
	s_cbranch_execz .LBB148_210
.LBB148_261:                            ;   in Loop: Header=BB148_13 Depth=1
	s_waitcnt lgkmcnt(6)
	global_store_dword v[2:3], v9, off offset:2304
	s_or_b64 exec, exec, s[52:53]
	s_and_saveexec_b64 s[52:53], s[40:41]
	s_cbranch_execz .LBB148_211
.LBB148_262:                            ;   in Loop: Header=BB148_13 Depth=1
	s_waitcnt lgkmcnt(5)
	global_store_dword v[2:3], v8, off offset:2560
	s_or_b64 exec, exec, s[52:53]
	s_and_saveexec_b64 s[52:53], s[42:43]
	s_cbranch_execz .LBB148_212
.LBB148_263:                            ;   in Loop: Header=BB148_13 Depth=1
	s_waitcnt lgkmcnt(4)
	global_store_dword v[2:3], v7, off offset:2816
	s_or_b64 exec, exec, s[52:53]
	s_and_saveexec_b64 s[52:53], s[44:45]
	s_cbranch_execz .LBB148_213
.LBB148_264:                            ;   in Loop: Header=BB148_13 Depth=1
	s_waitcnt lgkmcnt(3)
	global_store_dword v[2:3], v6, off offset:3072
	s_or_b64 exec, exec, s[52:53]
	s_and_saveexec_b64 s[52:53], s[46:47]
	s_cbranch_execz .LBB148_214
.LBB148_265:                            ;   in Loop: Header=BB148_13 Depth=1
	s_waitcnt lgkmcnt(2)
	global_store_dword v[2:3], v5, off offset:3328
	s_or_b64 exec, exec, s[52:53]
	s_and_saveexec_b64 s[52:53], s[48:49]
	s_cbranch_execz .LBB148_215
.LBB148_266:                            ;   in Loop: Header=BB148_13 Depth=1
	s_waitcnt lgkmcnt(1)
	global_store_dword v[2:3], v4, off offset:3584
	s_or_b64 exec, exec, s[52:53]
	s_and_saveexec_b64 s[52:53], s[50:51]
	s_cbranch_execnz .LBB148_216
	s_branch .LBB148_217
.LBB148_267:                            ;   in Loop: Header=BB148_13 Depth=1
	global_load_dword v0, v[44:45], off
	v_mov_b32_e32 v2, v1
	v_mov_b32_e32 v3, v1
	v_mov_b32_e32 v4, v1
	v_mov_b32_e32 v5, v1
	v_mov_b32_e32 v6, v1
	v_mov_b32_e32 v7, v1
	v_mov_b32_e32 v8, v1
	v_mov_b32_e32 v9, v1
	v_mov_b32_e32 v10, v1
	v_mov_b32_e32 v11, v1
	v_mov_b32_e32 v12, v1
	v_mov_b32_e32 v13, v1
	v_mov_b32_e32 v14, v1
	v_mov_b32_e32 v15, v1
	s_waitcnt vmcnt(0)
	v_mov_b64_e32 v[16:17], v[14:15]
	v_mov_b64_e32 v[14:15], v[12:13]
	;; [unrolled: 1-line block ×8, first 2 shown]
	s_or_b64 exec, exec, s[52:53]
	s_and_saveexec_b64 s[52:53], s[20:21]
	s_cbranch_execz .LBB148_219
.LBB148_268:                            ;   in Loop: Header=BB148_13 Depth=1
	global_load_dword v3, v[44:45], off offset:256
	s_or_b64 exec, exec, s[52:53]
	s_and_saveexec_b64 s[52:53], s[22:23]
	s_cbranch_execz .LBB148_220
.LBB148_269:                            ;   in Loop: Header=BB148_13 Depth=1
	global_load_dword v4, v[44:45], off offset:512
	s_or_b64 exec, exec, s[52:53]
	s_and_saveexec_b64 s[52:53], s[24:25]
	s_cbranch_execz .LBB148_221
.LBB148_270:                            ;   in Loop: Header=BB148_13 Depth=1
	global_load_dword v5, v[44:45], off offset:768
	s_or_b64 exec, exec, s[52:53]
	s_and_saveexec_b64 s[52:53], s[26:27]
	s_cbranch_execz .LBB148_222
.LBB148_271:                            ;   in Loop: Header=BB148_13 Depth=1
	global_load_dword v6, v[44:45], off offset:1024
	s_or_b64 exec, exec, s[52:53]
	s_and_saveexec_b64 s[52:53], s[28:29]
	s_cbranch_execz .LBB148_223
.LBB148_272:                            ;   in Loop: Header=BB148_13 Depth=1
	global_load_dword v7, v[44:45], off offset:1280
	s_or_b64 exec, exec, s[52:53]
	s_and_saveexec_b64 s[52:53], s[30:31]
	s_cbranch_execz .LBB148_224
.LBB148_273:                            ;   in Loop: Header=BB148_13 Depth=1
	global_load_dword v8, v[44:45], off offset:1536
	s_or_b64 exec, exec, s[52:53]
	s_and_saveexec_b64 s[52:53], s[34:35]
	s_cbranch_execz .LBB148_225
.LBB148_274:                            ;   in Loop: Header=BB148_13 Depth=1
	global_load_dword v9, v[44:45], off offset:1792
	s_or_b64 exec, exec, s[52:53]
	s_and_saveexec_b64 s[52:53], s[36:37]
	s_cbranch_execz .LBB148_226
.LBB148_275:                            ;   in Loop: Header=BB148_13 Depth=1
	global_load_dword v10, v[44:45], off offset:2048
	s_or_b64 exec, exec, s[52:53]
	s_and_saveexec_b64 s[52:53], s[38:39]
	s_cbranch_execz .LBB148_227
.LBB148_276:                            ;   in Loop: Header=BB148_13 Depth=1
	global_load_dword v11, v[44:45], off offset:2304
	s_or_b64 exec, exec, s[52:53]
	s_and_saveexec_b64 s[52:53], s[40:41]
	s_cbranch_execz .LBB148_228
.LBB148_277:                            ;   in Loop: Header=BB148_13 Depth=1
	global_load_dword v12, v[44:45], off offset:2560
	s_or_b64 exec, exec, s[52:53]
	s_and_saveexec_b64 s[52:53], s[42:43]
	s_cbranch_execz .LBB148_229
.LBB148_278:                            ;   in Loop: Header=BB148_13 Depth=1
	global_load_dword v13, v[44:45], off offset:2816
	s_or_b64 exec, exec, s[52:53]
	s_and_saveexec_b64 s[52:53], s[44:45]
	s_cbranch_execz .LBB148_230
.LBB148_279:                            ;   in Loop: Header=BB148_13 Depth=1
	global_load_dword v14, v[44:45], off offset:3072
	s_or_b64 exec, exec, s[52:53]
	s_and_saveexec_b64 s[52:53], s[46:47]
	s_cbranch_execz .LBB148_231
.LBB148_280:                            ;   in Loop: Header=BB148_13 Depth=1
	global_load_dword v15, v[44:45], off offset:3328
	s_or_b64 exec, exec, s[52:53]
	s_and_saveexec_b64 s[52:53], s[48:49]
	s_cbranch_execz .LBB148_232
.LBB148_281:                            ;   in Loop: Header=BB148_13 Depth=1
	global_load_dword v16, v[44:45], off offset:3584
	s_or_b64 exec, exec, s[52:53]
	s_and_saveexec_b64 s[52:53], s[50:51]
	s_cbranch_execnz .LBB148_233
	s_branch .LBB148_234
.LBB148_282:                            ;   in Loop: Header=BB148_13 Depth=1
	scratch_load_dword v18, off, off        ; 4-byte Folded Reload
	s_waitcnt vmcnt(0)
	ds_read_b32 v18, v18
	s_waitcnt lgkmcnt(0)
	global_store_dword v[2:3], v18, off
	s_or_b64 exec, exec, s[52:53]
	s_and_saveexec_b64 s[18:19], s[20:21]
	s_cbranch_execz .LBB148_236
.LBB148_283:                            ;   in Loop: Header=BB148_13 Depth=1
	s_waitcnt lgkmcnt(14)
	global_store_dword v[2:3], v17, off offset:256
	s_or_b64 exec, exec, s[18:19]
	s_and_saveexec_b64 s[18:19], s[22:23]
	s_cbranch_execz .LBB148_237
.LBB148_284:                            ;   in Loop: Header=BB148_13 Depth=1
	s_waitcnt lgkmcnt(13)
	global_store_dword v[2:3], v16, off offset:512
	s_or_b64 exec, exec, s[18:19]
	s_and_saveexec_b64 s[18:19], s[24:25]
	s_cbranch_execz .LBB148_238
.LBB148_285:                            ;   in Loop: Header=BB148_13 Depth=1
	s_waitcnt lgkmcnt(12)
	global_store_dword v[2:3], v15, off offset:768
	s_or_b64 exec, exec, s[18:19]
	s_and_saveexec_b64 s[18:19], s[26:27]
	s_cbranch_execz .LBB148_239
.LBB148_286:                            ;   in Loop: Header=BB148_13 Depth=1
	s_waitcnt lgkmcnt(11)
	global_store_dword v[2:3], v14, off offset:1024
	s_or_b64 exec, exec, s[18:19]
	s_and_saveexec_b64 s[18:19], s[28:29]
	s_cbranch_execz .LBB148_240
.LBB148_287:                            ;   in Loop: Header=BB148_13 Depth=1
	s_waitcnt lgkmcnt(10)
	global_store_dword v[2:3], v13, off offset:1280
	s_or_b64 exec, exec, s[18:19]
	s_and_saveexec_b64 s[18:19], s[30:31]
	s_cbranch_execz .LBB148_241
.LBB148_288:                            ;   in Loop: Header=BB148_13 Depth=1
	s_waitcnt lgkmcnt(9)
	global_store_dword v[2:3], v12, off offset:1536
	s_or_b64 exec, exec, s[18:19]
	s_and_saveexec_b64 s[18:19], s[34:35]
	s_cbranch_execz .LBB148_242
.LBB148_289:                            ;   in Loop: Header=BB148_13 Depth=1
	s_waitcnt lgkmcnt(8)
	global_store_dword v[2:3], v11, off offset:1792
	s_or_b64 exec, exec, s[18:19]
	s_and_saveexec_b64 s[18:19], s[36:37]
	s_cbranch_execz .LBB148_243
.LBB148_290:                            ;   in Loop: Header=BB148_13 Depth=1
	s_waitcnt lgkmcnt(7)
	global_store_dword v[2:3], v10, off offset:2048
	s_or_b64 exec, exec, s[18:19]
	s_and_saveexec_b64 s[18:19], s[38:39]
	s_cbranch_execz .LBB148_244
.LBB148_291:                            ;   in Loop: Header=BB148_13 Depth=1
	s_waitcnt lgkmcnt(6)
	global_store_dword v[2:3], v9, off offset:2304
	s_or_b64 exec, exec, s[18:19]
	s_and_saveexec_b64 s[18:19], s[40:41]
	s_cbranch_execz .LBB148_245
.LBB148_292:                            ;   in Loop: Header=BB148_13 Depth=1
	s_waitcnt lgkmcnt(5)
	global_store_dword v[2:3], v8, off offset:2560
	s_or_b64 exec, exec, s[18:19]
	s_and_saveexec_b64 s[18:19], s[42:43]
	s_cbranch_execz .LBB148_246
.LBB148_293:                            ;   in Loop: Header=BB148_13 Depth=1
	s_waitcnt lgkmcnt(4)
	global_store_dword v[2:3], v7, off offset:2816
	s_or_b64 exec, exec, s[18:19]
	s_and_saveexec_b64 s[18:19], s[44:45]
	s_cbranch_execz .LBB148_247
.LBB148_294:                            ;   in Loop: Header=BB148_13 Depth=1
	s_waitcnt lgkmcnt(3)
	global_store_dword v[2:3], v6, off offset:3072
	s_or_b64 exec, exec, s[18:19]
	s_and_saveexec_b64 s[18:19], s[46:47]
	s_cbranch_execz .LBB148_248
.LBB148_295:                            ;   in Loop: Header=BB148_13 Depth=1
	s_waitcnt lgkmcnt(2)
	global_store_dword v[2:3], v5, off offset:3328
	s_or_b64 exec, exec, s[18:19]
	s_and_saveexec_b64 s[18:19], s[48:49]
	s_cbranch_execz .LBB148_249
.LBB148_296:                            ;   in Loop: Header=BB148_13 Depth=1
	s_waitcnt lgkmcnt(1)
	global_store_dword v[2:3], v4, off offset:3584
	s_or_b64 exec, exec, s[18:19]
	s_and_saveexec_b64 s[18:19], s[50:51]
	s_cbranch_execz .LBB148_12
.LBB148_297:                            ;   in Loop: Header=BB148_13 Depth=1
	s_waitcnt lgkmcnt(0)
	global_store_dword v[2:3], v0, off offset:3840
	s_branch .LBB148_12
.LBB148_298:
	s_endpgm
	.section	.rodata,"a",@progbits
	.p2align	6, 0x0
	.amdhsa_kernel _Z25selective_scan_fwd_kernelI32Selective_Scan_fwd_kernel_traitsILi64ELi16ELi1ELb0ELb1ELb1ELb1ELb1EfffEEv13SSMParamsBase
		.amdhsa_group_segment_fixed_size 0
		.amdhsa_private_segment_fixed_size 364
		.amdhsa_kernarg_size 248
		.amdhsa_user_sgpr_count 2
		.amdhsa_user_sgpr_dispatch_ptr 0
		.amdhsa_user_sgpr_queue_ptr 0
		.amdhsa_user_sgpr_kernarg_segment_ptr 1
		.amdhsa_user_sgpr_dispatch_id 0
		.amdhsa_user_sgpr_kernarg_preload_length 0
		.amdhsa_user_sgpr_kernarg_preload_offset 0
		.amdhsa_user_sgpr_private_segment_size 0
		.amdhsa_uses_dynamic_stack 0
		.amdhsa_enable_private_segment 1
		.amdhsa_system_sgpr_workgroup_id_x 1
		.amdhsa_system_sgpr_workgroup_id_y 1
		.amdhsa_system_sgpr_workgroup_id_z 0
		.amdhsa_system_sgpr_workgroup_info 0
		.amdhsa_system_vgpr_workitem_id 0
		.amdhsa_next_free_vgpr 96
		.amdhsa_next_free_sgpr 100
		.amdhsa_accum_offset 96
		.amdhsa_reserve_vcc 1
		.amdhsa_float_round_mode_32 0
		.amdhsa_float_round_mode_16_64 0
		.amdhsa_float_denorm_mode_32 3
		.amdhsa_float_denorm_mode_16_64 3
		.amdhsa_dx10_clamp 1
		.amdhsa_ieee_mode 1
		.amdhsa_fp16_overflow 0
		.amdhsa_tg_split 0
		.amdhsa_exception_fp_ieee_invalid_op 0
		.amdhsa_exception_fp_denorm_src 0
		.amdhsa_exception_fp_ieee_div_zero 0
		.amdhsa_exception_fp_ieee_overflow 0
		.amdhsa_exception_fp_ieee_underflow 0
		.amdhsa_exception_fp_ieee_inexact 0
		.amdhsa_exception_int_div_zero 0
	.end_amdhsa_kernel
	.section	.text._Z25selective_scan_fwd_kernelI32Selective_Scan_fwd_kernel_traitsILi64ELi16ELi1ELb0ELb1ELb1ELb1ELb1EfffEEv13SSMParamsBase,"axG",@progbits,_Z25selective_scan_fwd_kernelI32Selective_Scan_fwd_kernel_traitsILi64ELi16ELi1ELb0ELb1ELb1ELb1ELb1EfffEEv13SSMParamsBase,comdat
.Lfunc_end148:
	.size	_Z25selective_scan_fwd_kernelI32Selective_Scan_fwd_kernel_traitsILi64ELi16ELi1ELb0ELb1ELb1ELb1ELb1EfffEEv13SSMParamsBase, .Lfunc_end148-_Z25selective_scan_fwd_kernelI32Selective_Scan_fwd_kernel_traitsILi64ELi16ELi1ELb0ELb1ELb1ELb1ELb1EfffEEv13SSMParamsBase
                                        ; -- End function
	.section	.AMDGPU.csdata,"",@progbits
; Kernel info:
; codeLenInByte = 27408
; NumSgprs: 106
; NumVgprs: 96
; NumAgprs: 0
; TotalNumVgprs: 96
; ScratchSize: 364
; MemoryBound: 0
; FloatMode: 240
; IeeeMode: 1
; LDSByteSize: 0 bytes/workgroup (compile time only)
; SGPRBlocks: 13
; VGPRBlocks: 11
; NumSGPRsForWavesPerEU: 106
; NumVGPRsForWavesPerEU: 96
; AccumOffset: 96
; Occupancy: 5
; WaveLimiterHint : 1
; COMPUTE_PGM_RSRC2:SCRATCH_EN: 1
; COMPUTE_PGM_RSRC2:USER_SGPR: 2
; COMPUTE_PGM_RSRC2:TRAP_HANDLER: 0
; COMPUTE_PGM_RSRC2:TGID_X_EN: 1
; COMPUTE_PGM_RSRC2:TGID_Y_EN: 1
; COMPUTE_PGM_RSRC2:TGID_Z_EN: 0
; COMPUTE_PGM_RSRC2:TIDIG_COMP_CNT: 0
; COMPUTE_PGM_RSRC3_GFX90A:ACCUM_OFFSET: 23
; COMPUTE_PGM_RSRC3_GFX90A:TG_SPLIT: 0
	.section	.text._Z25selective_scan_fwd_kernelI32Selective_Scan_fwd_kernel_traitsILi64ELi16ELi1ELb0ELb1ELb1ELb1ELb0EfffEEv13SSMParamsBase,"axG",@progbits,_Z25selective_scan_fwd_kernelI32Selective_Scan_fwd_kernel_traitsILi64ELi16ELi1ELb0ELb1ELb1ELb1ELb0EfffEEv13SSMParamsBase,comdat
	.protected	_Z25selective_scan_fwd_kernelI32Selective_Scan_fwd_kernel_traitsILi64ELi16ELi1ELb0ELb1ELb1ELb1ELb0EfffEEv13SSMParamsBase ; -- Begin function _Z25selective_scan_fwd_kernelI32Selective_Scan_fwd_kernel_traitsILi64ELi16ELi1ELb0ELb1ELb1ELb1ELb0EfffEEv13SSMParamsBase
	.globl	_Z25selective_scan_fwd_kernelI32Selective_Scan_fwd_kernel_traitsILi64ELi16ELi1ELb0ELb1ELb1ELb1ELb0EfffEEv13SSMParamsBase
	.p2align	8
	.type	_Z25selective_scan_fwd_kernelI32Selective_Scan_fwd_kernel_traitsILi64ELi16ELi1ELb0ELb1ELb1ELb1ELb0EfffEEv13SSMParamsBase,@function
_Z25selective_scan_fwd_kernelI32Selective_Scan_fwd_kernel_traitsILi64ELi16ELi1ELb0ELb1ELb1ELb1ELb0EfffEEv13SSMParamsBase: ; @_Z25selective_scan_fwd_kernelI32Selective_Scan_fwd_kernel_traitsILi64ELi16ELi1ELb0ELb1ELb1ELb1ELb0EfffEEv13SSMParamsBase
; %bb.0:
	s_load_dword s25, s[0:1], 0x18
	s_load_dwordx4 s[4:7], s[0:1], 0xe8
	s_mov_b32 s20, s3
                                        ; implicit-def: $vgpr95 : SGPR spill to VGPR lane
	s_waitcnt lgkmcnt(0)
	s_abs_i32 s24, s25
	v_cvt_f32_u32_e32 v1, s24
	s_cmp_eq_u64 s[6:7], 0
	v_rcp_iflag_f32_e32 v1, v1
	s_nop 0
	v_mul_f32_e32 v1, 0x4f7ffffe, v1
	v_cvt_u32_f32_e32 v1, v1
	s_nop 0
	v_readfirstlane_b32 s26, v1
	s_cbranch_scc1 .LBB149_2
; %bb.1:
	s_ashr_i32 s3, s2, 31
	s_add_u32 s6, s6, s2
	s_addc_u32 s7, s7, s3
	v_mov_b32_e32 v1, 0
	global_load_ubyte v1, v1, s[6:7]
	s_waitcnt vmcnt(0)
	v_and_b32_e32 v1, 1, v1
	v_cmp_eq_u32_e64 s[6:7], 1, v1
	s_branch .LBB149_3
.LBB149_2:
	s_mov_b64 s[6:7], 0
.LBB149_3:
	s_nop 0
	v_writelane_b32 v95, s6, 0
	s_cmp_eq_u64 s[4:5], 0
	s_nop 0
	v_writelane_b32 v95, s7, 1
	s_load_dwordx2 s[6:7], s[0:1], 0x20
	s_cbranch_scc1 .LBB149_5
; %bb.4:
	s_ashr_i32 s3, s2, 31
	s_lshl_b64 s[8:9], s[2:3], 2
	s_add_u32 s4, s4, s8
	s_addc_u32 s5, s5, s9
	s_load_dword s22, s[4:5], 0x0
	s_waitcnt lgkmcnt(0)
	s_ashr_i32 s23, s22, 31
	s_cmp_eq_u64 s[6:7], s[22:23]
	s_cbranch_scc0 .LBB149_6
	s_branch .LBB149_298
.LBB149_5:
	s_mov_b32 s22, s2
	s_ashr_i32 s23, s22, 31
	s_waitcnt lgkmcnt(0)
	s_cmp_eq_u64 s[6:7], s[22:23]
	s_cbranch_scc1 .LBB149_298
.LBB149_6:
	s_load_dwordx16 s[36:51], s[0:1], 0x88
	s_load_dwordx2 s[54:55], s[0:1], 0x8
	s_mov_b32 s3, 0
	s_mov_b32 s56, 0
	v_writelane_b32 v95, s3, 2
	s_waitcnt lgkmcnt(0)
	s_cmp_eq_u64 s[42:43], 0
	s_cbranch_scc1 .LBB149_8
; %bb.7:
	s_ashr_i32 s21, s20, 31
	s_lshl_b64 s[28:29], s[20:21], 2
	s_add_u32 s10, s42, s28
	s_addc_u32 s11, s43, s29
	s_load_dword s3, s[10:11], 0x0
	s_waitcnt lgkmcnt(0)
	v_writelane_b32 v95, s3, 2
.LBB149_8:
	s_cmp_eq_u64 s[48:49], 0
	s_cbranch_scc1 .LBB149_10
; %bb.9:
	s_ashr_i32 s21, s20, 31
	s_lshl_b64 s[10:11], s[20:21], 2
	s_add_u32 s10, s48, s10
	s_addc_u32 s11, s49, s11
	s_load_dword s56, s[10:11], 0x0
.LBB149_10:
	s_cmp_lt_i32 s54, 1
	s_cbranch_scc1 .LBB149_298
; %bb.11:
	s_sub_i32 s3, 0, s24
	s_mul_i32 s3, s3, s26
	s_mul_hi_u32 s3, s26, s3
	s_abs_i32 s10, s20
	s_add_i32 s26, s26, s3
	s_mul_hi_u32 s3, s10, s26
	s_ashr_i32 s11, s20, 31
	s_ashr_i32 s16, s25, 31
	s_xor_b32 s11, s11, s16
	s_mul_i32 s16, s3, s24
	s_sub_i32 s10, s10, s16
	s_add_i32 s16, s3, 1
	s_sub_i32 s17, s10, s24
	s_load_dwordx8 s[60:67], s[0:1], 0x2c
	s_load_dwordx8 s[68:75], s[0:1], 0x4c
	s_cmp_ge_u32 s10, s24
	s_cselect_b32 s3, s16, s3
	s_cselect_b32 s10, s17, s10
	s_add_i32 s16, s3, 1
	s_cmp_ge_u32 s10, s24
	s_cselect_b32 s3, s16, s3
	s_xor_b32 s3, s3, s11
	s_waitcnt lgkmcnt(0)
	s_mul_i32 s84, s70, s2
	s_mov_b32 s85, 0
	s_sub_i32 s3, s3, s11
	s_lshl_b64 s[10:11], s[84:85], 2
	v_mbcnt_lo_u32_b32 v1, -1, 0
	s_add_u32 s12, s44, s10
	s_mul_i32 s84, s71, s20
	v_mbcnt_hi_u32_b32 v22, -1, v1
	s_addc_u32 s13, s45, s11
	s_lshl_b64 s[10:11], s[84:85], 2
	v_add_u32_e32 v1, 64, v22
	s_add_u32 s34, s12, s10
	s_mul_i32 s84, s72, s2
	s_load_dwordx4 s[24:27], s[0:1], 0x6c
	s_load_dwordx4 s[28:31], s[0:1], 0xc8
	scratch_store_dword off, v1, off offset:212 ; 4-byte Folded Spill
	v_lshrrev_b32_e32 v1, 5, v1
	s_addc_u32 s35, s13, s11
	s_lshl_b64 s[10:11], s[84:85], 2
	v_add_lshl_u32 v3, v1, v22, 2
	s_add_u32 s12, s46, s10
	s_mul_i32 s84, s73, s20
	v_or_b32_e32 v4, 0x80, v22
	v_add_u32_e32 v1, 0, v3
	s_addc_u32 s13, s47, s11
	s_lshl_b64 s[10:11], s[84:85], 2
	scratch_store_dword off, v1, off offset:4 ; 4-byte Folded Spill
	scratch_store_dword off, v4, off offset:216 ; 4-byte Folded Spill
	v_lshrrev_b32_e32 v1, 5, v4
	s_add_u32 s4, s12, s10
	v_add_lshl_u32 v4, v1, v22, 2
	s_addc_u32 s5, s13, s11
	s_mul_i32 s84, s60, s20
	v_add_u32_e32 v5, 0xc0, v22
	v_add_u32_e32 v1, 0, v4
	v_writelane_b32 v95, s4, 3
	s_lshl_b64 s[10:11], s[84:85], 2
	scratch_store_dword off, v1, off offset:8 ; 4-byte Folded Spill
	scratch_store_dword off, v5, off offset:220 ; 4-byte Folded Spill
	v_lshrrev_b32_e32 v1, 5, v5
	v_writelane_b32 v95, s5, 4
	s_add_u32 s4, s36, s10
	v_add_lshl_u32 v5, v1, v22, 2
	v_writelane_b32 v95, s4, 5
	s_addc_u32 s4, s37, s11
	s_mul_i32 s84, s62, s2
	v_or_b32_e32 v6, 0x100, v22
	v_add_u32_e32 v1, 0, v5
	v_writelane_b32 v95, s4, 6
	s_lshl_b64 s[4:5], s[84:85], 2
	scratch_store_dword off, v1, off offset:12 ; 4-byte Folded Spill
	scratch_store_dword off, v6, off offset:224 ; 4-byte Folded Spill
	v_lshrrev_b32_e32 v1, 5, v6
	s_add_u32 s6, s38, s4
	s_mul_i32 s84, s3, s65
	v_writelane_b32 v95, s60, 7
	v_add_lshl_u32 v6, v1, v22, 2
	s_addc_u32 s7, s39, s5
	s_lshl_b64 s[4:5], s[84:85], 2
	v_writelane_b32 v95, s61, 8
	s_load_dwordx2 s[12:13], s[0:1], 0x7c
	v_add_u32_e32 v7, 0x140, v22
	v_add_u32_e32 v1, 0, v6
	s_add_u32 s10, s6, s4
	v_writelane_b32 v95, s62, 9
	s_mul_i32 s84, s66, s2
	scratch_store_dword off, v1, off offset:16 ; 4-byte Folded Spill
	scratch_store_dword off, v7, off offset:228 ; 4-byte Folded Spill
	v_lshrrev_b32_e32 v1, 5, v7
	s_addc_u32 s11, s7, s5
	v_writelane_b32 v95, s63, 10
	s_lshl_b64 s[6:7], s[84:85], 2
	s_mul_i32 s84, s3, s69
	s_load_dword s3, s[0:1], 0x84
	v_add_lshl_u32 v7, v1, v22, 2
	v_writelane_b32 v95, s64, 11
	s_add_u32 s4, s40, s6
	v_or_b32_e32 v8, 0x180, v22
	v_add_u32_e32 v1, 0, v7
	v_writelane_b32 v95, s65, 12
	s_addc_u32 s9, s41, s7
	s_lshl_b64 s[6:7], s[84:85], 2
	scratch_store_dword off, v1, off offset:20 ; 4-byte Folded Spill
	scratch_store_dword off, v8, off offset:232 ; 4-byte Folded Spill
	v_lshrrev_b32_e32 v1, 5, v8
	v_writelane_b32 v95, s66, 13
	s_add_u32 s8, s4, s6
	s_waitcnt lgkmcnt(0)
	s_mul_i32 s84, s22, s12
	s_load_dwordx2 s[22:23], s[0:1], 0xd8
	v_add_lshl_u32 v8, v1, v22, 2
	v_writelane_b32 v95, s67, 14
	s_addc_u32 s9, s9, s7
	s_lshl_b64 s[14:15], s[84:85], 2
	v_add_u32_e32 v9, 0x1c0, v22
	v_add_u32_e32 v1, 0, v8
	s_mul_i32 s84, s13, s20
	s_load_dword s13, s[0:1], 0x28
	v_writelane_b32 v95, s3, 15
	s_add_u32 s3, s28, s14
	scratch_store_dword off, v1, off offset:24 ; 4-byte Folded Spill
	scratch_store_dword off, v9, off offset:236 ; 4-byte Folded Spill
	v_lshrrev_b32_e32 v1, 5, v9
	s_addc_u32 s12, s29, s15
	s_lshl_b64 s[6:7], s[84:85], 2
	v_add_lshl_u32 v9, v1, v22, 2
	s_add_u32 s3, s3, s6
	v_or_b32_e32 v10, 0x200, v22
	v_add_u32_e32 v1, 0, v9
	v_writelane_b32 v95, s3, 16
	s_addc_u32 s3, s12, s7
	scratch_store_dword off, v1, off offset:28 ; 4-byte Folded Spill
	scratch_store_dword off, v10, off offset:240 ; 4-byte Folded Spill
	v_lshrrev_b32_e32 v1, 5, v10
	v_writelane_b32 v95, s3, 17
	s_add_i32 s3, s54, 0x7ff
	v_add_lshl_u32 v10, v1, v22, 2
	s_lshr_b32 s4, s3, 11
	v_add_u32_e32 v11, 0x240, v22
	v_add_u32_e32 v1, 0, v10
	s_waitcnt lgkmcnt(0)
	s_bitcmp1_b32 s13, 0
	scratch_store_dword off, v1, off offset:32 ; 4-byte Folded Spill
	scratch_store_dword off, v11, off offset:244 ; 4-byte Folded Spill
	v_lshrrev_b32_e32 v1, 5, v11
	s_cselect_b64 s[6:7], -1, 0
	v_add_lshl_u32 v11, v1, v22, 2
	v_writelane_b32 v95, s6, 18
	s_cmp_gt_i32 s55, 0
	v_or_b32_e32 v12, 0x280, v22
	v_add_u32_e32 v1, 0, v11
	v_writelane_b32 v95, s7, 19
	s_cselect_b64 s[6:7], -1, 0
	s_add_i32 s16, 0, 0x1080
	s_and_b32 s3, s54, 0x3ff
	scratch_store_dword off, v1, off offset:36 ; 4-byte Folded Spill
	scratch_store_dword off, v12, off offset:248 ; 4-byte Folded Spill
	v_lshrrev_b32_e32 v1, 5, v12
	v_writelane_b32 v95, s6, 20
	s_cmp_eq_u32 s3, 0
	v_add_lshl_u32 v12, v1, v22, 2
	v_writelane_b32 v95, s7, 21
	s_cselect_b64 s[6:7], -1, 0
	v_add_u32_e32 v13, 0x2c0, v22
	v_add_u32_e32 v1, 0, v12
	v_writelane_b32 v95, s6, 22
	scratch_store_dword off, v1, off offset:40 ; 4-byte Folded Spill
	scratch_store_dword off, v13, off offset:252 ; 4-byte Folded Spill
	v_lshrrev_b32_e32 v1, 5, v13
	s_mul_i32 s84, s24, s2
	v_writelane_b32 v95, s7, 23
	v_add_lshl_u32 v13, v1, v22, 2
	v_writelane_b32 v95, s4, 24
	s_add_i32 s3, s4, -1
	s_lshl_b64 s[6:7], s[84:85], 2
	v_or_b32_e32 v14, 0x300, v22
	v_add_u32_e32 v1, 0, v13
	v_writelane_b32 v95, s3, 25
	s_add_u32 s3, s50, s6
	v_add_u32_e32 v15, 0x340, v22
	scratch_store_dword off, v1, off offset:44 ; 4-byte Folded Spill
	scratch_store_dword off, v14, off offset:256 ; 4-byte Folded Spill
	v_lshrrev_b32_e32 v1, 5, v14
	s_mul_i32 s84, s25, s20
	s_addc_u32 s4, s51, s7
	v_or_b32_e32 v16, 0x380, v22
	v_add_lshl_u32 v14, v1, v22, 2
	v_lshrrev_b32_e32 v1, 5, v15
	s_lshl_b64 s[0:1], s[84:85], 2
	scratch_store_dword off, v15, off offset:260 ; 4-byte Folded Spill
	v_add_lshl_u32 v15, v1, v22, 2
	v_lshrrev_b32_e32 v1, 5, v16
	s_add_u32 s18, s3, s0
	s_mul_i32 s84, s74, s2
	scratch_store_dword off, v16, off offset:264 ; 4-byte Folded Spill
	v_add_lshl_u32 v16, v1, v22, 2
	v_lshlrev_b32_e32 v1, 4, v22
	v_bfe_u32 v17, v22, 1, 27
	s_addc_u32 s19, s4, s1
	s_lshl_b64 s[0:1], s[84:85], 2
	v_add_lshl_u32 v17, v17, v1, 2
	v_and_b32_e32 v1, 15, v22
	s_add_u32 s3, s30, s0
	s_addc_u32 s4, s31, s1
	v_cmp_ne_u32_e64 s[0:1], 0, v1
	v_add_u32_e32 v21, 0, v14
	scratch_store_dword off, v21, off offset:48 ; 4-byte Folded Spill
	v_writelane_b32 v95, s0, 26
	v_add_u32_e32 v21, 0, v15
	v_lshrrev_b32_e32 v2, 5, v22
	v_writelane_b32 v95, s1, 27
	v_writelane_b32 v95, s68, 28
	s_mul_i32 s84, s75, s20
	s_lshl_b64 s[0:1], s[84:85], 2
	s_add_u32 s24, s3, s0
	scratch_store_dword off, v21, off offset:52 ; 4-byte Folded Spill
	v_add_u32_e32 v21, 0, v16
	v_add_u32_e32 v20, 0x3c0, v22
	s_addc_u32 s25, s4, s1
	v_cmp_eq_u32_e64 s[4:5], 63, v0
	v_cmp_gt_u32_e64 s[12:13], 64, v0
	scratch_store_dword off, v21, off offset:56 ; 4-byte Folded Spill
	scratch_store_dword off, v20, off offset:268 ; 4-byte Folded Spill
	v_cmp_eq_u32_e64 s[14:15], 0, v0
	v_lshlrev_b32_e32 v21, 4, v0
	v_add_u32_e32 v0, v2, v22
	v_add_u32_e32 v2, s16, v3
	scratch_store_dword off, v2, off offset:128 ; 4-byte Folded Spill
	v_add_u32_e32 v2, s16, v4
	scratch_store_dword off, v2, off offset:132 ; 4-byte Folded Spill
	;; [unrolled: 2-line block ×11, first 2 shown]
	v_add_u32_e32 v2, s16, v14
	v_lshrrev_b32_e32 v20, 5, v20
	v_lshl_add_u32 v0, v0, 2, 0
	scratch_store_dword off, v2, off offset:172 ; 4-byte Folded Spill
	v_add_u32_e32 v2, s16, v15
	scratch_store_dword off, v0, off        ; 4-byte Folded Spill
	v_add_lshl_u32 v0, v20, v22, 2
	scratch_store_dword off, v2, off offset:176 ; 4-byte Folded Spill
	v_add_u32_e32 v2, s16, v16
	scratch_store_dword off, v2, off offset:180 ; 4-byte Folded Spill
	v_add_u32_e32 v2, 0, v0
	v_writelane_b32 v95, s69, 29
	scratch_store_dword off, v2, off offset:60 ; 4-byte Folded Spill
	v_or_b32_e32 v2, 1, v21
	v_writelane_b32 v95, s70, 30
	scratch_store_dword off, v2, off offset:300 ; 4-byte Folded Spill
                                        ; implicit-def: $vgpr2
	v_writelane_b32 v95, s71, 31
	v_or_b32_e32 v2, 2, v21
	v_writelane_b32 v95, s72, 32
	scratch_store_dword off, v2, off offset:304 ; 4-byte Folded Spill
	v_or_b32_e32 v2, 3, v21
	v_writelane_b32 v95, s73, 33
	scratch_store_dword off, v2, off offset:308 ; 4-byte Folded Spill
	;; [unrolled: 3-line block ×3, first 2 shown]
	v_or_b32_e32 v2, 5, v21
	v_writelane_b32 v95, s75, 35
	v_cmp_lt_u32_e64 s[0:1], 1, v1
	scratch_store_dword off, v2, off offset:316 ; 4-byte Folded Spill
	v_or_b32_e32 v2, 6, v21
	v_writelane_b32 v95, s0, 36
	scratch_store_dword off, v2, off offset:320 ; 4-byte Folded Spill
	v_or_b32_e32 v2, 7, v21
	v_writelane_b32 v95, s1, 37
	v_cmp_lt_u32_e64 s[0:1], 3, v1
	scratch_store_dword off, v2, off offset:324 ; 4-byte Folded Spill
	v_or_b32_e32 v2, 8, v21
	v_writelane_b32 v95, s0, 38
	s_mul_i32 s84, s26, s2
	scratch_store_dword off, v2, off offset:328 ; 4-byte Folded Spill
	v_or_b32_e32 v2, 9, v21
	v_writelane_b32 v95, s1, 39
	s_lshl_b64 s[2:3], s[84:85], 2
	v_cmp_lt_u32_e64 s[0:1], 7, v1
	v_add_u32_e32 v18, -1, v22
	v_and_b32_e32 v19, 64, v22
	v_add_u32_e32 v0, s16, v0
	scratch_store_dword off, v2, off offset:332 ; 4-byte Folded Spill
	v_or_b32_e32 v2, 10, v21
	s_mul_i32 s84, s27, s20
	v_writelane_b32 v95, s0, 40
	scratch_store_dword off, v0, off offset:184 ; 4-byte Folded Spill
	v_add_u32_e32 v0, s16, v17
	v_cmp_lt_i32_e32 vcc, v18, v19
	s_add_u32 s20, s22, s2
	scratch_store_dword off, v2, off offset:336 ; 4-byte Folded Spill
	v_or_b32_e32 v2, 11, v21
	v_writelane_b32 v95, s1, 41
	scratch_store_dword off, v0, off offset:188 ; 4-byte Folded Spill
	v_cndmask_b32_e32 v0, v18, v22, vcc
	s_addc_u32 s21, s23, s3
	s_lshl_b64 s[2:3], s[84:85], 2
	scratch_store_dword off, v2, off offset:340 ; 4-byte Folded Spill
	v_or_b32_e32 v2, 12, v21
	v_and_b32_e32 v1, 16, v22
	v_writelane_b32 v95, s4, 42
	v_lshlrev_b32_e32 v0, 2, v0
	s_add_u32 s2, s20, s2
	scratch_store_dword off, v2, off offset:344 ; 4-byte Folded Spill
	v_or_b32_e32 v2, 13, v21
	v_cmp_ne_u32_e64 s[0:1], 0, v1
	v_mov_b32_e32 v1, 0
	v_writelane_b32 v95, s5, 43
	scratch_store_dword off, v0, off offset:192 ; 4-byte Folded Spill
	v_mov_b32_e32 v0, v22
	s_addc_u32 s3, s21, s3
	s_add_i32 s4, 0, 0x2108
	scratch_store_dword off, v2, off offset:348 ; 4-byte Folded Spill
	v_or_b32_e32 v2, 14, v21
	scratch_store_dwordx2 off, v[0:1], off offset:204 ; 8-byte Folded Spill
	v_lshlrev_b32_e32 v0, 2, v22
	v_writelane_b32 v95, s4, 44
	scratch_store_dword off, v2, off offset:352 ; 4-byte Folded Spill
	scratch_store_dword off, v21, off offset:296 ; 4-byte Folded Spill
	v_or_b32_e32 v2, 15, v21
	scratch_store_dword off, v2, off offset:356 ; 4-byte Folded Spill
	v_lshl_add_u64 v[2:3], s[18:19], 0, v[0:1]
	v_writelane_b32 v95, s54, 45
	scratch_store_dwordx2 off, v[2:3], off offset:272 ; 8-byte Folded Spill
	v_lshl_add_u64 v[2:3], s[24:25], 0, v[0:1]
	v_writelane_b32 v95, s55, 46
	v_add_u32_e32 v23, 0, v17
	v_cmp_lt_u32_e64 s[16:17], 31, v22
	s_mov_b32 s33, 0xc2fc0000
	s_mov_b32 s7, 0
	v_mov_b32_e32 v56, 0x7f800000
	v_mov_b32_e32 v70, 0x42800000
	;; [unrolled: 1-line block ×3, first 2 shown]
	scratch_store_dwordx2 off, v[2:3], off offset:280 ; 8-byte Folded Spill
	v_lshl_add_u64 v[2:3], s[2:3], 0, v[0:1]
	v_mov_b32_e32 v0, 0x3f317218
	v_writelane_b32 v95, s56, 47
	scratch_store_dwordx2 off, v[2:3], off offset:288 ; 8-byte Folded Spill
	scratch_store_dwordx2 off, v[0:1], off offset:196 ; 8-byte Folded Spill
	s_branch .LBB149_13
.LBB149_12:                             ;   in Loop: Header=BB149_13 Depth=1
	s_or_b64 exec, exec, s[2:3]
	v_readlane_b32 s2, v95, 3
	v_readlane_b32 s3, v95, 4
	s_add_u32 s2, s2, 0x1000
	s_addc_u32 s3, s3, 0
	v_writelane_b32 v95, s2, 3
	s_nop 1
	v_writelane_b32 v95, s3, 4
	s_nop 0
	v_readlane_b32 s34, v95, 50
	v_readlane_b32 s35, v95, 51
	s_add_u32 s34, s34, 0x1000
	s_addc_u32 s35, s35, 0
	s_add_u32 s10, s10, 0x1000
	s_addc_u32 s11, s11, 0
	;; [unrolled: 2-line block ×3, first 2 shown]
	s_add_i32 s7, s7, 1
	v_readlane_b32 s2, v95, 24
	s_cmp_lg_u32 s7, s2
	s_cbranch_scc0 .LBB149_298
.LBB149_13:                             ; =>This Loop Header: Depth=1
                                        ;     Child Loop BB149_110 Depth 2
	s_waitcnt lgkmcnt(0)
	; wave barrier
	s_waitcnt vmcnt(63) expcnt(7) lgkmcnt(15)
	scratch_load_dwordx2 v[2:3], off, off offset:204 ; 8-byte Folded Reload
	s_lshl_b32 s4, s7, 10
	s_mov_b32 s2, s4
	v_writelane_b32 v95, s2, 48
	s_sub_i32 s82, s54, s4
	s_waitcnt vmcnt(0) lgkmcnt(1)
	v_mov_b32_e32 v4, v2
	v_writelane_b32 v95, s3, 49
	s_waitcnt lgkmcnt(0)
	v_lshlrev_b32_e32 v0, 2, v4
	v_writelane_b32 v95, s34, 50
	v_cmp_gt_u32_e64 s[18:19], s82, v4
	v_mov_b32_e32 v4, 0
	v_writelane_b32 v95, s35, 51
	v_lshl_add_u64 v[2:3], s[34:35], 0, v[0:1]
	s_and_saveexec_b64 s[2:3], s[18:19]
	s_cbranch_execz .LBB149_15
; %bb.14:                               ;   in Loop: Header=BB149_13 Depth=1
	global_load_dword v4, v[2:3], off
.LBB149_15:                             ;   in Loop: Header=BB149_13 Depth=1
	s_or_b64 exec, exec, s[2:3]
	scratch_load_dword v5, off, off offset:212 ; 4-byte Folded Reload
	v_mov_b32_e32 v6, 0
	s_waitcnt vmcnt(0)
	v_cmp_gt_u32_e64 s[20:21], s82, v5
	v_mov_b32_e32 v5, 0
	s_and_saveexec_b64 s[2:3], s[20:21]
	s_cbranch_execz .LBB149_17
; %bb.16:                               ;   in Loop: Header=BB149_13 Depth=1
	global_load_dword v6, v[2:3], off offset:256
.LBB149_17:                             ;   in Loop: Header=BB149_13 Depth=1
	s_or_b64 exec, exec, s[2:3]
	scratch_load_dword v7, off, off offset:216 ; 4-byte Folded Reload
	s_waitcnt vmcnt(0)
	v_cmp_gt_u32_e64 s[22:23], s82, v7
	s_and_saveexec_b64 s[2:3], s[22:23]
	s_cbranch_execz .LBB149_19
; %bb.18:                               ;   in Loop: Header=BB149_13 Depth=1
	global_load_dword v5, v[2:3], off offset:512
.LBB149_19:                             ;   in Loop: Header=BB149_13 Depth=1
	s_or_b64 exec, exec, s[2:3]
	scratch_load_dword v7, off, off offset:220 ; 4-byte Folded Reload
	v_mov_b32_e32 v8, 0
	s_waitcnt vmcnt(0)
	v_cmp_gt_u32_e64 s[24:25], s82, v7
	v_mov_b32_e32 v7, 0
	s_and_saveexec_b64 s[2:3], s[24:25]
	s_cbranch_execz .LBB149_21
; %bb.20:                               ;   in Loop: Header=BB149_13 Depth=1
	global_load_dword v8, v[2:3], off offset:768
.LBB149_21:                             ;   in Loop: Header=BB149_13 Depth=1
	s_or_b64 exec, exec, s[2:3]
	scratch_load_dword v9, off, off offset:224 ; 4-byte Folded Reload
	s_waitcnt vmcnt(0)
	v_cmp_gt_u32_e64 s[26:27], s82, v9
	s_and_saveexec_b64 s[2:3], s[26:27]
	s_cbranch_execz .LBB149_23
; %bb.22:                               ;   in Loop: Header=BB149_13 Depth=1
	global_load_dword v7, v[2:3], off offset:1024
.LBB149_23:                             ;   in Loop: Header=BB149_13 Depth=1
	;; [unrolled: 20-line block ×7, first 2 shown]
	s_or_b64 exec, exec, s[2:3]
	scratch_load_dword v18, off, off offset:268 ; 4-byte Folded Reload
	v_mov_b32_e32 v20, 0
	s_waitcnt vmcnt(0)
	v_cmp_gt_u32_e64 s[50:51], s82, v18
	v_mov_b32_e32 v18, 0
	s_and_saveexec_b64 s[2:3], s[50:51]
	s_cbranch_execz .LBB149_45
; %bb.44:                               ;   in Loop: Header=BB149_13 Depth=1
	global_load_dword v20, v[2:3], off offset:3840
.LBB149_45:                             ;   in Loop: Header=BB149_13 Depth=1
	s_or_b64 exec, exec, s[2:3]
	scratch_load_dword v2, off, off         ; 4-byte Folded Reload
	v_readlane_b32 s2, v95, 3
	v_readlane_b32 s3, v95, 4
	s_waitcnt vmcnt(0)
	ds_write_b32 v2, v4
	scratch_load_dword v2, off, off offset:4 ; 4-byte Folded Reload
	v_lshl_add_u64 v[28:29], s[2:3], 0, v[0:1]
	s_waitcnt vmcnt(0)
	ds_write_b32 v2, v6 offset:256
	scratch_load_dword v2, off, off offset:8 ; 4-byte Folded Reload
	s_waitcnt vmcnt(0)
	ds_write_b32 v2, v5 offset:512
	scratch_load_dword v2, off, off offset:12 ; 4-byte Folded Reload
	s_waitcnt vmcnt(0)
	ds_write_b32 v2, v8 offset:768
	scratch_load_dword v2, off, off offset:16 ; 4-byte Folded Reload
	s_waitcnt vmcnt(0)
	ds_write_b32 v2, v7 offset:1024
	scratch_load_dword v2, off, off offset:20 ; 4-byte Folded Reload
	s_waitcnt vmcnt(0)
	ds_write_b32 v2, v10 offset:1280
	scratch_load_dword v2, off, off offset:24 ; 4-byte Folded Reload
	s_waitcnt vmcnt(0)
	ds_write_b32 v2, v9 offset:1536
	scratch_load_dword v2, off, off offset:28 ; 4-byte Folded Reload
	s_waitcnt vmcnt(0)
	ds_write_b32 v2, v12 offset:1792
	scratch_load_dword v2, off, off offset:32 ; 4-byte Folded Reload
	s_waitcnt vmcnt(0)
	ds_write_b32 v2, v11 offset:2048
	scratch_load_dword v2, off, off offset:36 ; 4-byte Folded Reload
	s_waitcnt vmcnt(0)
	ds_write_b32 v2, v14 offset:2304
	scratch_load_dword v2, off, off offset:40 ; 4-byte Folded Reload
	s_waitcnt vmcnt(0)
	ds_write_b32 v2, v13 offset:2560
	scratch_load_dword v2, off, off offset:44 ; 4-byte Folded Reload
	s_waitcnt vmcnt(0)
	ds_write_b32 v2, v16 offset:2816
	scratch_load_dword v2, off, off offset:48 ; 4-byte Folded Reload
	s_waitcnt vmcnt(0)
	ds_write_b32 v2, v15 offset:3072
	scratch_load_dword v2, off, off offset:52 ; 4-byte Folded Reload
	s_waitcnt vmcnt(0)
	ds_write_b32 v2, v19 offset:3328
	scratch_load_dword v2, off, off offset:56 ; 4-byte Folded Reload
	s_waitcnt vmcnt(0)
	ds_write_b32 v2, v17 offset:3584
	scratch_load_dword v2, off, off offset:60 ; 4-byte Folded Reload
	s_waitcnt vmcnt(0)
	ds_write_b32 v2, v20 offset:3840
	; wave barrier
	ds_read2_b32 v[2:3], v23 offset1:1
	ds_read2_b32 v[4:5], v23 offset0:2 offset1:3
	ds_read2_b32 v[6:7], v23 offset0:4 offset1:5
	;; [unrolled: 1-line block ×7, first 2 shown]
	s_waitcnt lgkmcnt(0)
	; wave barrier
	s_waitcnt lgkmcnt(0)
	s_and_saveexec_b64 s[2:3], s[18:19]
	s_cbranch_execz .LBB149_47
; %bb.46:                               ;   in Loop: Header=BB149_13 Depth=1
	global_load_dword v18, v[28:29], off
.LBB149_47:                             ;   in Loop: Header=BB149_13 Depth=1
	s_or_b64 exec, exec, s[2:3]
	v_mov_b32_e32 v19, 0
	v_mov_b32_e32 v20, 0
	s_and_saveexec_b64 s[2:3], s[20:21]
	s_cbranch_execz .LBB149_49
; %bb.48:                               ;   in Loop: Header=BB149_13 Depth=1
	global_load_dword v20, v[28:29], off offset:256
.LBB149_49:                             ;   in Loop: Header=BB149_13 Depth=1
	s_or_b64 exec, exec, s[2:3]
	s_and_saveexec_b64 s[2:3], s[22:23]
	s_cbranch_execz .LBB149_51
; %bb.50:                               ;   in Loop: Header=BB149_13 Depth=1
	global_load_dword v19, v[28:29], off offset:512
.LBB149_51:                             ;   in Loop: Header=BB149_13 Depth=1
	s_or_b64 exec, exec, s[2:3]
	v_mov_b32_e32 v21, 0
	v_mov_b32_e32 v22, 0
	s_and_saveexec_b64 s[2:3], s[24:25]
	s_cbranch_execz .LBB149_53
; %bb.52:                               ;   in Loop: Header=BB149_13 Depth=1
	global_load_dword v22, v[28:29], off offset:768
.LBB149_53:                             ;   in Loop: Header=BB149_13 Depth=1
	s_or_b64 exec, exec, s[2:3]
	s_and_saveexec_b64 s[2:3], s[26:27]
	s_cbranch_execz .LBB149_55
; %bb.54:                               ;   in Loop: Header=BB149_13 Depth=1
	global_load_dword v21, v[28:29], off offset:1024
.LBB149_55:                             ;   in Loop: Header=BB149_13 Depth=1
	;; [unrolled: 14-line block ×6, first 2 shown]
	s_or_b64 exec, exec, s[2:3]
	v_mov_b32_e32 v35, 0
	v_mov_b32_e32 v36, 0
	s_and_saveexec_b64 s[2:3], s[46:47]
	s_cbranch_execnz .LBB149_250
; %bb.72:                               ;   in Loop: Header=BB149_13 Depth=1
	s_or_b64 exec, exec, s[2:3]
	s_and_saveexec_b64 s[2:3], s[48:49]
	s_cbranch_execnz .LBB149_251
.LBB149_73:                             ;   in Loop: Header=BB149_13 Depth=1
	s_or_b64 exec, exec, s[2:3]
	v_mov_b32_e32 v37, 0
	s_and_saveexec_b64 s[2:3], s[50:51]
	s_cbranch_execz .LBB149_75
.LBB149_74:                             ;   in Loop: Header=BB149_13 Depth=1
	global_load_dword v37, v[28:29], off offset:3840
.LBB149_75:                             ;   in Loop: Header=BB149_13 Depth=1
	s_or_b64 exec, exec, s[2:3]
	scratch_load_dword v24, off, off        ; 4-byte Folded Reload
	s_mov_b32 s2, 0x41a00000
	s_waitcnt vmcnt(0)
	ds_write_b32 v24, v18
	scratch_load_dword v18, off, off offset:4 ; 4-byte Folded Reload
	s_waitcnt vmcnt(0)
	ds_write_b32 v18, v20 offset:256
	scratch_load_dword v18, off, off offset:8 ; 4-byte Folded Reload
	s_waitcnt vmcnt(0)
	ds_write_b32 v18, v19 offset:512
	;; [unrolled: 3-line block ×15, first 2 shown]
	; wave barrier
	ds_read2_b32 v[42:43], v23 offset1:1
	ds_read2_b32 v[40:41], v23 offset0:2 offset1:3
	ds_read2_b32 v[38:39], v23 offset0:4 offset1:5
	;; [unrolled: 1-line block ×7, first 2 shown]
	s_waitcnt lgkmcnt(7)
	v_add_f32_e32 v72, s56, v42
	v_cmp_ge_f32_e32 vcc, s2, v72
	v_readlane_b32 s2, v95, 18
	v_readlane_b32 s3, v95, 19
	s_and_b64 s[2:3], s[2:3], vcc
	s_and_saveexec_b64 s[52:53], s[2:3]
	s_cbranch_execz .LBB149_77
; %bb.76:                               ;   in Loop: Header=BB149_13 Depth=1
	v_mul_f32_e32 v18, 0x3fb8aa3b, v72
	v_rndne_f32_e32 v19, v18
	s_mov_b32 s2, 0x3fb8aa3b
	v_sub_f32_e32 v20, v18, v19
	v_fma_f32 v18, v72, s2, -v18
	v_fmac_f32_e32 v18, 0x32a5705f, v72
	v_add_f32_e32 v18, v20, v18
	v_cvt_i32_f32_e32 v19, v19
	v_exp_f32_e32 v18, v18
	s_mov_b32 s2, 0xc2ce8ed0
	v_cmp_ngt_f32_e32 vcc, s2, v72
	s_mov_b32 s2, 0x42b17218
	v_ldexp_f32 v18, v18, v19
	v_cndmask_b32_e32 v18, 0, v18, vcc
	v_cmp_nlt_f32_e32 vcc, s2, v72
	s_mov_b32 s2, 0x3f2aaaab
	s_nop 0
	v_cndmask_b32_e32 v42, v56, v18, vcc
	v_add_f32_e32 v20, 1.0, v42
	v_add_f32_e32 v18, -1.0, v20
	v_sub_f32_e32 v19, v18, v20
	v_add_f32_e32 v19, 1.0, v19
	v_sub_f32_e32 v18, v42, v18
	v_add_f32_e32 v21, v18, v19
	v_frexp_mant_f32_e32 v22, v20
	v_cvt_f64_f32_e32 v[18:19], v20
	v_frexp_exp_i32_f64_e32 v18, v[18:19]
	v_cmp_gt_f32_e32 vcc, s2, v22
	s_mov_b32 s2, 0x3f317218
	s_nop 0
	v_subbrev_co_u32_e32 v22, vcc, 0, v18, vcc
	v_sub_u32_e32 v18, 0, v22
	v_ldexp_f32 v19, v20, v18
	v_add_f32_e32 v20, -1.0, v19
	v_add_f32_e32 v25, 1.0, v19
	v_ldexp_f32 v18, v21, v18
	v_add_f32_e32 v21, 1.0, v20
	v_add_f32_e32 v26, -1.0, v25
	v_sub_f32_e32 v21, v19, v21
	v_sub_f32_e32 v19, v19, v26
	v_add_f32_e32 v21, v18, v21
	v_add_f32_e32 v18, v18, v19
	;; [unrolled: 1-line block ×3, first 2 shown]
	v_rcp_f32_e32 v47, v46
	v_sub_f32_e32 v19, v25, v46
	v_add_f32_e32 v25, v18, v19
	v_add_f32_e32 v19, v20, v21
	v_mul_f32_e32 v49, v19, v47
	v_sub_f32_e32 v18, v20, v19
	v_mul_f32_e32 v20, v46, v49
	v_fma_f32 v26, v49, v46, -v20
	v_fmac_f32_e32 v26, v49, v25
	v_add_f32_e32 v48, v21, v18
	v_add_f32_e32 v18, v20, v26
	v_sub_f32_e32 v21, v19, v18
	v_pk_add_f32 v[44:45], v[18:19], v[20:21] neg_lo:[0,1] neg_hi:[0,1]
	v_mov_b32_e32 v27, v18
	v_pk_add_f32 v[18:19], v[44:45], v[26:27] neg_lo:[0,1] neg_hi:[0,1]
	s_nop 0
	v_add_f32_e32 v19, v48, v19
	v_add_f32_e32 v18, v18, v19
	;; [unrolled: 1-line block ×3, first 2 shown]
	v_mul_f32_e32 v48, v47, v19
	v_mul_f32_e32 v20, v46, v48
	v_fma_f32 v26, v48, v46, -v20
	v_fmac_f32_e32 v26, v48, v25
	v_sub_f32_e32 v21, v21, v19
	v_add_f32_e32 v25, v18, v21
	v_add_f32_e32 v18, v20, v26
	v_sub_f32_e32 v21, v19, v18
	v_pk_add_f32 v[44:45], v[18:19], v[20:21] neg_lo:[0,1] neg_hi:[0,1]
	v_mov_b32_e32 v27, v18
	v_pk_add_f32 v[18:19], v[44:45], v[26:27] neg_lo:[0,1] neg_hi:[0,1]
	scratch_load_dwordx2 v[44:45], off, off offset:196 ; 8-byte Folded Reload
	v_add_f32_e32 v19, v25, v19
	v_add_f32_e32 v18, v18, v19
	v_add_f32_e32 v19, v49, v48
	v_add_f32_e32 v18, v21, v18
	v_sub_f32_e32 v20, v19, v49
	v_mul_f32_e32 v18, v47, v18
	v_sub_f32_e32 v20, v48, v20
	v_add_f32_e32 v20, v20, v18
	v_add_f32_e32 v25, v19, v20
	v_mul_f32_e32 v26, v25, v25
	v_mov_b32_e32 v18, 0x3ecc95a3
	v_fmamk_f32 v18, v26, 0x3e9b6dac, v18
	s_waitcnt vmcnt(0)
	v_fmaak_f32 v45, v26, v18, 0x3f2aaada
	v_cvt_f32_i32_e32 v18, v22
	v_sub_f32_e32 v19, v25, v19
	v_sub_f32_e32 v19, v20, v19
	v_ldexp_f32 v22, v19, 1
	v_mul_f32_e32 v19, v25, v26
	v_ldexp_f32 v21, v25, 1
	v_mov_b32_e32 v20, v44
	v_pk_mul_f32 v[26:27], v[18:19], v[44:45]
	scratch_store_dwordx2 off, v[20:21], off offset:196 ; 8-byte Folded Spill
	v_fma_f32 v20, v18, s2, -v26
	v_fmac_f32_e32 v20, 0xb102e308, v18
	v_pk_add_f32 v[18:19], v[26:27], v[20:21]
	v_mov_b32_e32 v44, v26
	v_sub_f32_e32 v21, v19, v21
	v_sub_f32_e32 v21, v27, v21
	v_add_f32_e32 v45, v22, v21
	v_pk_add_f32 v[26:27], v[18:19], v[26:27] neg_lo:[0,1] neg_hi:[0,1]
	v_pk_add_f32 v[46:47], v[18:19], v[44:45]
	v_mov_b32_e32 v21, v18
	v_mov_b32_e32 v27, v47
	v_pk_add_f32 v[48:49], v[20:21], v[26:27] neg_lo:[0,1] neg_hi:[0,1]
	v_pk_add_f32 v[20:21], v[20:21], v[26:27]
	s_mov_b32 s2, 0x7f800000
	v_mov_b32_e32 v22, v21
	v_pk_add_f32 v[26:27], v[22:23], v[18:19] neg_lo:[0,1] neg_hi:[0,1]
	v_mov_b32_e32 v20, v47
	v_mov_b32_e32 v25, v26
	v_pk_add_f32 v[50:51], v[46:47], v[24:25] neg_lo:[0,1] neg_hi:[0,1]
	v_mov_b32_e32 v46, v19
	v_mov_b32_e32 v47, v26
	;; [unrolled: 1-line block ×3, first 2 shown]
	v_pk_add_f32 v[20:21], v[20:21], v[46:47] neg_lo:[0,1] neg_hi:[0,1]
	v_mov_b32_e32 v26, v45
	v_mov_b32_e32 v27, v18
	v_pk_add_f32 v[18:19], v[26:27], v[20:21] neg_lo:[0,1] neg_hi:[0,1]
	v_mov_b32_e32 v50, v48
	v_pk_add_f32 v[20:21], v[50:51], v[18:19]
	v_cmp_eq_f32_e32 vcc, s2, v42
	v_mov_b32_e32 v26, v21
	v_pk_add_f32 v[26:27], v[20:21], v[26:27]
	s_mov_b32 s2, 0x33800000
	v_pk_add_f32 v[44:45], v[22:23], v[26:27]
	v_mov_b32_e32 v19, v26
	v_mov_b32_e32 v21, v44
	v_pk_add_f32 v[46:47], v[20:21], v[48:49] neg_lo:[0,1] neg_hi:[0,1]
	v_cmp_gt_f32_e64 s[2:3], s2, v42
	v_sub_f32_e32 v20, v20, v46
	v_pk_add_f32 v[18:19], v[18:19], v[46:47] neg_lo:[0,1] neg_hi:[0,1]
	v_sub_f32_e32 v20, v48, v20
	v_add_f32_e32 v18, v18, v20
	v_add_f32_e32 v18, v18, v19
	;; [unrolled: 1-line block ×3, first 2 shown]
	s_or_b64 vcc, s[2:3], vcc
	v_cndmask_b32_e32 v72, v18, v42, vcc
.LBB149_77:                             ;   in Loop: Header=BB149_13 Depth=1
	s_or_b64 exec, exec, s[52:53]
	v_add_f32_e32 v73, s56, v43
	s_mov_b32 s2, 0x41a00000
	v_cmp_ge_f32_e32 vcc, s2, v73
	v_readlane_b32 s2, v95, 18
	v_readlane_b32 s3, v95, 19
	s_and_b64 s[2:3], s[2:3], vcc
	s_and_saveexec_b64 s[52:53], s[2:3]
	s_cbranch_execz .LBB149_79
; %bb.78:                               ;   in Loop: Header=BB149_13 Depth=1
	v_mul_f32_e32 v18, 0x3fb8aa3b, v73
	v_rndne_f32_e32 v19, v18
	s_mov_b32 s2, 0x3fb8aa3b
	v_sub_f32_e32 v20, v18, v19
	v_fma_f32 v18, v73, s2, -v18
	v_fmac_f32_e32 v18, 0x32a5705f, v73
	v_add_f32_e32 v18, v20, v18
	v_cvt_i32_f32_e32 v19, v19
	v_exp_f32_e32 v18, v18
	s_mov_b32 s2, 0xc2ce8ed0
	v_cmp_ngt_f32_e32 vcc, s2, v73
	s_mov_b32 s2, 0x42b17218
	v_ldexp_f32 v18, v18, v19
	v_cndmask_b32_e32 v18, 0, v18, vcc
	v_cmp_nlt_f32_e32 vcc, s2, v73
	s_mov_b32 s2, 0x3f2aaaab
	s_nop 0
	v_cndmask_b32_e32 v50, v56, v18, vcc
	v_add_f32_e32 v20, 1.0, v50
	v_add_f32_e32 v18, -1.0, v20
	v_sub_f32_e32 v19, v18, v20
	v_add_f32_e32 v19, 1.0, v19
	v_sub_f32_e32 v18, v50, v18
	v_add_f32_e32 v21, v18, v19
	v_frexp_mant_f32_e32 v22, v20
	v_cvt_f64_f32_e32 v[18:19], v20
	v_frexp_exp_i32_f64_e32 v18, v[18:19]
	v_cmp_gt_f32_e32 vcc, s2, v22
	s_mov_b32 s2, 0x3f317218
	s_nop 0
	v_subbrev_co_u32_e32 v22, vcc, 0, v18, vcc
	v_sub_u32_e32 v18, 0, v22
	v_ldexp_f32 v19, v20, v18
	v_add_f32_e32 v20, -1.0, v19
	v_add_f32_e32 v25, 1.0, v19
	v_ldexp_f32 v18, v21, v18
	v_add_f32_e32 v21, 1.0, v20
	v_add_f32_e32 v26, -1.0, v25
	v_sub_f32_e32 v21, v19, v21
	v_sub_f32_e32 v19, v19, v26
	v_add_f32_e32 v21, v18, v21
	v_add_f32_e32 v18, v18, v19
	;; [unrolled: 1-line block ×3, first 2 shown]
	v_rcp_f32_e32 v45, v44
	v_sub_f32_e32 v19, v25, v44
	v_add_f32_e32 v25, v18, v19
	v_add_f32_e32 v19, v20, v21
	v_mul_f32_e32 v47, v19, v45
	v_sub_f32_e32 v18, v20, v19
	v_mul_f32_e32 v20, v44, v47
	v_fma_f32 v26, v47, v44, -v20
	v_fmac_f32_e32 v26, v47, v25
	v_add_f32_e32 v46, v21, v18
	v_add_f32_e32 v18, v20, v26
	v_sub_f32_e32 v21, v19, v18
	v_pk_add_f32 v[42:43], v[18:19], v[20:21] neg_lo:[0,1] neg_hi:[0,1]
	v_mov_b32_e32 v27, v18
	v_pk_add_f32 v[18:19], v[42:43], v[26:27] neg_lo:[0,1] neg_hi:[0,1]
	s_nop 0
	v_add_f32_e32 v19, v46, v19
	v_add_f32_e32 v18, v18, v19
	;; [unrolled: 1-line block ×3, first 2 shown]
	v_mul_f32_e32 v46, v45, v19
	v_mul_f32_e32 v20, v44, v46
	v_fma_f32 v26, v46, v44, -v20
	v_fmac_f32_e32 v26, v46, v25
	v_sub_f32_e32 v21, v21, v19
	v_add_f32_e32 v25, v18, v21
	v_add_f32_e32 v18, v20, v26
	v_sub_f32_e32 v21, v19, v18
	v_pk_add_f32 v[42:43], v[18:19], v[20:21] neg_lo:[0,1] neg_hi:[0,1]
	v_mov_b32_e32 v27, v18
	v_pk_add_f32 v[18:19], v[42:43], v[26:27] neg_lo:[0,1] neg_hi:[0,1]
	scratch_load_dwordx2 v[42:43], off, off offset:196 ; 8-byte Folded Reload
	v_add_f32_e32 v19, v25, v19
	v_add_f32_e32 v18, v18, v19
	;; [unrolled: 1-line block ×4, first 2 shown]
	v_sub_f32_e32 v20, v19, v47
	v_mul_f32_e32 v18, v45, v18
	v_sub_f32_e32 v20, v46, v20
	v_add_f32_e32 v20, v20, v18
	v_add_f32_e32 v25, v19, v20
	v_mul_f32_e32 v26, v25, v25
	v_mov_b32_e32 v18, 0x3ecc95a3
	v_fmamk_f32 v18, v26, 0x3e9b6dac, v18
	s_waitcnt vmcnt(0)
	v_fmaak_f32 v43, v26, v18, 0x3f2aaada
	v_cvt_f32_i32_e32 v18, v22
	v_sub_f32_e32 v19, v25, v19
	v_sub_f32_e32 v19, v20, v19
	v_ldexp_f32 v22, v19, 1
	v_mul_f32_e32 v19, v25, v26
	v_ldexp_f32 v21, v25, 1
	v_mov_b32_e32 v20, v42
	v_pk_mul_f32 v[26:27], v[18:19], v[42:43]
	scratch_store_dwordx2 off, v[20:21], off offset:196 ; 8-byte Folded Spill
	v_fma_f32 v20, v18, s2, -v26
	v_fmac_f32_e32 v20, 0xb102e308, v18
	v_pk_add_f32 v[18:19], v[26:27], v[20:21]
	v_mov_b32_e32 v42, v26
	v_sub_f32_e32 v21, v19, v21
	v_sub_f32_e32 v21, v27, v21
	v_add_f32_e32 v43, v22, v21
	v_pk_add_f32 v[26:27], v[18:19], v[26:27] neg_lo:[0,1] neg_hi:[0,1]
	v_pk_add_f32 v[44:45], v[18:19], v[42:43]
	v_mov_b32_e32 v21, v18
	v_mov_b32_e32 v27, v45
	v_pk_add_f32 v[46:47], v[20:21], v[26:27] neg_lo:[0,1] neg_hi:[0,1]
	v_pk_add_f32 v[20:21], v[20:21], v[26:27]
	s_mov_b32 s2, 0x7f800000
	v_mov_b32_e32 v22, v21
	v_pk_add_f32 v[26:27], v[22:23], v[18:19] neg_lo:[0,1] neg_hi:[0,1]
	v_mov_b32_e32 v20, v45
	v_mov_b32_e32 v25, v26
	v_pk_add_f32 v[48:49], v[44:45], v[24:25] neg_lo:[0,1] neg_hi:[0,1]
	v_mov_b32_e32 v44, v19
	v_mov_b32_e32 v45, v26
	v_mov_b32_e32 v47, v21
	v_pk_add_f32 v[20:21], v[20:21], v[44:45] neg_lo:[0,1] neg_hi:[0,1]
	v_mov_b32_e32 v26, v43
	v_mov_b32_e32 v27, v18
	v_pk_add_f32 v[18:19], v[26:27], v[20:21] neg_lo:[0,1] neg_hi:[0,1]
	v_mov_b32_e32 v48, v46
	v_pk_add_f32 v[20:21], v[48:49], v[18:19]
	v_cmp_eq_f32_e32 vcc, s2, v50
	v_mov_b32_e32 v26, v21
	v_pk_add_f32 v[26:27], v[20:21], v[26:27]
	s_mov_b32 s2, 0x33800000
	v_pk_add_f32 v[42:43], v[22:23], v[26:27]
	v_mov_b32_e32 v19, v26
	v_mov_b32_e32 v21, v42
	v_pk_add_f32 v[44:45], v[20:21], v[46:47] neg_lo:[0,1] neg_hi:[0,1]
	v_cmp_gt_f32_e64 s[2:3], s2, v50
	v_sub_f32_e32 v20, v20, v44
	v_pk_add_f32 v[18:19], v[18:19], v[44:45] neg_lo:[0,1] neg_hi:[0,1]
	v_sub_f32_e32 v20, v46, v20
	v_add_f32_e32 v18, v18, v20
	v_add_f32_e32 v18, v18, v19
	;; [unrolled: 1-line block ×3, first 2 shown]
	s_or_b64 vcc, s[2:3], vcc
	v_cndmask_b32_e32 v73, v18, v50, vcc
.LBB149_79:                             ;   in Loop: Header=BB149_13 Depth=1
	s_or_b64 exec, exec, s[52:53]
	s_waitcnt lgkmcnt(6)
	v_add_f32_e32 v74, s56, v40
	s_mov_b32 s2, 0x41a00000
	v_cmp_ge_f32_e32 vcc, s2, v74
	v_readlane_b32 s2, v95, 18
	v_readlane_b32 s3, v95, 19
	s_and_b64 s[2:3], s[2:3], vcc
	s_and_saveexec_b64 s[52:53], s[2:3]
	s_cbranch_execz .LBB149_81
; %bb.80:                               ;   in Loop: Header=BB149_13 Depth=1
	v_mul_f32_e32 v18, 0x3fb8aa3b, v74
	v_rndne_f32_e32 v19, v18
	s_mov_b32 s2, 0x3fb8aa3b
	v_sub_f32_e32 v20, v18, v19
	v_fma_f32 v18, v74, s2, -v18
	v_fmac_f32_e32 v18, 0x32a5705f, v74
	v_add_f32_e32 v18, v20, v18
	v_cvt_i32_f32_e32 v19, v19
	v_exp_f32_e32 v18, v18
	s_mov_b32 s2, 0xc2ce8ed0
	v_cmp_ngt_f32_e32 vcc, s2, v74
	s_mov_b32 s2, 0x42b17218
	v_ldexp_f32 v18, v18, v19
	v_cndmask_b32_e32 v18, 0, v18, vcc
	v_cmp_nlt_f32_e32 vcc, s2, v74
	s_mov_b32 s2, 0x3f2aaaab
	s_nop 0
	v_cndmask_b32_e32 v40, v56, v18, vcc
	v_add_f32_e32 v20, 1.0, v40
	v_add_f32_e32 v18, -1.0, v20
	v_sub_f32_e32 v19, v18, v20
	v_add_f32_e32 v19, 1.0, v19
	v_sub_f32_e32 v18, v40, v18
	v_add_f32_e32 v21, v18, v19
	v_frexp_mant_f32_e32 v22, v20
	v_cvt_f64_f32_e32 v[18:19], v20
	v_frexp_exp_i32_f64_e32 v18, v[18:19]
	v_cmp_gt_f32_e32 vcc, s2, v22
	s_mov_b32 s2, 0x3f317218
	s_nop 0
	v_subbrev_co_u32_e32 v22, vcc, 0, v18, vcc
	v_sub_u32_e32 v18, 0, v22
	v_ldexp_f32 v19, v20, v18
	v_add_f32_e32 v20, -1.0, v19
	v_add_f32_e32 v25, 1.0, v19
	v_ldexp_f32 v18, v21, v18
	v_add_f32_e32 v21, 1.0, v20
	v_add_f32_e32 v26, -1.0, v25
	v_sub_f32_e32 v21, v19, v21
	v_sub_f32_e32 v19, v19, v26
	v_add_f32_e32 v21, v18, v21
	v_add_f32_e32 v18, v18, v19
	;; [unrolled: 1-line block ×3, first 2 shown]
	v_rcp_f32_e32 v45, v44
	v_sub_f32_e32 v19, v25, v44
	v_add_f32_e32 v25, v18, v19
	v_add_f32_e32 v19, v20, v21
	v_mul_f32_e32 v47, v19, v45
	v_sub_f32_e32 v18, v20, v19
	v_mul_f32_e32 v20, v44, v47
	v_fma_f32 v26, v47, v44, -v20
	v_fmac_f32_e32 v26, v47, v25
	v_add_f32_e32 v46, v21, v18
	v_add_f32_e32 v18, v20, v26
	v_sub_f32_e32 v21, v19, v18
	v_pk_add_f32 v[42:43], v[18:19], v[20:21] neg_lo:[0,1] neg_hi:[0,1]
	v_mov_b32_e32 v27, v18
	v_pk_add_f32 v[18:19], v[42:43], v[26:27] neg_lo:[0,1] neg_hi:[0,1]
	s_nop 0
	v_add_f32_e32 v19, v46, v19
	v_add_f32_e32 v18, v18, v19
	;; [unrolled: 1-line block ×3, first 2 shown]
	v_mul_f32_e32 v46, v45, v19
	v_mul_f32_e32 v20, v44, v46
	v_fma_f32 v26, v46, v44, -v20
	v_fmac_f32_e32 v26, v46, v25
	v_sub_f32_e32 v21, v21, v19
	v_add_f32_e32 v25, v18, v21
	v_add_f32_e32 v18, v20, v26
	v_sub_f32_e32 v21, v19, v18
	v_pk_add_f32 v[42:43], v[18:19], v[20:21] neg_lo:[0,1] neg_hi:[0,1]
	v_mov_b32_e32 v27, v18
	v_pk_add_f32 v[18:19], v[42:43], v[26:27] neg_lo:[0,1] neg_hi:[0,1]
	scratch_load_dwordx2 v[42:43], off, off offset:196 ; 8-byte Folded Reload
	v_add_f32_e32 v19, v25, v19
	v_add_f32_e32 v18, v18, v19
	;; [unrolled: 1-line block ×4, first 2 shown]
	v_sub_f32_e32 v20, v19, v47
	v_mul_f32_e32 v18, v45, v18
	v_sub_f32_e32 v20, v46, v20
	v_add_f32_e32 v20, v20, v18
	v_add_f32_e32 v25, v19, v20
	v_mul_f32_e32 v26, v25, v25
	v_mov_b32_e32 v18, 0x3ecc95a3
	v_fmamk_f32 v18, v26, 0x3e9b6dac, v18
	s_waitcnt vmcnt(0)
	v_fmaak_f32 v43, v26, v18, 0x3f2aaada
	v_cvt_f32_i32_e32 v18, v22
	v_sub_f32_e32 v19, v25, v19
	v_sub_f32_e32 v19, v20, v19
	v_ldexp_f32 v22, v19, 1
	v_mul_f32_e32 v19, v25, v26
	v_ldexp_f32 v21, v25, 1
	v_mov_b32_e32 v20, v42
	v_pk_mul_f32 v[26:27], v[18:19], v[42:43]
	scratch_store_dwordx2 off, v[20:21], off offset:196 ; 8-byte Folded Spill
	v_fma_f32 v20, v18, s2, -v26
	v_fmac_f32_e32 v20, 0xb102e308, v18
	v_pk_add_f32 v[18:19], v[26:27], v[20:21]
	v_mov_b32_e32 v42, v26
	v_sub_f32_e32 v21, v19, v21
	v_sub_f32_e32 v21, v27, v21
	v_add_f32_e32 v43, v22, v21
	v_pk_add_f32 v[26:27], v[18:19], v[26:27] neg_lo:[0,1] neg_hi:[0,1]
	v_pk_add_f32 v[44:45], v[18:19], v[42:43]
	v_mov_b32_e32 v21, v18
	v_mov_b32_e32 v27, v45
	v_pk_add_f32 v[46:47], v[20:21], v[26:27] neg_lo:[0,1] neg_hi:[0,1]
	v_pk_add_f32 v[20:21], v[20:21], v[26:27]
	s_mov_b32 s2, 0x7f800000
	v_mov_b32_e32 v22, v21
	v_pk_add_f32 v[26:27], v[22:23], v[18:19] neg_lo:[0,1] neg_hi:[0,1]
	v_mov_b32_e32 v20, v45
	v_mov_b32_e32 v25, v26
	v_pk_add_f32 v[48:49], v[44:45], v[24:25] neg_lo:[0,1] neg_hi:[0,1]
	v_mov_b32_e32 v44, v19
	v_mov_b32_e32 v45, v26
	;; [unrolled: 1-line block ×3, first 2 shown]
	v_pk_add_f32 v[20:21], v[20:21], v[44:45] neg_lo:[0,1] neg_hi:[0,1]
	v_mov_b32_e32 v26, v43
	v_mov_b32_e32 v27, v18
	v_pk_add_f32 v[18:19], v[26:27], v[20:21] neg_lo:[0,1] neg_hi:[0,1]
	v_mov_b32_e32 v48, v46
	v_pk_add_f32 v[20:21], v[48:49], v[18:19]
	v_cmp_eq_f32_e32 vcc, s2, v40
	v_mov_b32_e32 v26, v21
	v_pk_add_f32 v[26:27], v[20:21], v[26:27]
	s_mov_b32 s2, 0x33800000
	v_pk_add_f32 v[42:43], v[22:23], v[26:27]
	v_mov_b32_e32 v19, v26
	v_mov_b32_e32 v21, v42
	v_pk_add_f32 v[44:45], v[20:21], v[46:47] neg_lo:[0,1] neg_hi:[0,1]
	v_cmp_gt_f32_e64 s[2:3], s2, v40
	v_sub_f32_e32 v20, v20, v44
	v_pk_add_f32 v[18:19], v[18:19], v[44:45] neg_lo:[0,1] neg_hi:[0,1]
	v_sub_f32_e32 v20, v46, v20
	v_add_f32_e32 v18, v18, v20
	v_add_f32_e32 v18, v18, v19
	;; [unrolled: 1-line block ×3, first 2 shown]
	s_or_b64 vcc, s[2:3], vcc
	v_cndmask_b32_e32 v74, v18, v40, vcc
.LBB149_81:                             ;   in Loop: Header=BB149_13 Depth=1
	s_or_b64 exec, exec, s[52:53]
	v_add_f32_e32 v75, s56, v41
	s_mov_b32 s2, 0x41a00000
	v_cmp_ge_f32_e32 vcc, s2, v75
	v_readlane_b32 s2, v95, 18
	v_readlane_b32 s3, v95, 19
	s_and_b64 s[2:3], s[2:3], vcc
	s_and_saveexec_b64 s[52:53], s[2:3]
	s_cbranch_execz .LBB149_83
; %bb.82:                               ;   in Loop: Header=BB149_13 Depth=1
	v_mul_f32_e32 v18, 0x3fb8aa3b, v75
	v_rndne_f32_e32 v19, v18
	s_mov_b32 s2, 0x3fb8aa3b
	v_sub_f32_e32 v20, v18, v19
	v_fma_f32 v18, v75, s2, -v18
	v_fmac_f32_e32 v18, 0x32a5705f, v75
	v_add_f32_e32 v18, v20, v18
	v_cvt_i32_f32_e32 v19, v19
	v_exp_f32_e32 v18, v18
	s_mov_b32 s2, 0xc2ce8ed0
	v_cmp_ngt_f32_e32 vcc, s2, v75
	s_mov_b32 s2, 0x42b17218
	v_ldexp_f32 v18, v18, v19
	v_cndmask_b32_e32 v18, 0, v18, vcc
	v_cmp_nlt_f32_e32 vcc, s2, v75
	s_mov_b32 s2, 0x3f2aaaab
	s_nop 0
	v_cndmask_b32_e32 v48, v56, v18, vcc
	v_add_f32_e32 v20, 1.0, v48
	v_add_f32_e32 v18, -1.0, v20
	v_sub_f32_e32 v19, v18, v20
	v_add_f32_e32 v19, 1.0, v19
	v_sub_f32_e32 v18, v48, v18
	v_add_f32_e32 v21, v18, v19
	v_frexp_mant_f32_e32 v22, v20
	v_cvt_f64_f32_e32 v[18:19], v20
	v_frexp_exp_i32_f64_e32 v18, v[18:19]
	v_cmp_gt_f32_e32 vcc, s2, v22
	s_mov_b32 s2, 0x3f317218
	s_nop 0
	v_subbrev_co_u32_e32 v22, vcc, 0, v18, vcc
	v_sub_u32_e32 v18, 0, v22
	v_ldexp_f32 v19, v20, v18
	v_add_f32_e32 v20, -1.0, v19
	v_add_f32_e32 v25, 1.0, v19
	v_ldexp_f32 v18, v21, v18
	v_add_f32_e32 v21, 1.0, v20
	v_add_f32_e32 v26, -1.0, v25
	v_sub_f32_e32 v21, v19, v21
	v_sub_f32_e32 v19, v19, v26
	v_add_f32_e32 v21, v18, v21
	v_add_f32_e32 v18, v18, v19
	;; [unrolled: 1-line block ×3, first 2 shown]
	v_rcp_f32_e32 v43, v42
	v_sub_f32_e32 v19, v25, v42
	v_add_f32_e32 v25, v18, v19
	v_add_f32_e32 v19, v20, v21
	v_mul_f32_e32 v45, v19, v43
	v_sub_f32_e32 v18, v20, v19
	v_mul_f32_e32 v20, v42, v45
	v_fma_f32 v26, v45, v42, -v20
	v_fmac_f32_e32 v26, v45, v25
	v_add_f32_e32 v44, v21, v18
	v_add_f32_e32 v18, v20, v26
	v_sub_f32_e32 v21, v19, v18
	v_pk_add_f32 v[40:41], v[18:19], v[20:21] neg_lo:[0,1] neg_hi:[0,1]
	v_mov_b32_e32 v27, v18
	v_pk_add_f32 v[18:19], v[40:41], v[26:27] neg_lo:[0,1] neg_hi:[0,1]
	s_nop 0
	v_add_f32_e32 v19, v44, v19
	v_add_f32_e32 v18, v18, v19
	;; [unrolled: 1-line block ×3, first 2 shown]
	v_mul_f32_e32 v44, v43, v19
	v_mul_f32_e32 v20, v42, v44
	v_fma_f32 v26, v44, v42, -v20
	v_fmac_f32_e32 v26, v44, v25
	v_sub_f32_e32 v21, v21, v19
	v_add_f32_e32 v25, v18, v21
	v_add_f32_e32 v18, v20, v26
	v_sub_f32_e32 v21, v19, v18
	v_pk_add_f32 v[40:41], v[18:19], v[20:21] neg_lo:[0,1] neg_hi:[0,1]
	v_mov_b32_e32 v27, v18
	v_pk_add_f32 v[18:19], v[40:41], v[26:27] neg_lo:[0,1] neg_hi:[0,1]
	scratch_load_dwordx2 v[40:41], off, off offset:196 ; 8-byte Folded Reload
	v_add_f32_e32 v19, v25, v19
	v_add_f32_e32 v18, v18, v19
	v_add_f32_e32 v19, v45, v44
	v_add_f32_e32 v18, v21, v18
	v_sub_f32_e32 v20, v19, v45
	v_mul_f32_e32 v18, v43, v18
	v_sub_f32_e32 v20, v44, v20
	v_add_f32_e32 v20, v20, v18
	v_add_f32_e32 v25, v19, v20
	v_mul_f32_e32 v26, v25, v25
	v_mov_b32_e32 v18, 0x3ecc95a3
	v_fmamk_f32 v18, v26, 0x3e9b6dac, v18
	s_waitcnt vmcnt(0)
	v_fmaak_f32 v41, v26, v18, 0x3f2aaada
	v_cvt_f32_i32_e32 v18, v22
	v_sub_f32_e32 v19, v25, v19
	v_sub_f32_e32 v19, v20, v19
	v_ldexp_f32 v22, v19, 1
	v_mul_f32_e32 v19, v25, v26
	v_ldexp_f32 v21, v25, 1
	v_mov_b32_e32 v20, v40
	v_pk_mul_f32 v[26:27], v[18:19], v[40:41]
	scratch_store_dwordx2 off, v[20:21], off offset:196 ; 8-byte Folded Spill
	v_fma_f32 v20, v18, s2, -v26
	v_fmac_f32_e32 v20, 0xb102e308, v18
	v_pk_add_f32 v[18:19], v[26:27], v[20:21]
	v_mov_b32_e32 v40, v26
	v_sub_f32_e32 v21, v19, v21
	v_sub_f32_e32 v21, v27, v21
	v_add_f32_e32 v41, v22, v21
	v_pk_add_f32 v[26:27], v[18:19], v[26:27] neg_lo:[0,1] neg_hi:[0,1]
	v_pk_add_f32 v[42:43], v[18:19], v[40:41]
	v_mov_b32_e32 v21, v18
	v_mov_b32_e32 v27, v43
	v_pk_add_f32 v[44:45], v[20:21], v[26:27] neg_lo:[0,1] neg_hi:[0,1]
	v_pk_add_f32 v[20:21], v[20:21], v[26:27]
	s_mov_b32 s2, 0x7f800000
	v_mov_b32_e32 v22, v21
	v_pk_add_f32 v[26:27], v[22:23], v[18:19] neg_lo:[0,1] neg_hi:[0,1]
	v_mov_b32_e32 v20, v43
	v_mov_b32_e32 v25, v26
	v_pk_add_f32 v[46:47], v[42:43], v[24:25] neg_lo:[0,1] neg_hi:[0,1]
	v_mov_b32_e32 v42, v19
	v_mov_b32_e32 v43, v26
	v_mov_b32_e32 v45, v21
	v_pk_add_f32 v[20:21], v[20:21], v[42:43] neg_lo:[0,1] neg_hi:[0,1]
	v_mov_b32_e32 v26, v41
	v_mov_b32_e32 v27, v18
	v_pk_add_f32 v[18:19], v[26:27], v[20:21] neg_lo:[0,1] neg_hi:[0,1]
	v_mov_b32_e32 v46, v44
	v_pk_add_f32 v[20:21], v[46:47], v[18:19]
	v_cmp_eq_f32_e32 vcc, s2, v48
	v_mov_b32_e32 v26, v21
	v_pk_add_f32 v[26:27], v[20:21], v[26:27]
	s_mov_b32 s2, 0x33800000
	v_pk_add_f32 v[40:41], v[22:23], v[26:27]
	v_mov_b32_e32 v19, v26
	v_mov_b32_e32 v21, v40
	v_pk_add_f32 v[42:43], v[20:21], v[44:45] neg_lo:[0,1] neg_hi:[0,1]
	v_cmp_gt_f32_e64 s[2:3], s2, v48
	v_sub_f32_e32 v20, v20, v42
	v_pk_add_f32 v[18:19], v[18:19], v[42:43] neg_lo:[0,1] neg_hi:[0,1]
	v_sub_f32_e32 v20, v44, v20
	v_add_f32_e32 v18, v18, v20
	v_add_f32_e32 v18, v18, v19
	;; [unrolled: 1-line block ×3, first 2 shown]
	s_or_b64 vcc, s[2:3], vcc
	v_cndmask_b32_e32 v75, v18, v48, vcc
.LBB149_83:                             ;   in Loop: Header=BB149_13 Depth=1
	s_or_b64 exec, exec, s[52:53]
	s_waitcnt lgkmcnt(5)
	v_add_f32_e32 v76, s56, v38
	s_mov_b32 s2, 0x41a00000
	v_cmp_ge_f32_e32 vcc, s2, v76
	v_readlane_b32 s2, v95, 18
	v_readlane_b32 s3, v95, 19
	s_and_b64 s[2:3], s[2:3], vcc
	s_and_saveexec_b64 s[52:53], s[2:3]
	s_cbranch_execz .LBB149_85
; %bb.84:                               ;   in Loop: Header=BB149_13 Depth=1
	v_mul_f32_e32 v18, 0x3fb8aa3b, v76
	v_rndne_f32_e32 v19, v18
	s_mov_b32 s2, 0x3fb8aa3b
	v_sub_f32_e32 v20, v18, v19
	v_fma_f32 v18, v76, s2, -v18
	v_fmac_f32_e32 v18, 0x32a5705f, v76
	v_add_f32_e32 v18, v20, v18
	v_cvt_i32_f32_e32 v19, v19
	v_exp_f32_e32 v18, v18
	s_mov_b32 s2, 0xc2ce8ed0
	v_cmp_ngt_f32_e32 vcc, s2, v76
	s_mov_b32 s2, 0x42b17218
	v_ldexp_f32 v18, v18, v19
	v_cndmask_b32_e32 v18, 0, v18, vcc
	v_cmp_nlt_f32_e32 vcc, s2, v76
	s_mov_b32 s2, 0x3f2aaaab
	s_nop 0
	v_cndmask_b32_e32 v38, v56, v18, vcc
	v_add_f32_e32 v20, 1.0, v38
	v_add_f32_e32 v18, -1.0, v20
	v_sub_f32_e32 v19, v18, v20
	v_add_f32_e32 v19, 1.0, v19
	v_sub_f32_e32 v18, v38, v18
	v_add_f32_e32 v21, v18, v19
	v_frexp_mant_f32_e32 v22, v20
	v_cvt_f64_f32_e32 v[18:19], v20
	v_frexp_exp_i32_f64_e32 v18, v[18:19]
	v_cmp_gt_f32_e32 vcc, s2, v22
	s_mov_b32 s2, 0x3f317218
	s_nop 0
	v_subbrev_co_u32_e32 v22, vcc, 0, v18, vcc
	v_sub_u32_e32 v18, 0, v22
	v_ldexp_f32 v19, v20, v18
	v_add_f32_e32 v20, -1.0, v19
	v_add_f32_e32 v25, 1.0, v19
	v_ldexp_f32 v18, v21, v18
	v_add_f32_e32 v21, 1.0, v20
	v_add_f32_e32 v26, -1.0, v25
	v_sub_f32_e32 v21, v19, v21
	v_sub_f32_e32 v19, v19, v26
	v_add_f32_e32 v21, v18, v21
	v_add_f32_e32 v18, v18, v19
	;; [unrolled: 1-line block ×3, first 2 shown]
	v_rcp_f32_e32 v43, v42
	v_sub_f32_e32 v19, v25, v42
	v_add_f32_e32 v25, v18, v19
	v_add_f32_e32 v19, v20, v21
	v_mul_f32_e32 v45, v19, v43
	v_sub_f32_e32 v18, v20, v19
	v_mul_f32_e32 v20, v42, v45
	v_fma_f32 v26, v45, v42, -v20
	v_fmac_f32_e32 v26, v45, v25
	v_add_f32_e32 v44, v21, v18
	v_add_f32_e32 v18, v20, v26
	v_sub_f32_e32 v21, v19, v18
	v_pk_add_f32 v[40:41], v[18:19], v[20:21] neg_lo:[0,1] neg_hi:[0,1]
	v_mov_b32_e32 v27, v18
	v_pk_add_f32 v[18:19], v[40:41], v[26:27] neg_lo:[0,1] neg_hi:[0,1]
	s_nop 0
	v_add_f32_e32 v19, v44, v19
	v_add_f32_e32 v18, v18, v19
	;; [unrolled: 1-line block ×3, first 2 shown]
	v_mul_f32_e32 v44, v43, v19
	v_mul_f32_e32 v20, v42, v44
	v_fma_f32 v26, v44, v42, -v20
	v_fmac_f32_e32 v26, v44, v25
	v_sub_f32_e32 v21, v21, v19
	v_add_f32_e32 v25, v18, v21
	v_add_f32_e32 v18, v20, v26
	v_sub_f32_e32 v21, v19, v18
	v_pk_add_f32 v[40:41], v[18:19], v[20:21] neg_lo:[0,1] neg_hi:[0,1]
	v_mov_b32_e32 v27, v18
	v_pk_add_f32 v[18:19], v[40:41], v[26:27] neg_lo:[0,1] neg_hi:[0,1]
	scratch_load_dwordx2 v[40:41], off, off offset:196 ; 8-byte Folded Reload
	v_add_f32_e32 v19, v25, v19
	v_add_f32_e32 v18, v18, v19
	;; [unrolled: 1-line block ×4, first 2 shown]
	v_sub_f32_e32 v20, v19, v45
	v_mul_f32_e32 v18, v43, v18
	v_sub_f32_e32 v20, v44, v20
	v_add_f32_e32 v20, v20, v18
	v_add_f32_e32 v25, v19, v20
	v_mul_f32_e32 v26, v25, v25
	v_mov_b32_e32 v18, 0x3ecc95a3
	v_fmamk_f32 v18, v26, 0x3e9b6dac, v18
	s_waitcnt vmcnt(0)
	v_fmaak_f32 v41, v26, v18, 0x3f2aaada
	v_cvt_f32_i32_e32 v18, v22
	v_sub_f32_e32 v19, v25, v19
	v_sub_f32_e32 v19, v20, v19
	v_ldexp_f32 v22, v19, 1
	v_mul_f32_e32 v19, v25, v26
	v_ldexp_f32 v21, v25, 1
	v_mov_b32_e32 v20, v40
	v_pk_mul_f32 v[26:27], v[18:19], v[40:41]
	scratch_store_dwordx2 off, v[20:21], off offset:196 ; 8-byte Folded Spill
	v_fma_f32 v20, v18, s2, -v26
	v_fmac_f32_e32 v20, 0xb102e308, v18
	v_pk_add_f32 v[18:19], v[26:27], v[20:21]
	v_mov_b32_e32 v40, v26
	v_sub_f32_e32 v21, v19, v21
	v_sub_f32_e32 v21, v27, v21
	v_add_f32_e32 v41, v22, v21
	v_pk_add_f32 v[26:27], v[18:19], v[26:27] neg_lo:[0,1] neg_hi:[0,1]
	v_pk_add_f32 v[42:43], v[18:19], v[40:41]
	v_mov_b32_e32 v21, v18
	v_mov_b32_e32 v27, v43
	v_pk_add_f32 v[44:45], v[20:21], v[26:27] neg_lo:[0,1] neg_hi:[0,1]
	v_pk_add_f32 v[20:21], v[20:21], v[26:27]
	s_mov_b32 s2, 0x7f800000
	v_mov_b32_e32 v22, v21
	v_pk_add_f32 v[26:27], v[22:23], v[18:19] neg_lo:[0,1] neg_hi:[0,1]
	v_mov_b32_e32 v20, v43
	v_mov_b32_e32 v25, v26
	v_pk_add_f32 v[46:47], v[42:43], v[24:25] neg_lo:[0,1] neg_hi:[0,1]
	v_mov_b32_e32 v42, v19
	v_mov_b32_e32 v43, v26
	;; [unrolled: 1-line block ×3, first 2 shown]
	v_pk_add_f32 v[20:21], v[20:21], v[42:43] neg_lo:[0,1] neg_hi:[0,1]
	v_mov_b32_e32 v26, v41
	v_mov_b32_e32 v27, v18
	v_pk_add_f32 v[18:19], v[26:27], v[20:21] neg_lo:[0,1] neg_hi:[0,1]
	v_mov_b32_e32 v46, v44
	v_pk_add_f32 v[20:21], v[46:47], v[18:19]
	v_cmp_eq_f32_e32 vcc, s2, v38
	v_mov_b32_e32 v26, v21
	v_pk_add_f32 v[26:27], v[20:21], v[26:27]
	s_mov_b32 s2, 0x33800000
	v_pk_add_f32 v[40:41], v[22:23], v[26:27]
	v_mov_b32_e32 v19, v26
	v_mov_b32_e32 v21, v40
	v_pk_add_f32 v[42:43], v[20:21], v[44:45] neg_lo:[0,1] neg_hi:[0,1]
	v_cmp_gt_f32_e64 s[2:3], s2, v38
	v_sub_f32_e32 v20, v20, v42
	v_pk_add_f32 v[18:19], v[18:19], v[42:43] neg_lo:[0,1] neg_hi:[0,1]
	v_sub_f32_e32 v20, v44, v20
	v_add_f32_e32 v18, v18, v20
	v_add_f32_e32 v18, v18, v19
	;; [unrolled: 1-line block ×3, first 2 shown]
	s_or_b64 vcc, s[2:3], vcc
	v_cndmask_b32_e32 v76, v18, v38, vcc
.LBB149_85:                             ;   in Loop: Header=BB149_13 Depth=1
	s_or_b64 exec, exec, s[52:53]
	v_add_f32_e32 v77, s56, v39
	s_mov_b32 s2, 0x41a00000
	v_cmp_ge_f32_e32 vcc, s2, v77
	v_readlane_b32 s2, v95, 18
	v_readlane_b32 s3, v95, 19
	s_and_b64 s[2:3], s[2:3], vcc
	s_and_saveexec_b64 s[52:53], s[2:3]
	s_cbranch_execz .LBB149_87
; %bb.86:                               ;   in Loop: Header=BB149_13 Depth=1
	v_mul_f32_e32 v18, 0x3fb8aa3b, v77
	v_rndne_f32_e32 v19, v18
	s_mov_b32 s2, 0x3fb8aa3b
	v_sub_f32_e32 v20, v18, v19
	v_fma_f32 v18, v77, s2, -v18
	v_fmac_f32_e32 v18, 0x32a5705f, v77
	v_add_f32_e32 v18, v20, v18
	v_cvt_i32_f32_e32 v19, v19
	v_exp_f32_e32 v18, v18
	s_mov_b32 s2, 0xc2ce8ed0
	v_cmp_ngt_f32_e32 vcc, s2, v77
	s_mov_b32 s2, 0x42b17218
	v_ldexp_f32 v18, v18, v19
	v_cndmask_b32_e32 v18, 0, v18, vcc
	v_cmp_nlt_f32_e32 vcc, s2, v77
	s_mov_b32 s2, 0x3f2aaaab
	s_nop 0
	v_cndmask_b32_e32 v46, v56, v18, vcc
	v_add_f32_e32 v20, 1.0, v46
	v_add_f32_e32 v18, -1.0, v20
	v_sub_f32_e32 v19, v18, v20
	v_add_f32_e32 v19, 1.0, v19
	v_sub_f32_e32 v18, v46, v18
	v_add_f32_e32 v21, v18, v19
	v_frexp_mant_f32_e32 v22, v20
	v_cvt_f64_f32_e32 v[18:19], v20
	v_frexp_exp_i32_f64_e32 v18, v[18:19]
	v_cmp_gt_f32_e32 vcc, s2, v22
	s_mov_b32 s2, 0x3f317218
	s_nop 0
	v_subbrev_co_u32_e32 v22, vcc, 0, v18, vcc
	v_sub_u32_e32 v18, 0, v22
	v_ldexp_f32 v19, v20, v18
	v_add_f32_e32 v20, -1.0, v19
	v_add_f32_e32 v25, 1.0, v19
	v_ldexp_f32 v18, v21, v18
	v_add_f32_e32 v21, 1.0, v20
	v_add_f32_e32 v26, -1.0, v25
	v_sub_f32_e32 v21, v19, v21
	v_sub_f32_e32 v19, v19, v26
	v_add_f32_e32 v21, v18, v21
	v_add_f32_e32 v18, v18, v19
	;; [unrolled: 1-line block ×3, first 2 shown]
	v_rcp_f32_e32 v41, v40
	v_sub_f32_e32 v19, v25, v40
	v_add_f32_e32 v25, v18, v19
	v_add_f32_e32 v19, v20, v21
	v_mul_f32_e32 v43, v19, v41
	v_sub_f32_e32 v18, v20, v19
	v_mul_f32_e32 v20, v40, v43
	v_fma_f32 v26, v43, v40, -v20
	v_fmac_f32_e32 v26, v43, v25
	v_add_f32_e32 v42, v21, v18
	v_add_f32_e32 v18, v20, v26
	v_sub_f32_e32 v21, v19, v18
	v_pk_add_f32 v[38:39], v[18:19], v[20:21] neg_lo:[0,1] neg_hi:[0,1]
	v_mov_b32_e32 v27, v18
	v_pk_add_f32 v[18:19], v[38:39], v[26:27] neg_lo:[0,1] neg_hi:[0,1]
	s_nop 0
	v_add_f32_e32 v19, v42, v19
	v_add_f32_e32 v18, v18, v19
	;; [unrolled: 1-line block ×3, first 2 shown]
	v_mul_f32_e32 v42, v41, v19
	v_mul_f32_e32 v20, v40, v42
	v_fma_f32 v26, v42, v40, -v20
	v_fmac_f32_e32 v26, v42, v25
	v_sub_f32_e32 v21, v21, v19
	v_add_f32_e32 v25, v18, v21
	v_add_f32_e32 v18, v20, v26
	v_sub_f32_e32 v21, v19, v18
	v_pk_add_f32 v[38:39], v[18:19], v[20:21] neg_lo:[0,1] neg_hi:[0,1]
	v_mov_b32_e32 v27, v18
	v_pk_add_f32 v[18:19], v[38:39], v[26:27] neg_lo:[0,1] neg_hi:[0,1]
	scratch_load_dwordx2 v[38:39], off, off offset:196 ; 8-byte Folded Reload
	v_add_f32_e32 v19, v25, v19
	v_add_f32_e32 v18, v18, v19
	;; [unrolled: 1-line block ×4, first 2 shown]
	v_sub_f32_e32 v20, v19, v43
	v_mul_f32_e32 v18, v41, v18
	v_sub_f32_e32 v20, v42, v20
	v_add_f32_e32 v20, v20, v18
	v_add_f32_e32 v25, v19, v20
	v_mul_f32_e32 v26, v25, v25
	v_mov_b32_e32 v18, 0x3ecc95a3
	v_fmamk_f32 v18, v26, 0x3e9b6dac, v18
	s_waitcnt vmcnt(0)
	v_fmaak_f32 v39, v26, v18, 0x3f2aaada
	v_cvt_f32_i32_e32 v18, v22
	v_sub_f32_e32 v19, v25, v19
	v_sub_f32_e32 v19, v20, v19
	v_ldexp_f32 v22, v19, 1
	v_mul_f32_e32 v19, v25, v26
	v_ldexp_f32 v21, v25, 1
	v_mov_b32_e32 v20, v38
	v_pk_mul_f32 v[26:27], v[18:19], v[38:39]
	scratch_store_dwordx2 off, v[20:21], off offset:196 ; 8-byte Folded Spill
	v_fma_f32 v20, v18, s2, -v26
	v_fmac_f32_e32 v20, 0xb102e308, v18
	v_pk_add_f32 v[18:19], v[26:27], v[20:21]
	v_mov_b32_e32 v38, v26
	v_sub_f32_e32 v21, v19, v21
	v_sub_f32_e32 v21, v27, v21
	v_add_f32_e32 v39, v22, v21
	v_pk_add_f32 v[26:27], v[18:19], v[26:27] neg_lo:[0,1] neg_hi:[0,1]
	v_pk_add_f32 v[40:41], v[18:19], v[38:39]
	v_mov_b32_e32 v21, v18
	v_mov_b32_e32 v27, v41
	v_pk_add_f32 v[42:43], v[20:21], v[26:27] neg_lo:[0,1] neg_hi:[0,1]
	v_pk_add_f32 v[20:21], v[20:21], v[26:27]
	s_mov_b32 s2, 0x7f800000
	v_mov_b32_e32 v22, v21
	v_pk_add_f32 v[26:27], v[22:23], v[18:19] neg_lo:[0,1] neg_hi:[0,1]
	v_mov_b32_e32 v20, v41
	v_mov_b32_e32 v25, v26
	v_pk_add_f32 v[44:45], v[40:41], v[24:25] neg_lo:[0,1] neg_hi:[0,1]
	v_mov_b32_e32 v40, v19
	v_mov_b32_e32 v41, v26
	v_mov_b32_e32 v43, v21
	v_pk_add_f32 v[20:21], v[20:21], v[40:41] neg_lo:[0,1] neg_hi:[0,1]
	v_mov_b32_e32 v26, v39
	v_mov_b32_e32 v27, v18
	v_pk_add_f32 v[18:19], v[26:27], v[20:21] neg_lo:[0,1] neg_hi:[0,1]
	v_mov_b32_e32 v44, v42
	v_pk_add_f32 v[20:21], v[44:45], v[18:19]
	v_cmp_eq_f32_e32 vcc, s2, v46
	v_mov_b32_e32 v26, v21
	v_pk_add_f32 v[26:27], v[20:21], v[26:27]
	s_mov_b32 s2, 0x33800000
	v_pk_add_f32 v[38:39], v[22:23], v[26:27]
	v_mov_b32_e32 v19, v26
	v_mov_b32_e32 v21, v38
	v_pk_add_f32 v[40:41], v[20:21], v[42:43] neg_lo:[0,1] neg_hi:[0,1]
	v_cmp_gt_f32_e64 s[2:3], s2, v46
	v_sub_f32_e32 v20, v20, v40
	v_pk_add_f32 v[18:19], v[18:19], v[40:41] neg_lo:[0,1] neg_hi:[0,1]
	v_sub_f32_e32 v20, v42, v20
	v_add_f32_e32 v18, v18, v20
	v_add_f32_e32 v18, v18, v19
	;; [unrolled: 1-line block ×3, first 2 shown]
	s_or_b64 vcc, s[2:3], vcc
	v_cndmask_b32_e32 v77, v18, v46, vcc
.LBB149_87:                             ;   in Loop: Header=BB149_13 Depth=1
	s_or_b64 exec, exec, s[52:53]
	s_waitcnt lgkmcnt(4)
	v_add_f32_e32 v78, s56, v36
	s_mov_b32 s2, 0x41a00000
	v_cmp_ge_f32_e32 vcc, s2, v78
	v_readlane_b32 s2, v95, 18
	v_readlane_b32 s3, v95, 19
	s_and_b64 s[2:3], s[2:3], vcc
	s_and_saveexec_b64 s[52:53], s[2:3]
	s_cbranch_execz .LBB149_89
; %bb.88:                               ;   in Loop: Header=BB149_13 Depth=1
	v_mul_f32_e32 v18, 0x3fb8aa3b, v78
	v_rndne_f32_e32 v19, v18
	s_mov_b32 s2, 0x3fb8aa3b
	v_sub_f32_e32 v20, v18, v19
	v_fma_f32 v18, v78, s2, -v18
	v_fmac_f32_e32 v18, 0x32a5705f, v78
	v_add_f32_e32 v18, v20, v18
	v_cvt_i32_f32_e32 v19, v19
	v_exp_f32_e32 v18, v18
	s_mov_b32 s2, 0xc2ce8ed0
	v_cmp_ngt_f32_e32 vcc, s2, v78
	s_mov_b32 s2, 0x42b17218
	v_ldexp_f32 v18, v18, v19
	v_cndmask_b32_e32 v18, 0, v18, vcc
	v_cmp_nlt_f32_e32 vcc, s2, v78
	s_mov_b32 s2, 0x3f2aaaab
	s_nop 0
	v_cndmask_b32_e32 v36, v56, v18, vcc
	v_add_f32_e32 v20, 1.0, v36
	v_add_f32_e32 v18, -1.0, v20
	v_sub_f32_e32 v19, v18, v20
	v_add_f32_e32 v19, 1.0, v19
	v_sub_f32_e32 v18, v36, v18
	v_add_f32_e32 v21, v18, v19
	v_frexp_mant_f32_e32 v22, v20
	v_cvt_f64_f32_e32 v[18:19], v20
	v_frexp_exp_i32_f64_e32 v18, v[18:19]
	v_cmp_gt_f32_e32 vcc, s2, v22
	s_mov_b32 s2, 0x3f317218
	s_nop 0
	v_subbrev_co_u32_e32 v22, vcc, 0, v18, vcc
	v_sub_u32_e32 v18, 0, v22
	v_ldexp_f32 v19, v20, v18
	v_add_f32_e32 v20, -1.0, v19
	v_add_f32_e32 v25, 1.0, v19
	v_ldexp_f32 v18, v21, v18
	v_add_f32_e32 v21, 1.0, v20
	v_add_f32_e32 v26, -1.0, v25
	v_sub_f32_e32 v21, v19, v21
	v_sub_f32_e32 v19, v19, v26
	v_add_f32_e32 v21, v18, v21
	v_add_f32_e32 v18, v18, v19
	;; [unrolled: 1-line block ×3, first 2 shown]
	v_rcp_f32_e32 v41, v40
	v_sub_f32_e32 v19, v25, v40
	v_add_f32_e32 v25, v18, v19
	v_add_f32_e32 v19, v20, v21
	v_mul_f32_e32 v43, v19, v41
	v_sub_f32_e32 v18, v20, v19
	v_mul_f32_e32 v20, v40, v43
	v_fma_f32 v26, v43, v40, -v20
	v_fmac_f32_e32 v26, v43, v25
	v_add_f32_e32 v42, v21, v18
	v_add_f32_e32 v18, v20, v26
	v_sub_f32_e32 v21, v19, v18
	v_pk_add_f32 v[38:39], v[18:19], v[20:21] neg_lo:[0,1] neg_hi:[0,1]
	v_mov_b32_e32 v27, v18
	v_pk_add_f32 v[18:19], v[38:39], v[26:27] neg_lo:[0,1] neg_hi:[0,1]
	s_nop 0
	v_add_f32_e32 v19, v42, v19
	v_add_f32_e32 v18, v18, v19
	;; [unrolled: 1-line block ×3, first 2 shown]
	v_mul_f32_e32 v42, v41, v19
	v_mul_f32_e32 v20, v40, v42
	v_fma_f32 v26, v42, v40, -v20
	v_fmac_f32_e32 v26, v42, v25
	v_sub_f32_e32 v21, v21, v19
	v_add_f32_e32 v25, v18, v21
	v_add_f32_e32 v18, v20, v26
	v_sub_f32_e32 v21, v19, v18
	v_pk_add_f32 v[38:39], v[18:19], v[20:21] neg_lo:[0,1] neg_hi:[0,1]
	v_mov_b32_e32 v27, v18
	v_pk_add_f32 v[18:19], v[38:39], v[26:27] neg_lo:[0,1] neg_hi:[0,1]
	scratch_load_dwordx2 v[38:39], off, off offset:196 ; 8-byte Folded Reload
	v_add_f32_e32 v19, v25, v19
	v_add_f32_e32 v18, v18, v19
	;; [unrolled: 1-line block ×4, first 2 shown]
	v_sub_f32_e32 v20, v19, v43
	v_mul_f32_e32 v18, v41, v18
	v_sub_f32_e32 v20, v42, v20
	v_add_f32_e32 v20, v20, v18
	v_add_f32_e32 v25, v19, v20
	v_mul_f32_e32 v26, v25, v25
	v_mov_b32_e32 v18, 0x3ecc95a3
	v_fmamk_f32 v18, v26, 0x3e9b6dac, v18
	s_waitcnt vmcnt(0)
	v_fmaak_f32 v39, v26, v18, 0x3f2aaada
	v_cvt_f32_i32_e32 v18, v22
	v_sub_f32_e32 v19, v25, v19
	v_sub_f32_e32 v19, v20, v19
	v_ldexp_f32 v22, v19, 1
	v_mul_f32_e32 v19, v25, v26
	v_ldexp_f32 v21, v25, 1
	v_mov_b32_e32 v20, v38
	v_pk_mul_f32 v[26:27], v[18:19], v[38:39]
	scratch_store_dwordx2 off, v[20:21], off offset:196 ; 8-byte Folded Spill
	v_fma_f32 v20, v18, s2, -v26
	v_fmac_f32_e32 v20, 0xb102e308, v18
	v_pk_add_f32 v[18:19], v[26:27], v[20:21]
	v_mov_b32_e32 v38, v26
	v_sub_f32_e32 v21, v19, v21
	v_sub_f32_e32 v21, v27, v21
	v_add_f32_e32 v39, v22, v21
	v_pk_add_f32 v[26:27], v[18:19], v[26:27] neg_lo:[0,1] neg_hi:[0,1]
	v_pk_add_f32 v[40:41], v[18:19], v[38:39]
	v_mov_b32_e32 v21, v18
	v_mov_b32_e32 v27, v41
	v_pk_add_f32 v[42:43], v[20:21], v[26:27] neg_lo:[0,1] neg_hi:[0,1]
	v_pk_add_f32 v[20:21], v[20:21], v[26:27]
	s_mov_b32 s2, 0x7f800000
	v_mov_b32_e32 v22, v21
	v_pk_add_f32 v[26:27], v[22:23], v[18:19] neg_lo:[0,1] neg_hi:[0,1]
	v_mov_b32_e32 v20, v41
	v_mov_b32_e32 v25, v26
	v_pk_add_f32 v[44:45], v[40:41], v[24:25] neg_lo:[0,1] neg_hi:[0,1]
	v_mov_b32_e32 v40, v19
	v_mov_b32_e32 v41, v26
	;; [unrolled: 1-line block ×3, first 2 shown]
	v_pk_add_f32 v[20:21], v[20:21], v[40:41] neg_lo:[0,1] neg_hi:[0,1]
	v_mov_b32_e32 v26, v39
	v_mov_b32_e32 v27, v18
	v_pk_add_f32 v[18:19], v[26:27], v[20:21] neg_lo:[0,1] neg_hi:[0,1]
	v_mov_b32_e32 v44, v42
	v_pk_add_f32 v[20:21], v[44:45], v[18:19]
	v_cmp_eq_f32_e32 vcc, s2, v36
	v_mov_b32_e32 v26, v21
	v_pk_add_f32 v[26:27], v[20:21], v[26:27]
	s_mov_b32 s2, 0x33800000
	v_pk_add_f32 v[38:39], v[22:23], v[26:27]
	v_mov_b32_e32 v19, v26
	v_mov_b32_e32 v21, v38
	v_pk_add_f32 v[40:41], v[20:21], v[42:43] neg_lo:[0,1] neg_hi:[0,1]
	v_cmp_gt_f32_e64 s[2:3], s2, v36
	v_sub_f32_e32 v20, v20, v40
	v_pk_add_f32 v[18:19], v[18:19], v[40:41] neg_lo:[0,1] neg_hi:[0,1]
	v_sub_f32_e32 v20, v42, v20
	v_add_f32_e32 v18, v18, v20
	v_add_f32_e32 v18, v18, v19
	;; [unrolled: 1-line block ×3, first 2 shown]
	s_or_b64 vcc, s[2:3], vcc
	v_cndmask_b32_e32 v78, v18, v36, vcc
.LBB149_89:                             ;   in Loop: Header=BB149_13 Depth=1
	s_or_b64 exec, exec, s[52:53]
	v_add_f32_e32 v79, s56, v37
	s_mov_b32 s2, 0x41a00000
	v_cmp_ge_f32_e32 vcc, s2, v79
	v_readlane_b32 s2, v95, 18
	v_readlane_b32 s3, v95, 19
	s_and_b64 s[2:3], s[2:3], vcc
	s_and_saveexec_b64 s[52:53], s[2:3]
	s_cbranch_execz .LBB149_91
; %bb.90:                               ;   in Loop: Header=BB149_13 Depth=1
	v_mul_f32_e32 v18, 0x3fb8aa3b, v79
	v_rndne_f32_e32 v19, v18
	s_mov_b32 s2, 0x3fb8aa3b
	v_sub_f32_e32 v20, v18, v19
	v_fma_f32 v18, v79, s2, -v18
	v_fmac_f32_e32 v18, 0x32a5705f, v79
	v_add_f32_e32 v18, v20, v18
	v_cvt_i32_f32_e32 v19, v19
	v_exp_f32_e32 v18, v18
	s_mov_b32 s2, 0xc2ce8ed0
	v_cmp_ngt_f32_e32 vcc, s2, v79
	s_mov_b32 s2, 0x42b17218
	v_ldexp_f32 v18, v18, v19
	v_cndmask_b32_e32 v18, 0, v18, vcc
	v_cmp_nlt_f32_e32 vcc, s2, v79
	s_mov_b32 s2, 0x3f2aaaab
	s_nop 0
	v_cndmask_b32_e32 v44, v56, v18, vcc
	v_add_f32_e32 v20, 1.0, v44
	v_add_f32_e32 v18, -1.0, v20
	v_sub_f32_e32 v19, v18, v20
	v_add_f32_e32 v19, 1.0, v19
	v_sub_f32_e32 v18, v44, v18
	v_add_f32_e32 v21, v18, v19
	v_frexp_mant_f32_e32 v22, v20
	v_cvt_f64_f32_e32 v[18:19], v20
	v_frexp_exp_i32_f64_e32 v18, v[18:19]
	v_cmp_gt_f32_e32 vcc, s2, v22
	s_mov_b32 s2, 0x3f317218
	s_nop 0
	v_subbrev_co_u32_e32 v22, vcc, 0, v18, vcc
	v_sub_u32_e32 v18, 0, v22
	v_ldexp_f32 v19, v20, v18
	v_add_f32_e32 v20, -1.0, v19
	v_add_f32_e32 v25, 1.0, v19
	v_ldexp_f32 v18, v21, v18
	v_add_f32_e32 v21, 1.0, v20
	v_add_f32_e32 v26, -1.0, v25
	v_sub_f32_e32 v21, v19, v21
	v_sub_f32_e32 v19, v19, v26
	v_add_f32_e32 v21, v18, v21
	v_add_f32_e32 v18, v18, v19
	;; [unrolled: 1-line block ×3, first 2 shown]
	v_rcp_f32_e32 v39, v38
	v_sub_f32_e32 v19, v25, v38
	v_add_f32_e32 v25, v18, v19
	v_add_f32_e32 v19, v20, v21
	v_mul_f32_e32 v41, v19, v39
	v_sub_f32_e32 v18, v20, v19
	v_mul_f32_e32 v20, v38, v41
	v_fma_f32 v26, v41, v38, -v20
	v_fmac_f32_e32 v26, v41, v25
	v_add_f32_e32 v40, v21, v18
	v_add_f32_e32 v18, v20, v26
	v_sub_f32_e32 v21, v19, v18
	v_pk_add_f32 v[36:37], v[18:19], v[20:21] neg_lo:[0,1] neg_hi:[0,1]
	v_mov_b32_e32 v27, v18
	v_pk_add_f32 v[18:19], v[36:37], v[26:27] neg_lo:[0,1] neg_hi:[0,1]
	s_nop 0
	v_add_f32_e32 v19, v40, v19
	v_add_f32_e32 v18, v18, v19
	;; [unrolled: 1-line block ×3, first 2 shown]
	v_mul_f32_e32 v40, v39, v19
	v_mul_f32_e32 v20, v38, v40
	v_fma_f32 v26, v40, v38, -v20
	v_fmac_f32_e32 v26, v40, v25
	v_sub_f32_e32 v21, v21, v19
	v_add_f32_e32 v25, v18, v21
	v_add_f32_e32 v18, v20, v26
	v_sub_f32_e32 v21, v19, v18
	v_pk_add_f32 v[36:37], v[18:19], v[20:21] neg_lo:[0,1] neg_hi:[0,1]
	v_mov_b32_e32 v27, v18
	v_pk_add_f32 v[18:19], v[36:37], v[26:27] neg_lo:[0,1] neg_hi:[0,1]
	scratch_load_dwordx2 v[36:37], off, off offset:196 ; 8-byte Folded Reload
	v_add_f32_e32 v19, v25, v19
	v_add_f32_e32 v18, v18, v19
	;; [unrolled: 1-line block ×4, first 2 shown]
	v_sub_f32_e32 v20, v19, v41
	v_mul_f32_e32 v18, v39, v18
	v_sub_f32_e32 v20, v40, v20
	v_add_f32_e32 v20, v20, v18
	v_add_f32_e32 v25, v19, v20
	v_mul_f32_e32 v26, v25, v25
	v_mov_b32_e32 v18, 0x3ecc95a3
	v_fmamk_f32 v18, v26, 0x3e9b6dac, v18
	s_waitcnt vmcnt(0)
	v_fmaak_f32 v37, v26, v18, 0x3f2aaada
	v_cvt_f32_i32_e32 v18, v22
	v_sub_f32_e32 v19, v25, v19
	v_sub_f32_e32 v19, v20, v19
	v_ldexp_f32 v22, v19, 1
	v_mul_f32_e32 v19, v25, v26
	v_ldexp_f32 v21, v25, 1
	v_mov_b32_e32 v20, v36
	v_pk_mul_f32 v[26:27], v[18:19], v[36:37]
	scratch_store_dwordx2 off, v[20:21], off offset:196 ; 8-byte Folded Spill
	v_fma_f32 v20, v18, s2, -v26
	v_fmac_f32_e32 v20, 0xb102e308, v18
	v_pk_add_f32 v[18:19], v[26:27], v[20:21]
	v_mov_b32_e32 v36, v26
	v_sub_f32_e32 v21, v19, v21
	v_sub_f32_e32 v21, v27, v21
	v_add_f32_e32 v37, v22, v21
	v_pk_add_f32 v[26:27], v[18:19], v[26:27] neg_lo:[0,1] neg_hi:[0,1]
	v_pk_add_f32 v[38:39], v[18:19], v[36:37]
	v_mov_b32_e32 v21, v18
	v_mov_b32_e32 v27, v39
	v_pk_add_f32 v[40:41], v[20:21], v[26:27] neg_lo:[0,1] neg_hi:[0,1]
	v_pk_add_f32 v[20:21], v[20:21], v[26:27]
	s_mov_b32 s2, 0x7f800000
	v_mov_b32_e32 v22, v21
	v_pk_add_f32 v[26:27], v[22:23], v[18:19] neg_lo:[0,1] neg_hi:[0,1]
	v_mov_b32_e32 v20, v39
	v_mov_b32_e32 v25, v26
	v_pk_add_f32 v[42:43], v[38:39], v[24:25] neg_lo:[0,1] neg_hi:[0,1]
	v_mov_b32_e32 v38, v19
	v_mov_b32_e32 v39, v26
	;; [unrolled: 1-line block ×3, first 2 shown]
	v_pk_add_f32 v[20:21], v[20:21], v[38:39] neg_lo:[0,1] neg_hi:[0,1]
	v_mov_b32_e32 v26, v37
	v_mov_b32_e32 v27, v18
	v_pk_add_f32 v[18:19], v[26:27], v[20:21] neg_lo:[0,1] neg_hi:[0,1]
	v_mov_b32_e32 v42, v40
	v_pk_add_f32 v[20:21], v[42:43], v[18:19]
	v_cmp_eq_f32_e32 vcc, s2, v44
	v_mov_b32_e32 v26, v21
	v_pk_add_f32 v[26:27], v[20:21], v[26:27]
	s_mov_b32 s2, 0x33800000
	v_pk_add_f32 v[36:37], v[22:23], v[26:27]
	v_mov_b32_e32 v19, v26
	v_mov_b32_e32 v21, v36
	v_pk_add_f32 v[38:39], v[20:21], v[40:41] neg_lo:[0,1] neg_hi:[0,1]
	v_cmp_gt_f32_e64 s[2:3], s2, v44
	v_sub_f32_e32 v20, v20, v38
	v_pk_add_f32 v[18:19], v[18:19], v[38:39] neg_lo:[0,1] neg_hi:[0,1]
	v_sub_f32_e32 v20, v40, v20
	v_add_f32_e32 v18, v18, v20
	v_add_f32_e32 v18, v18, v19
	;; [unrolled: 1-line block ×3, first 2 shown]
	s_or_b64 vcc, s[2:3], vcc
	v_cndmask_b32_e32 v79, v18, v44, vcc
.LBB149_91:                             ;   in Loop: Header=BB149_13 Depth=1
	s_or_b64 exec, exec, s[52:53]
	s_waitcnt lgkmcnt(3)
	v_add_f32_e32 v80, s56, v34
	s_mov_b32 s2, 0x41a00000
	v_cmp_ge_f32_e32 vcc, s2, v80
	v_readlane_b32 s2, v95, 18
	v_readlane_b32 s3, v95, 19
	s_and_b64 s[2:3], s[2:3], vcc
	s_and_saveexec_b64 s[52:53], s[2:3]
	s_cbranch_execz .LBB149_93
; %bb.92:                               ;   in Loop: Header=BB149_13 Depth=1
	v_mul_f32_e32 v18, 0x3fb8aa3b, v80
	v_rndne_f32_e32 v19, v18
	s_mov_b32 s2, 0x3fb8aa3b
	v_sub_f32_e32 v20, v18, v19
	v_fma_f32 v18, v80, s2, -v18
	v_fmac_f32_e32 v18, 0x32a5705f, v80
	v_add_f32_e32 v18, v20, v18
	v_cvt_i32_f32_e32 v19, v19
	v_exp_f32_e32 v18, v18
	s_mov_b32 s2, 0xc2ce8ed0
	v_cmp_ngt_f32_e32 vcc, s2, v80
	s_mov_b32 s2, 0x42b17218
	v_ldexp_f32 v18, v18, v19
	v_cndmask_b32_e32 v18, 0, v18, vcc
	v_cmp_nlt_f32_e32 vcc, s2, v80
	s_mov_b32 s2, 0x3f2aaaab
	s_nop 0
	v_cndmask_b32_e32 v34, v56, v18, vcc
	v_add_f32_e32 v20, 1.0, v34
	v_add_f32_e32 v18, -1.0, v20
	v_sub_f32_e32 v19, v18, v20
	v_add_f32_e32 v19, 1.0, v19
	v_sub_f32_e32 v18, v34, v18
	v_add_f32_e32 v21, v18, v19
	v_frexp_mant_f32_e32 v22, v20
	v_cvt_f64_f32_e32 v[18:19], v20
	v_frexp_exp_i32_f64_e32 v18, v[18:19]
	v_cmp_gt_f32_e32 vcc, s2, v22
	s_mov_b32 s2, 0x3f317218
	s_nop 0
	v_subbrev_co_u32_e32 v22, vcc, 0, v18, vcc
	v_sub_u32_e32 v18, 0, v22
	v_ldexp_f32 v19, v20, v18
	v_add_f32_e32 v20, -1.0, v19
	v_add_f32_e32 v25, 1.0, v19
	v_ldexp_f32 v18, v21, v18
	v_add_f32_e32 v21, 1.0, v20
	v_add_f32_e32 v26, -1.0, v25
	v_sub_f32_e32 v21, v19, v21
	v_sub_f32_e32 v19, v19, v26
	v_add_f32_e32 v21, v18, v21
	v_add_f32_e32 v18, v18, v19
	;; [unrolled: 1-line block ×3, first 2 shown]
	v_rcp_f32_e32 v39, v38
	v_sub_f32_e32 v19, v25, v38
	v_add_f32_e32 v25, v18, v19
	v_add_f32_e32 v19, v20, v21
	v_mul_f32_e32 v41, v19, v39
	v_sub_f32_e32 v18, v20, v19
	v_mul_f32_e32 v20, v38, v41
	v_fma_f32 v26, v41, v38, -v20
	v_fmac_f32_e32 v26, v41, v25
	v_add_f32_e32 v40, v21, v18
	v_add_f32_e32 v18, v20, v26
	v_sub_f32_e32 v21, v19, v18
	v_pk_add_f32 v[36:37], v[18:19], v[20:21] neg_lo:[0,1] neg_hi:[0,1]
	v_mov_b32_e32 v27, v18
	v_pk_add_f32 v[18:19], v[36:37], v[26:27] neg_lo:[0,1] neg_hi:[0,1]
	s_nop 0
	v_add_f32_e32 v19, v40, v19
	v_add_f32_e32 v18, v18, v19
	;; [unrolled: 1-line block ×3, first 2 shown]
	v_mul_f32_e32 v40, v39, v19
	v_mul_f32_e32 v20, v38, v40
	v_fma_f32 v26, v40, v38, -v20
	v_fmac_f32_e32 v26, v40, v25
	v_sub_f32_e32 v21, v21, v19
	v_add_f32_e32 v25, v18, v21
	v_add_f32_e32 v18, v20, v26
	v_sub_f32_e32 v21, v19, v18
	v_pk_add_f32 v[36:37], v[18:19], v[20:21] neg_lo:[0,1] neg_hi:[0,1]
	v_mov_b32_e32 v27, v18
	v_pk_add_f32 v[18:19], v[36:37], v[26:27] neg_lo:[0,1] neg_hi:[0,1]
	scratch_load_dwordx2 v[36:37], off, off offset:196 ; 8-byte Folded Reload
	v_add_f32_e32 v19, v25, v19
	v_add_f32_e32 v18, v18, v19
	;; [unrolled: 1-line block ×4, first 2 shown]
	v_sub_f32_e32 v20, v19, v41
	v_mul_f32_e32 v18, v39, v18
	v_sub_f32_e32 v20, v40, v20
	v_add_f32_e32 v20, v20, v18
	v_add_f32_e32 v25, v19, v20
	v_mul_f32_e32 v26, v25, v25
	v_mov_b32_e32 v18, 0x3ecc95a3
	v_fmamk_f32 v18, v26, 0x3e9b6dac, v18
	s_waitcnt vmcnt(0)
	v_fmaak_f32 v37, v26, v18, 0x3f2aaada
	v_cvt_f32_i32_e32 v18, v22
	v_sub_f32_e32 v19, v25, v19
	v_sub_f32_e32 v19, v20, v19
	v_ldexp_f32 v22, v19, 1
	v_mul_f32_e32 v19, v25, v26
	v_ldexp_f32 v21, v25, 1
	v_mov_b32_e32 v20, v36
	v_pk_mul_f32 v[26:27], v[18:19], v[36:37]
	scratch_store_dwordx2 off, v[20:21], off offset:196 ; 8-byte Folded Spill
	v_fma_f32 v20, v18, s2, -v26
	v_fmac_f32_e32 v20, 0xb102e308, v18
	v_pk_add_f32 v[18:19], v[26:27], v[20:21]
	v_mov_b32_e32 v36, v26
	v_sub_f32_e32 v21, v19, v21
	v_sub_f32_e32 v21, v27, v21
	v_add_f32_e32 v37, v22, v21
	v_pk_add_f32 v[26:27], v[18:19], v[26:27] neg_lo:[0,1] neg_hi:[0,1]
	v_pk_add_f32 v[38:39], v[18:19], v[36:37]
	v_mov_b32_e32 v21, v18
	v_mov_b32_e32 v27, v39
	v_pk_add_f32 v[40:41], v[20:21], v[26:27] neg_lo:[0,1] neg_hi:[0,1]
	v_pk_add_f32 v[20:21], v[20:21], v[26:27]
	s_mov_b32 s2, 0x7f800000
	v_mov_b32_e32 v22, v21
	v_pk_add_f32 v[26:27], v[22:23], v[18:19] neg_lo:[0,1] neg_hi:[0,1]
	v_mov_b32_e32 v20, v39
	v_mov_b32_e32 v25, v26
	v_pk_add_f32 v[42:43], v[38:39], v[24:25] neg_lo:[0,1] neg_hi:[0,1]
	v_mov_b32_e32 v38, v19
	v_mov_b32_e32 v39, v26
	;; [unrolled: 1-line block ×3, first 2 shown]
	v_pk_add_f32 v[20:21], v[20:21], v[38:39] neg_lo:[0,1] neg_hi:[0,1]
	v_mov_b32_e32 v26, v37
	v_mov_b32_e32 v27, v18
	v_pk_add_f32 v[18:19], v[26:27], v[20:21] neg_lo:[0,1] neg_hi:[0,1]
	v_mov_b32_e32 v42, v40
	v_pk_add_f32 v[20:21], v[42:43], v[18:19]
	v_cmp_eq_f32_e32 vcc, s2, v34
	v_mov_b32_e32 v26, v21
	v_pk_add_f32 v[26:27], v[20:21], v[26:27]
	s_mov_b32 s2, 0x33800000
	v_pk_add_f32 v[36:37], v[22:23], v[26:27]
	v_mov_b32_e32 v19, v26
	v_mov_b32_e32 v21, v36
	v_pk_add_f32 v[38:39], v[20:21], v[40:41] neg_lo:[0,1] neg_hi:[0,1]
	v_cmp_gt_f32_e64 s[2:3], s2, v34
	v_sub_f32_e32 v20, v20, v38
	v_pk_add_f32 v[18:19], v[18:19], v[38:39] neg_lo:[0,1] neg_hi:[0,1]
	v_sub_f32_e32 v20, v40, v20
	v_add_f32_e32 v18, v18, v20
	v_add_f32_e32 v18, v18, v19
	;; [unrolled: 1-line block ×3, first 2 shown]
	s_or_b64 vcc, s[2:3], vcc
	v_cndmask_b32_e32 v80, v18, v34, vcc
.LBB149_93:                             ;   in Loop: Header=BB149_13 Depth=1
	s_or_b64 exec, exec, s[52:53]
	v_add_f32_e32 v81, s56, v35
	s_mov_b32 s2, 0x41a00000
	v_cmp_ge_f32_e32 vcc, s2, v81
	v_readlane_b32 s2, v95, 18
	v_readlane_b32 s3, v95, 19
	s_and_b64 s[2:3], s[2:3], vcc
	s_and_saveexec_b64 s[52:53], s[2:3]
	s_cbranch_execz .LBB149_95
; %bb.94:                               ;   in Loop: Header=BB149_13 Depth=1
	v_mul_f32_e32 v18, 0x3fb8aa3b, v81
	v_rndne_f32_e32 v19, v18
	s_mov_b32 s2, 0x3fb8aa3b
	v_sub_f32_e32 v20, v18, v19
	v_fma_f32 v18, v81, s2, -v18
	v_fmac_f32_e32 v18, 0x32a5705f, v81
	v_add_f32_e32 v18, v20, v18
	v_cvt_i32_f32_e32 v19, v19
	v_exp_f32_e32 v18, v18
	s_mov_b32 s2, 0xc2ce8ed0
	v_cmp_ngt_f32_e32 vcc, s2, v81
	s_mov_b32 s2, 0x42b17218
	v_ldexp_f32 v18, v18, v19
	v_cndmask_b32_e32 v18, 0, v18, vcc
	v_cmp_nlt_f32_e32 vcc, s2, v81
	s_mov_b32 s2, 0x3f2aaaab
	s_nop 0
	v_cndmask_b32_e32 v42, v56, v18, vcc
	v_add_f32_e32 v20, 1.0, v42
	v_add_f32_e32 v18, -1.0, v20
	v_sub_f32_e32 v19, v18, v20
	v_add_f32_e32 v19, 1.0, v19
	v_sub_f32_e32 v18, v42, v18
	v_add_f32_e32 v21, v18, v19
	v_frexp_mant_f32_e32 v22, v20
	v_cvt_f64_f32_e32 v[18:19], v20
	v_frexp_exp_i32_f64_e32 v18, v[18:19]
	v_cmp_gt_f32_e32 vcc, s2, v22
	s_mov_b32 s2, 0x3f317218
	s_nop 0
	v_subbrev_co_u32_e32 v22, vcc, 0, v18, vcc
	v_sub_u32_e32 v18, 0, v22
	v_ldexp_f32 v19, v20, v18
	v_add_f32_e32 v20, -1.0, v19
	v_add_f32_e32 v25, 1.0, v19
	v_ldexp_f32 v18, v21, v18
	v_add_f32_e32 v21, 1.0, v20
	v_add_f32_e32 v26, -1.0, v25
	v_sub_f32_e32 v21, v19, v21
	v_sub_f32_e32 v19, v19, v26
	v_add_f32_e32 v21, v18, v21
	v_add_f32_e32 v18, v18, v19
	v_add_f32_e32 v36, v25, v18
	v_rcp_f32_e32 v37, v36
	v_sub_f32_e32 v19, v25, v36
	v_add_f32_e32 v25, v18, v19
	v_add_f32_e32 v19, v20, v21
	v_mul_f32_e32 v39, v19, v37
	v_sub_f32_e32 v18, v20, v19
	v_mul_f32_e32 v20, v36, v39
	v_fma_f32 v26, v39, v36, -v20
	v_fmac_f32_e32 v26, v39, v25
	v_add_f32_e32 v38, v21, v18
	v_add_f32_e32 v18, v20, v26
	v_sub_f32_e32 v21, v19, v18
	v_pk_add_f32 v[34:35], v[18:19], v[20:21] neg_lo:[0,1] neg_hi:[0,1]
	v_mov_b32_e32 v27, v18
	v_pk_add_f32 v[18:19], v[34:35], v[26:27] neg_lo:[0,1] neg_hi:[0,1]
	s_nop 0
	v_add_f32_e32 v19, v38, v19
	v_add_f32_e32 v18, v18, v19
	;; [unrolled: 1-line block ×3, first 2 shown]
	v_mul_f32_e32 v38, v37, v19
	v_mul_f32_e32 v20, v36, v38
	v_fma_f32 v26, v38, v36, -v20
	v_fmac_f32_e32 v26, v38, v25
	v_sub_f32_e32 v21, v21, v19
	v_add_f32_e32 v25, v18, v21
	v_add_f32_e32 v18, v20, v26
	v_sub_f32_e32 v21, v19, v18
	v_pk_add_f32 v[34:35], v[18:19], v[20:21] neg_lo:[0,1] neg_hi:[0,1]
	v_mov_b32_e32 v27, v18
	v_pk_add_f32 v[18:19], v[34:35], v[26:27] neg_lo:[0,1] neg_hi:[0,1]
	scratch_load_dwordx2 v[34:35], off, off offset:196 ; 8-byte Folded Reload
	v_add_f32_e32 v19, v25, v19
	v_add_f32_e32 v18, v18, v19
	;; [unrolled: 1-line block ×4, first 2 shown]
	v_sub_f32_e32 v20, v19, v39
	v_mul_f32_e32 v18, v37, v18
	v_sub_f32_e32 v20, v38, v20
	v_add_f32_e32 v20, v20, v18
	v_add_f32_e32 v25, v19, v20
	v_mul_f32_e32 v26, v25, v25
	v_mov_b32_e32 v18, 0x3ecc95a3
	v_fmamk_f32 v18, v26, 0x3e9b6dac, v18
	s_waitcnt vmcnt(0)
	v_fmaak_f32 v35, v26, v18, 0x3f2aaada
	v_cvt_f32_i32_e32 v18, v22
	v_sub_f32_e32 v19, v25, v19
	v_sub_f32_e32 v19, v20, v19
	v_ldexp_f32 v22, v19, 1
	v_mul_f32_e32 v19, v25, v26
	v_ldexp_f32 v21, v25, 1
	v_mov_b32_e32 v20, v34
	v_pk_mul_f32 v[26:27], v[18:19], v[34:35]
	scratch_store_dwordx2 off, v[20:21], off offset:196 ; 8-byte Folded Spill
	v_fma_f32 v20, v18, s2, -v26
	v_fmac_f32_e32 v20, 0xb102e308, v18
	v_pk_add_f32 v[18:19], v[26:27], v[20:21]
	v_mov_b32_e32 v34, v26
	v_sub_f32_e32 v21, v19, v21
	v_sub_f32_e32 v21, v27, v21
	v_add_f32_e32 v35, v22, v21
	v_pk_add_f32 v[26:27], v[18:19], v[26:27] neg_lo:[0,1] neg_hi:[0,1]
	v_pk_add_f32 v[36:37], v[18:19], v[34:35]
	v_mov_b32_e32 v21, v18
	v_mov_b32_e32 v27, v37
	v_pk_add_f32 v[38:39], v[20:21], v[26:27] neg_lo:[0,1] neg_hi:[0,1]
	v_pk_add_f32 v[20:21], v[20:21], v[26:27]
	s_mov_b32 s2, 0x7f800000
	v_mov_b32_e32 v22, v21
	v_pk_add_f32 v[26:27], v[22:23], v[18:19] neg_lo:[0,1] neg_hi:[0,1]
	v_mov_b32_e32 v20, v37
	v_mov_b32_e32 v25, v26
	v_pk_add_f32 v[40:41], v[36:37], v[24:25] neg_lo:[0,1] neg_hi:[0,1]
	v_mov_b32_e32 v36, v19
	v_mov_b32_e32 v37, v26
	;; [unrolled: 1-line block ×3, first 2 shown]
	v_pk_add_f32 v[20:21], v[20:21], v[36:37] neg_lo:[0,1] neg_hi:[0,1]
	v_mov_b32_e32 v26, v35
	v_mov_b32_e32 v27, v18
	v_pk_add_f32 v[18:19], v[26:27], v[20:21] neg_lo:[0,1] neg_hi:[0,1]
	v_mov_b32_e32 v40, v38
	v_pk_add_f32 v[20:21], v[40:41], v[18:19]
	v_cmp_eq_f32_e32 vcc, s2, v42
	v_mov_b32_e32 v26, v21
	v_pk_add_f32 v[26:27], v[20:21], v[26:27]
	s_mov_b32 s2, 0x33800000
	v_pk_add_f32 v[34:35], v[22:23], v[26:27]
	v_mov_b32_e32 v19, v26
	v_mov_b32_e32 v21, v34
	v_pk_add_f32 v[36:37], v[20:21], v[38:39] neg_lo:[0,1] neg_hi:[0,1]
	v_cmp_gt_f32_e64 s[2:3], s2, v42
	v_sub_f32_e32 v20, v20, v36
	v_pk_add_f32 v[18:19], v[18:19], v[36:37] neg_lo:[0,1] neg_hi:[0,1]
	v_sub_f32_e32 v20, v38, v20
	v_add_f32_e32 v18, v18, v20
	v_add_f32_e32 v18, v18, v19
	;; [unrolled: 1-line block ×3, first 2 shown]
	s_or_b64 vcc, s[2:3], vcc
	v_cndmask_b32_e32 v81, v18, v42, vcc
.LBB149_95:                             ;   in Loop: Header=BB149_13 Depth=1
	s_or_b64 exec, exec, s[52:53]
	s_waitcnt lgkmcnt(2)
	v_add_f32_e32 v68, s56, v32
	s_mov_b32 s2, 0x41a00000
	v_cmp_ge_f32_e32 vcc, s2, v68
	v_readlane_b32 s2, v95, 18
	v_readlane_b32 s3, v95, 19
	s_and_b64 s[2:3], s[2:3], vcc
	s_and_saveexec_b64 s[52:53], s[2:3]
	s_cbranch_execz .LBB149_97
; %bb.96:                               ;   in Loop: Header=BB149_13 Depth=1
	v_mul_f32_e32 v18, 0x3fb8aa3b, v68
	v_rndne_f32_e32 v19, v18
	s_mov_b32 s2, 0x3fb8aa3b
	v_sub_f32_e32 v20, v18, v19
	v_fma_f32 v18, v68, s2, -v18
	v_fmac_f32_e32 v18, 0x32a5705f, v68
	v_add_f32_e32 v18, v20, v18
	v_cvt_i32_f32_e32 v19, v19
	v_exp_f32_e32 v18, v18
	s_mov_b32 s2, 0xc2ce8ed0
	v_cmp_ngt_f32_e32 vcc, s2, v68
	s_mov_b32 s2, 0x42b17218
	v_ldexp_f32 v18, v18, v19
	v_cndmask_b32_e32 v18, 0, v18, vcc
	v_cmp_nlt_f32_e32 vcc, s2, v68
	s_mov_b32 s2, 0x3f2aaaab
	s_nop 0
	v_cndmask_b32_e32 v32, v56, v18, vcc
	v_add_f32_e32 v20, 1.0, v32
	v_add_f32_e32 v18, -1.0, v20
	v_sub_f32_e32 v19, v18, v20
	v_add_f32_e32 v19, 1.0, v19
	v_sub_f32_e32 v18, v32, v18
	v_add_f32_e32 v21, v18, v19
	v_frexp_mant_f32_e32 v22, v20
	v_cvt_f64_f32_e32 v[18:19], v20
	v_frexp_exp_i32_f64_e32 v18, v[18:19]
	v_cmp_gt_f32_e32 vcc, s2, v22
	s_mov_b32 s2, 0x3f317218
	s_nop 0
	v_subbrev_co_u32_e32 v22, vcc, 0, v18, vcc
	v_sub_u32_e32 v18, 0, v22
	v_ldexp_f32 v19, v20, v18
	v_add_f32_e32 v20, -1.0, v19
	v_add_f32_e32 v25, 1.0, v19
	v_ldexp_f32 v18, v21, v18
	v_add_f32_e32 v21, 1.0, v20
	v_add_f32_e32 v26, -1.0, v25
	v_sub_f32_e32 v21, v19, v21
	v_sub_f32_e32 v19, v19, v26
	v_add_f32_e32 v21, v18, v21
	v_add_f32_e32 v18, v18, v19
	;; [unrolled: 1-line block ×3, first 2 shown]
	v_rcp_f32_e32 v37, v36
	v_sub_f32_e32 v19, v25, v36
	v_add_f32_e32 v25, v18, v19
	v_add_f32_e32 v19, v20, v21
	v_mul_f32_e32 v39, v19, v37
	v_sub_f32_e32 v18, v20, v19
	v_mul_f32_e32 v20, v36, v39
	v_fma_f32 v26, v39, v36, -v20
	v_fmac_f32_e32 v26, v39, v25
	v_add_f32_e32 v38, v21, v18
	v_add_f32_e32 v18, v20, v26
	v_sub_f32_e32 v21, v19, v18
	v_pk_add_f32 v[34:35], v[18:19], v[20:21] neg_lo:[0,1] neg_hi:[0,1]
	v_mov_b32_e32 v27, v18
	v_pk_add_f32 v[18:19], v[34:35], v[26:27] neg_lo:[0,1] neg_hi:[0,1]
	s_nop 0
	v_add_f32_e32 v19, v38, v19
	v_add_f32_e32 v18, v18, v19
	;; [unrolled: 1-line block ×3, first 2 shown]
	v_mul_f32_e32 v38, v37, v19
	v_mul_f32_e32 v20, v36, v38
	v_fma_f32 v26, v38, v36, -v20
	v_fmac_f32_e32 v26, v38, v25
	v_sub_f32_e32 v21, v21, v19
	v_add_f32_e32 v25, v18, v21
	v_add_f32_e32 v18, v20, v26
	v_sub_f32_e32 v21, v19, v18
	v_pk_add_f32 v[34:35], v[18:19], v[20:21] neg_lo:[0,1] neg_hi:[0,1]
	v_mov_b32_e32 v27, v18
	v_pk_add_f32 v[18:19], v[34:35], v[26:27] neg_lo:[0,1] neg_hi:[0,1]
	scratch_load_dwordx2 v[34:35], off, off offset:196 ; 8-byte Folded Reload
	v_add_f32_e32 v19, v25, v19
	v_add_f32_e32 v18, v18, v19
	v_add_f32_e32 v19, v39, v38
	v_add_f32_e32 v18, v21, v18
	v_sub_f32_e32 v20, v19, v39
	v_mul_f32_e32 v18, v37, v18
	v_sub_f32_e32 v20, v38, v20
	v_add_f32_e32 v20, v20, v18
	v_add_f32_e32 v25, v19, v20
	v_mul_f32_e32 v26, v25, v25
	v_mov_b32_e32 v18, 0x3ecc95a3
	v_fmamk_f32 v18, v26, 0x3e9b6dac, v18
	s_waitcnt vmcnt(0)
	v_fmaak_f32 v35, v26, v18, 0x3f2aaada
	v_cvt_f32_i32_e32 v18, v22
	v_sub_f32_e32 v19, v25, v19
	v_sub_f32_e32 v19, v20, v19
	v_ldexp_f32 v22, v19, 1
	v_mul_f32_e32 v19, v25, v26
	v_ldexp_f32 v21, v25, 1
	v_mov_b32_e32 v20, v34
	v_pk_mul_f32 v[26:27], v[18:19], v[34:35]
	scratch_store_dwordx2 off, v[20:21], off offset:196 ; 8-byte Folded Spill
	v_fma_f32 v20, v18, s2, -v26
	v_fmac_f32_e32 v20, 0xb102e308, v18
	v_pk_add_f32 v[18:19], v[26:27], v[20:21]
	v_mov_b32_e32 v34, v26
	v_sub_f32_e32 v21, v19, v21
	v_sub_f32_e32 v21, v27, v21
	v_add_f32_e32 v35, v22, v21
	v_pk_add_f32 v[26:27], v[18:19], v[26:27] neg_lo:[0,1] neg_hi:[0,1]
	v_pk_add_f32 v[36:37], v[18:19], v[34:35]
	v_mov_b32_e32 v21, v18
	v_mov_b32_e32 v27, v37
	v_pk_add_f32 v[38:39], v[20:21], v[26:27] neg_lo:[0,1] neg_hi:[0,1]
	v_pk_add_f32 v[20:21], v[20:21], v[26:27]
	s_mov_b32 s2, 0x7f800000
	v_mov_b32_e32 v22, v21
	v_pk_add_f32 v[26:27], v[22:23], v[18:19] neg_lo:[0,1] neg_hi:[0,1]
	v_mov_b32_e32 v20, v37
	v_mov_b32_e32 v25, v26
	v_pk_add_f32 v[40:41], v[36:37], v[24:25] neg_lo:[0,1] neg_hi:[0,1]
	v_mov_b32_e32 v36, v19
	v_mov_b32_e32 v37, v26
	;; [unrolled: 1-line block ×3, first 2 shown]
	v_pk_add_f32 v[20:21], v[20:21], v[36:37] neg_lo:[0,1] neg_hi:[0,1]
	v_mov_b32_e32 v26, v35
	v_mov_b32_e32 v27, v18
	v_pk_add_f32 v[18:19], v[26:27], v[20:21] neg_lo:[0,1] neg_hi:[0,1]
	v_mov_b32_e32 v40, v38
	v_pk_add_f32 v[20:21], v[40:41], v[18:19]
	v_cmp_eq_f32_e32 vcc, s2, v32
	v_mov_b32_e32 v26, v21
	v_pk_add_f32 v[26:27], v[20:21], v[26:27]
	s_mov_b32 s2, 0x33800000
	v_pk_add_f32 v[34:35], v[22:23], v[26:27]
	v_mov_b32_e32 v19, v26
	v_mov_b32_e32 v21, v34
	v_pk_add_f32 v[36:37], v[20:21], v[38:39] neg_lo:[0,1] neg_hi:[0,1]
	v_cmp_gt_f32_e64 s[2:3], s2, v32
	v_sub_f32_e32 v20, v20, v36
	v_pk_add_f32 v[18:19], v[18:19], v[36:37] neg_lo:[0,1] neg_hi:[0,1]
	v_sub_f32_e32 v20, v38, v20
	v_add_f32_e32 v18, v18, v20
	v_add_f32_e32 v18, v18, v19
	;; [unrolled: 1-line block ×3, first 2 shown]
	s_or_b64 vcc, s[2:3], vcc
	v_cndmask_b32_e32 v68, v18, v32, vcc
.LBB149_97:                             ;   in Loop: Header=BB149_13 Depth=1
	s_or_b64 exec, exec, s[52:53]
	v_add_f32_e32 v20, s56, v33
	s_mov_b32 s2, 0x41a00000
	v_cmp_ge_f32_e32 vcc, s2, v20
	v_readlane_b32 s2, v95, 18
	v_readlane_b32 s3, v95, 19
	s_and_b64 s[2:3], s[2:3], vcc
	s_and_saveexec_b64 s[52:53], s[2:3]
	s_cbranch_execz .LBB149_99
; %bb.98:                               ;   in Loop: Header=BB149_13 Depth=1
	v_mul_f32_e32 v18, 0x3fb8aa3b, v20
	v_rndne_f32_e32 v19, v18
	s_mov_b32 s2, 0x3fb8aa3b
	v_sub_f32_e32 v21, v18, v19
	v_fma_f32 v18, v20, s2, -v18
	v_fmac_f32_e32 v18, 0x32a5705f, v20
	v_add_f32_e32 v18, v21, v18
	v_cvt_i32_f32_e32 v19, v19
	v_exp_f32_e32 v18, v18
	s_mov_b32 s2, 0xc2ce8ed0
	v_cmp_ngt_f32_e32 vcc, s2, v20
	s_mov_b32 s2, 0x42b17218
	v_ldexp_f32 v18, v18, v19
	v_cndmask_b32_e32 v18, 0, v18, vcc
	v_cmp_nlt_f32_e32 vcc, s2, v20
	s_mov_b32 s2, 0x3f2aaaab
	s_nop 0
	v_cndmask_b32_e32 v40, v56, v18, vcc
	v_add_f32_e32 v20, 1.0, v40
	v_add_f32_e32 v18, -1.0, v20
	v_sub_f32_e32 v19, v18, v20
	v_add_f32_e32 v19, 1.0, v19
	v_sub_f32_e32 v18, v40, v18
	v_add_f32_e32 v21, v18, v19
	v_frexp_mant_f32_e32 v22, v20
	v_cvt_f64_f32_e32 v[18:19], v20
	v_frexp_exp_i32_f64_e32 v18, v[18:19]
	v_cmp_gt_f32_e32 vcc, s2, v22
	s_mov_b32 s2, 0x3f317218
	s_nop 0
	v_subbrev_co_u32_e32 v22, vcc, 0, v18, vcc
	v_sub_u32_e32 v18, 0, v22
	v_ldexp_f32 v19, v20, v18
	v_add_f32_e32 v20, -1.0, v19
	v_add_f32_e32 v25, 1.0, v19
	v_ldexp_f32 v18, v21, v18
	v_add_f32_e32 v21, 1.0, v20
	v_add_f32_e32 v26, -1.0, v25
	v_sub_f32_e32 v21, v19, v21
	v_sub_f32_e32 v19, v19, v26
	v_add_f32_e32 v21, v18, v21
	v_add_f32_e32 v18, v18, v19
	;; [unrolled: 1-line block ×3, first 2 shown]
	v_rcp_f32_e32 v35, v34
	v_sub_f32_e32 v19, v25, v34
	v_add_f32_e32 v25, v18, v19
	v_add_f32_e32 v19, v20, v21
	v_mul_f32_e32 v37, v19, v35
	v_sub_f32_e32 v18, v20, v19
	v_mul_f32_e32 v20, v34, v37
	v_fma_f32 v26, v37, v34, -v20
	v_fmac_f32_e32 v26, v37, v25
	v_add_f32_e32 v36, v21, v18
	v_add_f32_e32 v18, v20, v26
	v_sub_f32_e32 v21, v19, v18
	v_pk_add_f32 v[32:33], v[18:19], v[20:21] neg_lo:[0,1] neg_hi:[0,1]
	v_mov_b32_e32 v27, v18
	v_pk_add_f32 v[18:19], v[32:33], v[26:27] neg_lo:[0,1] neg_hi:[0,1]
	s_nop 0
	v_add_f32_e32 v19, v36, v19
	v_add_f32_e32 v18, v18, v19
	;; [unrolled: 1-line block ×3, first 2 shown]
	v_mul_f32_e32 v36, v35, v19
	v_mul_f32_e32 v20, v34, v36
	v_fma_f32 v26, v36, v34, -v20
	v_fmac_f32_e32 v26, v36, v25
	v_sub_f32_e32 v21, v21, v19
	v_add_f32_e32 v25, v18, v21
	v_add_f32_e32 v18, v20, v26
	v_sub_f32_e32 v21, v19, v18
	v_pk_add_f32 v[32:33], v[18:19], v[20:21] neg_lo:[0,1] neg_hi:[0,1]
	v_mov_b32_e32 v27, v18
	v_pk_add_f32 v[18:19], v[32:33], v[26:27] neg_lo:[0,1] neg_hi:[0,1]
	scratch_load_dwordx2 v[32:33], off, off offset:196 ; 8-byte Folded Reload
	v_add_f32_e32 v19, v25, v19
	v_add_f32_e32 v18, v18, v19
	;; [unrolled: 1-line block ×4, first 2 shown]
	v_sub_f32_e32 v20, v19, v37
	v_mul_f32_e32 v18, v35, v18
	v_sub_f32_e32 v20, v36, v20
	v_add_f32_e32 v20, v20, v18
	v_add_f32_e32 v25, v19, v20
	v_mul_f32_e32 v26, v25, v25
	v_mov_b32_e32 v18, 0x3ecc95a3
	v_fmamk_f32 v18, v26, 0x3e9b6dac, v18
	s_waitcnt vmcnt(0)
	v_fmaak_f32 v33, v26, v18, 0x3f2aaada
	v_cvt_f32_i32_e32 v18, v22
	v_sub_f32_e32 v19, v25, v19
	v_sub_f32_e32 v19, v20, v19
	v_ldexp_f32 v22, v19, 1
	v_mul_f32_e32 v19, v25, v26
	v_ldexp_f32 v21, v25, 1
	v_mov_b32_e32 v20, v32
	v_pk_mul_f32 v[26:27], v[18:19], v[32:33]
	scratch_store_dwordx2 off, v[20:21], off offset:196 ; 8-byte Folded Spill
	v_fma_f32 v20, v18, s2, -v26
	v_fmac_f32_e32 v20, 0xb102e308, v18
	v_pk_add_f32 v[18:19], v[26:27], v[20:21]
	v_mov_b32_e32 v32, v26
	v_sub_f32_e32 v21, v19, v21
	v_sub_f32_e32 v21, v27, v21
	v_add_f32_e32 v33, v22, v21
	v_pk_add_f32 v[26:27], v[18:19], v[26:27] neg_lo:[0,1] neg_hi:[0,1]
	v_pk_add_f32 v[34:35], v[18:19], v[32:33]
	v_mov_b32_e32 v21, v18
	v_mov_b32_e32 v27, v35
	v_pk_add_f32 v[36:37], v[20:21], v[26:27] neg_lo:[0,1] neg_hi:[0,1]
	v_pk_add_f32 v[20:21], v[20:21], v[26:27]
	s_mov_b32 s2, 0x7f800000
	v_mov_b32_e32 v22, v21
	v_pk_add_f32 v[26:27], v[22:23], v[18:19] neg_lo:[0,1] neg_hi:[0,1]
	v_mov_b32_e32 v20, v35
	v_mov_b32_e32 v25, v26
	v_pk_add_f32 v[38:39], v[34:35], v[24:25] neg_lo:[0,1] neg_hi:[0,1]
	v_mov_b32_e32 v34, v19
	v_mov_b32_e32 v35, v26
	;; [unrolled: 1-line block ×3, first 2 shown]
	v_pk_add_f32 v[20:21], v[20:21], v[34:35] neg_lo:[0,1] neg_hi:[0,1]
	v_mov_b32_e32 v26, v33
	v_mov_b32_e32 v27, v18
	v_pk_add_f32 v[18:19], v[26:27], v[20:21] neg_lo:[0,1] neg_hi:[0,1]
	v_mov_b32_e32 v38, v36
	v_pk_add_f32 v[20:21], v[38:39], v[18:19]
	v_cmp_eq_f32_e32 vcc, s2, v40
	v_mov_b32_e32 v26, v21
	v_pk_add_f32 v[26:27], v[20:21], v[26:27]
	s_mov_b32 s2, 0x33800000
	v_pk_add_f32 v[32:33], v[22:23], v[26:27]
	v_mov_b32_e32 v19, v26
	v_mov_b32_e32 v21, v32
	v_pk_add_f32 v[34:35], v[20:21], v[36:37] neg_lo:[0,1] neg_hi:[0,1]
	v_cmp_gt_f32_e64 s[2:3], s2, v40
	v_sub_f32_e32 v20, v20, v34
	v_pk_add_f32 v[18:19], v[18:19], v[34:35] neg_lo:[0,1] neg_hi:[0,1]
	v_sub_f32_e32 v20, v36, v20
	v_add_f32_e32 v18, v18, v20
	v_add_f32_e32 v18, v18, v19
	;; [unrolled: 1-line block ×3, first 2 shown]
	s_or_b64 vcc, s[2:3], vcc
	v_cndmask_b32_e32 v20, v18, v40, vcc
.LBB149_99:                             ;   in Loop: Header=BB149_13 Depth=1
	s_or_b64 exec, exec, s[52:53]
	s_waitcnt lgkmcnt(1)
	v_add_f32_e32 v22, s56, v30
	s_mov_b32 s2, 0x41a00000
	v_cmp_ge_f32_e32 vcc, s2, v22
	v_readlane_b32 s2, v95, 18
	v_readlane_b32 s3, v95, 19
	s_and_b64 s[2:3], s[2:3], vcc
	s_and_saveexec_b64 s[52:53], s[2:3]
	s_cbranch_execz .LBB149_101
; %bb.100:                              ;   in Loop: Header=BB149_13 Depth=1
	v_mul_f32_e32 v18, 0x3fb8aa3b, v22
	v_rndne_f32_e32 v19, v18
	s_mov_b32 s2, 0x3fb8aa3b
	v_sub_f32_e32 v21, v18, v19
	v_fma_f32 v18, v22, s2, -v18
	v_fmac_f32_e32 v18, 0x32a5705f, v22
	v_add_f32_e32 v18, v21, v18
	v_cvt_i32_f32_e32 v19, v19
	v_exp_f32_e32 v18, v18
	s_mov_b32 s2, 0xc2ce8ed0
	v_cmp_ngt_f32_e32 vcc, s2, v22
	s_mov_b32 s2, 0x42b17218
	v_ldexp_f32 v18, v18, v19
	v_cndmask_b32_e32 v18, 0, v18, vcc
	v_cmp_nlt_f32_e32 vcc, s2, v22
	s_mov_b32 s2, 0x3f2aaaab
	s_nop 0
	v_cndmask_b32_e32 v25, v56, v18, vcc
	v_add_f32_e32 v21, 1.0, v25
	v_add_f32_e32 v18, -1.0, v21
	v_sub_f32_e32 v19, v18, v21
	v_add_f32_e32 v19, 1.0, v19
	v_sub_f32_e32 v18, v25, v18
	v_add_f32_e32 v22, v18, v19
	v_frexp_mant_f32_e32 v26, v21
	v_cvt_f64_f32_e32 v[18:19], v21
	v_frexp_exp_i32_f64_e32 v18, v[18:19]
	v_cmp_gt_f32_e32 vcc, s2, v26
	s_mov_b32 s2, 0x3f317218
	s_nop 0
	v_subbrev_co_u32_e32 v30, vcc, 0, v18, vcc
	v_sub_u32_e32 v18, 0, v30
	v_ldexp_f32 v19, v21, v18
	v_add_f32_e32 v21, -1.0, v19
	v_add_f32_e32 v26, 1.0, v19
	v_ldexp_f32 v18, v22, v18
	v_add_f32_e32 v22, 1.0, v21
	v_add_f32_e32 v27, -1.0, v26
	v_sub_f32_e32 v22, v19, v22
	v_sub_f32_e32 v19, v19, v27
	v_add_f32_e32 v22, v18, v22
	v_add_f32_e32 v18, v18, v19
	;; [unrolled: 1-line block ×3, first 2 shown]
	v_rcp_f32_e32 v38, v36
	v_sub_f32_e32 v19, v26, v36
	v_add_f32_e32 v37, v18, v19
	v_add_f32_e32 v19, v21, v22
	v_sub_f32_e32 v18, v21, v19
	v_add_f32_e32 v21, v22, v18
	v_mul_f32_e32 v22, v19, v38
	v_mul_f32_e32 v26, v36, v22
	v_fma_f32 v32, v22, v36, -v26
	v_fmac_f32_e32 v32, v22, v37
	v_add_f32_e32 v18, v26, v32
	v_sub_f32_e32 v27, v19, v18
	v_pk_add_f32 v[34:35], v[18:19], v[26:27] neg_lo:[0,1] neg_hi:[0,1]
	v_mov_b32_e32 v33, v18
	v_pk_add_f32 v[18:19], v[34:35], v[32:33] neg_lo:[0,1] neg_hi:[0,1]
	s_nop 0
	v_add_f32_e32 v19, v21, v19
	v_add_f32_e32 v18, v18, v19
	;; [unrolled: 1-line block ×3, first 2 shown]
	v_mul_f32_e32 v21, v38, v19
	v_mul_f32_e32 v26, v36, v21
	v_fma_f32 v32, v21, v36, -v26
	v_fmac_f32_e32 v32, v21, v37
	v_sub_f32_e32 v27, v27, v19
	v_add_f32_e32 v36, v18, v27
	v_add_f32_e32 v18, v26, v32
	v_sub_f32_e32 v27, v19, v18
	v_pk_add_f32 v[34:35], v[18:19], v[26:27] neg_lo:[0,1] neg_hi:[0,1]
	v_mov_b32_e32 v33, v18
	v_pk_add_f32 v[18:19], v[34:35], v[32:33] neg_lo:[0,1] neg_hi:[0,1]
	scratch_load_dwordx2 v[32:33], off, off offset:196 ; 8-byte Folded Reload
	v_add_f32_e32 v19, v36, v19
	v_add_f32_e32 v18, v18, v19
	;; [unrolled: 1-line block ×4, first 2 shown]
	v_sub_f32_e32 v22, v19, v22
	v_mul_f32_e32 v18, v38, v18
	v_sub_f32_e32 v21, v21, v22
	v_add_f32_e32 v21, v21, v18
	v_add_f32_e32 v22, v19, v21
	v_mul_f32_e32 v26, v22, v22
	v_mov_b32_e32 v18, 0x3ecc95a3
	v_fmamk_f32 v18, v26, 0x3e9b6dac, v18
	s_waitcnt vmcnt(0)
	v_fmaak_f32 v33, v26, v18, 0x3f2aaada
	v_cvt_f32_i32_e32 v18, v30
	v_sub_f32_e32 v19, v22, v19
	v_sub_f32_e32 v19, v21, v19
	v_ldexp_f32 v21, v19, 1
	v_mul_f32_e32 v19, v22, v26
	v_ldexp_f32 v27, v22, 1
	v_mov_b32_e32 v22, v32
	v_pk_mul_f32 v[32:33], v[18:19], v[32:33]
	scratch_store_dwordx2 off, v[22:23], off offset:196 ; 8-byte Folded Spill
	v_fma_f32 v26, v18, s2, -v32
	v_fmac_f32_e32 v26, 0xb102e308, v18
	v_pk_add_f32 v[18:19], v[32:33], v[26:27]
	v_mov_b32_e32 v34, v32
	v_sub_f32_e32 v22, v19, v27
	v_sub_f32_e32 v22, v33, v22
	v_add_f32_e32 v35, v21, v22
	v_pk_add_f32 v[32:33], v[18:19], v[32:33] neg_lo:[0,1] neg_hi:[0,1]
	v_pk_add_f32 v[36:37], v[18:19], v[34:35]
	v_mov_b32_e32 v27, v18
	v_mov_b32_e32 v33, v37
	v_pk_add_f32 v[38:39], v[26:27], v[32:33] neg_lo:[0,1] neg_hi:[0,1]
	v_pk_add_f32 v[26:27], v[26:27], v[32:33]
	s_mov_b32 s2, 0x7f800000
	v_mov_b32_e32 v22, v27
	v_pk_add_f32 v[32:33], v[22:23], v[18:19] neg_lo:[0,1] neg_hi:[0,1]
	v_mov_b32_e32 v26, v37
	v_mov_b32_e32 v21, v32
	v_pk_add_f32 v[40:41], v[36:37], v[20:21] neg_lo:[0,1] neg_hi:[0,1]
	v_mov_b32_e32 v36, v19
	v_mov_b32_e32 v37, v32
	;; [unrolled: 1-line block ×3, first 2 shown]
	v_pk_add_f32 v[26:27], v[26:27], v[36:37] neg_lo:[0,1] neg_hi:[0,1]
	v_mov_b32_e32 v32, v35
	v_mov_b32_e32 v33, v18
	v_pk_add_f32 v[18:19], v[32:33], v[26:27] neg_lo:[0,1] neg_hi:[0,1]
	v_mov_b32_e32 v40, v38
	v_pk_add_f32 v[26:27], v[40:41], v[18:19]
	v_cmp_eq_f32_e32 vcc, s2, v25
	v_mov_b32_e32 v30, v27
	v_pk_add_f32 v[32:33], v[26:27], v[30:31]
	s_mov_b32 s2, 0x33800000
	v_pk_add_f32 v[34:35], v[22:23], v[32:33]
	v_mov_b32_e32 v19, v32
	v_mov_b32_e32 v27, v34
	v_pk_add_f32 v[36:37], v[26:27], v[38:39] neg_lo:[0,1] neg_hi:[0,1]
	v_cmp_gt_f32_e64 s[2:3], s2, v25
	v_sub_f32_e32 v21, v26, v36
	v_pk_add_f32 v[18:19], v[18:19], v[36:37] neg_lo:[0,1] neg_hi:[0,1]
	v_sub_f32_e32 v21, v38, v21
	v_add_f32_e32 v18, v18, v21
	v_add_f32_e32 v18, v18, v19
	;; [unrolled: 1-line block ×3, first 2 shown]
	s_or_b64 vcc, s[2:3], vcc
	v_cndmask_b32_e32 v22, v18, v25, vcc
.LBB149_101:                            ;   in Loop: Header=BB149_13 Depth=1
	s_or_b64 exec, exec, s[52:53]
	v_add_f32_e32 v18, s56, v31
	s_mov_b32 s2, 0x41a00000
	v_cmp_ge_f32_e32 vcc, s2, v18
	v_readlane_b32 s2, v95, 18
	v_readlane_b32 s3, v95, 19
	s_and_b64 s[2:3], s[2:3], vcc
	s_and_saveexec_b64 s[52:53], s[2:3]
	s_cbranch_execz .LBB149_103
; %bb.102:                              ;   in Loop: Header=BB149_13 Depth=1
	v_mul_f32_e32 v19, 0x3fb8aa3b, v18
	v_rndne_f32_e32 v21, v19
	s_mov_b32 s2, 0x3fb8aa3b
	v_sub_f32_e32 v25, v19, v21
	v_fma_f32 v19, v18, s2, -v19
	v_fmac_f32_e32 v19, 0x32a5705f, v18
	v_add_f32_e32 v19, v25, v19
	v_cvt_i32_f32_e32 v21, v21
	v_exp_f32_e32 v19, v19
	s_mov_b32 s2, 0xc2ce8ed0
	v_cmp_ngt_f32_e32 vcc, s2, v18
	s_mov_b32 s2, 0x42b17218
	v_ldexp_f32 v19, v19, v21
	v_cndmask_b32_e32 v19, 0, v19, vcc
	v_cmp_nlt_f32_e32 vcc, s2, v18
	s_mov_b32 s2, 0x3f2aaaab
	s_nop 0
	v_cndmask_b32_e32 v25, v56, v19, vcc
	v_add_f32_e32 v21, 1.0, v25
	v_add_f32_e32 v18, -1.0, v21
	v_sub_f32_e32 v19, v18, v21
	v_add_f32_e32 v19, 1.0, v19
	v_sub_f32_e32 v18, v25, v18
	v_add_f32_e32 v26, v18, v19
	v_frexp_mant_f32_e32 v27, v21
	v_cvt_f64_f32_e32 v[18:19], v21
	v_frexp_exp_i32_f64_e32 v18, v[18:19]
	v_cmp_gt_f32_e32 vcc, s2, v27
	s_mov_b32 s2, 0x3f317218
	s_nop 0
	v_subbrev_co_u32_e32 v34, vcc, 0, v18, vcc
	v_sub_u32_e32 v18, 0, v34
	v_ldexp_f32 v19, v21, v18
	v_add_f32_e32 v21, -1.0, v19
	v_add_f32_e32 v27, 1.0, v19
	v_ldexp_f32 v18, v26, v18
	v_add_f32_e32 v26, 1.0, v21
	v_add_f32_e32 v30, -1.0, v27
	v_sub_f32_e32 v26, v19, v26
	v_sub_f32_e32 v19, v19, v30
	v_add_f32_e32 v26, v18, v26
	v_add_f32_e32 v18, v18, v19
	;; [unrolled: 1-line block ×3, first 2 shown]
	v_rcp_f32_e32 v37, v35
	v_sub_f32_e32 v19, v27, v35
	v_add_f32_e32 v36, v18, v19
	v_add_f32_e32 v19, v21, v26
	v_sub_f32_e32 v18, v21, v19
	v_mul_f32_e32 v38, v19, v37
	v_add_f32_e32 v21, v26, v18
	v_mul_f32_e32 v26, v35, v38
	v_fma_f32 v30, v38, v35, -v26
	v_fmac_f32_e32 v30, v38, v36
	v_add_f32_e32 v18, v26, v30
	v_sub_f32_e32 v27, v19, v18
	v_pk_add_f32 v[32:33], v[18:19], v[26:27] neg_lo:[0,1] neg_hi:[0,1]
	v_mov_b32_e32 v31, v18
	v_pk_add_f32 v[18:19], v[32:33], v[30:31] neg_lo:[0,1] neg_hi:[0,1]
	s_nop 0
	v_add_f32_e32 v19, v21, v19
	v_add_f32_e32 v18, v18, v19
	;; [unrolled: 1-line block ×3, first 2 shown]
	v_mul_f32_e32 v21, v37, v19
	v_mul_f32_e32 v26, v35, v21
	v_fma_f32 v30, v21, v35, -v26
	v_fmac_f32_e32 v30, v21, v36
	v_sub_f32_e32 v27, v27, v19
	v_add_f32_e32 v35, v18, v27
	v_add_f32_e32 v18, v26, v30
	v_sub_f32_e32 v27, v19, v18
	v_pk_add_f32 v[32:33], v[18:19], v[26:27] neg_lo:[0,1] neg_hi:[0,1]
	v_mov_b32_e32 v31, v18
	v_pk_add_f32 v[18:19], v[32:33], v[30:31] neg_lo:[0,1] neg_hi:[0,1]
	scratch_load_dwordx2 v[32:33], off, off offset:196 ; 8-byte Folded Reload
	v_add_f32_e32 v19, v35, v19
	v_add_f32_e32 v18, v18, v19
	;; [unrolled: 1-line block ×4, first 2 shown]
	v_sub_f32_e32 v26, v19, v38
	v_mul_f32_e32 v18, v37, v18
	v_sub_f32_e32 v21, v21, v26
	v_add_f32_e32 v21, v21, v18
	v_add_f32_e32 v26, v19, v21
	v_mul_f32_e32 v30, v26, v26
	v_mov_b32_e32 v18, 0x3ecc95a3
	v_fmamk_f32 v18, v30, 0x3e9b6dac, v18
	s_waitcnt vmcnt(0)
	v_fmaak_f32 v33, v30, v18, 0x3f2aaada
	v_cvt_f32_i32_e32 v18, v34
	v_sub_f32_e32 v19, v26, v19
	v_sub_f32_e32 v19, v21, v19
	v_ldexp_f32 v21, v19, 1
	v_mul_f32_e32 v19, v26, v30
	v_ldexp_f32 v27, v26, 1
	v_pk_mul_f32 v[30:31], v[18:19], v[32:33]
	s_nop 0
	v_fma_f32 v26, v18, s2, -v30
	v_fmac_f32_e32 v26, 0xb102e308, v18
	v_pk_add_f32 v[18:19], v[30:31], v[26:27]
	v_mov_b32_e32 v24, v32
	v_sub_f32_e32 v27, v19, v27
	v_sub_f32_e32 v27, v31, v27
	v_add_f32_e32 v33, v21, v27
	v_mov_b32_e32 v32, v30
	v_pk_add_f32 v[30:31], v[18:19], v[30:31] neg_lo:[0,1] neg_hi:[0,1]
	v_pk_add_f32 v[34:35], v[18:19], v[32:33]
	v_mov_b32_e32 v27, v18
	v_mov_b32_e32 v31, v35
	v_pk_add_f32 v[36:37], v[26:27], v[30:31] neg_lo:[0,1] neg_hi:[0,1]
	v_pk_add_f32 v[26:27], v[26:27], v[30:31]
	v_mov_b32_e32 v32, v33
	v_mov_b32_e32 v30, v27
	v_pk_add_f32 v[38:39], v[30:31], v[18:19] neg_lo:[0,1] neg_hi:[0,1]
	v_mov_b32_e32 v26, v35
	v_mov_b32_e32 v21, v38
	v_pk_add_f32 v[40:41], v[34:35], v[20:21] neg_lo:[0,1] neg_hi:[0,1]
	v_mov_b32_e32 v34, v19
	v_mov_b32_e32 v35, v38
	;; [unrolled: 1-line block ×3, first 2 shown]
	v_pk_add_f32 v[26:27], v[26:27], v[34:35] neg_lo:[0,1] neg_hi:[0,1]
	v_mov_b32_e32 v33, v18
	v_pk_add_f32 v[18:19], v[32:33], v[26:27] neg_lo:[0,1] neg_hi:[0,1]
	v_mov_b32_e32 v40, v36
	v_pk_add_f32 v[26:27], v[40:41], v[18:19]
	s_mov_b32 s2, 0x7f800000
	v_mov_b32_e32 v32, v27
	v_pk_add_f32 v[32:33], v[26:27], v[32:33]
	v_cmp_eq_f32_e32 vcc, s2, v25
	v_pk_add_f32 v[30:31], v[30:31], v[32:33]
	v_mov_b32_e32 v19, v32
	v_mov_b32_e32 v27, v30
	v_pk_add_f32 v[34:35], v[26:27], v[36:37] neg_lo:[0,1] neg_hi:[0,1]
	s_mov_b32 s2, 0x33800000
	v_sub_f32_e32 v21, v26, v34
	v_pk_add_f32 v[18:19], v[18:19], v[34:35] neg_lo:[0,1] neg_hi:[0,1]
	v_sub_f32_e32 v21, v36, v21
	v_add_f32_e32 v18, v18, v21
	v_add_f32_e32 v18, v18, v19
	v_cmp_gt_f32_e64 s[2:3], s2, v25
	v_add_f32_e32 v18, v30, v18
	s_or_b64 vcc, s[2:3], vcc
	v_cndmask_b32_e32 v18, v18, v25, vcc
	scratch_store_dwordx2 off, v[24:25], off offset:196 ; 8-byte Folded Spill
.LBB149_103:                            ;   in Loop: Header=BB149_13 Depth=1
	s_or_b64 exec, exec, s[52:53]
	s_waitcnt lgkmcnt(0)
	v_add_f32_e32 v82, s56, v28
	s_mov_b32 s2, 0x41a00000
	v_cmp_ge_f32_e32 vcc, s2, v82
	v_readlane_b32 s2, v95, 18
	v_readlane_b32 s3, v95, 19
	s_and_b64 s[2:3], s[2:3], vcc
	s_and_saveexec_b64 s[52:53], s[2:3]
	s_cbranch_execz .LBB149_105
; %bb.104:                              ;   in Loop: Header=BB149_13 Depth=1
	v_mul_f32_e32 v19, 0x3fb8aa3b, v82
	v_rndne_f32_e32 v21, v19
	s_mov_b32 s2, 0x3fb8aa3b
	v_sub_f32_e32 v25, v19, v21
	v_fma_f32 v19, v82, s2, -v19
	v_fmac_f32_e32 v19, 0x32a5705f, v82
	v_add_f32_e32 v19, v25, v19
	v_cvt_i32_f32_e32 v21, v21
	v_exp_f32_e32 v19, v19
	s_mov_b32 s2, 0xc2ce8ed0
	v_cmp_ngt_f32_e32 vcc, s2, v82
	s_mov_b32 s2, 0x42b17218
	v_ldexp_f32 v19, v19, v21
	v_cndmask_b32_e32 v19, 0, v19, vcc
	v_cmp_nlt_f32_e32 vcc, s2, v82
	s_mov_b32 s2, 0x3f2aaaab
	v_mov_b32_e32 v24, 0x3ecc95a3
	v_cndmask_b32_e32 v21, v56, v19, vcc
	v_add_f32_e32 v19, 1.0, v21
	v_add_f32_e32 v25, -1.0, v19
	v_sub_f32_e32 v26, v25, v19
	v_add_f32_e32 v26, 1.0, v26
	v_sub_f32_e32 v25, v21, v25
	v_add_f32_e32 v25, v25, v26
	v_frexp_mant_f32_e32 v28, v19
	v_cvt_f64_f32_e32 v[26:27], v19
	v_frexp_exp_i32_f64_e32 v26, v[26:27]
	v_cmp_gt_f32_e32 vcc, s2, v28
	s_mov_b32 s2, 0x3f317218
	s_nop 0
	v_subbrev_co_u32_e32 v28, vcc, 0, v26, vcc
	v_sub_u32_e32 v26, 0, v28
	v_ldexp_f32 v19, v19, v26
	v_ldexp_f32 v25, v25, v26
	v_add_f32_e32 v26, -1.0, v19
	v_add_f32_e32 v27, 1.0, v26
	v_sub_f32_e32 v27, v19, v27
	v_add_f32_e32 v30, v25, v27
	v_add_f32_e32 v27, 1.0, v19
	v_add_f32_e32 v31, -1.0, v27
	v_sub_f32_e32 v19, v19, v31
	v_add_f32_e32 v19, v25, v19
	v_add_f32_e32 v25, v27, v19
	v_rcp_f32_e32 v36, v25
	v_sub_f32_e32 v27, v27, v25
	v_add_f32_e32 v19, v19, v27
	v_add_f32_e32 v27, v26, v30
	v_sub_f32_e32 v26, v26, v27
	v_mul_f32_e32 v38, v27, v36
	v_add_f32_e32 v37, v30, v26
	v_mul_f32_e32 v30, v25, v38
	v_fma_f32 v32, v38, v25, -v30
	v_fmac_f32_e32 v32, v38, v19
	v_add_f32_e32 v26, v30, v32
	v_sub_f32_e32 v31, v27, v26
	v_pk_add_f32 v[34:35], v[26:27], v[30:31] neg_lo:[0,1] neg_hi:[0,1]
	v_mov_b32_e32 v33, v26
	v_pk_add_f32 v[26:27], v[34:35], v[32:33] neg_lo:[0,1] neg_hi:[0,1]
	s_nop 0
	v_add_f32_e32 v27, v37, v27
	v_add_f32_e32 v26, v26, v27
	;; [unrolled: 1-line block ×3, first 2 shown]
	v_mul_f32_e32 v37, v36, v27
	v_mul_f32_e32 v30, v25, v37
	v_fma_f32 v32, v37, v25, -v30
	v_fmac_f32_e32 v32, v37, v19
	v_sub_f32_e32 v19, v31, v27
	v_add_f32_e32 v19, v26, v19
	v_add_f32_e32 v26, v30, v32
	v_sub_f32_e32 v31, v27, v26
	v_pk_add_f32 v[34:35], v[26:27], v[30:31] neg_lo:[0,1] neg_hi:[0,1]
	v_mov_b32_e32 v33, v26
	v_pk_add_f32 v[26:27], v[34:35], v[32:33] neg_lo:[0,1] neg_hi:[0,1]
	scratch_load_dwordx2 v[32:33], off, off offset:196 ; 8-byte Folded Reload
	v_add_f32_e32 v19, v19, v27
	v_add_f32_e32 v19, v26, v19
	;; [unrolled: 1-line block ×4, first 2 shown]
	v_sub_f32_e32 v26, v25, v38
	v_mul_f32_e32 v19, v36, v19
	v_sub_f32_e32 v26, v37, v26
	v_add_f32_e32 v19, v26, v19
	v_add_f32_e32 v27, v25, v19
	v_mul_f32_e32 v30, v27, v27
	v_fmamk_f32 v26, v30, 0x3e9b6dac, v24
	s_waitcnt vmcnt(0)
	v_fmaak_f32 v33, v30, v26, 0x3f2aaada
	v_cvt_f32_i32_e32 v26, v28
	v_sub_f32_e32 v25, v27, v25
	v_ldexp_f32 v31, v27, 1
	v_mul_f32_e32 v27, v27, v30
	v_sub_f32_e32 v19, v19, v25
	v_ldexp_f32 v19, v19, 1
	v_mov_b32_e32 v24, v32
	v_pk_mul_f32 v[32:33], v[26:27], v[32:33]
	scratch_store_dwordx2 off, v[24:25], off offset:196 ; 8-byte Folded Spill
	v_fma_f32 v30, v26, s2, -v32
	v_fmac_f32_e32 v30, 0xb102e308, v26
	v_pk_add_f32 v[26:27], v[32:33], v[30:31]
	v_mov_b32_e32 v34, v32
	v_sub_f32_e32 v25, v27, v31
	v_sub_f32_e32 v25, v33, v25
	v_add_f32_e32 v35, v19, v25
	v_pk_add_f32 v[32:33], v[26:27], v[32:33] neg_lo:[0,1] neg_hi:[0,1]
	v_pk_add_f32 v[36:37], v[26:27], v[34:35]
	v_mov_b32_e32 v31, v26
	v_mov_b32_e32 v33, v37
	v_pk_add_f32 v[38:39], v[30:31], v[32:33] neg_lo:[0,1] neg_hi:[0,1]
	v_pk_add_f32 v[30:31], v[30:31], v[32:33]
	s_mov_b32 s2, 0x7f800000
	v_mov_b32_e32 v28, v31
	v_pk_add_f32 v[32:33], v[28:29], v[26:27] neg_lo:[0,1] neg_hi:[0,1]
	v_mov_b32_e32 v30, v37
	v_mov_b32_e32 v19, v32
	v_pk_add_f32 v[40:41], v[36:37], v[18:19] neg_lo:[0,1] neg_hi:[0,1]
	v_mov_b32_e32 v36, v27
	v_mov_b32_e32 v37, v32
	;; [unrolled: 1-line block ×3, first 2 shown]
	v_pk_add_f32 v[30:31], v[30:31], v[36:37] neg_lo:[0,1] neg_hi:[0,1]
	v_mov_b32_e32 v32, v35
	v_mov_b32_e32 v33, v26
	v_pk_add_f32 v[26:27], v[32:33], v[30:31] neg_lo:[0,1] neg_hi:[0,1]
	v_mov_b32_e32 v40, v38
	v_pk_add_f32 v[30:31], v[40:41], v[26:27]
	v_cmp_eq_f32_e32 vcc, s2, v21
	v_mov_b32_e32 v32, v31
	v_pk_add_f32 v[32:33], v[30:31], v[32:33]
	s_mov_b32 s2, 0x33800000
	v_pk_add_f32 v[34:35], v[28:29], v[32:33]
	v_mov_b32_e32 v27, v32
	v_mov_b32_e32 v31, v34
	v_pk_add_f32 v[36:37], v[30:31], v[38:39] neg_lo:[0,1] neg_hi:[0,1]
	v_cmp_gt_f32_e64 s[2:3], s2, v21
	v_sub_f32_e32 v19, v30, v36
	v_pk_add_f32 v[26:27], v[26:27], v[36:37] neg_lo:[0,1] neg_hi:[0,1]
	v_sub_f32_e32 v19, v38, v19
	v_add_f32_e32 v19, v26, v19
	v_add_f32_e32 v19, v19, v27
	;; [unrolled: 1-line block ×3, first 2 shown]
	s_or_b64 vcc, s[2:3], vcc
	v_cndmask_b32_e32 v82, v19, v21, vcc
.LBB149_105:                            ;   in Loop: Header=BB149_13 Depth=1
	s_or_b64 exec, exec, s[52:53]
	v_add_f32_e32 v27, s56, v29
	s_mov_b32 s2, 0x41a00000
	v_cmp_ge_f32_e32 vcc, s2, v27
	v_readlane_b32 s2, v95, 18
	v_readlane_b32 s3, v95, 19
	s_and_b64 s[2:3], s[2:3], vcc
	s_and_saveexec_b64 s[52:53], s[2:3]
	s_cbranch_execz .LBB149_107
; %bb.106:                              ;   in Loop: Header=BB149_13 Depth=1
	v_mul_f32_e32 v19, 0x3fb8aa3b, v27
	v_rndne_f32_e32 v21, v19
	s_mov_b32 s2, 0x3fb8aa3b
	v_sub_f32_e32 v25, v19, v21
	v_fma_f32 v19, v27, s2, -v19
	v_fmac_f32_e32 v19, 0x32a5705f, v27
	v_add_f32_e32 v19, v25, v19
	v_cvt_i32_f32_e32 v21, v21
	v_exp_f32_e32 v19, v19
	s_mov_b32 s2, 0xc2ce8ed0
	v_cmp_ngt_f32_e32 vcc, s2, v27
	s_mov_b32 s2, 0x42b17218
	v_ldexp_f32 v19, v19, v21
	v_cndmask_b32_e32 v19, 0, v19, vcc
	v_cmp_nlt_f32_e32 vcc, s2, v27
	s_mov_b32 s2, 0x3f2aaaab
	v_mov_b32_e32 v24, 0x3ecc95a3
	v_cndmask_b32_e32 v21, v56, v19, vcc
	v_add_f32_e32 v19, 1.0, v21
	v_add_f32_e32 v25, -1.0, v19
	v_sub_f32_e32 v26, v25, v19
	v_add_f32_e32 v26, 1.0, v26
	v_sub_f32_e32 v25, v21, v25
	v_add_f32_e32 v25, v25, v26
	v_frexp_mant_f32_e32 v28, v19
	v_cvt_f64_f32_e32 v[26:27], v19
	v_frexp_exp_i32_f64_e32 v26, v[26:27]
	v_cmp_gt_f32_e32 vcc, s2, v28
	s_mov_b32 s2, 0x3f317218
	s_nop 0
	v_subbrev_co_u32_e32 v34, vcc, 0, v26, vcc
	v_sub_u32_e32 v26, 0, v34
	v_ldexp_f32 v19, v19, v26
	v_ldexp_f32 v25, v25, v26
	v_add_f32_e32 v26, -1.0, v19
	v_add_f32_e32 v27, 1.0, v26
	v_sub_f32_e32 v27, v19, v27
	v_add_f32_e32 v28, v25, v27
	v_add_f32_e32 v27, 1.0, v19
	v_add_f32_e32 v29, -1.0, v27
	v_sub_f32_e32 v19, v19, v29
	v_add_f32_e32 v19, v25, v19
	v_add_f32_e32 v25, v27, v19
	v_rcp_f32_e32 v35, v25
	v_sub_f32_e32 v27, v27, v25
	v_add_f32_e32 v19, v19, v27
	v_add_f32_e32 v27, v26, v28
	v_sub_f32_e32 v26, v26, v27
	v_mul_f32_e32 v37, v27, v35
	v_add_f32_e32 v36, v28, v26
	v_mul_f32_e32 v28, v25, v37
	v_fma_f32 v30, v37, v25, -v28
	v_fmac_f32_e32 v30, v37, v19
	v_add_f32_e32 v26, v28, v30
	v_sub_f32_e32 v29, v27, v26
	v_pk_add_f32 v[32:33], v[26:27], v[28:29] neg_lo:[0,1] neg_hi:[0,1]
	v_mov_b32_e32 v31, v26
	v_pk_add_f32 v[26:27], v[32:33], v[30:31] neg_lo:[0,1] neg_hi:[0,1]
	s_nop 0
	v_add_f32_e32 v27, v36, v27
	v_add_f32_e32 v26, v26, v27
	;; [unrolled: 1-line block ×3, first 2 shown]
	v_mul_f32_e32 v36, v35, v27
	v_mul_f32_e32 v28, v25, v36
	v_fma_f32 v30, v36, v25, -v28
	v_fmac_f32_e32 v30, v36, v19
	v_sub_f32_e32 v19, v29, v27
	v_add_f32_e32 v19, v26, v19
	v_add_f32_e32 v26, v28, v30
	v_sub_f32_e32 v29, v27, v26
	v_pk_add_f32 v[32:33], v[26:27], v[28:29] neg_lo:[0,1] neg_hi:[0,1]
	v_mov_b32_e32 v31, v26
	v_pk_add_f32 v[26:27], v[32:33], v[30:31] neg_lo:[0,1] neg_hi:[0,1]
	scratch_load_dwordx2 v[30:31], off, off offset:196 ; 8-byte Folded Reload
	v_add_f32_e32 v19, v19, v27
	v_add_f32_e32 v19, v26, v19
	;; [unrolled: 1-line block ×4, first 2 shown]
	v_sub_f32_e32 v26, v25, v37
	v_mul_f32_e32 v19, v35, v19
	v_sub_f32_e32 v26, v36, v26
	v_add_f32_e32 v19, v26, v19
	v_add_f32_e32 v27, v25, v19
	v_mul_f32_e32 v28, v27, v27
	v_fmamk_f32 v26, v28, 0x3e9b6dac, v24
	s_waitcnt vmcnt(0)
	v_fmaak_f32 v31, v28, v26, 0x3f2aaada
	v_cvt_f32_i32_e32 v26, v34
	v_sub_f32_e32 v25, v27, v25
	v_ldexp_f32 v29, v27, 1
	v_mul_f32_e32 v27, v27, v28
	v_sub_f32_e32 v19, v19, v25
	v_ldexp_f32 v19, v19, 1
	v_mov_b32_e32 v24, v30
	v_pk_mul_f32 v[30:31], v[26:27], v[30:31]
	scratch_store_dwordx2 off, v[24:25], off offset:196 ; 8-byte Folded Spill
	v_fma_f32 v28, v26, s2, -v30
	v_fmac_f32_e32 v28, 0xb102e308, v26
	v_pk_add_f32 v[26:27], v[30:31], v[28:29]
	v_mov_b32_e32 v32, v30
	v_sub_f32_e32 v25, v27, v29
	v_sub_f32_e32 v25, v31, v25
	v_add_f32_e32 v33, v19, v25
	v_pk_add_f32 v[30:31], v[26:27], v[30:31] neg_lo:[0,1] neg_hi:[0,1]
	v_pk_add_f32 v[34:35], v[26:27], v[32:33]
	v_mov_b32_e32 v29, v26
	v_mov_b32_e32 v31, v35
	v_pk_add_f32 v[36:37], v[28:29], v[30:31] neg_lo:[0,1] neg_hi:[0,1]
	v_pk_add_f32 v[28:29], v[28:29], v[30:31]
	v_mov_b32_e32 v32, v33
	v_mov_b32_e32 v30, v29
	v_pk_add_f32 v[38:39], v[30:31], v[26:27] neg_lo:[0,1] neg_hi:[0,1]
	v_mov_b32_e32 v28, v35
	v_mov_b32_e32 v19, v38
	v_pk_add_f32 v[40:41], v[34:35], v[18:19] neg_lo:[0,1] neg_hi:[0,1]
	v_mov_b32_e32 v34, v27
	v_mov_b32_e32 v35, v38
	;; [unrolled: 1-line block ×3, first 2 shown]
	v_pk_add_f32 v[28:29], v[28:29], v[34:35] neg_lo:[0,1] neg_hi:[0,1]
	v_mov_b32_e32 v33, v26
	v_pk_add_f32 v[26:27], v[32:33], v[28:29] neg_lo:[0,1] neg_hi:[0,1]
	v_mov_b32_e32 v40, v36
	v_pk_add_f32 v[28:29], v[40:41], v[26:27]
	s_mov_b32 s2, 0x7f800000
	v_mov_b32_e32 v32, v29
	v_pk_add_f32 v[32:33], v[28:29], v[32:33]
	v_cmp_eq_f32_e32 vcc, s2, v21
	v_pk_add_f32 v[30:31], v[30:31], v[32:33]
	v_mov_b32_e32 v27, v32
	v_mov_b32_e32 v29, v30
	v_pk_add_f32 v[34:35], v[28:29], v[36:37] neg_lo:[0,1] neg_hi:[0,1]
	s_mov_b32 s2, 0x33800000
	v_sub_f32_e32 v19, v28, v34
	v_pk_add_f32 v[26:27], v[26:27], v[34:35] neg_lo:[0,1] neg_hi:[0,1]
	v_sub_f32_e32 v19, v36, v19
	v_add_f32_e32 v19, v26, v19
	v_add_f32_e32 v19, v19, v27
	v_cmp_gt_f32_e64 s[2:3], s2, v21
	v_add_f32_e32 v19, v30, v19
	s_or_b64 vcc, s[2:3], vcc
	v_cndmask_b32_e32 v27, v19, v21, vcc
.LBB149_107:                            ;   in Loop: Header=BB149_13 Depth=1
	s_or_b64 exec, exec, s[52:53]
	v_readlane_b32 s2, v95, 2
	s_waitcnt lgkmcnt(0)
	; wave barrier
	s_nop 0
	v_mul_f32_e32 v28, s2, v16
	v_mul_f32_e32 v31, s2, v15
	;; [unrolled: 1-line block ×16, first 2 shown]
	v_readlane_b32 s2, v95, 20
	v_readlane_b32 s3, v95, 21
	s_and_b64 vcc, exec, s[2:3]
	s_cbranch_vccz .LBB149_200
; %bb.108:                              ;   in Loop: Header=BB149_13 Depth=1
	v_writelane_b32 v95, s10, 52
	s_cmp_lg_u32 s7, 0
	s_cselect_b64 s[2:3], -1, 0
	v_writelane_b32 v95, s11, 53
	v_lshl_add_u64 v[44:45], s[10:11], 0, v[0:1]
	v_writelane_b32 v95, s8, 54
	s_mov_b64 s[94:95], s[54:55]
	s_mov_b32 s84, 0
	v_lshl_add_u64 v[46:47], s[8:9], 0, v[0:1]
	v_mul_f32_e32 v0, v16, v82
	scratch_store_dword off, v0, off offset:68 ; 4-byte Folded Spill
	v_mul_f32_e32 v0, v15, v18
	scratch_store_dword off, v0, off offset:72 ; 4-byte Folded Spill
	;; [unrolled: 2-line block ×15, first 2 shown]
	scratch_load_dword v0, off, off offset:296 ; 4-byte Folded Reload
	v_writelane_b32 v95, s9, 55
	v_mul_f32_e32 v17, v17, v27
	v_readlane_b32 s4, v95, 25
	v_writelane_b32 v95, s7, 56
	s_cmp_eq_u32 s7, s4
	v_readlane_b32 s4, v95, 22
	v_readlane_b32 s5, v95, 23
	s_cselect_b64 s[86:87], -1, 0
	s_mov_b32 s88, s84
	s_mov_b32 s90, s84
	;; [unrolled: 1-line block ×4, first 2 shown]
	v_readlane_b32 s99, v95, 44
	scratch_store_dword off, v17, off offset:64 ; 4-byte Folded Spill
	s_waitcnt vmcnt(1)
	v_cmp_gt_u32_e32 vcc, s82, v0
	scratch_load_dword v0, off, off offset:300 ; 4-byte Folded Reload
	s_or_b64 s[52:53], s[4:5], vcc
	s_waitcnt vmcnt(0)
	v_cmp_gt_u32_e32 vcc, s82, v0
	scratch_load_dword v0, off, off offset:304 ; 4-byte Folded Reload
	s_or_b64 s[54:55], s[4:5], vcc
	;; [unrolled: 4-line block ×15, first 2 shown]
	s_waitcnt vmcnt(0)
	v_cmp_gt_u32_e32 vcc, s82, v0
	s_or_b64 s[82:83], s[4:5], vcc
	s_branch .LBB149_110
.LBB149_109:                            ;   in Loop: Header=BB149_110 Depth=2
	s_or_b64 exec, exec, s[94:95]
	v_mul_f32_e32 v21, v69, v21
	v_fma_f32 v24, v69, v25, v50
	v_cndmask_b32_e64 v50, v24, v50, s[14:15]
	v_cndmask_b32_e64 v21, v21, v69, s[14:15]
	s_waitcnt lgkmcnt(0)
	v_fmac_f32_e32 v50, v66, v21
	v_fmac_f32_e32 v51, v50, v26
	;; [unrolled: 1-line block ×11, first 2 shown]
	v_readlane_b32 s4, v95, 15
	v_fmac_f32_e32 v61, v60, v91
	s_add_i32 s92, s92, s4
	v_readlane_b32 s4, v95, 28
	v_fmac_f32_e32 v56, v61, v92
	v_readlane_b32 s5, v95, 29
	v_readlane_b32 s6, v95, 30
	;; [unrolled: 1-line block ×7, first 2 shown]
	v_fmac_f32_e32 v57, v56, v93
	s_add_i32 s90, s90, s4
	v_readlane_b32 s4, v95, 7
	v_fmac_f32_e32 v48, v57, v94
	v_readlane_b32 s5, v95, 8
	v_readlane_b32 s8, v95, 11
	v_fmac_f32_e32 v49, v48, v19
	s_add_i32 s99, s99, 8
	s_add_i32 s98, s98, -1
	s_add_i32 s88, s88, s8
	s_add_i32 s84, s84, s5
	v_pk_fma_f32 v[42:43], v[16:17], v[50:51], v[42:43]
	v_pk_fma_f32 v[40:41], v[14:15], v[54:55], v[40:41]
	;; [unrolled: 1-line block ×7, first 2 shown]
	s_cmp_eq_u32 s98, 0
	v_pk_fma_f32 v[28:29], v[2:3], v[48:49], v[28:29]
	v_readlane_b32 s6, v95, 9
	v_readlane_b32 s7, v95, 10
	v_readlane_b32 s9, v95, 12
	v_readlane_b32 s10, v95, 13
	v_readlane_b32 s11, v95, 14
	s_mov_b32 s93, s5
	s_mov_b32 s96, s8
	s_cbranch_scc1 .LBB149_199
.LBB149_110:                            ;   Parent Loop BB149_13 Depth=1
                                        ; =>  This Inner Loop Header: Depth=2
	s_lshl_b64 s[94:95], s[84:85], 2
	v_readlane_b32 s4, v95, 5
	s_add_u32 s94, s4, s94
	v_readlane_b32 s4, v95, 6
	s_addc_u32 s95, s4, s95
	global_load_dword v66, v1, s[94:95]
	s_mov_b32 s89, s85
	v_lshl_add_u64 v[2:3], s[88:89], 2, v[44:45]
	v_mov_b32_e32 v0, 0
	v_mov_b32_e32 v4, 0
	s_and_saveexec_b64 s[94:95], s[18:19]
	s_cbranch_execz .LBB149_112
; %bb.111:                              ;   in Loop: Header=BB149_110 Depth=2
	global_load_dword v4, v[2:3], off
.LBB149_112:                            ;   in Loop: Header=BB149_110 Depth=2
	s_or_b64 exec, exec, s[94:95]
	s_and_saveexec_b64 s[94:95], s[20:21]
	s_cbranch_execz .LBB149_114
; %bb.113:                              ;   in Loop: Header=BB149_110 Depth=2
	global_load_dword v0, v[2:3], off offset:256
.LBB149_114:                            ;   in Loop: Header=BB149_110 Depth=2
	s_or_b64 exec, exec, s[94:95]
	v_mov_b32_e32 v5, 0
	v_mov_b32_e32 v6, 0
	s_and_saveexec_b64 s[94:95], s[22:23]
	s_cbranch_execz .LBB149_116
; %bb.115:                              ;   in Loop: Header=BB149_110 Depth=2
	global_load_dword v6, v[2:3], off offset:512
.LBB149_116:                            ;   in Loop: Header=BB149_110 Depth=2
	s_or_b64 exec, exec, s[94:95]
	s_and_saveexec_b64 s[94:95], s[24:25]
	s_cbranch_execz .LBB149_118
; %bb.117:                              ;   in Loop: Header=BB149_110 Depth=2
	global_load_dword v5, v[2:3], off offset:768
.LBB149_118:                            ;   in Loop: Header=BB149_110 Depth=2
	s_or_b64 exec, exec, s[94:95]
	v_mov_b32_e32 v7, 0
	v_mov_b32_e32 v8, 0
	s_and_saveexec_b64 s[94:95], s[26:27]
	s_cbranch_execz .LBB149_120
; %bb.119:                              ;   in Loop: Header=BB149_110 Depth=2
	global_load_dword v8, v[2:3], off offset:1024
.LBB149_120:                            ;   in Loop: Header=BB149_110 Depth=2
	;; [unrolled: 14-line block ×7, first 2 shown]
	s_or_b64 exec, exec, s[94:95]
	s_and_saveexec_b64 s[94:95], s[50:51]
	s_cbranch_execz .LBB149_142
; %bb.141:                              ;   in Loop: Header=BB149_110 Depth=2
	global_load_dword v17, v[2:3], off offset:3840
.LBB149_142:                            ;   in Loop: Header=BB149_110 Depth=2
	s_or_b64 exec, exec, s[94:95]
	scratch_load_dword v2, off, off         ; 4-byte Folded Reload
	s_mov_b32 s91, s85
	s_waitcnt vmcnt(0)
	ds_write_b32 v2, v4
	scratch_load_dword v2, off, off offset:4 ; 4-byte Folded Reload
	v_mov_b32_e32 v4, 0
	s_waitcnt vmcnt(0)
	ds_write_b32 v2, v0 offset:256
	scratch_load_dword v0, off, off offset:8 ; 4-byte Folded Reload
	v_lshl_add_u64 v[2:3], s[90:91], 2, v[46:47]
	s_waitcnt vmcnt(0)
	ds_write_b32 v0, v6 offset:512
	scratch_load_dword v0, off, off offset:12 ; 4-byte Folded Reload
	s_waitcnt vmcnt(0)
	ds_write_b32 v0, v5 offset:768
	scratch_load_dword v0, off, off offset:16 ; 4-byte Folded Reload
	s_waitcnt vmcnt(0)
	ds_write_b32 v0, v8 offset:1024
	scratch_load_dword v0, off, off offset:20 ; 4-byte Folded Reload
	s_waitcnt vmcnt(0)
	ds_write_b32 v0, v7 offset:1280
	scratch_load_dword v0, off, off offset:24 ; 4-byte Folded Reload
	s_waitcnt vmcnt(0)
	ds_write_b32 v0, v10 offset:1536
	scratch_load_dword v0, off, off offset:28 ; 4-byte Folded Reload
	s_waitcnt vmcnt(0)
	ds_write_b32 v0, v9 offset:1792
	scratch_load_dword v0, off, off offset:32 ; 4-byte Folded Reload
	s_waitcnt vmcnt(0)
	ds_write_b32 v0, v12 offset:2048
	scratch_load_dword v0, off, off offset:36 ; 4-byte Folded Reload
	s_waitcnt vmcnt(0)
	ds_write_b32 v0, v11 offset:2304
	scratch_load_dword v0, off, off offset:40 ; 4-byte Folded Reload
	s_waitcnt vmcnt(0)
	ds_write_b32 v0, v14 offset:2560
	scratch_load_dword v0, off, off offset:44 ; 4-byte Folded Reload
	s_waitcnt vmcnt(0)
	ds_write_b32 v0, v13 offset:2816
	scratch_load_dword v0, off, off offset:48 ; 4-byte Folded Reload
	s_waitcnt vmcnt(0)
	ds_write_b32 v0, v16 offset:3072
	scratch_load_dword v0, off, off offset:52 ; 4-byte Folded Reload
	s_waitcnt vmcnt(0)
	ds_write_b32 v0, v15 offset:3328
	scratch_load_dword v0, off, off offset:56 ; 4-byte Folded Reload
	s_waitcnt vmcnt(0)
	ds_write_b32 v0, v19 offset:3584
	scratch_load_dword v0, off, off offset:60 ; 4-byte Folded Reload
	s_waitcnt vmcnt(0)
	ds_write_b32 v0, v17 offset:3840
	; wave barrier
	ds_read2_b32 v[50:51], v23 offset1:1
	ds_read2_b32 v[54:55], v23 offset0:2 offset1:3
	ds_read2_b32 v[58:59], v23 offset0:4 offset1:5
	;; [unrolled: 1-line block ×7, first 2 shown]
	v_mov_b32_e32 v0, 0
	s_and_saveexec_b64 s[94:95], s[18:19]
	s_cbranch_execz .LBB149_144
; %bb.143:                              ;   in Loop: Header=BB149_110 Depth=2
	global_load_dword v4, v[2:3], off
.LBB149_144:                            ;   in Loop: Header=BB149_110 Depth=2
	s_or_b64 exec, exec, s[94:95]
	s_and_saveexec_b64 s[94:95], s[20:21]
	s_cbranch_execz .LBB149_146
; %bb.145:                              ;   in Loop: Header=BB149_110 Depth=2
	global_load_dword v0, v[2:3], off offset:256
.LBB149_146:                            ;   in Loop: Header=BB149_110 Depth=2
	s_or_b64 exec, exec, s[94:95]
	v_mov_b32_e32 v5, 0
	v_mov_b32_e32 v6, 0
	s_and_saveexec_b64 s[94:95], s[22:23]
	s_cbranch_execz .LBB149_148
; %bb.147:                              ;   in Loop: Header=BB149_110 Depth=2
	global_load_dword v6, v[2:3], off offset:512
.LBB149_148:                            ;   in Loop: Header=BB149_110 Depth=2
	s_or_b64 exec, exec, s[94:95]
	s_and_saveexec_b64 s[94:95], s[24:25]
	s_cbranch_execz .LBB149_150
; %bb.149:                              ;   in Loop: Header=BB149_110 Depth=2
	global_load_dword v5, v[2:3], off offset:768
.LBB149_150:                            ;   in Loop: Header=BB149_110 Depth=2
	s_or_b64 exec, exec, s[94:95]
	v_mov_b32_e32 v7, 0
	v_mov_b32_e32 v8, 0
	s_and_saveexec_b64 s[94:95], s[26:27]
	s_cbranch_execz .LBB149_152
; %bb.151:                              ;   in Loop: Header=BB149_110 Depth=2
	global_load_dword v8, v[2:3], off offset:1024
.LBB149_152:                            ;   in Loop: Header=BB149_110 Depth=2
	;; [unrolled: 14-line block ×7, first 2 shown]
	s_or_b64 exec, exec, s[94:95]
	s_and_saveexec_b64 s[94:95], s[50:51]
	s_cbranch_execz .LBB149_174
; %bb.173:                              ;   in Loop: Header=BB149_110 Depth=2
	global_load_dword v17, v[2:3], off offset:3840
.LBB149_174:                            ;   in Loop: Header=BB149_110 Depth=2
	s_or_b64 exec, exec, s[94:95]
	scratch_load_dword v2, off, off         ; 4-byte Folded Reload
	s_andn2_b64 vcc, exec, s[2:3]
	s_waitcnt vmcnt(0)
	ds_write_b32 v2, v4 offset:4224
	scratch_load_dword v2, off, off offset:128 ; 4-byte Folded Reload
	s_waitcnt vmcnt(0)
	ds_write_b32 v2, v0 offset:256
	scratch_load_dword v0, off, off offset:132 ; 4-byte Folded Reload
	s_waitcnt vmcnt(0)
	ds_write_b32 v0, v6 offset:512
	scratch_load_dword v0, off, off offset:136 ; 4-byte Folded Reload
	s_waitcnt vmcnt(0)
	ds_write_b32 v0, v5 offset:768
	scratch_load_dword v0, off, off offset:140 ; 4-byte Folded Reload
	s_waitcnt vmcnt(0)
	ds_write_b32 v0, v8 offset:1024
	scratch_load_dword v0, off, off offset:144 ; 4-byte Folded Reload
	s_waitcnt vmcnt(0)
	ds_write_b32 v0, v7 offset:1280
	scratch_load_dword v0, off, off offset:148 ; 4-byte Folded Reload
	s_waitcnt vmcnt(0)
	ds_write_b32 v0, v10 offset:1536
	scratch_load_dword v0, off, off offset:152 ; 4-byte Folded Reload
	s_waitcnt vmcnt(0)
	ds_write_b32 v0, v9 offset:1792
	scratch_load_dword v0, off, off offset:156 ; 4-byte Folded Reload
	s_waitcnt vmcnt(0)
	ds_write_b32 v0, v12 offset:2048
	scratch_load_dword v0, off, off offset:160 ; 4-byte Folded Reload
	s_waitcnt vmcnt(0)
	ds_write_b32 v0, v11 offset:2304
	scratch_load_dword v0, off, off offset:164 ; 4-byte Folded Reload
	s_waitcnt vmcnt(0)
	ds_write_b32 v0, v14 offset:2560
	scratch_load_dword v0, off, off offset:168 ; 4-byte Folded Reload
	s_waitcnt vmcnt(0)
	ds_write_b32 v0, v13 offset:2816
	scratch_load_dword v0, off, off offset:172 ; 4-byte Folded Reload
	s_waitcnt vmcnt(0)
	ds_write_b32 v0, v16 offset:3072
	scratch_load_dword v0, off, off offset:176 ; 4-byte Folded Reload
	s_waitcnt vmcnt(0)
	ds_write_b32 v0, v15 offset:3328
	scratch_load_dword v0, off, off offset:180 ; 4-byte Folded Reload
	s_waitcnt vmcnt(0)
	ds_write_b32 v0, v19 offset:3584
	scratch_load_dword v0, off, off offset:184 ; 4-byte Folded Reload
	s_waitcnt vmcnt(0)
	ds_write_b32 v0, v17 offset:3840
	; wave barrier
	scratch_load_dword v2, off, off offset:188 ; 4-byte Folded Reload
	v_add_u32_e32 v0, 0x1080, v23
	s_waitcnt vmcnt(0)
	ds_read2_b32 v[14:15], v2 offset0:2 offset1:3
	ds_read2_b32 v[12:13], v2 offset0:4 offset1:5
	;; [unrolled: 1-line block ×6, first 2 shown]
	ds_read2_b32 v[16:17], v0 offset1:1
	ds_read2_b32 v[2:3], v2 offset0:14 offset1:15
	s_cbranch_vccnz .LBB149_176
; %bb.175:                              ;   in Loop: Header=BB149_110 Depth=2
	v_mov_b32_e32 v0, s99
	ds_read_b64 v[52:53], v0
	s_cbranch_execz .LBB149_177
	s_branch .LBB149_180
.LBB149_176:                            ;   in Loop: Header=BB149_110 Depth=2
                                        ; implicit-def: $vgpr53
.LBB149_177:                            ;   in Loop: Header=BB149_110 Depth=2
	v_readlane_b32 s94, v95, 0
	v_readlane_b32 s95, v95, 1
	s_andn2_b64 vcc, exec, s[94:95]
	s_waitcnt lgkmcnt(0)
	v_mov_b32_e32 v53, 0
	s_cbranch_vccnz .LBB149_179
; %bb.178:                              ;   in Loop: Header=BB149_110 Depth=2
	s_mov_b32 s93, s85
	s_lshl_b64 s[94:95], s[92:93], 2
	v_readlane_b32 s4, v95, 16
	s_add_u32 s94, s4, s94
	v_readlane_b32 s4, v95, 17
	s_addc_u32 s95, s4, s95
	global_load_dword v53, v1, s[94:95]
.LBB149_179:                            ;   in Loop: Header=BB149_110 Depth=2
	v_mov_b32_e32 v52, 1.0
.LBB149_180:                            ;   in Loop: Header=BB149_110 Depth=2
	scratch_load_dword v21, off, off offset:124 ; 4-byte Folded Reload
	v_mul_f32_e32 v19, 0x3fb8aa3b, v66
	v_mul_f32_e32 v0, v19, v72
	v_cmp_gt_f32_e32 vcc, s33, v0
	v_readlane_b32 s4, v95, 26
	v_readlane_b32 s5, v95, 27
	v_cndmask_b32_e32 v0, 0, v70, vcc
	v_fmac_f32_e32 v0, v19, v72
	v_exp_f32_e32 v0, v0
	v_cndmask_b32_e32 v25, 1.0, v71, vcc
	scratch_load_dword v24, off, off offset:108 ; 4-byte Folded Reload
	v_mul_f32_e32 v0, v0, v25
	v_mul_f32_e32 v25, v19, v73
	v_cmp_gt_f32_e32 vcc, s33, v25
	v_cndmask_b32_e64 v69, 1.0, v0, s[52:53]
	s_waitcnt vmcnt(1) lgkmcnt(14)
	v_mul_f32_e32 v21, v50, v21
	v_cndmask_b32_e64 v50, 0, v21, s[52:53]
	scratch_load_dword v21, off, off offset:120 ; 4-byte Folded Reload
	v_cndmask_b32_e32 v25, 0, v70, vcc
	v_fmac_f32_e32 v25, v19, v73
	v_exp_f32_e32 v25, v25
	v_cndmask_b32_e32 v0, 1.0, v71, vcc
	v_mul_f32_e32 v0, v25, v0
	v_mul_f32_e32 v25, v19, v74
	v_cmp_gt_f32_e32 vcc, s33, v25
	v_cndmask_b32_e64 v26, 1.0, v0, s[54:55]
	s_waitcnt vmcnt(0)
	v_mul_f32_e32 v21, v51, v21
	v_cndmask_b32_e64 v51, 0, v21, s[54:55]
	scratch_load_dword v21, off, off offset:116 ; 4-byte Folded Reload
	v_cndmask_b32_e32 v25, 0, v70, vcc
	v_fmac_f32_e32 v25, v19, v74
	v_exp_f32_e32 v25, v25
	v_cndmask_b32_e32 v0, 1.0, v71, vcc
	v_mul_f32_e32 v0, v25, v0
	v_mul_f32_e32 v25, v19, v75
	v_cmp_gt_f32_e32 vcc, s33, v25
	v_cndmask_b32_e64 v83, 1.0, v0, s[56:57]
	s_waitcnt vmcnt(0)
	;; [unrolled: 12-line block ×3, first 2 shown]
	v_mul_f32_e32 v21, v55, v21
	v_cndmask_b32_e32 v25, 0, v70, vcc
	v_fmac_f32_e32 v25, v19, v76
	v_exp_f32_e32 v25, v25
	v_cndmask_b32_e64 v55, 0, v21, s[58:59]
	v_cndmask_b32_e32 v21, 1.0, v71, vcc
	v_mul_f32_e32 v21, v25, v21
	v_mul_f32_e32 v25, v58, v24
	scratch_load_dword v24, off, off offset:104 ; 4-byte Folded Reload
	v_mul_f32_e32 v58, v19, v77
	v_cmp_gt_f32_e32 vcc, s33, v58
	v_cndmask_b32_e64 v84, 1.0, v21, s[60:61]
	s_nop 0
	v_cndmask_b32_e32 v58, 0, v70, vcc
	v_fmac_f32_e32 v58, v19, v77
	v_exp_f32_e32 v66, v58
	v_cndmask_b32_e64 v58, 0, v25, s[60:61]
	v_cndmask_b32_e32 v21, 1.0, v71, vcc
	v_mul_f32_e32 v21, v66, v21
	v_cndmask_b32_e64 v85, 1.0, v21, s[62:63]
	s_waitcnt vmcnt(0)
	v_mul_f32_e32 v25, v59, v24
	scratch_load_dword v24, off, off offset:100 ; 4-byte Folded Reload
	v_mul_f32_e32 v59, v19, v78
	v_cmp_gt_f32_e32 vcc, s33, v59
	s_nop 1
	v_cndmask_b32_e32 v59, 0, v70, vcc
	v_fmac_f32_e32 v59, v19, v78
	v_exp_f32_e32 v66, v59
	v_cndmask_b32_e64 v59, 0, v25, s[62:63]
	v_cndmask_b32_e32 v21, 1.0, v71, vcc
	v_mul_f32_e32 v21, v66, v21
	v_cndmask_b32_e64 v86, 1.0, v21, s[64:65]
	s_waitcnt vmcnt(0)
	v_mul_f32_e32 v25, v62, v24
	scratch_load_dword v24, off, off offset:96 ; 4-byte Folded Reload
	v_mul_f32_e32 v62, v19, v79
	v_cmp_gt_f32_e32 vcc, s33, v62
	;; [unrolled: 13-line block ×9, first 2 shown]
	s_nop 1
	v_cndmask_b32_e32 v57, 0, v70, vcc
	v_fmac_f32_e32 v57, v19, v82
	v_exp_f32_e32 v66, v57
	v_cndmask_b32_e64 v57, 0, v25, s[78:79]
	v_cndmask_b32_e32 v21, 1.0, v71, vcc
	v_mul_f32_e32 v21, v66, v21
	v_cndmask_b32_e64 v94, 1.0, v21, s[80:81]
	s_waitcnt vmcnt(0)
	v_mul_f32_e32 v25, v48, v24
	v_mul_f32_e32 v48, v19, v27
	v_cmp_gt_f32_e32 vcc, s33, v48
	s_nop 1
	v_cndmask_b32_e32 v48, 0, v70, vcc
	v_fmac_f32_e32 v48, v19, v27
	v_exp_f32_e32 v19, v48
	v_cndmask_b32_e32 v21, 1.0, v71, vcc
	v_cndmask_b32_e64 v48, 0, v25, s[80:81]
	v_fma_f32 v25, v26, v50, v51
	v_mul_f32_e32 v19, v19, v21
	scratch_load_dword v21, off, off offset:64 ; 4-byte Folded Reload
	v_fma_f32 v25, v25, v83, v54
	v_fma_f32 v25, v25, v0, v55
	;; [unrolled: 1-line block ×12, first 2 shown]
	v_cndmask_b32_e64 v19, 1.0, v19, s[82:83]
	v_fma_f32 v25, v25, v94, v48
	s_waitcnt vmcnt(0)
	v_mul_f32_e32 v21, v49, v21
	v_cndmask_b32_e64 v49, 0, v21, s[82:83]
	v_mul_f32_e32 v21, v26, v69
	v_mul_f32_e32 v21, v21, v83
	;; [unrolled: 1-line block ×15, first 2 shown]
	v_fma_f32 v24, v25, v19, v49
	s_nop 0
	v_mov_b32_dpp v25, v66 row_shr:1 row_mask:0xf bank_mask:0xf
	v_mov_b32_dpp v21, v24 row_shr:1 row_mask:0xf bank_mask:0xf
	s_and_saveexec_b64 s[94:95], s[4:5]
; %bb.181:                              ;   in Loop: Header=BB149_110 Depth=2
	v_mul_f32_e32 v25, v66, v25
	v_fmac_f32_e32 v24, v66, v21
	v_mov_b32_e32 v66, v25
; %bb.182:                              ;   in Loop: Header=BB149_110 Depth=2
	s_or_b64 exec, exec, s[94:95]
	v_readlane_b32 s4, v95, 36
	v_mov_b32_dpp v21, v66 row_shr:2 row_mask:0xf bank_mask:0xf
	v_mov_b32_dpp v25, v24 row_shr:2 row_mask:0xf bank_mask:0xf
	v_readlane_b32 s5, v95, 37
	s_and_saveexec_b64 s[94:95], s[4:5]
; %bb.183:                              ;   in Loop: Header=BB149_110 Depth=2
	v_fmac_f32_e32 v24, v66, v25
	v_mul_f32_e32 v66, v66, v21
; %bb.184:                              ;   in Loop: Header=BB149_110 Depth=2
	s_or_b64 exec, exec, s[94:95]
	v_readlane_b32 s4, v95, 38
	v_mov_b32_dpp v21, v66 row_shr:4 row_mask:0xf bank_mask:0xf
	v_mov_b32_dpp v25, v24 row_shr:4 row_mask:0xf bank_mask:0xf
	v_readlane_b32 s5, v95, 39
	s_and_saveexec_b64 s[94:95], s[4:5]
; %bb.185:                              ;   in Loop: Header=BB149_110 Depth=2
	v_fmac_f32_e32 v24, v66, v25
	v_mul_f32_e32 v66, v66, v21
	;; [unrolled: 10-line block ×3, first 2 shown]
; %bb.188:                              ;   in Loop: Header=BB149_110 Depth=2
	s_or_b64 exec, exec, s[94:95]
	s_nop 0
	v_mov_b32_dpp v21, v66 row_bcast:15 row_mask:0xf bank_mask:0xf
	v_mov_b32_dpp v25, v24 row_bcast:15 row_mask:0xf bank_mask:0xf
	s_and_saveexec_b64 s[94:95], s[0:1]
; %bb.189:                              ;   in Loop: Header=BB149_110 Depth=2
	v_fmac_f32_e32 v24, v66, v25
	v_mul_f32_e32 v66, v66, v21
; %bb.190:                              ;   in Loop: Header=BB149_110 Depth=2
	s_or_b64 exec, exec, s[94:95]
	s_nop 0
	v_mov_b32_dpp v21, v66 row_bcast:31 row_mask:0xf bank_mask:0xf
	v_mov_b32_dpp v25, v24 row_bcast:31 row_mask:0xf bank_mask:0xf
	v_mov_b32_e32 v67, v24
	v_mul_f32_e32 v21, v66, v21
	v_fmac_f32_e32 v67, v66, v25
	v_readlane_b32 s4, v95, 42
	v_cndmask_b32_e64 v66, v66, v21, s[16:17]
	v_cndmask_b32_e64 v67, v24, v67, s[16:17]
	v_readlane_b32 s5, v95, 43
	s_and_saveexec_b64 s[94:95], s[4:5]
	s_cbranch_execz .LBB149_192
; %bb.191:                              ;   in Loop: Header=BB149_110 Depth=2
	ds_write_b64 v1, v[66:67] offset:8448
.LBB149_192:                            ;   in Loop: Header=BB149_110 Depth=2
	s_or_b64 exec, exec, s[94:95]
	scratch_load_dword v24, off, off offset:192 ; 4-byte Folded Reload
	s_waitcnt lgkmcnt(0)
	; wave barrier
	s_waitcnt vmcnt(0) lgkmcnt(0)
	ds_bpermute_b32 v21, v24, v66
	ds_bpermute_b32 v25, v24, v67
	v_mov_b32_e32 v67, v53
	s_and_saveexec_b64 s[94:95], s[12:13]
	s_cbranch_execz .LBB149_196
; %bb.193:                              ;   in Loop: Header=BB149_110 Depth=2
	ds_read_b64 v[66:67], v1 offset:8448
	s_and_saveexec_b64 s[96:97], s[14:15]
	s_cbranch_execz .LBB149_195
; %bb.194:                              ;   in Loop: Header=BB149_110 Depth=2
	ds_write_b64 v1, v[52:53] offset:8448
.LBB149_195:                            ;   in Loop: Header=BB149_110 Depth=2
	s_or_b64 exec, exec, s[96:97]
	s_waitcnt lgkmcnt(0)
	v_fmac_f32_e32 v67, v53, v66
	v_mul_f32_e32 v52, v52, v66
	v_mov_b32_e32 v53, v67
.LBB149_196:                            ;   in Loop: Header=BB149_110 Depth=2
	s_or_b64 exec, exec, s[94:95]
	s_waitcnt lgkmcnt(0)
	; wave barrier
	s_waitcnt lgkmcnt(0)
	ds_read_b32 v66, v1 offset:8452
	s_and_saveexec_b64 s[94:95], s[14:15]
	s_cbranch_execz .LBB149_109
; %bb.197:                              ;   in Loop: Header=BB149_110 Depth=2
	v_mov_b32_e32 v24, s99
	s_andn2_b64 vcc, exec, s[86:87]
	ds_write_b64 v24, v[52:53]
	s_cbranch_vccnz .LBB149_109
; %bb.198:                              ;   in Loop: Header=BB149_110 Depth=2
	s_mov_b32 s93, s85
	s_lshl_b64 s[96:97], s[92:93], 2
	v_readlane_b32 s4, v95, 16
	s_add_u32 s96, s4, s96
	v_readlane_b32 s4, v95, 17
	s_addc_u32 s97, s4, s97
	global_store_dword v1, v67, s[96:97]
	s_branch .LBB149_109
.LBB149_199:                            ;   in Loop: Header=BB149_13 Depth=1
	v_readlane_b32 s54, v95, 45
	v_readlane_b32 s10, v95, 52
	;; [unrolled: 1-line block ×8, first 2 shown]
.LBB149_200:                            ;   in Loop: Header=BB149_13 Depth=1
	s_waitcnt lgkmcnt(0)
	; wave barrier
	ds_write2_b32 v23, v42, v43 offset1:1
	ds_write2_b32 v23, v40, v41 offset0:2 offset1:3
	ds_write2_b32 v23, v38, v39 offset0:4 offset1:5
	;; [unrolled: 1-line block ×7, first 2 shown]
	; wave barrier
	scratch_load_dword v0, off, off offset:4 ; 4-byte Folded Reload
	scratch_load_dwordx2 v[2:3], off, off offset:272 ; 8-byte Folded Reload
	v_readlane_b32 s2, v95, 48
	v_readlane_b32 s3, v95, 49
	s_mov_b32 s3, s85
	s_mov_b64 s[58:59], s[2:3]
	s_waitcnt vmcnt(1)
	ds_read_b32 v17, v0 offset:256
	scratch_load_dword v0, off, off offset:8 ; 4-byte Folded Reload
	s_waitcnt vmcnt(1)
	v_lshl_add_u64 v[2:3], s[2:3], 2, v[2:3]
	s_waitcnt vmcnt(0)
	ds_read_b32 v16, v0 offset:512
	scratch_load_dword v0, off, off offset:12 ; 4-byte Folded Reload
	s_waitcnt vmcnt(0)
	ds_read_b32 v15, v0 offset:768
	scratch_load_dword v0, off, off offset:16 ; 4-byte Folded Reload
	;; [unrolled: 3-line block ×13, first 2 shown]
	s_waitcnt vmcnt(0)
	ds_read_b32 v0, v0 offset:3840
	s_and_saveexec_b64 s[2:3], s[18:19]
	s_cbranch_execnz .LBB149_252
; %bb.201:                              ;   in Loop: Header=BB149_13 Depth=1
	s_or_b64 exec, exec, s[2:3]
	s_and_saveexec_b64 s[2:3], s[20:21]
	s_cbranch_execnz .LBB149_253
.LBB149_202:                            ;   in Loop: Header=BB149_13 Depth=1
	s_or_b64 exec, exec, s[2:3]
	s_and_saveexec_b64 s[2:3], s[22:23]
	s_cbranch_execnz .LBB149_254
.LBB149_203:                            ;   in Loop: Header=BB149_13 Depth=1
	s_or_b64 exec, exec, s[2:3]
	s_and_saveexec_b64 s[2:3], s[24:25]
	s_cbranch_execnz .LBB149_255
.LBB149_204:                            ;   in Loop: Header=BB149_13 Depth=1
	s_or_b64 exec, exec, s[2:3]
	s_and_saveexec_b64 s[2:3], s[26:27]
	s_cbranch_execnz .LBB149_256
.LBB149_205:                            ;   in Loop: Header=BB149_13 Depth=1
	s_or_b64 exec, exec, s[2:3]
	s_and_saveexec_b64 s[2:3], s[28:29]
	s_cbranch_execnz .LBB149_257
.LBB149_206:                            ;   in Loop: Header=BB149_13 Depth=1
	s_or_b64 exec, exec, s[2:3]
	s_and_saveexec_b64 s[2:3], s[30:31]
	s_cbranch_execnz .LBB149_258
.LBB149_207:                            ;   in Loop: Header=BB149_13 Depth=1
	s_or_b64 exec, exec, s[2:3]
	s_and_saveexec_b64 s[2:3], s[34:35]
	s_cbranch_execnz .LBB149_259
.LBB149_208:                            ;   in Loop: Header=BB149_13 Depth=1
	s_or_b64 exec, exec, s[2:3]
	s_and_saveexec_b64 s[2:3], s[36:37]
	s_cbranch_execnz .LBB149_260
.LBB149_209:                            ;   in Loop: Header=BB149_13 Depth=1
	s_or_b64 exec, exec, s[2:3]
	s_and_saveexec_b64 s[2:3], s[38:39]
	s_cbranch_execnz .LBB149_261
.LBB149_210:                            ;   in Loop: Header=BB149_13 Depth=1
	s_or_b64 exec, exec, s[2:3]
	s_and_saveexec_b64 s[2:3], s[40:41]
	s_cbranch_execnz .LBB149_262
.LBB149_211:                            ;   in Loop: Header=BB149_13 Depth=1
	s_or_b64 exec, exec, s[2:3]
	s_and_saveexec_b64 s[2:3], s[42:43]
	s_cbranch_execnz .LBB149_263
.LBB149_212:                            ;   in Loop: Header=BB149_13 Depth=1
	s_or_b64 exec, exec, s[2:3]
	s_and_saveexec_b64 s[2:3], s[44:45]
	s_cbranch_execnz .LBB149_264
.LBB149_213:                            ;   in Loop: Header=BB149_13 Depth=1
	s_or_b64 exec, exec, s[2:3]
	s_and_saveexec_b64 s[2:3], s[46:47]
	s_cbranch_execnz .LBB149_265
.LBB149_214:                            ;   in Loop: Header=BB149_13 Depth=1
	s_or_b64 exec, exec, s[2:3]
	s_and_saveexec_b64 s[2:3], s[48:49]
	s_cbranch_execnz .LBB149_266
.LBB149_215:                            ;   in Loop: Header=BB149_13 Depth=1
	s_or_b64 exec, exec, s[2:3]
	s_and_saveexec_b64 s[2:3], s[50:51]
	s_cbranch_execz .LBB149_217
.LBB149_216:                            ;   in Loop: Header=BB149_13 Depth=1
	s_waitcnt lgkmcnt(0)
	global_store_dword v[2:3], v0, off offset:3840
.LBB149_217:                            ;   in Loop: Header=BB149_13 Depth=1
	s_or_b64 exec, exec, s[2:3]
	s_waitcnt lgkmcnt(0)
	; wave barrier
	s_waitcnt lgkmcnt(0)
	scratch_load_dwordx2 v[2:3], off, off offset:280 ; 8-byte Folded Reload
	s_mov_b32 s84, s85
	s_mov_b32 s86, s85
	;; [unrolled: 1-line block ×15, first 2 shown]
	v_mov_b32_e32 v0, 0
	s_waitcnt vmcnt(0)
	v_lshl_add_u64 v[44:45], s[58:59], 2, v[2:3]
	v_mov_b64_e32 v[2:3], s[84:85]
	v_mov_b64_e32 v[4:5], s[86:87]
	;; [unrolled: 1-line block ×8, first 2 shown]
	s_and_saveexec_b64 s[2:3], s[18:19]
	s_cbranch_execnz .LBB149_267
; %bb.218:                              ;   in Loop: Header=BB149_13 Depth=1
	s_or_b64 exec, exec, s[2:3]
	s_and_saveexec_b64 s[2:3], s[20:21]
	s_cbranch_execnz .LBB149_268
.LBB149_219:                            ;   in Loop: Header=BB149_13 Depth=1
	s_or_b64 exec, exec, s[2:3]
	s_and_saveexec_b64 s[2:3], s[22:23]
	s_cbranch_execnz .LBB149_269
.LBB149_220:                            ;   in Loop: Header=BB149_13 Depth=1
	s_or_b64 exec, exec, s[2:3]
	s_and_saveexec_b64 s[2:3], s[24:25]
	s_cbranch_execnz .LBB149_270
.LBB149_221:                            ;   in Loop: Header=BB149_13 Depth=1
	s_or_b64 exec, exec, s[2:3]
	s_and_saveexec_b64 s[2:3], s[26:27]
	s_cbranch_execnz .LBB149_271
.LBB149_222:                            ;   in Loop: Header=BB149_13 Depth=1
	s_or_b64 exec, exec, s[2:3]
	s_and_saveexec_b64 s[2:3], s[28:29]
	s_cbranch_execnz .LBB149_272
.LBB149_223:                            ;   in Loop: Header=BB149_13 Depth=1
	s_or_b64 exec, exec, s[2:3]
	s_and_saveexec_b64 s[2:3], s[30:31]
	s_cbranch_execnz .LBB149_273
.LBB149_224:                            ;   in Loop: Header=BB149_13 Depth=1
	s_or_b64 exec, exec, s[2:3]
	s_and_saveexec_b64 s[2:3], s[34:35]
	s_cbranch_execnz .LBB149_274
.LBB149_225:                            ;   in Loop: Header=BB149_13 Depth=1
	s_or_b64 exec, exec, s[2:3]
	s_and_saveexec_b64 s[2:3], s[36:37]
	s_cbranch_execnz .LBB149_275
.LBB149_226:                            ;   in Loop: Header=BB149_13 Depth=1
	s_or_b64 exec, exec, s[2:3]
	s_and_saveexec_b64 s[2:3], s[38:39]
	s_cbranch_execnz .LBB149_276
.LBB149_227:                            ;   in Loop: Header=BB149_13 Depth=1
	s_or_b64 exec, exec, s[2:3]
	s_and_saveexec_b64 s[2:3], s[40:41]
	s_cbranch_execnz .LBB149_277
.LBB149_228:                            ;   in Loop: Header=BB149_13 Depth=1
	s_or_b64 exec, exec, s[2:3]
	s_and_saveexec_b64 s[2:3], s[42:43]
	s_cbranch_execnz .LBB149_278
.LBB149_229:                            ;   in Loop: Header=BB149_13 Depth=1
	s_or_b64 exec, exec, s[2:3]
	s_and_saveexec_b64 s[2:3], s[44:45]
	s_cbranch_execnz .LBB149_279
.LBB149_230:                            ;   in Loop: Header=BB149_13 Depth=1
	s_or_b64 exec, exec, s[2:3]
	s_and_saveexec_b64 s[2:3], s[46:47]
	s_cbranch_execnz .LBB149_280
.LBB149_231:                            ;   in Loop: Header=BB149_13 Depth=1
	s_or_b64 exec, exec, s[2:3]
	s_and_saveexec_b64 s[2:3], s[48:49]
	s_cbranch_execnz .LBB149_281
.LBB149_232:                            ;   in Loop: Header=BB149_13 Depth=1
	s_or_b64 exec, exec, s[2:3]
	s_and_saveexec_b64 s[2:3], s[50:51]
	s_cbranch_execz .LBB149_234
.LBB149_233:                            ;   in Loop: Header=BB149_13 Depth=1
	global_load_dword v17, v[44:45], off offset:3840
.LBB149_234:                            ;   in Loop: Header=BB149_13 Depth=1
	s_or_b64 exec, exec, s[2:3]
	scratch_load_dword v2, off, off         ; 4-byte Folded Reload
	scratch_load_dword v24, off, off offset:4 ; 4-byte Folded Reload
	scratch_load_dword v26, off, off offset:8 ; 4-byte Folded Reload
	;; [unrolled: 1-line block ×15, first 2 shown]
	s_mov_b32 s4, 0xbfb8aa3b
	s_mov_b32 s5, 0x42ce8ed0
	;; [unrolled: 1-line block ×3, first 2 shown]
	v_mov_b32_e32 v22, 0x7f800000
	v_mov_b32_e32 v56, 0x7f800000
	s_waitcnt vmcnt(15)
	ds_write_b32 v2, v0
	s_waitcnt vmcnt(14)
	ds_write_b32 v24, v3 offset:256
	s_waitcnt vmcnt(13)
	ds_write_b32 v26, v4 offset:512
	s_waitcnt vmcnt(12)
	ds_write_b32 v27, v5 offset:768
	s_waitcnt vmcnt(11)
	ds_write_b32 v44, v6 offset:1024
	s_waitcnt vmcnt(10)
	ds_write_b32 v45, v7 offset:1280
	s_waitcnt vmcnt(9)
	ds_write_b32 v46, v8 offset:1536
	s_waitcnt vmcnt(8)
	ds_write_b32 v47, v9 offset:1792
	s_waitcnt vmcnt(7)
	ds_write_b32 v48, v10 offset:2048
	s_waitcnt vmcnt(6)
	ds_write_b32 v49, v11 offset:2304
	s_waitcnt vmcnt(5)
	ds_write_b32 v50, v12 offset:2560
	s_waitcnt vmcnt(4)
	ds_write_b32 v51, v13 offset:2816
	s_waitcnt vmcnt(3)
	ds_write_b32 v52, v14 offset:3072
	s_waitcnt vmcnt(2)
	ds_write_b32 v53, v15 offset:3328
	s_waitcnt vmcnt(1)
	ds_write_b32 v54, v16 offset:3584
	s_waitcnt vmcnt(0)
	ds_write_b32 v55, v17 offset:3840
	; wave barrier
	ds_read2_b32 v[2:3], v23 offset1:1
	s_waitcnt lgkmcnt(0)
	v_mul_f32_e32 v0, 0xbfb8aa3b, v3
	v_rndne_f32_e32 v4, v0
	v_sub_f32_e32 v5, v0, v4
	v_fma_f32 v0, v3, s4, -v0
	v_fmac_f32_e32 v0, 0xb2a5705f, v3
	v_add_f32_e32 v0, v5, v0
	v_exp_f32_e32 v0, v0
	v_cvt_i32_f32_e32 v4, v4
	v_cmp_nlt_f32_e32 vcc, s5, v3
	v_ldexp_f32 v0, v0, v4
	s_nop 0
	v_cndmask_b32_e32 v0, 0, v0, vcc
	v_cmp_ngt_f32_e32 vcc, s6, v3
	s_nop 1
	v_cndmask_b32_e32 v5, v22, v0, vcc
	v_mul_f32_e32 v0, 0xbfb8aa3b, v2
	v_rndne_f32_e32 v4, v0
	v_sub_f32_e32 v6, v0, v4
	v_fma_f32 v0, v2, s4, -v0
	v_fmac_f32_e32 v0, 0xb2a5705f, v2
	v_add_f32_e32 v0, v6, v0
	v_exp_f32_e32 v0, v0
	v_cvt_i32_f32_e32 v4, v4
	v_cmp_nlt_f32_e32 vcc, s5, v2
	v_ldexp_f32 v0, v0, v4
	s_nop 0
	v_cndmask_b32_e32 v0, 0, v0, vcc
	v_cmp_ngt_f32_e32 vcc, s6, v2
	s_nop 1
	v_cndmask_b32_e32 v4, v22, v0, vcc
	v_pk_add_f32 v[4:5], v[4:5], 1.0 op_sel_hi:[1,0]
	s_nop 0
	v_div_scale_f32 v0, s[2:3], v5, v5, v3
	v_rcp_f32_e32 v6, v0
	s_nop 0
	v_fma_f32 v7, -v0, v6, 1.0
	v_fmac_f32_e32 v6, v7, v6
	v_div_scale_f32 v7, vcc, v3, v5, v3
	v_mul_f32_e32 v8, v7, v6
	v_fma_f32 v9, -v0, v8, v7
	v_fmac_f32_e32 v8, v9, v6
	v_fma_f32 v0, -v0, v8, v7
	v_div_fmas_f32 v0, v0, v6, v8
	v_div_fixup_f32 v3, v0, v5, v3
	v_div_scale_f32 v0, s[2:3], v4, v4, v2
	v_rcp_f32_e32 v5, v0
	s_nop 0
	v_fma_f32 v6, -v0, v5, 1.0
	v_fmac_f32_e32 v5, v6, v5
	v_div_scale_f32 v6, vcc, v2, v4, v2
	v_mul_f32_e32 v7, v6, v5
	v_fma_f32 v8, -v0, v7, v6
	v_fmac_f32_e32 v7, v8, v5
	v_fma_f32 v0, -v0, v7, v6
	v_div_fmas_f32 v0, v0, v5, v7
	v_div_fixup_f32 v2, v0, v4, v2
	ds_read2_b32 v[4:5], v23 offset0:2 offset1:3
	v_pk_mul_f32 v[2:3], v[2:3], v[42:43]
	s_waitcnt lgkmcnt(0)
	v_mul_f32_e32 v0, 0xbfb8aa3b, v5
	v_rndne_f32_e32 v6, v0
	v_sub_f32_e32 v7, v0, v6
	v_fma_f32 v0, v5, s4, -v0
	v_fmac_f32_e32 v0, 0xb2a5705f, v5
	v_add_f32_e32 v0, v7, v0
	v_exp_f32_e32 v0, v0
	v_cvt_i32_f32_e32 v6, v6
	v_cmp_nlt_f32_e32 vcc, s5, v5
	v_ldexp_f32 v0, v0, v6
	s_nop 0
	v_cndmask_b32_e32 v0, 0, v0, vcc
	v_cmp_ngt_f32_e32 vcc, s6, v5
	s_nop 1
	v_cndmask_b32_e32 v7, v22, v0, vcc
	v_mul_f32_e32 v0, 0xbfb8aa3b, v4
	v_rndne_f32_e32 v6, v0
	v_sub_f32_e32 v8, v0, v6
	v_fma_f32 v0, v4, s4, -v0
	v_fmac_f32_e32 v0, 0xb2a5705f, v4
	v_add_f32_e32 v0, v8, v0
	v_exp_f32_e32 v0, v0
	v_cvt_i32_f32_e32 v6, v6
	v_cmp_nlt_f32_e32 vcc, s5, v4
	v_ldexp_f32 v0, v0, v6
	s_nop 0
	v_cndmask_b32_e32 v0, 0, v0, vcc
	v_cmp_ngt_f32_e32 vcc, s6, v4
	s_nop 1
	v_cndmask_b32_e32 v6, v22, v0, vcc
	v_pk_add_f32 v[6:7], v[6:7], 1.0 op_sel_hi:[1,0]
	s_nop 0
	v_div_scale_f32 v0, s[2:3], v7, v7, v5
	v_rcp_f32_e32 v8, v0
	s_nop 0
	v_fma_f32 v9, -v0, v8, 1.0
	v_fmac_f32_e32 v8, v9, v8
	v_div_scale_f32 v9, vcc, v5, v7, v5
	v_mul_f32_e32 v10, v9, v8
	v_fma_f32 v11, -v0, v10, v9
	v_fmac_f32_e32 v10, v11, v8
	v_fma_f32 v0, -v0, v10, v9
	v_div_fmas_f32 v0, v0, v8, v10
	v_div_fixup_f32 v5, v0, v7, v5
	v_div_scale_f32 v0, s[2:3], v6, v6, v4
	v_rcp_f32_e32 v7, v0
	s_nop 0
	v_fma_f32 v8, -v0, v7, 1.0
	v_fmac_f32_e32 v7, v8, v7
	v_div_scale_f32 v8, vcc, v4, v6, v4
	v_mul_f32_e32 v9, v8, v7
	v_fma_f32 v10, -v0, v9, v8
	v_fmac_f32_e32 v9, v10, v7
	v_fma_f32 v0, -v0, v9, v8
	v_div_fmas_f32 v0, v0, v7, v9
	v_div_fixup_f32 v4, v0, v6, v4
	ds_read2_b32 v[6:7], v23 offset0:4 offset1:5
	v_pk_mul_f32 v[4:5], v[4:5], v[40:41]
	;; [unrolled: 59-line block ×7, first 2 shown]
	s_waitcnt lgkmcnt(0)
	; wave barrier
	s_waitcnt lgkmcnt(0)
	v_mul_f32_e32 v0, 0xbfb8aa3b, v17
	v_rndne_f32_e32 v18, v0
	v_sub_f32_e32 v19, v0, v18
	v_fma_f32 v0, v17, s4, -v0
	v_fmac_f32_e32 v0, 0xb2a5705f, v17
	v_add_f32_e32 v0, v19, v0
	v_exp_f32_e32 v0, v0
	v_cvt_i32_f32_e32 v18, v18
	v_cmp_nlt_f32_e32 vcc, s5, v17
	v_ldexp_f32 v0, v0, v18
	s_nop 0
	v_cndmask_b32_e32 v0, 0, v0, vcc
	v_cmp_ngt_f32_e32 vcc, s6, v17
	s_nop 1
	v_cndmask_b32_e32 v19, v22, v0, vcc
	v_mul_f32_e32 v0, 0xbfb8aa3b, v16
	v_rndne_f32_e32 v18, v0
	v_sub_f32_e32 v20, v0, v18
	v_fma_f32 v0, v16, s4, -v0
	v_fmac_f32_e32 v0, 0xb2a5705f, v16
	v_add_f32_e32 v0, v20, v0
	v_exp_f32_e32 v0, v0
	v_cvt_i32_f32_e32 v18, v18
	v_cmp_nlt_f32_e32 vcc, s5, v16
	v_ldexp_f32 v0, v0, v18
	s_nop 0
	v_cndmask_b32_e32 v0, 0, v0, vcc
	v_cmp_ngt_f32_e32 vcc, s6, v16
	s_nop 1
	v_cndmask_b32_e32 v18, v22, v0, vcc
	v_pk_add_f32 v[18:19], v[18:19], 1.0 op_sel_hi:[1,0]
	s_nop 0
	v_div_scale_f32 v0, s[2:3], v19, v19, v17
	v_rcp_f32_e32 v20, v0
	s_nop 0
	v_fma_f32 v21, -v0, v20, 1.0
	v_fmac_f32_e32 v20, v21, v20
	v_div_scale_f32 v21, vcc, v17, v19, v17
	v_mul_f32_e32 v22, v21, v20
	v_fma_f32 v25, -v0, v22, v21
	v_fmac_f32_e32 v22, v25, v20
	v_fma_f32 v0, -v0, v22, v21
	v_div_fmas_f32 v0, v0, v20, v22
	v_div_fixup_f32 v17, v0, v19, v17
	v_div_scale_f32 v0, s[2:3], v18, v18, v16
	v_rcp_f32_e32 v19, v0
	s_nop 0
	v_fma_f32 v20, -v0, v19, 1.0
	v_fmac_f32_e32 v19, v20, v19
	v_div_scale_f32 v20, vcc, v16, v18, v16
	v_mul_f32_e32 v21, v20, v19
	v_fma_f32 v22, -v0, v21, v20
	v_fmac_f32_e32 v21, v22, v19
	v_fma_f32 v0, -v0, v21, v20
	v_div_fmas_f32 v0, v0, v19, v21
	v_div_fixup_f32 v16, v0, v18, v16
	v_pk_mul_f32 v[16:17], v[16:17], v[28:29]
	ds_write2_b32 v23, v2, v3 offset1:1
	ds_write2_b32 v23, v4, v5 offset0:2 offset1:3
	ds_write2_b32 v23, v6, v7 offset0:4 offset1:5
	;; [unrolled: 1-line block ×7, first 2 shown]
	; wave barrier
	ds_read_b32 v17, v24 offset:256
	ds_read_b32 v16, v26 offset:512
	;; [unrolled: 1-line block ×15, first 2 shown]
	scratch_load_dwordx2 v[2:3], off, off offset:288 ; 8-byte Folded Reload
	s_waitcnt vmcnt(0)
	v_lshl_add_u64 v[2:3], s[58:59], 2, v[2:3]
	s_and_saveexec_b64 s[2:3], s[18:19]
	s_cbranch_execnz .LBB149_282
; %bb.235:                              ;   in Loop: Header=BB149_13 Depth=1
	s_or_b64 exec, exec, s[2:3]
	s_and_saveexec_b64 s[2:3], s[20:21]
	s_cbranch_execnz .LBB149_283
.LBB149_236:                            ;   in Loop: Header=BB149_13 Depth=1
	s_or_b64 exec, exec, s[2:3]
	s_and_saveexec_b64 s[2:3], s[22:23]
	s_cbranch_execnz .LBB149_284
.LBB149_237:                            ;   in Loop: Header=BB149_13 Depth=1
	s_or_b64 exec, exec, s[2:3]
	s_and_saveexec_b64 s[2:3], s[24:25]
	s_cbranch_execnz .LBB149_285
.LBB149_238:                            ;   in Loop: Header=BB149_13 Depth=1
	s_or_b64 exec, exec, s[2:3]
	s_and_saveexec_b64 s[2:3], s[26:27]
	s_cbranch_execnz .LBB149_286
.LBB149_239:                            ;   in Loop: Header=BB149_13 Depth=1
	s_or_b64 exec, exec, s[2:3]
	s_and_saveexec_b64 s[2:3], s[28:29]
	s_cbranch_execnz .LBB149_287
.LBB149_240:                            ;   in Loop: Header=BB149_13 Depth=1
	s_or_b64 exec, exec, s[2:3]
	s_and_saveexec_b64 s[2:3], s[30:31]
	s_cbranch_execnz .LBB149_288
.LBB149_241:                            ;   in Loop: Header=BB149_13 Depth=1
	s_or_b64 exec, exec, s[2:3]
	s_and_saveexec_b64 s[2:3], s[34:35]
	s_cbranch_execnz .LBB149_289
.LBB149_242:                            ;   in Loop: Header=BB149_13 Depth=1
	s_or_b64 exec, exec, s[2:3]
	s_and_saveexec_b64 s[2:3], s[36:37]
	s_cbranch_execnz .LBB149_290
.LBB149_243:                            ;   in Loop: Header=BB149_13 Depth=1
	s_or_b64 exec, exec, s[2:3]
	s_and_saveexec_b64 s[2:3], s[38:39]
	s_cbranch_execnz .LBB149_291
.LBB149_244:                            ;   in Loop: Header=BB149_13 Depth=1
	s_or_b64 exec, exec, s[2:3]
	s_and_saveexec_b64 s[2:3], s[40:41]
	s_cbranch_execnz .LBB149_292
.LBB149_245:                            ;   in Loop: Header=BB149_13 Depth=1
	s_or_b64 exec, exec, s[2:3]
	s_and_saveexec_b64 s[2:3], s[42:43]
	s_cbranch_execnz .LBB149_293
.LBB149_246:                            ;   in Loop: Header=BB149_13 Depth=1
	s_or_b64 exec, exec, s[2:3]
	s_and_saveexec_b64 s[2:3], s[44:45]
	s_cbranch_execnz .LBB149_294
.LBB149_247:                            ;   in Loop: Header=BB149_13 Depth=1
	s_or_b64 exec, exec, s[2:3]
	s_and_saveexec_b64 s[2:3], s[46:47]
	s_cbranch_execnz .LBB149_295
.LBB149_248:                            ;   in Loop: Header=BB149_13 Depth=1
	s_or_b64 exec, exec, s[2:3]
	s_and_saveexec_b64 s[2:3], s[48:49]
	s_cbranch_execnz .LBB149_296
.LBB149_249:                            ;   in Loop: Header=BB149_13 Depth=1
	s_or_b64 exec, exec, s[2:3]
	s_and_saveexec_b64 s[2:3], s[50:51]
	s_cbranch_execz .LBB149_12
	s_branch .LBB149_297
.LBB149_250:                            ;   in Loop: Header=BB149_13 Depth=1
	global_load_dword v36, v[28:29], off offset:3328
	s_or_b64 exec, exec, s[2:3]
	s_and_saveexec_b64 s[2:3], s[48:49]
	s_cbranch_execz .LBB149_73
.LBB149_251:                            ;   in Loop: Header=BB149_13 Depth=1
	global_load_dword v35, v[28:29], off offset:3584
	s_or_b64 exec, exec, s[2:3]
	v_mov_b32_e32 v37, 0
	s_and_saveexec_b64 s[2:3], s[50:51]
	s_cbranch_execnz .LBB149_74
	s_branch .LBB149_75
.LBB149_252:                            ;   in Loop: Header=BB149_13 Depth=1
	scratch_load_dword v18, off, off        ; 4-byte Folded Reload
	s_waitcnt vmcnt(0)
	ds_read_b32 v18, v18
	s_waitcnt lgkmcnt(0)
	global_store_dword v[2:3], v18, off
	s_or_b64 exec, exec, s[2:3]
	s_and_saveexec_b64 s[2:3], s[20:21]
	s_cbranch_execz .LBB149_202
.LBB149_253:                            ;   in Loop: Header=BB149_13 Depth=1
	s_waitcnt lgkmcnt(14)
	global_store_dword v[2:3], v17, off offset:256
	s_or_b64 exec, exec, s[2:3]
	s_and_saveexec_b64 s[2:3], s[22:23]
	s_cbranch_execz .LBB149_203
.LBB149_254:                            ;   in Loop: Header=BB149_13 Depth=1
	s_waitcnt lgkmcnt(13)
	global_store_dword v[2:3], v16, off offset:512
	s_or_b64 exec, exec, s[2:3]
	s_and_saveexec_b64 s[2:3], s[24:25]
	s_cbranch_execz .LBB149_204
.LBB149_255:                            ;   in Loop: Header=BB149_13 Depth=1
	s_waitcnt lgkmcnt(12)
	global_store_dword v[2:3], v15, off offset:768
	s_or_b64 exec, exec, s[2:3]
	s_and_saveexec_b64 s[2:3], s[26:27]
	s_cbranch_execz .LBB149_205
.LBB149_256:                            ;   in Loop: Header=BB149_13 Depth=1
	s_waitcnt lgkmcnt(11)
	global_store_dword v[2:3], v14, off offset:1024
	s_or_b64 exec, exec, s[2:3]
	s_and_saveexec_b64 s[2:3], s[28:29]
	s_cbranch_execz .LBB149_206
.LBB149_257:                            ;   in Loop: Header=BB149_13 Depth=1
	s_waitcnt lgkmcnt(10)
	global_store_dword v[2:3], v13, off offset:1280
	s_or_b64 exec, exec, s[2:3]
	s_and_saveexec_b64 s[2:3], s[30:31]
	s_cbranch_execz .LBB149_207
.LBB149_258:                            ;   in Loop: Header=BB149_13 Depth=1
	s_waitcnt lgkmcnt(9)
	global_store_dword v[2:3], v12, off offset:1536
	s_or_b64 exec, exec, s[2:3]
	s_and_saveexec_b64 s[2:3], s[34:35]
	s_cbranch_execz .LBB149_208
.LBB149_259:                            ;   in Loop: Header=BB149_13 Depth=1
	s_waitcnt lgkmcnt(8)
	global_store_dword v[2:3], v11, off offset:1792
	s_or_b64 exec, exec, s[2:3]
	s_and_saveexec_b64 s[2:3], s[36:37]
	s_cbranch_execz .LBB149_209
.LBB149_260:                            ;   in Loop: Header=BB149_13 Depth=1
	s_waitcnt lgkmcnt(7)
	global_store_dword v[2:3], v10, off offset:2048
	s_or_b64 exec, exec, s[2:3]
	s_and_saveexec_b64 s[2:3], s[38:39]
	s_cbranch_execz .LBB149_210
.LBB149_261:                            ;   in Loop: Header=BB149_13 Depth=1
	s_waitcnt lgkmcnt(6)
	global_store_dword v[2:3], v9, off offset:2304
	s_or_b64 exec, exec, s[2:3]
	s_and_saveexec_b64 s[2:3], s[40:41]
	s_cbranch_execz .LBB149_211
.LBB149_262:                            ;   in Loop: Header=BB149_13 Depth=1
	s_waitcnt lgkmcnt(5)
	global_store_dword v[2:3], v8, off offset:2560
	s_or_b64 exec, exec, s[2:3]
	s_and_saveexec_b64 s[2:3], s[42:43]
	s_cbranch_execz .LBB149_212
.LBB149_263:                            ;   in Loop: Header=BB149_13 Depth=1
	s_waitcnt lgkmcnt(4)
	global_store_dword v[2:3], v7, off offset:2816
	s_or_b64 exec, exec, s[2:3]
	s_and_saveexec_b64 s[2:3], s[44:45]
	s_cbranch_execz .LBB149_213
.LBB149_264:                            ;   in Loop: Header=BB149_13 Depth=1
	s_waitcnt lgkmcnt(3)
	global_store_dword v[2:3], v6, off offset:3072
	s_or_b64 exec, exec, s[2:3]
	s_and_saveexec_b64 s[2:3], s[46:47]
	s_cbranch_execz .LBB149_214
.LBB149_265:                            ;   in Loop: Header=BB149_13 Depth=1
	s_waitcnt lgkmcnt(2)
	global_store_dword v[2:3], v5, off offset:3328
	s_or_b64 exec, exec, s[2:3]
	s_and_saveexec_b64 s[2:3], s[48:49]
	s_cbranch_execz .LBB149_215
.LBB149_266:                            ;   in Loop: Header=BB149_13 Depth=1
	s_waitcnt lgkmcnt(1)
	global_store_dword v[2:3], v4, off offset:3584
	s_or_b64 exec, exec, s[2:3]
	s_and_saveexec_b64 s[2:3], s[50:51]
	s_cbranch_execnz .LBB149_216
	s_branch .LBB149_217
.LBB149_267:                            ;   in Loop: Header=BB149_13 Depth=1
	global_load_dword v0, v[44:45], off
	v_mov_b32_e32 v2, v1
	v_mov_b32_e32 v3, v1
	;; [unrolled: 1-line block ×14, first 2 shown]
	s_waitcnt vmcnt(0)
	v_mov_b64_e32 v[16:17], v[14:15]
	v_mov_b64_e32 v[14:15], v[12:13]
	;; [unrolled: 1-line block ×8, first 2 shown]
	s_or_b64 exec, exec, s[2:3]
	s_and_saveexec_b64 s[2:3], s[20:21]
	s_cbranch_execz .LBB149_219
.LBB149_268:                            ;   in Loop: Header=BB149_13 Depth=1
	global_load_dword v3, v[44:45], off offset:256
	s_or_b64 exec, exec, s[2:3]
	s_and_saveexec_b64 s[2:3], s[22:23]
	s_cbranch_execz .LBB149_220
.LBB149_269:                            ;   in Loop: Header=BB149_13 Depth=1
	global_load_dword v4, v[44:45], off offset:512
	s_or_b64 exec, exec, s[2:3]
	s_and_saveexec_b64 s[2:3], s[24:25]
	s_cbranch_execz .LBB149_221
.LBB149_270:                            ;   in Loop: Header=BB149_13 Depth=1
	global_load_dword v5, v[44:45], off offset:768
	s_or_b64 exec, exec, s[2:3]
	s_and_saveexec_b64 s[2:3], s[26:27]
	s_cbranch_execz .LBB149_222
.LBB149_271:                            ;   in Loop: Header=BB149_13 Depth=1
	global_load_dword v6, v[44:45], off offset:1024
	s_or_b64 exec, exec, s[2:3]
	s_and_saveexec_b64 s[2:3], s[28:29]
	s_cbranch_execz .LBB149_223
.LBB149_272:                            ;   in Loop: Header=BB149_13 Depth=1
	global_load_dword v7, v[44:45], off offset:1280
	s_or_b64 exec, exec, s[2:3]
	s_and_saveexec_b64 s[2:3], s[30:31]
	s_cbranch_execz .LBB149_224
.LBB149_273:                            ;   in Loop: Header=BB149_13 Depth=1
	global_load_dword v8, v[44:45], off offset:1536
	s_or_b64 exec, exec, s[2:3]
	s_and_saveexec_b64 s[2:3], s[34:35]
	s_cbranch_execz .LBB149_225
.LBB149_274:                            ;   in Loop: Header=BB149_13 Depth=1
	global_load_dword v9, v[44:45], off offset:1792
	s_or_b64 exec, exec, s[2:3]
	s_and_saveexec_b64 s[2:3], s[36:37]
	s_cbranch_execz .LBB149_226
.LBB149_275:                            ;   in Loop: Header=BB149_13 Depth=1
	global_load_dword v10, v[44:45], off offset:2048
	s_or_b64 exec, exec, s[2:3]
	s_and_saveexec_b64 s[2:3], s[38:39]
	s_cbranch_execz .LBB149_227
.LBB149_276:                            ;   in Loop: Header=BB149_13 Depth=1
	global_load_dword v11, v[44:45], off offset:2304
	s_or_b64 exec, exec, s[2:3]
	s_and_saveexec_b64 s[2:3], s[40:41]
	s_cbranch_execz .LBB149_228
.LBB149_277:                            ;   in Loop: Header=BB149_13 Depth=1
	global_load_dword v12, v[44:45], off offset:2560
	s_or_b64 exec, exec, s[2:3]
	s_and_saveexec_b64 s[2:3], s[42:43]
	s_cbranch_execz .LBB149_229
.LBB149_278:                            ;   in Loop: Header=BB149_13 Depth=1
	global_load_dword v13, v[44:45], off offset:2816
	s_or_b64 exec, exec, s[2:3]
	s_and_saveexec_b64 s[2:3], s[44:45]
	s_cbranch_execz .LBB149_230
.LBB149_279:                            ;   in Loop: Header=BB149_13 Depth=1
	global_load_dword v14, v[44:45], off offset:3072
	s_or_b64 exec, exec, s[2:3]
	s_and_saveexec_b64 s[2:3], s[46:47]
	s_cbranch_execz .LBB149_231
.LBB149_280:                            ;   in Loop: Header=BB149_13 Depth=1
	global_load_dword v15, v[44:45], off offset:3328
	s_or_b64 exec, exec, s[2:3]
	s_and_saveexec_b64 s[2:3], s[48:49]
	s_cbranch_execz .LBB149_232
.LBB149_281:                            ;   in Loop: Header=BB149_13 Depth=1
	global_load_dword v16, v[44:45], off offset:3584
	s_or_b64 exec, exec, s[2:3]
	s_and_saveexec_b64 s[2:3], s[50:51]
	s_cbranch_execnz .LBB149_233
	s_branch .LBB149_234
.LBB149_282:                            ;   in Loop: Header=BB149_13 Depth=1
	scratch_load_dword v18, off, off        ; 4-byte Folded Reload
	s_waitcnt vmcnt(0)
	ds_read_b32 v18, v18
	s_waitcnt lgkmcnt(0)
	global_store_dword v[2:3], v18, off
	s_or_b64 exec, exec, s[2:3]
	s_and_saveexec_b64 s[2:3], s[20:21]
	s_cbranch_execz .LBB149_236
.LBB149_283:                            ;   in Loop: Header=BB149_13 Depth=1
	s_waitcnt lgkmcnt(14)
	global_store_dword v[2:3], v17, off offset:256
	s_or_b64 exec, exec, s[2:3]
	s_and_saveexec_b64 s[2:3], s[22:23]
	s_cbranch_execz .LBB149_237
.LBB149_284:                            ;   in Loop: Header=BB149_13 Depth=1
	s_waitcnt lgkmcnt(13)
	global_store_dword v[2:3], v16, off offset:512
	s_or_b64 exec, exec, s[2:3]
	s_and_saveexec_b64 s[2:3], s[24:25]
	s_cbranch_execz .LBB149_238
.LBB149_285:                            ;   in Loop: Header=BB149_13 Depth=1
	s_waitcnt lgkmcnt(12)
	global_store_dword v[2:3], v15, off offset:768
	s_or_b64 exec, exec, s[2:3]
	s_and_saveexec_b64 s[2:3], s[26:27]
	s_cbranch_execz .LBB149_239
.LBB149_286:                            ;   in Loop: Header=BB149_13 Depth=1
	s_waitcnt lgkmcnt(11)
	global_store_dword v[2:3], v14, off offset:1024
	s_or_b64 exec, exec, s[2:3]
	s_and_saveexec_b64 s[2:3], s[28:29]
	s_cbranch_execz .LBB149_240
.LBB149_287:                            ;   in Loop: Header=BB149_13 Depth=1
	s_waitcnt lgkmcnt(10)
	global_store_dword v[2:3], v13, off offset:1280
	s_or_b64 exec, exec, s[2:3]
	s_and_saveexec_b64 s[2:3], s[30:31]
	s_cbranch_execz .LBB149_241
.LBB149_288:                            ;   in Loop: Header=BB149_13 Depth=1
	s_waitcnt lgkmcnt(9)
	global_store_dword v[2:3], v12, off offset:1536
	s_or_b64 exec, exec, s[2:3]
	s_and_saveexec_b64 s[2:3], s[34:35]
	s_cbranch_execz .LBB149_242
.LBB149_289:                            ;   in Loop: Header=BB149_13 Depth=1
	s_waitcnt lgkmcnt(8)
	global_store_dword v[2:3], v11, off offset:1792
	s_or_b64 exec, exec, s[2:3]
	s_and_saveexec_b64 s[2:3], s[36:37]
	s_cbranch_execz .LBB149_243
.LBB149_290:                            ;   in Loop: Header=BB149_13 Depth=1
	s_waitcnt lgkmcnt(7)
	global_store_dword v[2:3], v10, off offset:2048
	s_or_b64 exec, exec, s[2:3]
	s_and_saveexec_b64 s[2:3], s[38:39]
	s_cbranch_execz .LBB149_244
.LBB149_291:                            ;   in Loop: Header=BB149_13 Depth=1
	s_waitcnt lgkmcnt(6)
	global_store_dword v[2:3], v9, off offset:2304
	s_or_b64 exec, exec, s[2:3]
	s_and_saveexec_b64 s[2:3], s[40:41]
	s_cbranch_execz .LBB149_245
.LBB149_292:                            ;   in Loop: Header=BB149_13 Depth=1
	s_waitcnt lgkmcnt(5)
	global_store_dword v[2:3], v8, off offset:2560
	s_or_b64 exec, exec, s[2:3]
	s_and_saveexec_b64 s[2:3], s[42:43]
	s_cbranch_execz .LBB149_246
.LBB149_293:                            ;   in Loop: Header=BB149_13 Depth=1
	s_waitcnt lgkmcnt(4)
	global_store_dword v[2:3], v7, off offset:2816
	s_or_b64 exec, exec, s[2:3]
	s_and_saveexec_b64 s[2:3], s[44:45]
	s_cbranch_execz .LBB149_247
.LBB149_294:                            ;   in Loop: Header=BB149_13 Depth=1
	s_waitcnt lgkmcnt(3)
	global_store_dword v[2:3], v6, off offset:3072
	s_or_b64 exec, exec, s[2:3]
	s_and_saveexec_b64 s[2:3], s[46:47]
	s_cbranch_execz .LBB149_248
.LBB149_295:                            ;   in Loop: Header=BB149_13 Depth=1
	s_waitcnt lgkmcnt(2)
	global_store_dword v[2:3], v5, off offset:3328
	s_or_b64 exec, exec, s[2:3]
	s_and_saveexec_b64 s[2:3], s[48:49]
	s_cbranch_execz .LBB149_249
.LBB149_296:                            ;   in Loop: Header=BB149_13 Depth=1
	s_waitcnt lgkmcnt(1)
	global_store_dword v[2:3], v4, off offset:3584
	s_or_b64 exec, exec, s[2:3]
	s_and_saveexec_b64 s[2:3], s[50:51]
	s_cbranch_execz .LBB149_12
.LBB149_297:                            ;   in Loop: Header=BB149_13 Depth=1
	s_waitcnt lgkmcnt(0)
	global_store_dword v[2:3], v0, off offset:3840
	s_branch .LBB149_12
.LBB149_298:
	s_endpgm
	.section	.rodata,"a",@progbits
	.p2align	6, 0x0
	.amdhsa_kernel _Z25selective_scan_fwd_kernelI32Selective_Scan_fwd_kernel_traitsILi64ELi16ELi1ELb0ELb1ELb1ELb1ELb0EfffEEv13SSMParamsBase
		.amdhsa_group_segment_fixed_size 0
		.amdhsa_private_segment_fixed_size 364
		.amdhsa_kernarg_size 248
		.amdhsa_user_sgpr_count 2
		.amdhsa_user_sgpr_dispatch_ptr 0
		.amdhsa_user_sgpr_queue_ptr 0
		.amdhsa_user_sgpr_kernarg_segment_ptr 1
		.amdhsa_user_sgpr_dispatch_id 0
		.amdhsa_user_sgpr_kernarg_preload_length 0
		.amdhsa_user_sgpr_kernarg_preload_offset 0
		.amdhsa_user_sgpr_private_segment_size 0
		.amdhsa_uses_dynamic_stack 0
		.amdhsa_enable_private_segment 1
		.amdhsa_system_sgpr_workgroup_id_x 1
		.amdhsa_system_sgpr_workgroup_id_y 1
		.amdhsa_system_sgpr_workgroup_id_z 0
		.amdhsa_system_sgpr_workgroup_info 0
		.amdhsa_system_vgpr_workitem_id 0
		.amdhsa_next_free_vgpr 96
		.amdhsa_next_free_sgpr 100
		.amdhsa_accum_offset 96
		.amdhsa_reserve_vcc 1
		.amdhsa_float_round_mode_32 0
		.amdhsa_float_round_mode_16_64 0
		.amdhsa_float_denorm_mode_32 3
		.amdhsa_float_denorm_mode_16_64 3
		.amdhsa_dx10_clamp 1
		.amdhsa_ieee_mode 1
		.amdhsa_fp16_overflow 0
		.amdhsa_tg_split 0
		.amdhsa_exception_fp_ieee_invalid_op 0
		.amdhsa_exception_fp_denorm_src 0
		.amdhsa_exception_fp_ieee_div_zero 0
		.amdhsa_exception_fp_ieee_overflow 0
		.amdhsa_exception_fp_ieee_underflow 0
		.amdhsa_exception_fp_ieee_inexact 0
		.amdhsa_exception_int_div_zero 0
	.end_amdhsa_kernel
	.section	.text._Z25selective_scan_fwd_kernelI32Selective_Scan_fwd_kernel_traitsILi64ELi16ELi1ELb0ELb1ELb1ELb1ELb0EfffEEv13SSMParamsBase,"axG",@progbits,_Z25selective_scan_fwd_kernelI32Selective_Scan_fwd_kernel_traitsILi64ELi16ELi1ELb0ELb1ELb1ELb1ELb0EfffEEv13SSMParamsBase,comdat
.Lfunc_end149:
	.size	_Z25selective_scan_fwd_kernelI32Selective_Scan_fwd_kernel_traitsILi64ELi16ELi1ELb0ELb1ELb1ELb1ELb0EfffEEv13SSMParamsBase, .Lfunc_end149-_Z25selective_scan_fwd_kernelI32Selective_Scan_fwd_kernel_traitsILi64ELi16ELi1ELb0ELb1ELb1ELb1ELb0EfffEEv13SSMParamsBase
                                        ; -- End function
	.section	.AMDGPU.csdata,"",@progbits
; Kernel info:
; codeLenInByte = 27424
; NumSgprs: 106
; NumVgprs: 96
; NumAgprs: 0
; TotalNumVgprs: 96
; ScratchSize: 364
; MemoryBound: 0
; FloatMode: 240
; IeeeMode: 1
; LDSByteSize: 0 bytes/workgroup (compile time only)
; SGPRBlocks: 13
; VGPRBlocks: 11
; NumSGPRsForWavesPerEU: 106
; NumVGPRsForWavesPerEU: 96
; AccumOffset: 96
; Occupancy: 5
; WaveLimiterHint : 0
; COMPUTE_PGM_RSRC2:SCRATCH_EN: 1
; COMPUTE_PGM_RSRC2:USER_SGPR: 2
; COMPUTE_PGM_RSRC2:TRAP_HANDLER: 0
; COMPUTE_PGM_RSRC2:TGID_X_EN: 1
; COMPUTE_PGM_RSRC2:TGID_Y_EN: 1
; COMPUTE_PGM_RSRC2:TGID_Z_EN: 0
; COMPUTE_PGM_RSRC2:TIDIG_COMP_CNT: 0
; COMPUTE_PGM_RSRC3_GFX90A:ACCUM_OFFSET: 23
; COMPUTE_PGM_RSRC3_GFX90A:TG_SPLIT: 0
	.section	.text._Z25selective_scan_fwd_kernelI32Selective_Scan_fwd_kernel_traitsILi64ELi16ELi1ELb0ELb1ELb1ELb0ELb1EfffEEv13SSMParamsBase,"axG",@progbits,_Z25selective_scan_fwd_kernelI32Selective_Scan_fwd_kernel_traitsILi64ELi16ELi1ELb0ELb1ELb1ELb0ELb1EfffEEv13SSMParamsBase,comdat
	.protected	_Z25selective_scan_fwd_kernelI32Selective_Scan_fwd_kernel_traitsILi64ELi16ELi1ELb0ELb1ELb1ELb0ELb1EfffEEv13SSMParamsBase ; -- Begin function _Z25selective_scan_fwd_kernelI32Selective_Scan_fwd_kernel_traitsILi64ELi16ELi1ELb0ELb1ELb1ELb0ELb1EfffEEv13SSMParamsBase
	.globl	_Z25selective_scan_fwd_kernelI32Selective_Scan_fwd_kernel_traitsILi64ELi16ELi1ELb0ELb1ELb1ELb0ELb1EfffEEv13SSMParamsBase
	.p2align	8
	.type	_Z25selective_scan_fwd_kernelI32Selective_Scan_fwd_kernel_traitsILi64ELi16ELi1ELb0ELb1ELb1ELb0ELb1EfffEEv13SSMParamsBase,@function
_Z25selective_scan_fwd_kernelI32Selective_Scan_fwd_kernel_traitsILi64ELi16ELi1ELb0ELb1ELb1ELb0ELb1EfffEEv13SSMParamsBase: ; @_Z25selective_scan_fwd_kernelI32Selective_Scan_fwd_kernel_traitsILi64ELi16ELi1ELb0ELb1ELb1ELb0ELb1EfffEEv13SSMParamsBase
; %bb.0:
	s_load_dword s27, s[0:1], 0x18
	s_load_dwordx4 s[4:7], s[0:1], 0xe0
	s_load_dwordx2 s[10:11], s[0:1], 0xf0
	s_mov_b32 s20, s3
	s_ashr_i32 s3, s2, 31
	s_waitcnt lgkmcnt(0)
	s_abs_i32 s26, s27
	v_cvt_f32_u32_e32 v1, s26
	s_lshl_b64 s[8:9], s[2:3], 2
	s_add_u32 s24, s4, s8
	s_addc_u32 s25, s5, s9
	v_rcp_iflag_f32_e32 v1, v1
	s_cmp_eq_u64 s[10:11], 0
                                        ; implicit-def: $vgpr95 : SGPR spill to VGPR lane
	v_mul_f32_e32 v1, 0x4f7ffffe, v1
	v_cvt_u32_f32_e32 v1, v1
	s_nop 0
	v_readfirstlane_b32 s28, v1
	s_cbranch_scc1 .LBB150_2
; %bb.1:
	s_add_u32 s4, s10, s2
	s_addc_u32 s5, s11, s3
	v_mov_b32_e32 v1, 0
	global_load_ubyte v1, v1, s[4:5]
	s_waitcnt vmcnt(0)
	v_and_b32_e32 v1, 1, v1
	v_cmp_eq_u32_e64 s[4:5], 1, v1
	s_branch .LBB150_3
.LBB150_2:
	s_mov_b64 s[4:5], 0
.LBB150_3:
	s_nop 0
	v_writelane_b32 v95, s4, 0
	s_cmp_eq_u64 s[6:7], 0
	s_nop 0
	v_writelane_b32 v95, s5, 1
	s_load_dwordx2 s[4:5], s[0:1], 0x20
	s_cbranch_scc1 .LBB150_5
; %bb.4:
	s_add_u32 s2, s6, s8
	s_addc_u32 s3, s7, s9
	s_load_dword s2, s[2:3], 0x0
	s_waitcnt lgkmcnt(0)
	s_ashr_i32 s3, s2, 31
.LBB150_5:
	s_waitcnt lgkmcnt(0)
	s_cmp_eq_u64 s[4:5], s[2:3]
	s_cbranch_scc1 .LBB150_234
; %bb.6:
	s_load_dwordx16 s[4:19], s[0:1], 0x88
	s_load_dwordx2 s[22:23], s[24:25], 0x0
	s_mov_b32 s3, 0
	s_mov_b32 s56, 0
	v_writelane_b32 v95, s3, 2
	s_waitcnt lgkmcnt(0)
	s_cmp_eq_u64 s[10:11], 0
	s_cbranch_scc1 .LBB150_8
; %bb.7:
	s_ashr_i32 s21, s20, 31
	s_lshl_b64 s[24:25], s[20:21], 2
	s_add_u32 s10, s10, s24
	s_addc_u32 s11, s11, s25
	s_load_dword s3, s[10:11], 0x0
	s_waitcnt lgkmcnt(0)
	v_writelane_b32 v95, s3, 2
.LBB150_8:
	s_cmp_eq_u64 s[16:17], 0
	s_cbranch_scc1 .LBB150_10
; %bb.9:
	s_ashr_i32 s21, s20, 31
	s_lshl_b64 s[10:11], s[20:21], 2
	s_add_u32 s10, s16, s10
	s_addc_u32 s11, s17, s11
	s_load_dword s56, s[10:11], 0x0
.LBB150_10:
	s_sub_i32 s29, s23, s22
	s_cmp_lt_i32 s29, 1
	s_cbranch_scc1 .LBB150_234
; %bb.11:
	s_sub_i32 s3, 0, s26
	s_mul_i32 s3, s3, s28
	s_mul_hi_u32 s3, s28, s3
	s_abs_i32 s21, s20
	s_add_i32 s28, s28, s3
	s_load_dwordx8 s[36:43], s[0:1], 0x2c
	s_load_dwordx2 s[10:11], s[0:1], 0x5c
	s_load_dwordx4 s[44:47], s[0:1], 0x4c
	s_load_dwordx4 s[48:51], s[0:1], 0x7c
	s_load_dwordx2 s[24:25], s[0:1], 0x6c
	s_load_dwordx2 s[16:17], s[0:1], 0xc8
	s_mul_hi_u32 s3, s21, s28
	s_load_dword s28, s[0:1], 0xc
	s_load_dword s23, s[0:1], 0x28
	s_ashr_i32 s0, s20, 31
	s_ashr_i32 s1, s27, 31
	s_xor_b32 s0, s0, s1
	s_mul_i32 s1, s3, s26
	v_mbcnt_lo_u32_b32 v2, -1, 0
	s_sub_i32 s1, s21, s1
	v_mbcnt_hi_u32_b32 v20, -1, v2
	s_add_i32 s21, s3, 1
	s_sub_i32 s27, s1, s26
	v_lshrrev_b32_e32 v2, 5, v20
	s_cmp_ge_u32 s1, s26
	v_add_u32_e32 v2, v2, v20
	s_cselect_b32 s3, s21, s3
	v_add_u32_e32 v3, 64, v20
	v_lshl_add_u32 v2, v2, 2, 0
	s_cselect_b32 s1, s27, s1
	s_add_i32 s21, s3, 1
	scratch_store_dword off, v2, off        ; 4-byte Folded Spill
	scratch_store_dword off, v3, off offset:212 ; 4-byte Folded Spill
	v_lshrrev_b32_e32 v2, 5, v3
	s_cmp_ge_u32 s1, s26
	v_add_lshl_u32 v2, v2, v20, 2
	s_cselect_b32 s1, s21, s3
	v_or_b32_e32 v4, 0x80, v20
	v_add_u32_e32 v3, 0, v2
	s_xor_b32 s1, s1, s0
	s_waitcnt lgkmcnt(0)
	s_mul_i32 s92, s22, s46
	s_mov_b32 s93, 0
	scratch_store_dword off, v3, off offset:4 ; 4-byte Folded Spill
	scratch_store_dword off, v4, off offset:216 ; 4-byte Folded Spill
	v_lshrrev_b32_e32 v3, 5, v4
	s_sub_i32 s3, s1, s0
	s_lshl_b64 s[0:1], s[92:93], 2
	v_add_lshl_u32 v3, v3, v20, 2
	s_add_u32 s12, s12, s0
	s_mul_i32 s92, s47, s20
	v_add_u32_e32 v5, 0xc0, v20
	v_add_u32_e32 v4, 0, v3
	s_addc_u32 s13, s13, s1
	s_lshl_b64 s[0:1], s[92:93], 2
	scratch_store_dword off, v4, off offset:8 ; 4-byte Folded Spill
	scratch_store_dword off, v5, off offset:220 ; 4-byte Folded Spill
	v_lshrrev_b32_e32 v4, 5, v5
	s_add_u32 s26, s12, s0
	s_mul_i32 s92, s22, s10
	v_add_lshl_u32 v4, v4, v20, 2
	s_addc_u32 s27, s13, s1
	s_lshl_b64 s[0:1], s[92:93], 2
	v_or_b32_e32 v6, 0x100, v20
	v_add_u32_e32 v5, 0, v4
	s_add_u32 s10, s14, s0
	s_mul_i32 s92, s11, s20
	scratch_store_dword off, v5, off offset:12 ; 4-byte Folded Spill
	scratch_store_dword off, v6, off offset:224 ; 4-byte Folded Spill
	v_lshrrev_b32_e32 v5, 5, v6
	s_addc_u32 s12, s15, s1
	s_lshl_b64 s[0:1], s[92:93], 2
	v_add_lshl_u32 v5, v5, v20, 2
	s_add_u32 s0, s10, s0
	v_add_u32_e32 v7, 0x140, v20
	v_add_u32_e32 v6, 0, v5
	s_addc_u32 s1, s12, s1
	scratch_store_dword off, v6, off offset:16 ; 4-byte Folded Spill
	scratch_store_dword off, v7, off offset:228 ; 4-byte Folded Spill
	v_lshrrev_b32_e32 v6, 5, v7
	v_writelane_b32 v95, s0, 3
	s_mul_i32 s92, s36, s20
	v_add_lshl_u32 v6, v6, v20, 2
	v_writelane_b32 v95, s1, 4
	s_lshl_b64 s[0:1], s[92:93], 2
	v_or_b32_e32 v8, 0x180, v20
	v_add_u32_e32 v7, 0, v6
	s_add_u32 s99, s4, s0
	scratch_store_dword off, v7, off offset:20 ; 4-byte Folded Spill
	scratch_store_dword off, v8, off offset:232 ; 4-byte Folded Spill
	v_lshrrev_b32_e32 v7, 5, v8
	s_addc_u32 s0, s5, s1
	v_add_lshl_u32 v7, v7, v20, 2
	v_writelane_b32 v95, s0, 5
	s_mul_i32 s92, s22, s38
	v_add_u32_e32 v9, 0x1c0, v20
	v_add_u32_e32 v8, 0, v7
	s_lshl_b64 s[0:1], s[92:93], 2
	s_mul_i32 s92, s3, s41
	v_writelane_b32 v95, s36, 6
	scratch_store_dword off, v8, off offset:24 ; 4-byte Folded Spill
	scratch_store_dword off, v9, off offset:236 ; 4-byte Folded Spill
	v_lshrrev_b32_e32 v8, 5, v9
	v_writelane_b32 v95, s37, 7
	v_add_lshl_u32 v8, v8, v20, 2
	v_writelane_b32 v95, s38, 8
	v_or_b32_e32 v10, 0x200, v20
	v_add_u32_e32 v9, 0, v8
	v_writelane_b32 v95, s39, 9
	scratch_store_dword off, v9, off offset:28 ; 4-byte Folded Spill
	scratch_store_dword off, v10, off offset:240 ; 4-byte Folded Spill
	v_lshrrev_b32_e32 v9, 5, v10
	v_writelane_b32 v95, s40, 10
	v_add_lshl_u32 v9, v9, v20, 2
	s_add_u32 s4, s6, s0
	v_writelane_b32 v95, s41, 11
	v_add_u32_e32 v11, 0x240, v20
	v_add_u32_e32 v10, 0, v9
	s_addc_u32 s5, s7, s1
	s_lshl_b64 s[0:1], s[92:93], 2
	v_writelane_b32 v95, s42, 12
	scratch_store_dword off, v10, off offset:32 ; 4-byte Folded Spill
	scratch_store_dword off, v11, off offset:244 ; 4-byte Folded Spill
	v_lshrrev_b32_e32 v10, 5, v11
	s_add_u32 s6, s4, s0
	v_writelane_b32 v95, s43, 13
	s_mul_i32 s92, s22, s42
	v_add_lshl_u32 v10, v10, v20, 2
	s_addc_u32 s7, s5, s1
	s_lshl_b64 s[0:1], s[92:93], 2
	v_writelane_b32 v95, s44, 14
	v_or_b32_e32 v12, 0x280, v20
	v_add_u32_e32 v11, 0, v10
	s_add_u32 s4, s8, s0
	v_writelane_b32 v95, s45, 15
	s_mul_i32 s92, s3, s45
	scratch_store_dword off, v11, off offset:36 ; 4-byte Folded Spill
	scratch_store_dword off, v12, off offset:248 ; 4-byte Folded Spill
	v_lshrrev_b32_e32 v11, 5, v12
	s_addc_u32 s5, s9, s1
	v_writelane_b32 v95, s46, 16
	s_lshl_b64 s[0:1], s[92:93], 2
	v_add_lshl_u32 v11, v11, v20, 2
	v_writelane_b32 v95, s47, 17
	s_add_u32 s4, s4, s0
	s_mul_i32 s92, s2, s48
	v_add_u32_e32 v13, 0x2c0, v20
	v_add_u32_e32 v12, 0, v11
	s_addc_u32 s5, s5, s1
	s_lshl_b64 s[0:1], s[92:93], 2
	v_writelane_b32 v95, s48, 18
	scratch_store_dword off, v12, off offset:40 ; 4-byte Folded Spill
	scratch_store_dword off, v13, off offset:252 ; 4-byte Folded Spill
	v_lshrrev_b32_e32 v12, 5, v13
	s_add_u32 s2, s16, s0
	v_writelane_b32 v95, s49, 19
	s_mul_i32 s92, s49, s20
	v_add_lshl_u32 v12, v12, v20, 2
	s_addc_u32 s3, s17, s1
	v_writelane_b32 v95, s50, 20
	s_lshl_b64 s[0:1], s[92:93], 2
	v_or_b32_e32 v14, 0x300, v20
	v_add_u32_e32 v13, 0, v12
	v_writelane_b32 v95, s51, 21
	s_add_u32 s0, s2, s0
	scratch_store_dword off, v13, off offset:44 ; 4-byte Folded Spill
	scratch_store_dword off, v14, off offset:256 ; 4-byte Folded Spill
	v_lshrrev_b32_e32 v13, 5, v14
	v_writelane_b32 v95, s0, 22
	s_addc_u32 s0, s3, s1
	v_add_lshl_u32 v13, v13, v20, 2
	v_writelane_b32 v95, s0, 23
	s_add_i32 s0, s29, 0x7ff
	v_add_u32_e32 v15, 0x340, v20
	v_add_u32_e32 v14, 0, v13
	s_lshr_b32 s1, s0, 11
	scratch_store_dword off, v14, off offset:48 ; 4-byte Folded Spill
	scratch_store_dword off, v15, off offset:260 ; 4-byte Folded Spill
	v_lshrrev_b32_e32 v14, 5, v15
	v_add_lshl_u32 v14, v14, v20, 2
	s_bitcmp1_b32 s23, 0
	v_or_b32_e32 v16, 0x380, v20
	v_add_u32_e32 v15, 0, v14
	s_cselect_b64 s[2:3], -1, 0
	scratch_store_dword off, v15, off offset:52 ; 4-byte Folded Spill
	scratch_store_dword off, v16, off offset:264 ; 4-byte Folded Spill
	v_lshrrev_b32_e32 v15, 5, v16
	v_writelane_b32 v95, s2, 24
	s_cmp_gt_i32 s28, 0
	v_add_lshl_u32 v15, v15, v20, 2
	v_writelane_b32 v95, s3, 25
	s_cselect_b64 s[2:3], -1, 0
	s_add_i32 s0, 0, 0x1080
	v_add_u32_e32 v16, 0, v15
	v_add_u32_e32 v2, s0, v2
	;; [unrolled: 1-line block ×3, first 2 shown]
	scratch_store_dword off, v16, off offset:56 ; 4-byte Folded Spill
	scratch_store_dword off, v17, off offset:268 ; 4-byte Folded Spill
	;; [unrolled: 1-line block ×3, first 2 shown]
	v_add_u32_e32 v2, s0, v3
	scratch_store_dword off, v2, off offset:136 ; 4-byte Folded Spill
	v_add_u32_e32 v2, s0, v4
	scratch_store_dword off, v2, off offset:140 ; 4-byte Folded Spill
	;; [unrolled: 2-line block ×7, first 2 shown]
	v_add_u32_e32 v2, s0, v10
	v_lshrrev_b32_e32 v16, 5, v17
	scratch_store_dword off, v2, off offset:164 ; 4-byte Folded Spill
	v_add_u32_e32 v2, s0, v11
	v_add_lshl_u32 v16, v16, v20, 2
	scratch_store_dword off, v2, off offset:168 ; 4-byte Folded Spill
	v_add_u32_e32 v2, s0, v12
	v_add_u32_e32 v17, 0, v16
	scratch_store_dword off, v2, off offset:172 ; 4-byte Folded Spill
	v_add_u32_e32 v2, s0, v13
	scratch_store_dword off, v17, off offset:60 ; 4-byte Folded Spill
	v_lshlrev_b32_e32 v17, 4, v20
	v_bfe_u32 v18, v20, 1, 27
	scratch_store_dword off, v2, off offset:176 ; 4-byte Folded Spill
	v_add_u32_e32 v2, s0, v14
	v_add_lshl_u32 v17, v18, v17, 2
	v_writelane_b32 v95, s28, 26
	scratch_store_dword off, v2, off offset:180 ; 4-byte Folded Spill
	v_add_u32_e32 v2, s0, v15
	v_writelane_b32 v95, s2, 27
	scratch_store_dword off, v2, off offset:184 ; 4-byte Folded Spill
	v_add_u32_e32 v2, s0, v16
	v_add_u32_e32 v4, s0, v17
	s_and_b32 s0, s29, 0x3ff
	v_writelane_b32 v95, s3, 28
	s_cmp_eq_u32 s0, 0
	v_writelane_b32 v95, s29, 29
	s_cselect_b64 s[2:3], -1, 0
	scratch_store_dword off, v2, off offset:188 ; 4-byte Folded Spill
	v_writelane_b32 v95, s2, 30
	v_and_b32_e32 v2, 15, v20
	v_cmp_lt_u32_e64 s[8:9], 7, v2
	v_writelane_b32 v95, s3, 31
	v_cmp_ne_u32_e64 s[2:3], 0, v2
	v_and_b32_e32 v3, 64, v20
	v_lshlrev_b32_e32 v19, 4, v0
	v_writelane_b32 v95, s2, 32
	s_add_i32 s0, s1, -1
	s_mul_i32 s92, s22, s24
	v_writelane_b32 v95, s3, 33
	v_cmp_lt_u32_e64 s[2:3], 1, v2
	v_mov_b32_e32 v1, 0
	v_cmp_gt_u32_e64 s[14:15], 64, v0
	v_writelane_b32 v95, s2, 34
	v_cmp_eq_u32_e64 s[16:17], 0, v0
	v_add_u32_e32 v64, 0, v17
	v_writelane_b32 v95, s3, 35
	v_cmp_lt_u32_e64 s[2:3], 3, v2
	v_writelane_b32 v95, s8, 36
	v_and_b32_e32 v2, 16, v20
	v_cmp_lt_u32_e64 s[12:13], 31, v20
	v_writelane_b32 v95, s9, 37
	v_cmp_ne_u32_e64 s[8:9], 0, v2
	v_add_u32_e32 v2, -1, v20
	v_cmp_lt_i32_e32 vcc, v2, v3
	v_writelane_b32 v95, s8, 38
	s_mov_b32 s33, 0xc2fc0000
	v_cndmask_b32_e32 v2, v2, v20, vcc
	v_lshlrev_b32_e32 v2, 2, v2
	scratch_store_dword off, v2, off offset:192 ; 4-byte Folded Spill
	v_or_b32_e32 v2, 1, v19
	scratch_store_dword off, v2, off offset:284 ; 4-byte Folded Spill
	v_or_b32_e32 v2, 2, v19
	;; [unrolled: 2-line block ×5, first 2 shown]
	v_writelane_b32 v95, s9, 39
	scratch_store_dword off, v2, off offset:300 ; 4-byte Folded Spill
	v_or_b32_e32 v2, 6, v19
	v_writelane_b32 v95, s1, 40
	scratch_store_dword off, v2, off offset:304 ; 4-byte Folded Spill
                                        ; implicit-def: $vgpr2
	v_writelane_b32 v95, s0, 41
	s_lshl_b64 s[0:1], s[92:93], 2
	v_or_b32_e32 v2, 7, v19
	s_add_u32 s18, s18, s0
	scratch_store_dword off, v2, off offset:308 ; 4-byte Folded Spill
	v_or_b32_e32 v2, 8, v19
	s_addc_u32 s19, s19, s1
	v_cmp_eq_u32_e64 s[0:1], 63, v0
	scratch_store_dword off, v2, off offset:312 ; 4-byte Folded Spill
	v_or_b32_e32 v2, 9, v19
	v_writelane_b32 v95, s0, 42
	s_mul_i32 s92, s25, s20
	scratch_store_dword off, v2, off offset:316 ; 4-byte Folded Spill
	v_or_b32_e32 v2, 10, v19
	v_writelane_b32 v95, s1, 43
	s_lshl_b64 s[0:1], s[92:93], 2
	scratch_store_dword off, v2, off offset:320 ; 4-byte Folded Spill
	v_or_b32_e32 v2, 11, v19
	s_add_u32 s0, s18, s0
	scratch_store_dword off, v2, off offset:324 ; 4-byte Folded Spill
	v_or_b32_e32 v2, 12, v19
	s_addc_u32 s1, s19, s1
	s_add_i32 s8, 0, 0x2108
	scratch_store_dword off, v2, off offset:328 ; 4-byte Folded Spill
	v_or_b32_e32 v2, 13, v19
	v_mov_b32_e32 v0, v20
	v_writelane_b32 v95, s8, 44
	scratch_store_dword off, v2, off offset:332 ; 4-byte Folded Spill
	v_or_b32_e32 v2, 14, v19
	scratch_store_dwordx2 off, v[0:1], off offset:204 ; 8-byte Folded Spill
	v_lshlrev_b32_e32 v0, 2, v20
	scratch_store_dword off, v2, off offset:336 ; 4-byte Folded Spill
	scratch_store_dword off, v19, off offset:280 ; 4-byte Folded Spill
	v_or_b32_e32 v2, 15, v19
	v_writelane_b32 v95, s99, 45
	s_mov_b32 s8, 0
	scratch_store_dword off, v2, off offset:340 ; 4-byte Folded Spill
	v_mov_b32_e32 v2, 0x42800000
	v_mov_b32_e32 v65, 0x1f800000
	v_lshl_add_u64 v[6:7], s[0:1], 0, v[0:1]
	v_mov_b32_e32 v42, 0x3f317218
	v_writelane_b32 v95, s56, 46
	scratch_store_dwordx2 off, v[6:7], off offset:272 ; 8-byte Folded Spill
	s_branch .LBB150_13
.LBB150_12:                             ;   in Loop: Header=BB150_13 Depth=1
	s_or_b64 exec, exec, s[18:19]
	v_readlane_b32 s0, v95, 3
	v_readlane_b32 s1, v95, 4
	s_add_u32 s0, s0, 0x1000
	s_addc_u32 s1, s1, 0
	v_writelane_b32 v95, s0, 3
	s_nop 1
	v_writelane_b32 v95, s1, 4
	s_nop 0
	v_readlane_b32 s26, v95, 49
	v_readlane_b32 s27, v95, 50
	s_add_u32 s26, s26, 0x1000
	s_addc_u32 s27, s27, 0
	s_add_u32 s6, s6, 0x1000
	s_addc_u32 s7, s7, 0
	;; [unrolled: 2-line block ×3, first 2 shown]
	s_add_i32 s8, s8, 1
	v_readlane_b32 s0, v95, 40
	s_cmp_eq_u32 s8, s0
	s_cbranch_scc1 .LBB150_234
.LBB150_13:                             ; =>This Loop Header: Depth=1
                                        ;     Child Loop BB150_110 Depth 2
	s_waitcnt lgkmcnt(0)
	; wave barrier
	s_waitcnt lgkmcnt(3)
	scratch_load_dwordx2 v[6:7], off, off offset:204 ; 8-byte Folded Reload
	s_lshl_b32 s18, s8, 10
	s_mov_b32 s10, s18
	v_readlane_b32 s0, v95, 29
	v_writelane_b32 v95, s10, 47
	s_sub_i32 s82, s0, s18
	s_waitcnt lgkmcnt(2)
	v_mov_b32_e32 v5, 0
	v_writelane_b32 v95, s11, 48
	v_writelane_b32 v95, s26, 49
	s_waitcnt vmcnt(0) lgkmcnt(0)
	v_lshlrev_b32_e32 v0, 2, v6
	v_writelane_b32 v95, s27, 50
	v_lshl_add_u64 v[8:9], s[26:27], 0, v[0:1]
	v_cmp_gt_u32_e64 s[18:19], s82, v6
	s_and_saveexec_b64 s[20:21], s[18:19]
	s_cbranch_execz .LBB150_15
; %bb.14:                               ;   in Loop: Header=BB150_13 Depth=1
	global_load_dword v5, v[8:9], off
.LBB150_15:                             ;   in Loop: Header=BB150_13 Depth=1
	s_or_b64 exec, exec, s[20:21]
	scratch_load_dword v3, off, off offset:212 ; 4-byte Folded Reload
	v_mov_b32_e32 v6, 0
	v_mov_b32_e32 v7, 0
	s_waitcnt vmcnt(0)
	v_cmp_gt_u32_e64 s[20:21], s82, v3
	s_and_saveexec_b64 s[22:23], s[20:21]
	s_cbranch_execz .LBB150_17
; %bb.16:                               ;   in Loop: Header=BB150_13 Depth=1
	global_load_dword v7, v[8:9], off offset:256
.LBB150_17:                             ;   in Loop: Header=BB150_13 Depth=1
	s_or_b64 exec, exec, s[22:23]
	scratch_load_dword v3, off, off offset:216 ; 4-byte Folded Reload
	s_waitcnt vmcnt(0)
	v_cmp_gt_u32_e64 s[22:23], s82, v3
	s_and_saveexec_b64 s[24:25], s[22:23]
	s_cbranch_execz .LBB150_19
; %bb.18:                               ;   in Loop: Header=BB150_13 Depth=1
	global_load_dword v6, v[8:9], off offset:512
.LBB150_19:                             ;   in Loop: Header=BB150_13 Depth=1
	s_or_b64 exec, exec, s[24:25]
	scratch_load_dword v3, off, off offset:220 ; 4-byte Folded Reload
	v_mov_b32_e32 v10, 0
	v_mov_b32_e32 v11, 0
	s_waitcnt vmcnt(0)
	v_cmp_gt_u32_e64 s[24:25], s82, v3
	s_and_saveexec_b64 s[26:27], s[24:25]
	s_cbranch_execz .LBB150_21
; %bb.20:                               ;   in Loop: Header=BB150_13 Depth=1
	global_load_dword v11, v[8:9], off offset:768
.LBB150_21:                             ;   in Loop: Header=BB150_13 Depth=1
	s_or_b64 exec, exec, s[26:27]
	scratch_load_dword v3, off, off offset:224 ; 4-byte Folded Reload
	s_waitcnt vmcnt(0)
	v_cmp_gt_u32_e64 s[26:27], s82, v3
	s_and_saveexec_b64 s[28:29], s[26:27]
	s_cbranch_execz .LBB150_23
; %bb.22:                               ;   in Loop: Header=BB150_13 Depth=1
	global_load_dword v10, v[8:9], off offset:1024
.LBB150_23:                             ;   in Loop: Header=BB150_13 Depth=1
	s_or_b64 exec, exec, s[28:29]
	scratch_load_dword v3, off, off offset:228 ; 4-byte Folded Reload
	v_mov_b32_e32 v12, 0
	v_mov_b32_e32 v13, 0
	s_waitcnt vmcnt(0)
	v_cmp_gt_u32_e64 s[28:29], s82, v3
	s_and_saveexec_b64 s[30:31], s[28:29]
	s_cbranch_execz .LBB150_25
; %bb.24:                               ;   in Loop: Header=BB150_13 Depth=1
	global_load_dword v13, v[8:9], off offset:1280
.LBB150_25:                             ;   in Loop: Header=BB150_13 Depth=1
	s_or_b64 exec, exec, s[30:31]
	scratch_load_dword v3, off, off offset:232 ; 4-byte Folded Reload
	s_waitcnt vmcnt(0)
	v_cmp_gt_u32_e64 s[30:31], s82, v3
	s_and_saveexec_b64 s[34:35], s[30:31]
	s_cbranch_execz .LBB150_27
; %bb.26:                               ;   in Loop: Header=BB150_13 Depth=1
	global_load_dword v12, v[8:9], off offset:1536
.LBB150_27:                             ;   in Loop: Header=BB150_13 Depth=1
	s_or_b64 exec, exec, s[34:35]
	scratch_load_dword v3, off, off offset:236 ; 4-byte Folded Reload
	v_mov_b32_e32 v14, 0
	v_mov_b32_e32 v15, 0
	s_waitcnt vmcnt(0)
	v_cmp_gt_u32_e64 s[34:35], s82, v3
	s_and_saveexec_b64 s[36:37], s[34:35]
	s_cbranch_execz .LBB150_29
; %bb.28:                               ;   in Loop: Header=BB150_13 Depth=1
	global_load_dword v15, v[8:9], off offset:1792
.LBB150_29:                             ;   in Loop: Header=BB150_13 Depth=1
	s_or_b64 exec, exec, s[36:37]
	scratch_load_dword v3, off, off offset:240 ; 4-byte Folded Reload
	s_waitcnt vmcnt(0)
	v_cmp_gt_u32_e64 s[36:37], s82, v3
	s_and_saveexec_b64 s[38:39], s[36:37]
	s_cbranch_execz .LBB150_31
; %bb.30:                               ;   in Loop: Header=BB150_13 Depth=1
	global_load_dword v14, v[8:9], off offset:2048
.LBB150_31:                             ;   in Loop: Header=BB150_13 Depth=1
	s_or_b64 exec, exec, s[38:39]
	scratch_load_dword v3, off, off offset:244 ; 4-byte Folded Reload
	v_mov_b32_e32 v16, 0
	v_mov_b32_e32 v17, 0
	s_waitcnt vmcnt(0)
	v_cmp_gt_u32_e64 s[38:39], s82, v3
	s_and_saveexec_b64 s[40:41], s[38:39]
	s_cbranch_execz .LBB150_33
; %bb.32:                               ;   in Loop: Header=BB150_13 Depth=1
	global_load_dword v17, v[8:9], off offset:2304
.LBB150_33:                             ;   in Loop: Header=BB150_13 Depth=1
	s_or_b64 exec, exec, s[40:41]
	scratch_load_dword v3, off, off offset:248 ; 4-byte Folded Reload
	s_waitcnt vmcnt(0)
	v_cmp_gt_u32_e64 s[40:41], s82, v3
	s_and_saveexec_b64 s[42:43], s[40:41]
	s_cbranch_execz .LBB150_35
; %bb.34:                               ;   in Loop: Header=BB150_13 Depth=1
	global_load_dword v16, v[8:9], off offset:2560
.LBB150_35:                             ;   in Loop: Header=BB150_13 Depth=1
	s_or_b64 exec, exec, s[42:43]
	scratch_load_dword v3, off, off offset:252 ; 4-byte Folded Reload
	v_mov_b32_e32 v18, 0
	v_mov_b32_e32 v19, 0
	s_waitcnt vmcnt(0)
	v_cmp_gt_u32_e64 s[42:43], s82, v3
	s_and_saveexec_b64 s[44:45], s[42:43]
	s_cbranch_execz .LBB150_37
; %bb.36:                               ;   in Loop: Header=BB150_13 Depth=1
	global_load_dword v19, v[8:9], off offset:2816
.LBB150_37:                             ;   in Loop: Header=BB150_13 Depth=1
	s_or_b64 exec, exec, s[44:45]
	scratch_load_dword v3, off, off offset:256 ; 4-byte Folded Reload
	s_waitcnt vmcnt(0)
	v_cmp_gt_u32_e64 s[44:45], s82, v3
	s_and_saveexec_b64 s[46:47], s[44:45]
	s_cbranch_execz .LBB150_39
; %bb.38:                               ;   in Loop: Header=BB150_13 Depth=1
	global_load_dword v18, v[8:9], off offset:3072
.LBB150_39:                             ;   in Loop: Header=BB150_13 Depth=1
	s_or_b64 exec, exec, s[46:47]
	scratch_load_dword v3, off, off offset:260 ; 4-byte Folded Reload
	v_mov_b32_e32 v20, 0
	v_mov_b32_e32 v21, 0
	s_waitcnt vmcnt(0)
	v_cmp_gt_u32_e64 s[46:47], s82, v3
	s_and_saveexec_b64 s[48:49], s[46:47]
	s_cbranch_execz .LBB150_41
; %bb.40:                               ;   in Loop: Header=BB150_13 Depth=1
	global_load_dword v21, v[8:9], off offset:3328
.LBB150_41:                             ;   in Loop: Header=BB150_13 Depth=1
	s_or_b64 exec, exec, s[48:49]
	scratch_load_dword v3, off, off offset:264 ; 4-byte Folded Reload
	s_waitcnt vmcnt(0)
	v_cmp_gt_u32_e64 s[48:49], s82, v3
	s_and_saveexec_b64 s[50:51], s[48:49]
	s_cbranch_execz .LBB150_43
; %bb.42:                               ;   in Loop: Header=BB150_13 Depth=1
	global_load_dword v20, v[8:9], off offset:3584
.LBB150_43:                             ;   in Loop: Header=BB150_13 Depth=1
	s_or_b64 exec, exec, s[50:51]
	scratch_load_dword v3, off, off offset:268 ; 4-byte Folded Reload
	v_mov_b32_e32 v22, 0
	s_waitcnt vmcnt(0)
	v_cmp_gt_u32_e64 s[50:51], s82, v3
	v_mov_b32_e32 v3, 0
	s_and_saveexec_b64 s[52:53], s[50:51]
	s_cbranch_execz .LBB150_45
; %bb.44:                               ;   in Loop: Header=BB150_13 Depth=1
	global_load_dword v22, v[8:9], off offset:3840
.LBB150_45:                             ;   in Loop: Header=BB150_13 Depth=1
	s_or_b64 exec, exec, s[52:53]
	scratch_load_dword v8, off, off         ; 4-byte Folded Reload
	v_readlane_b32 s0, v95, 3
	v_readlane_b32 s1, v95, 4
	s_waitcnt vmcnt(0)
	ds_write_b32 v8, v5
	scratch_load_dword v5, off, off offset:4 ; 4-byte Folded Reload
	v_lshl_add_u64 v[24:25], s[0:1], 0, v[0:1]
	s_waitcnt vmcnt(0)
	ds_write_b32 v5, v7 offset:256
	scratch_load_dword v5, off, off offset:8 ; 4-byte Folded Reload
	s_waitcnt vmcnt(0)
	ds_write_b32 v5, v6 offset:512
	scratch_load_dword v5, off, off offset:12 ; 4-byte Folded Reload
	;; [unrolled: 3-line block ×14, first 2 shown]
	s_waitcnt vmcnt(0)
	ds_write_b32 v5, v22 offset:3840
	; wave barrier
	ds_read2_b32 v[8:9], v64 offset1:1
	ds_read2_b32 v[10:11], v64 offset0:2 offset1:3
	ds_read2_b32 v[12:13], v64 offset0:4 offset1:5
	ds_read2_b32 v[14:15], v64 offset0:6 offset1:7
	ds_read2_b32 v[16:17], v64 offset0:8 offset1:9
	ds_read2_b32 v[18:19], v64 offset0:10 offset1:11
	ds_read2_b32 v[20:21], v64 offset0:12 offset1:13
	ds_read2_b32 v[22:23], v64 offset0:14 offset1:15
	s_waitcnt lgkmcnt(0)
	; wave barrier
	s_waitcnt lgkmcnt(0)
	s_and_saveexec_b64 s[52:53], s[18:19]
	s_cbranch_execz .LBB150_47
; %bb.46:                               ;   in Loop: Header=BB150_13 Depth=1
	global_load_dword v3, v[24:25], off
.LBB150_47:                             ;   in Loop: Header=BB150_13 Depth=1
	s_or_b64 exec, exec, s[52:53]
	v_mov_b32_e32 v5, 0
	v_mov_b32_e32 v6, 0
	s_and_saveexec_b64 s[52:53], s[20:21]
	s_cbranch_execz .LBB150_49
; %bb.48:                               ;   in Loop: Header=BB150_13 Depth=1
	global_load_dword v6, v[24:25], off offset:256
.LBB150_49:                             ;   in Loop: Header=BB150_13 Depth=1
	s_or_b64 exec, exec, s[52:53]
	s_and_saveexec_b64 s[52:53], s[22:23]
	s_cbranch_execz .LBB150_51
; %bb.50:                               ;   in Loop: Header=BB150_13 Depth=1
	global_load_dword v5, v[24:25], off offset:512
.LBB150_51:                             ;   in Loop: Header=BB150_13 Depth=1
	s_or_b64 exec, exec, s[52:53]
	v_mov_b32_e32 v7, 0
	v_mov_b32_e32 v26, 0
	s_and_saveexec_b64 s[52:53], s[24:25]
	s_cbranch_execz .LBB150_53
; %bb.52:                               ;   in Loop: Header=BB150_13 Depth=1
	global_load_dword v26, v[24:25], off offset:768
.LBB150_53:                             ;   in Loop: Header=BB150_13 Depth=1
	s_or_b64 exec, exec, s[52:53]
	s_and_saveexec_b64 s[52:53], s[26:27]
	s_cbranch_execz .LBB150_55
; %bb.54:                               ;   in Loop: Header=BB150_13 Depth=1
	global_load_dword v7, v[24:25], off offset:1024
.LBB150_55:                             ;   in Loop: Header=BB150_13 Depth=1
	;; [unrolled: 14-line block ×6, first 2 shown]
	s_or_b64 exec, exec, s[52:53]
	v_mov_b32_e32 v35, 0
	v_mov_b32_e32 v36, 0
	s_and_saveexec_b64 s[52:53], s[46:47]
	s_cbranch_execnz .LBB150_216
; %bb.72:                               ;   in Loop: Header=BB150_13 Depth=1
	s_or_b64 exec, exec, s[52:53]
	s_and_saveexec_b64 s[52:53], s[48:49]
	s_cbranch_execnz .LBB150_217
.LBB150_73:                             ;   in Loop: Header=BB150_13 Depth=1
	s_or_b64 exec, exec, s[52:53]
	v_mov_b32_e32 v37, 0
	s_and_saveexec_b64 s[52:53], s[50:51]
	s_cbranch_execz .LBB150_75
.LBB150_74:                             ;   in Loop: Header=BB150_13 Depth=1
	global_load_dword v37, v[24:25], off offset:3840
.LBB150_75:                             ;   in Loop: Header=BB150_13 Depth=1
	s_or_b64 exec, exec, s[52:53]
	scratch_load_dword v24, off, off        ; 4-byte Folded Reload
	s_mov_b32 s0, 0x41a00000
	v_mov_b32_e32 v52, v42
	s_waitcnt vmcnt(0)
	ds_write_b32 v24, v3
	scratch_load_dword v3, off, off offset:4 ; 4-byte Folded Reload
	s_waitcnt vmcnt(0)
	ds_write_b32 v3, v6 offset:256
	scratch_load_dword v3, off, off offset:8 ; 4-byte Folded Reload
	s_waitcnt vmcnt(0)
	ds_write_b32 v3, v5 offset:512
	;; [unrolled: 3-line block ×15, first 2 shown]
	; wave barrier
	ds_read2_b32 v[38:39], v64 offset1:1
	ds_read2_b32 v[36:37], v64 offset0:2 offset1:3
	ds_read2_b32 v[34:35], v64 offset0:4 offset1:5
	;; [unrolled: 1-line block ×7, first 2 shown]
	s_waitcnt lgkmcnt(7)
	v_add_f32_e32 v3, s56, v38
	v_cmp_ge_f32_e32 vcc, s0, v3
	v_readlane_b32 s0, v95, 24
	v_readlane_b32 s1, v95, 25
	s_and_b64 s[0:1], s[0:1], vcc
	scratch_store_dword off, v3, off offset:64 ; 4-byte Folded Spill
	s_and_saveexec_b64 s[54:55], s[0:1]
	s_cbranch_execz .LBB150_77
; %bb.76:                               ;   in Loop: Header=BB150_13 Depth=1
	scratch_load_dword v7, off, off offset:64 ; 4-byte Folded Reload
	s_mov_b32 s0, 0x3fb8aa3b
	s_waitcnt vmcnt(0)
	v_mul_f32_e32 v3, 0x3fb8aa3b, v7
	v_rndne_f32_e32 v5, v3
	v_sub_f32_e32 v6, v3, v5
	v_fma_f32 v3, v7, s0, -v3
	v_fmac_f32_e32 v3, 0x32a5705f, v7
	v_add_f32_e32 v3, v6, v3
	v_cvt_i32_f32_e32 v5, v5
	v_exp_f32_e32 v3, v3
	s_mov_b32 s0, 0xc2ce8ed0
	v_cmp_ngt_f32_e32 vcc, s0, v7
	s_mov_b32 s0, 0x42b17218
	v_ldexp_f32 v3, v3, v5
	v_cndmask_b32_e32 v3, 0, v3, vcc
	v_cmp_nlt_f32_e32 vcc, s0, v7
	v_mov_b32_e32 v5, 0x7f800000
	s_mov_b32 s0, 0x3f2aaaab
	v_cndmask_b32_e32 v5, v5, v3, vcc
	v_add_f32_e32 v3, 1.0, v5
	v_add_f32_e32 v6, -1.0, v3
	v_sub_f32_e32 v7, v6, v3
	v_add_f32_e32 v7, 1.0, v7
	v_sub_f32_e32 v6, v5, v6
	v_add_f32_e32 v38, v6, v7
	v_frexp_mant_f32_e32 v40, v3
	v_cvt_f64_f32_e32 v[6:7], v3
	v_frexp_exp_i32_f64_e32 v6, v[6:7]
	v_cmp_gt_f32_e32 vcc, s0, v40
	s_mov_b32 s0, 0x3f317218
	s_nop 0
	v_subbrev_co_u32_e32 v46, vcc, 0, v6, vcc
	v_sub_u32_e32 v6, 0, v46
	v_ldexp_f32 v3, v3, v6
	v_ldexp_f32 v6, v38, v6
	v_add_f32_e32 v38, -1.0, v3
	v_add_f32_e32 v7, 1.0, v38
	v_sub_f32_e32 v7, v3, v7
	v_add_f32_e32 v40, v6, v7
	v_add_f32_e32 v7, 1.0, v3
	v_add_f32_e32 v41, -1.0, v7
	v_sub_f32_e32 v3, v3, v41
	v_add_f32_e32 v3, v6, v3
	v_add_f32_e32 v47, v7, v3
	v_rcp_f32_e32 v48, v47
	v_sub_f32_e32 v6, v7, v47
	v_add_f32_e32 v7, v38, v40
	v_add_f32_e32 v3, v3, v6
	v_sub_f32_e32 v6, v38, v7
	v_mul_f32_e32 v49, v7, v48
	v_add_f32_e32 v38, v40, v6
	v_mul_f32_e32 v40, v47, v49
	v_fma_f32 v42, v49, v47, -v40
	v_fmac_f32_e32 v42, v49, v3
	v_add_f32_e32 v6, v40, v42
	v_sub_f32_e32 v41, v7, v6
	v_pk_add_f32 v[44:45], v[6:7], v[40:41] neg_lo:[0,1] neg_hi:[0,1]
	v_mov_b32_e32 v43, v6
	v_pk_add_f32 v[6:7], v[44:45], v[42:43] neg_lo:[0,1] neg_hi:[0,1]
	s_nop 0
	v_add_f32_e32 v7, v38, v7
	v_add_f32_e32 v6, v6, v7
	;; [unrolled: 1-line block ×3, first 2 shown]
	v_mul_f32_e32 v38, v48, v7
	v_mul_f32_e32 v40, v47, v38
	v_fma_f32 v42, v38, v47, -v40
	v_fmac_f32_e32 v42, v38, v3
	v_sub_f32_e32 v3, v41, v7
	v_add_f32_e32 v3, v6, v3
	v_add_f32_e32 v6, v40, v42
	v_sub_f32_e32 v41, v7, v6
	v_pk_add_f32 v[44:45], v[6:7], v[40:41] neg_lo:[0,1] neg_hi:[0,1]
	v_mov_b32_e32 v43, v6
	v_pk_add_f32 v[6:7], v[44:45], v[42:43] neg_lo:[0,1] neg_hi:[0,1]
	v_mov_b32_e32 v42, v52
	v_add_f32_e32 v3, v3, v7
	v_add_f32_e32 v3, v6, v3
	v_add_f32_e32 v7, v49, v38
	v_add_f32_e32 v3, v41, v3
	v_sub_f32_e32 v6, v7, v49
	v_mul_f32_e32 v3, v48, v3
	v_sub_f32_e32 v6, v38, v6
	v_add_f32_e32 v3, v6, v3
	v_add_f32_e32 v38, v7, v3
	v_mul_f32_e32 v40, v38, v38
	v_mov_b32_e32 v6, 0x3ecc95a3
	v_fmamk_f32 v6, v40, 0x3e9b6dac, v6
	v_fmaak_f32 v43, v40, v6, 0x3f2aaada
	v_cvt_f32_i32_e32 v6, v46
	v_sub_f32_e32 v7, v38, v7
	v_sub_f32_e32 v3, v3, v7
	v_mul_f32_e32 v7, v38, v40
	v_pk_mul_f32 v[42:43], v[6:7], v[42:43]
	v_ldexp_f32 v41, v38, 1
	v_fma_f32 v40, v6, s0, -v42
	v_fmac_f32_e32 v40, 0xb102e308, v6
	v_pk_add_f32 v[6:7], v[42:43], v[40:41]
	v_ldexp_f32 v3, v3, 1
	v_sub_f32_e32 v38, v7, v41
	v_sub_f32_e32 v38, v43, v38
	v_add_f32_e32 v45, v3, v38
	v_mov_b32_e32 v44, v42
	v_pk_add_f32 v[42:43], v[6:7], v[42:43] neg_lo:[0,1] neg_hi:[0,1]
	v_pk_add_f32 v[46:47], v[6:7], v[44:45]
	v_mov_b32_e32 v41, v6
	v_mov_b32_e32 v43, v47
	v_pk_add_f32 v[48:49], v[40:41], v[42:43] neg_lo:[0,1] neg_hi:[0,1]
	v_pk_add_f32 v[40:41], v[40:41], v[42:43]
	s_mov_b32 s0, 0x7f800000
	v_mov_b32_e32 v38, v41
	v_pk_add_f32 v[42:43], v[38:39], v[6:7] neg_lo:[0,1] neg_hi:[0,1]
	v_mov_b32_e32 v40, v47
	v_mov_b32_e32 v3, v42
	v_pk_add_f32 v[50:51], v[46:47], v[2:3] neg_lo:[0,1] neg_hi:[0,1]
	v_mov_b32_e32 v46, v7
	v_mov_b32_e32 v47, v42
	;; [unrolled: 1-line block ×3, first 2 shown]
	v_pk_add_f32 v[40:41], v[40:41], v[46:47] neg_lo:[0,1] neg_hi:[0,1]
	v_mov_b32_e32 v42, v45
	v_mov_b32_e32 v43, v6
	v_pk_add_f32 v[6:7], v[42:43], v[40:41] neg_lo:[0,1] neg_hi:[0,1]
	v_mov_b32_e32 v50, v48
	v_pk_add_f32 v[40:41], v[50:51], v[6:7]
	v_cmp_eq_f32_e32 vcc, s0, v5
	v_mov_b32_e32 v42, v41
	v_pk_add_f32 v[42:43], v[40:41], v[42:43]
	s_mov_b32 s0, 0x33800000
	v_pk_add_f32 v[44:45], v[38:39], v[42:43]
	v_mov_b32_e32 v7, v42
	v_mov_b32_e32 v41, v44
	v_pk_add_f32 v[46:47], v[40:41], v[48:49] neg_lo:[0,1] neg_hi:[0,1]
	v_cmp_gt_f32_e64 s[52:53], s0, v5
	v_sub_f32_e32 v3, v40, v46
	v_pk_add_f32 v[6:7], v[6:7], v[46:47] neg_lo:[0,1] neg_hi:[0,1]
	v_sub_f32_e32 v3, v48, v3
	v_add_f32_e32 v3, v6, v3
	v_add_f32_e32 v3, v3, v7
	;; [unrolled: 1-line block ×3, first 2 shown]
	s_or_b64 vcc, s[52:53], vcc
	v_cndmask_b32_e32 v3, v3, v5, vcc
	scratch_store_dword off, v3, off offset:64 ; 4-byte Folded Spill
.LBB150_77:                             ;   in Loop: Header=BB150_13 Depth=1
	s_or_b64 exec, exec, s[54:55]
	v_add_f32_e32 v67, s56, v39
	s_mov_b32 s0, 0x41a00000
	v_cmp_ge_f32_e32 vcc, s0, v67
	v_readlane_b32 s0, v95, 24
	v_readlane_b32 s1, v95, 25
	s_and_b64 s[0:1], s[0:1], vcc
	s_and_saveexec_b64 s[54:55], s[0:1]
	s_cbranch_execz .LBB150_79
; %bb.78:                               ;   in Loop: Header=BB150_13 Depth=1
	v_mul_f32_e32 v3, 0x3fb8aa3b, v67
	v_rndne_f32_e32 v5, v3
	s_mov_b32 s0, 0x3fb8aa3b
	v_sub_f32_e32 v6, v3, v5
	v_fma_f32 v3, v67, s0, -v3
	v_fmac_f32_e32 v3, 0x32a5705f, v67
	v_add_f32_e32 v3, v6, v3
	v_cvt_i32_f32_e32 v5, v5
	v_exp_f32_e32 v3, v3
	s_mov_b32 s0, 0xc2ce8ed0
	v_cmp_ngt_f32_e32 vcc, s0, v67
	s_mov_b32 s0, 0x42b17218
	v_ldexp_f32 v3, v3, v5
	v_cndmask_b32_e32 v3, 0, v3, vcc
	v_cmp_nlt_f32_e32 vcc, s0, v67
	v_mov_b32_e32 v5, 0x7f800000
	s_mov_b32 s0, 0x3f2aaaab
	v_cndmask_b32_e32 v5, v5, v3, vcc
	v_add_f32_e32 v3, 1.0, v5
	v_add_f32_e32 v6, -1.0, v3
	v_sub_f32_e32 v7, v6, v3
	v_add_f32_e32 v7, 1.0, v7
	v_sub_f32_e32 v6, v5, v6
	v_add_f32_e32 v38, v6, v7
	v_frexp_mant_f32_e32 v39, v3
	v_cvt_f64_f32_e32 v[6:7], v3
	v_frexp_exp_i32_f64_e32 v6, v[6:7]
	v_cmp_gt_f32_e32 vcc, s0, v39
	s_mov_b32 s0, 0x3f317218
	s_nop 0
	v_subbrev_co_u32_e32 v44, vcc, 0, v6, vcc
	v_sub_u32_e32 v6, 0, v44
	v_ldexp_f32 v3, v3, v6
	v_ldexp_f32 v6, v38, v6
	v_add_f32_e32 v38, -1.0, v3
	v_add_f32_e32 v7, 1.0, v38
	v_sub_f32_e32 v7, v3, v7
	v_add_f32_e32 v39, v6, v7
	v_add_f32_e32 v7, 1.0, v3
	v_add_f32_e32 v40, -1.0, v7
	v_sub_f32_e32 v3, v3, v40
	v_add_f32_e32 v3, v6, v3
	v_add_f32_e32 v45, v7, v3
	v_rcp_f32_e32 v46, v45
	v_sub_f32_e32 v6, v7, v45
	v_add_f32_e32 v7, v38, v39
	v_add_f32_e32 v3, v3, v6
	v_mul_f32_e32 v48, v7, v46
	v_sub_f32_e32 v6, v38, v7
	v_mul_f32_e32 v38, v45, v48
	v_fma_f32 v40, v48, v45, -v38
	v_fmac_f32_e32 v40, v48, v3
	v_add_f32_e32 v47, v39, v6
	v_add_f32_e32 v6, v38, v40
	v_sub_f32_e32 v39, v7, v6
	v_pk_add_f32 v[42:43], v[6:7], v[38:39] neg_lo:[0,1] neg_hi:[0,1]
	v_mov_b32_e32 v41, v6
	v_pk_add_f32 v[6:7], v[42:43], v[40:41] neg_lo:[0,1] neg_hi:[0,1]
	s_nop 0
	v_add_f32_e32 v7, v47, v7
	v_add_f32_e32 v6, v6, v7
	;; [unrolled: 1-line block ×3, first 2 shown]
	v_mul_f32_e32 v47, v46, v7
	v_mul_f32_e32 v38, v45, v47
	v_fma_f32 v40, v47, v45, -v38
	v_fmac_f32_e32 v40, v47, v3
	v_sub_f32_e32 v3, v39, v7
	v_add_f32_e32 v3, v6, v3
	v_add_f32_e32 v6, v38, v40
	v_sub_f32_e32 v39, v7, v6
	v_pk_add_f32 v[42:43], v[6:7], v[38:39] neg_lo:[0,1] neg_hi:[0,1]
	v_mov_b32_e32 v41, v6
	v_pk_add_f32 v[6:7], v[42:43], v[40:41] neg_lo:[0,1] neg_hi:[0,1]
	v_mov_b32_e32 v42, v52
	v_add_f32_e32 v3, v3, v7
	v_add_f32_e32 v3, v6, v3
	;; [unrolled: 1-line block ×4, first 2 shown]
	v_sub_f32_e32 v6, v7, v48
	v_mul_f32_e32 v3, v46, v3
	v_sub_f32_e32 v6, v47, v6
	v_add_f32_e32 v3, v6, v3
	v_add_f32_e32 v38, v7, v3
	v_mul_f32_e32 v40, v38, v38
	v_mov_b32_e32 v6, 0x3ecc95a3
	v_fmamk_f32 v6, v40, 0x3e9b6dac, v6
	v_fmaak_f32 v43, v40, v6, 0x3f2aaada
	v_cvt_f32_i32_e32 v6, v44
	v_sub_f32_e32 v7, v38, v7
	v_sub_f32_e32 v3, v3, v7
	v_mul_f32_e32 v7, v38, v40
	v_pk_mul_f32 v[40:41], v[6:7], v[42:43]
	v_ldexp_f32 v39, v38, 1
	v_fma_f32 v38, v6, s0, -v40
	v_fmac_f32_e32 v38, 0xb102e308, v6
	v_pk_add_f32 v[6:7], v[40:41], v[38:39]
	v_ldexp_f32 v3, v3, 1
	v_sub_f32_e32 v39, v7, v39
	v_sub_f32_e32 v39, v41, v39
	v_add_f32_e32 v43, v3, v39
	v_mov_b32_e32 v42, v40
	v_pk_add_f32 v[40:41], v[6:7], v[40:41] neg_lo:[0,1] neg_hi:[0,1]
	v_pk_add_f32 v[44:45], v[6:7], v[42:43]
	v_mov_b32_e32 v39, v6
	v_mov_b32_e32 v41, v45
	v_pk_add_f32 v[46:47], v[38:39], v[40:41] neg_lo:[0,1] neg_hi:[0,1]
	v_pk_add_f32 v[38:39], v[38:39], v[40:41]
	v_mov_b32_e32 v42, v43
	v_mov_b32_e32 v40, v39
	v_pk_add_f32 v[48:49], v[40:41], v[6:7] neg_lo:[0,1] neg_hi:[0,1]
	v_mov_b32_e32 v38, v45
	v_mov_b32_e32 v3, v48
	v_pk_add_f32 v[50:51], v[44:45], v[2:3] neg_lo:[0,1] neg_hi:[0,1]
	v_mov_b32_e32 v44, v7
	v_mov_b32_e32 v45, v48
	;; [unrolled: 1-line block ×3, first 2 shown]
	v_pk_add_f32 v[38:39], v[38:39], v[44:45] neg_lo:[0,1] neg_hi:[0,1]
	v_mov_b32_e32 v43, v6
	v_pk_add_f32 v[6:7], v[42:43], v[38:39] neg_lo:[0,1] neg_hi:[0,1]
	v_mov_b32_e32 v50, v46
	v_pk_add_f32 v[38:39], v[50:51], v[6:7]
	s_mov_b32 s0, 0x7f800000
	v_mov_b32_e32 v42, v39
	v_pk_add_f32 v[42:43], v[38:39], v[42:43]
	v_cmp_eq_f32_e32 vcc, s0, v5
	v_pk_add_f32 v[40:41], v[40:41], v[42:43]
	v_mov_b32_e32 v7, v42
	v_mov_b32_e32 v39, v40
	v_pk_add_f32 v[44:45], v[38:39], v[46:47] neg_lo:[0,1] neg_hi:[0,1]
	s_mov_b32 s0, 0x33800000
	v_sub_f32_e32 v3, v38, v44
	v_pk_add_f32 v[6:7], v[6:7], v[44:45] neg_lo:[0,1] neg_hi:[0,1]
	v_sub_f32_e32 v3, v46, v3
	v_add_f32_e32 v3, v6, v3
	v_add_f32_e32 v3, v3, v7
	v_cmp_gt_f32_e64 s[52:53], s0, v5
	v_add_f32_e32 v3, v40, v3
	s_or_b64 vcc, s[52:53], vcc
	v_cndmask_b32_e32 v67, v3, v5, vcc
.LBB150_79:                             ;   in Loop: Header=BB150_13 Depth=1
	s_or_b64 exec, exec, s[54:55]
	s_waitcnt lgkmcnt(6)
	v_add_f32_e32 v68, s56, v36
	s_mov_b32 s0, 0x41a00000
	v_cmp_ge_f32_e32 vcc, s0, v68
	v_readlane_b32 s0, v95, 24
	v_readlane_b32 s1, v95, 25
	s_and_b64 s[0:1], s[0:1], vcc
	s_and_saveexec_b64 s[54:55], s[0:1]
	s_cbranch_execz .LBB150_81
; %bb.80:                               ;   in Loop: Header=BB150_13 Depth=1
	v_mul_f32_e32 v3, 0x3fb8aa3b, v68
	v_rndne_f32_e32 v5, v3
	s_mov_b32 s0, 0x3fb8aa3b
	v_sub_f32_e32 v6, v3, v5
	v_fma_f32 v3, v68, s0, -v3
	v_fmac_f32_e32 v3, 0x32a5705f, v68
	v_add_f32_e32 v3, v6, v3
	v_cvt_i32_f32_e32 v5, v5
	v_exp_f32_e32 v3, v3
	s_mov_b32 s0, 0xc2ce8ed0
	v_cmp_ngt_f32_e32 vcc, s0, v68
	s_mov_b32 s0, 0x42b17218
	v_ldexp_f32 v3, v3, v5
	v_cndmask_b32_e32 v3, 0, v3, vcc
	v_cmp_nlt_f32_e32 vcc, s0, v68
	v_mov_b32_e32 v5, 0x7f800000
	s_mov_b32 s0, 0x3f2aaaab
	v_cndmask_b32_e32 v5, v5, v3, vcc
	v_add_f32_e32 v3, 1.0, v5
	v_add_f32_e32 v6, -1.0, v3
	v_sub_f32_e32 v7, v6, v3
	v_add_f32_e32 v7, 1.0, v7
	v_sub_f32_e32 v6, v5, v6
	v_add_f32_e32 v36, v6, v7
	v_frexp_mant_f32_e32 v38, v3
	v_cvt_f64_f32_e32 v[6:7], v3
	v_frexp_exp_i32_f64_e32 v6, v[6:7]
	v_cmp_gt_f32_e32 vcc, s0, v38
	s_mov_b32 s0, 0x3f317218
	s_nop 0
	v_subbrev_co_u32_e32 v44, vcc, 0, v6, vcc
	v_sub_u32_e32 v6, 0, v44
	v_ldexp_f32 v3, v3, v6
	v_ldexp_f32 v6, v36, v6
	v_add_f32_e32 v36, -1.0, v3
	v_add_f32_e32 v7, 1.0, v36
	v_sub_f32_e32 v7, v3, v7
	v_add_f32_e32 v38, v6, v7
	v_add_f32_e32 v7, 1.0, v3
	v_add_f32_e32 v39, -1.0, v7
	v_sub_f32_e32 v3, v3, v39
	v_add_f32_e32 v3, v6, v3
	v_add_f32_e32 v45, v7, v3
	v_rcp_f32_e32 v46, v45
	v_sub_f32_e32 v6, v7, v45
	v_add_f32_e32 v7, v36, v38
	v_add_f32_e32 v3, v3, v6
	v_sub_f32_e32 v6, v36, v7
	v_mul_f32_e32 v47, v7, v46
	v_add_f32_e32 v36, v38, v6
	v_mul_f32_e32 v38, v45, v47
	v_fma_f32 v40, v47, v45, -v38
	v_fmac_f32_e32 v40, v47, v3
	v_add_f32_e32 v6, v38, v40
	v_sub_f32_e32 v39, v7, v6
	v_pk_add_f32 v[42:43], v[6:7], v[38:39] neg_lo:[0,1] neg_hi:[0,1]
	v_mov_b32_e32 v41, v6
	v_pk_add_f32 v[6:7], v[42:43], v[40:41] neg_lo:[0,1] neg_hi:[0,1]
	s_nop 0
	v_add_f32_e32 v7, v36, v7
	v_add_f32_e32 v6, v6, v7
	;; [unrolled: 1-line block ×3, first 2 shown]
	v_mul_f32_e32 v36, v46, v7
	v_mul_f32_e32 v38, v45, v36
	v_fma_f32 v40, v36, v45, -v38
	v_fmac_f32_e32 v40, v36, v3
	v_sub_f32_e32 v3, v39, v7
	v_add_f32_e32 v3, v6, v3
	v_add_f32_e32 v6, v38, v40
	v_sub_f32_e32 v39, v7, v6
	v_pk_add_f32 v[42:43], v[6:7], v[38:39] neg_lo:[0,1] neg_hi:[0,1]
	v_mov_b32_e32 v41, v6
	v_pk_add_f32 v[6:7], v[42:43], v[40:41] neg_lo:[0,1] neg_hi:[0,1]
	v_mov_b32_e32 v40, v52
	v_add_f32_e32 v3, v3, v7
	v_add_f32_e32 v3, v6, v3
	;; [unrolled: 1-line block ×4, first 2 shown]
	v_sub_f32_e32 v6, v7, v47
	v_mul_f32_e32 v3, v46, v3
	v_sub_f32_e32 v6, v36, v6
	v_add_f32_e32 v3, v6, v3
	v_add_f32_e32 v36, v7, v3
	v_mul_f32_e32 v38, v36, v36
	v_mov_b32_e32 v6, 0x3ecc95a3
	v_fmamk_f32 v6, v38, 0x3e9b6dac, v6
	v_fmaak_f32 v41, v38, v6, 0x3f2aaada
	v_cvt_f32_i32_e32 v6, v44
	v_sub_f32_e32 v7, v36, v7
	v_sub_f32_e32 v3, v3, v7
	v_mul_f32_e32 v7, v36, v38
	v_pk_mul_f32 v[40:41], v[6:7], v[40:41]
	v_ldexp_f32 v39, v36, 1
	v_fma_f32 v38, v6, s0, -v40
	v_fmac_f32_e32 v38, 0xb102e308, v6
	v_pk_add_f32 v[6:7], v[40:41], v[38:39]
	v_ldexp_f32 v3, v3, 1
	v_sub_f32_e32 v36, v7, v39
	v_sub_f32_e32 v36, v41, v36
	v_add_f32_e32 v43, v3, v36
	v_mov_b32_e32 v42, v40
	v_pk_add_f32 v[40:41], v[6:7], v[40:41] neg_lo:[0,1] neg_hi:[0,1]
	v_pk_add_f32 v[44:45], v[6:7], v[42:43]
	v_mov_b32_e32 v39, v6
	v_mov_b32_e32 v41, v45
	v_pk_add_f32 v[46:47], v[38:39], v[40:41] neg_lo:[0,1] neg_hi:[0,1]
	v_pk_add_f32 v[38:39], v[38:39], v[40:41]
	s_mov_b32 s0, 0x7f800000
	v_mov_b32_e32 v36, v39
	v_pk_add_f32 v[40:41], v[36:37], v[6:7] neg_lo:[0,1] neg_hi:[0,1]
	v_mov_b32_e32 v38, v45
	v_mov_b32_e32 v3, v40
	v_pk_add_f32 v[48:49], v[44:45], v[2:3] neg_lo:[0,1] neg_hi:[0,1]
	v_mov_b32_e32 v44, v7
	v_mov_b32_e32 v45, v40
	;; [unrolled: 1-line block ×3, first 2 shown]
	v_pk_add_f32 v[38:39], v[38:39], v[44:45] neg_lo:[0,1] neg_hi:[0,1]
	v_mov_b32_e32 v40, v43
	v_mov_b32_e32 v41, v6
	v_pk_add_f32 v[6:7], v[40:41], v[38:39] neg_lo:[0,1] neg_hi:[0,1]
	v_mov_b32_e32 v48, v46
	v_pk_add_f32 v[38:39], v[48:49], v[6:7]
	v_cmp_eq_f32_e32 vcc, s0, v5
	v_mov_b32_e32 v40, v39
	v_pk_add_f32 v[40:41], v[38:39], v[40:41]
	s_mov_b32 s0, 0x33800000
	v_pk_add_f32 v[42:43], v[36:37], v[40:41]
	v_mov_b32_e32 v7, v40
	v_mov_b32_e32 v39, v42
	v_pk_add_f32 v[44:45], v[38:39], v[46:47] neg_lo:[0,1] neg_hi:[0,1]
	v_cmp_gt_f32_e64 s[52:53], s0, v5
	v_sub_f32_e32 v3, v38, v44
	v_pk_add_f32 v[6:7], v[6:7], v[44:45] neg_lo:[0,1] neg_hi:[0,1]
	v_sub_f32_e32 v3, v46, v3
	v_add_f32_e32 v3, v6, v3
	v_add_f32_e32 v3, v3, v7
	;; [unrolled: 1-line block ×3, first 2 shown]
	s_or_b64 vcc, s[52:53], vcc
	v_cndmask_b32_e32 v68, v3, v5, vcc
.LBB150_81:                             ;   in Loop: Header=BB150_13 Depth=1
	s_or_b64 exec, exec, s[54:55]
	v_add_f32_e32 v69, s56, v37
	s_mov_b32 s0, 0x41a00000
	v_cmp_ge_f32_e32 vcc, s0, v69
	v_readlane_b32 s0, v95, 24
	v_readlane_b32 s1, v95, 25
	s_and_b64 s[0:1], s[0:1], vcc
	s_and_saveexec_b64 s[54:55], s[0:1]
	s_cbranch_execz .LBB150_83
; %bb.82:                               ;   in Loop: Header=BB150_13 Depth=1
	v_mul_f32_e32 v3, 0x3fb8aa3b, v69
	v_rndne_f32_e32 v5, v3
	s_mov_b32 s0, 0x3fb8aa3b
	v_sub_f32_e32 v6, v3, v5
	v_fma_f32 v3, v69, s0, -v3
	v_fmac_f32_e32 v3, 0x32a5705f, v69
	v_add_f32_e32 v3, v6, v3
	v_cvt_i32_f32_e32 v5, v5
	v_exp_f32_e32 v3, v3
	s_mov_b32 s0, 0xc2ce8ed0
	v_cmp_ngt_f32_e32 vcc, s0, v69
	s_mov_b32 s0, 0x42b17218
	v_ldexp_f32 v3, v3, v5
	v_cndmask_b32_e32 v3, 0, v3, vcc
	v_cmp_nlt_f32_e32 vcc, s0, v69
	v_mov_b32_e32 v5, 0x7f800000
	s_mov_b32 s0, 0x3f2aaaab
	v_cndmask_b32_e32 v5, v5, v3, vcc
	v_add_f32_e32 v3, 1.0, v5
	v_add_f32_e32 v6, -1.0, v3
	v_sub_f32_e32 v7, v6, v3
	v_add_f32_e32 v7, 1.0, v7
	v_sub_f32_e32 v6, v5, v6
	v_add_f32_e32 v36, v6, v7
	v_frexp_mant_f32_e32 v37, v3
	v_cvt_f64_f32_e32 v[6:7], v3
	v_frexp_exp_i32_f64_e32 v6, v[6:7]
	v_cmp_gt_f32_e32 vcc, s0, v37
	s_mov_b32 s0, 0x3f317218
	s_nop 0
	v_subbrev_co_u32_e32 v42, vcc, 0, v6, vcc
	v_sub_u32_e32 v6, 0, v42
	v_ldexp_f32 v3, v3, v6
	v_ldexp_f32 v6, v36, v6
	v_add_f32_e32 v36, -1.0, v3
	v_add_f32_e32 v7, 1.0, v36
	v_sub_f32_e32 v7, v3, v7
	v_add_f32_e32 v37, v6, v7
	v_add_f32_e32 v7, 1.0, v3
	v_add_f32_e32 v38, -1.0, v7
	v_sub_f32_e32 v3, v3, v38
	v_add_f32_e32 v3, v6, v3
	v_add_f32_e32 v43, v7, v3
	v_rcp_f32_e32 v44, v43
	v_sub_f32_e32 v6, v7, v43
	v_add_f32_e32 v7, v36, v37
	v_add_f32_e32 v3, v3, v6
	v_mul_f32_e32 v46, v7, v44
	v_sub_f32_e32 v6, v36, v7
	v_mul_f32_e32 v36, v43, v46
	v_fma_f32 v38, v46, v43, -v36
	v_fmac_f32_e32 v38, v46, v3
	v_add_f32_e32 v45, v37, v6
	v_add_f32_e32 v6, v36, v38
	v_sub_f32_e32 v37, v7, v6
	v_pk_add_f32 v[40:41], v[6:7], v[36:37] neg_lo:[0,1] neg_hi:[0,1]
	v_mov_b32_e32 v39, v6
	v_pk_add_f32 v[6:7], v[40:41], v[38:39] neg_lo:[0,1] neg_hi:[0,1]
	s_nop 0
	v_add_f32_e32 v7, v45, v7
	v_add_f32_e32 v6, v6, v7
	;; [unrolled: 1-line block ×3, first 2 shown]
	v_mul_f32_e32 v45, v44, v7
	v_mul_f32_e32 v36, v43, v45
	v_fma_f32 v38, v45, v43, -v36
	v_fmac_f32_e32 v38, v45, v3
	v_sub_f32_e32 v3, v37, v7
	v_add_f32_e32 v3, v6, v3
	v_add_f32_e32 v6, v36, v38
	v_sub_f32_e32 v37, v7, v6
	v_pk_add_f32 v[40:41], v[6:7], v[36:37] neg_lo:[0,1] neg_hi:[0,1]
	v_mov_b32_e32 v39, v6
	v_pk_add_f32 v[6:7], v[40:41], v[38:39] neg_lo:[0,1] neg_hi:[0,1]
	v_mov_b32_e32 v40, v52
	v_add_f32_e32 v3, v3, v7
	v_add_f32_e32 v3, v6, v3
	;; [unrolled: 1-line block ×4, first 2 shown]
	v_sub_f32_e32 v6, v7, v46
	v_mul_f32_e32 v3, v44, v3
	v_sub_f32_e32 v6, v45, v6
	v_add_f32_e32 v3, v6, v3
	v_add_f32_e32 v36, v7, v3
	v_mul_f32_e32 v38, v36, v36
	v_mov_b32_e32 v6, 0x3ecc95a3
	v_fmamk_f32 v6, v38, 0x3e9b6dac, v6
	v_fmaak_f32 v41, v38, v6, 0x3f2aaada
	v_cvt_f32_i32_e32 v6, v42
	v_sub_f32_e32 v7, v36, v7
	v_sub_f32_e32 v3, v3, v7
	v_mul_f32_e32 v7, v36, v38
	v_pk_mul_f32 v[38:39], v[6:7], v[40:41]
	v_ldexp_f32 v37, v36, 1
	v_fma_f32 v36, v6, s0, -v38
	v_fmac_f32_e32 v36, 0xb102e308, v6
	v_pk_add_f32 v[6:7], v[38:39], v[36:37]
	v_ldexp_f32 v3, v3, 1
	v_sub_f32_e32 v37, v7, v37
	v_sub_f32_e32 v37, v39, v37
	v_add_f32_e32 v41, v3, v37
	v_mov_b32_e32 v40, v38
	v_pk_add_f32 v[38:39], v[6:7], v[38:39] neg_lo:[0,1] neg_hi:[0,1]
	v_pk_add_f32 v[42:43], v[6:7], v[40:41]
	v_mov_b32_e32 v37, v6
	v_mov_b32_e32 v39, v43
	v_pk_add_f32 v[44:45], v[36:37], v[38:39] neg_lo:[0,1] neg_hi:[0,1]
	v_pk_add_f32 v[36:37], v[36:37], v[38:39]
	v_mov_b32_e32 v40, v41
	v_mov_b32_e32 v38, v37
	v_pk_add_f32 v[46:47], v[38:39], v[6:7] neg_lo:[0,1] neg_hi:[0,1]
	v_mov_b32_e32 v36, v43
	v_mov_b32_e32 v3, v46
	v_pk_add_f32 v[48:49], v[42:43], v[2:3] neg_lo:[0,1] neg_hi:[0,1]
	v_mov_b32_e32 v42, v7
	v_mov_b32_e32 v43, v46
	;; [unrolled: 1-line block ×3, first 2 shown]
	v_pk_add_f32 v[36:37], v[36:37], v[42:43] neg_lo:[0,1] neg_hi:[0,1]
	v_mov_b32_e32 v41, v6
	v_pk_add_f32 v[6:7], v[40:41], v[36:37] neg_lo:[0,1] neg_hi:[0,1]
	v_mov_b32_e32 v48, v44
	v_pk_add_f32 v[36:37], v[48:49], v[6:7]
	s_mov_b32 s0, 0x7f800000
	v_mov_b32_e32 v40, v37
	v_pk_add_f32 v[40:41], v[36:37], v[40:41]
	v_cmp_eq_f32_e32 vcc, s0, v5
	v_pk_add_f32 v[38:39], v[38:39], v[40:41]
	v_mov_b32_e32 v7, v40
	v_mov_b32_e32 v37, v38
	v_pk_add_f32 v[42:43], v[36:37], v[44:45] neg_lo:[0,1] neg_hi:[0,1]
	s_mov_b32 s0, 0x33800000
	v_sub_f32_e32 v3, v36, v42
	v_pk_add_f32 v[6:7], v[6:7], v[42:43] neg_lo:[0,1] neg_hi:[0,1]
	v_sub_f32_e32 v3, v44, v3
	v_add_f32_e32 v3, v6, v3
	v_add_f32_e32 v3, v3, v7
	v_cmp_gt_f32_e64 s[52:53], s0, v5
	v_add_f32_e32 v3, v38, v3
	s_or_b64 vcc, s[52:53], vcc
	v_cndmask_b32_e32 v69, v3, v5, vcc
.LBB150_83:                             ;   in Loop: Header=BB150_13 Depth=1
	s_or_b64 exec, exec, s[54:55]
	s_waitcnt lgkmcnt(5)
	v_add_f32_e32 v70, s56, v34
	s_mov_b32 s0, 0x41a00000
	v_cmp_ge_f32_e32 vcc, s0, v70
	v_readlane_b32 s0, v95, 24
	v_readlane_b32 s1, v95, 25
	s_and_b64 s[0:1], s[0:1], vcc
	s_and_saveexec_b64 s[54:55], s[0:1]
	s_cbranch_execz .LBB150_85
; %bb.84:                               ;   in Loop: Header=BB150_13 Depth=1
	v_mul_f32_e32 v3, 0x3fb8aa3b, v70
	v_rndne_f32_e32 v5, v3
	s_mov_b32 s0, 0x3fb8aa3b
	v_sub_f32_e32 v6, v3, v5
	v_fma_f32 v3, v70, s0, -v3
	v_fmac_f32_e32 v3, 0x32a5705f, v70
	v_add_f32_e32 v3, v6, v3
	v_cvt_i32_f32_e32 v5, v5
	v_exp_f32_e32 v3, v3
	s_mov_b32 s0, 0xc2ce8ed0
	v_cmp_ngt_f32_e32 vcc, s0, v70
	s_mov_b32 s0, 0x42b17218
	v_ldexp_f32 v3, v3, v5
	v_cndmask_b32_e32 v3, 0, v3, vcc
	v_cmp_nlt_f32_e32 vcc, s0, v70
	v_mov_b32_e32 v5, 0x7f800000
	s_mov_b32 s0, 0x3f2aaaab
	v_cndmask_b32_e32 v5, v5, v3, vcc
	v_add_f32_e32 v3, 1.0, v5
	v_add_f32_e32 v6, -1.0, v3
	v_sub_f32_e32 v7, v6, v3
	v_add_f32_e32 v7, 1.0, v7
	v_sub_f32_e32 v6, v5, v6
	v_add_f32_e32 v34, v6, v7
	v_frexp_mant_f32_e32 v36, v3
	v_cvt_f64_f32_e32 v[6:7], v3
	v_frexp_exp_i32_f64_e32 v6, v[6:7]
	v_cmp_gt_f32_e32 vcc, s0, v36
	s_mov_b32 s0, 0x3f317218
	s_nop 0
	v_subbrev_co_u32_e32 v42, vcc, 0, v6, vcc
	v_sub_u32_e32 v6, 0, v42
	v_ldexp_f32 v3, v3, v6
	v_ldexp_f32 v6, v34, v6
	v_add_f32_e32 v34, -1.0, v3
	v_add_f32_e32 v7, 1.0, v34
	v_sub_f32_e32 v7, v3, v7
	v_add_f32_e32 v36, v6, v7
	v_add_f32_e32 v7, 1.0, v3
	v_add_f32_e32 v37, -1.0, v7
	v_sub_f32_e32 v3, v3, v37
	v_add_f32_e32 v3, v6, v3
	v_add_f32_e32 v43, v7, v3
	v_rcp_f32_e32 v44, v43
	v_sub_f32_e32 v6, v7, v43
	v_add_f32_e32 v7, v34, v36
	v_add_f32_e32 v3, v3, v6
	v_sub_f32_e32 v6, v34, v7
	v_mul_f32_e32 v45, v7, v44
	v_add_f32_e32 v34, v36, v6
	v_mul_f32_e32 v36, v43, v45
	v_fma_f32 v38, v45, v43, -v36
	v_fmac_f32_e32 v38, v45, v3
	v_add_f32_e32 v6, v36, v38
	v_sub_f32_e32 v37, v7, v6
	v_pk_add_f32 v[40:41], v[6:7], v[36:37] neg_lo:[0,1] neg_hi:[0,1]
	v_mov_b32_e32 v39, v6
	v_pk_add_f32 v[6:7], v[40:41], v[38:39] neg_lo:[0,1] neg_hi:[0,1]
	s_nop 0
	v_add_f32_e32 v7, v34, v7
	v_add_f32_e32 v6, v6, v7
	;; [unrolled: 1-line block ×3, first 2 shown]
	v_mul_f32_e32 v34, v44, v7
	v_mul_f32_e32 v36, v43, v34
	v_fma_f32 v38, v34, v43, -v36
	v_fmac_f32_e32 v38, v34, v3
	v_sub_f32_e32 v3, v37, v7
	v_add_f32_e32 v3, v6, v3
	v_add_f32_e32 v6, v36, v38
	v_sub_f32_e32 v37, v7, v6
	v_pk_add_f32 v[40:41], v[6:7], v[36:37] neg_lo:[0,1] neg_hi:[0,1]
	v_mov_b32_e32 v39, v6
	v_pk_add_f32 v[6:7], v[40:41], v[38:39] neg_lo:[0,1] neg_hi:[0,1]
	v_mov_b32_e32 v38, v52
	v_add_f32_e32 v3, v3, v7
	v_add_f32_e32 v3, v6, v3
	;; [unrolled: 1-line block ×4, first 2 shown]
	v_sub_f32_e32 v6, v7, v45
	v_mul_f32_e32 v3, v44, v3
	v_sub_f32_e32 v6, v34, v6
	v_add_f32_e32 v3, v6, v3
	v_add_f32_e32 v34, v7, v3
	v_mul_f32_e32 v36, v34, v34
	v_mov_b32_e32 v6, 0x3ecc95a3
	v_fmamk_f32 v6, v36, 0x3e9b6dac, v6
	v_fmaak_f32 v39, v36, v6, 0x3f2aaada
	v_cvt_f32_i32_e32 v6, v42
	v_sub_f32_e32 v7, v34, v7
	v_sub_f32_e32 v3, v3, v7
	v_mul_f32_e32 v7, v34, v36
	v_pk_mul_f32 v[38:39], v[6:7], v[38:39]
	v_ldexp_f32 v37, v34, 1
	v_fma_f32 v36, v6, s0, -v38
	v_fmac_f32_e32 v36, 0xb102e308, v6
	v_pk_add_f32 v[6:7], v[38:39], v[36:37]
	v_ldexp_f32 v3, v3, 1
	v_sub_f32_e32 v34, v7, v37
	v_sub_f32_e32 v34, v39, v34
	v_add_f32_e32 v41, v3, v34
	v_mov_b32_e32 v40, v38
	v_pk_add_f32 v[38:39], v[6:7], v[38:39] neg_lo:[0,1] neg_hi:[0,1]
	v_pk_add_f32 v[42:43], v[6:7], v[40:41]
	v_mov_b32_e32 v37, v6
	v_mov_b32_e32 v39, v43
	v_pk_add_f32 v[44:45], v[36:37], v[38:39] neg_lo:[0,1] neg_hi:[0,1]
	v_pk_add_f32 v[36:37], v[36:37], v[38:39]
	s_mov_b32 s0, 0x7f800000
	v_mov_b32_e32 v34, v37
	v_pk_add_f32 v[38:39], v[34:35], v[6:7] neg_lo:[0,1] neg_hi:[0,1]
	v_mov_b32_e32 v36, v43
	v_mov_b32_e32 v3, v38
	v_pk_add_f32 v[46:47], v[42:43], v[2:3] neg_lo:[0,1] neg_hi:[0,1]
	v_mov_b32_e32 v42, v7
	v_mov_b32_e32 v43, v38
	;; [unrolled: 1-line block ×3, first 2 shown]
	v_pk_add_f32 v[36:37], v[36:37], v[42:43] neg_lo:[0,1] neg_hi:[0,1]
	v_mov_b32_e32 v38, v41
	v_mov_b32_e32 v39, v6
	v_pk_add_f32 v[6:7], v[38:39], v[36:37] neg_lo:[0,1] neg_hi:[0,1]
	v_mov_b32_e32 v46, v44
	v_pk_add_f32 v[36:37], v[46:47], v[6:7]
	v_cmp_eq_f32_e32 vcc, s0, v5
	v_mov_b32_e32 v38, v37
	v_pk_add_f32 v[38:39], v[36:37], v[38:39]
	s_mov_b32 s0, 0x33800000
	v_pk_add_f32 v[40:41], v[34:35], v[38:39]
	v_mov_b32_e32 v7, v38
	v_mov_b32_e32 v37, v40
	v_pk_add_f32 v[42:43], v[36:37], v[44:45] neg_lo:[0,1] neg_hi:[0,1]
	v_cmp_gt_f32_e64 s[52:53], s0, v5
	v_sub_f32_e32 v3, v36, v42
	v_pk_add_f32 v[6:7], v[6:7], v[42:43] neg_lo:[0,1] neg_hi:[0,1]
	v_sub_f32_e32 v3, v44, v3
	v_add_f32_e32 v3, v6, v3
	v_add_f32_e32 v3, v3, v7
	v_add_f32_e32 v3, v40, v3
	s_or_b64 vcc, s[52:53], vcc
	v_cndmask_b32_e32 v70, v3, v5, vcc
.LBB150_85:                             ;   in Loop: Header=BB150_13 Depth=1
	s_or_b64 exec, exec, s[54:55]
	v_add_f32_e32 v71, s56, v35
	s_mov_b32 s0, 0x41a00000
	v_cmp_ge_f32_e32 vcc, s0, v71
	v_readlane_b32 s0, v95, 24
	v_readlane_b32 s1, v95, 25
	s_and_b64 s[0:1], s[0:1], vcc
	s_and_saveexec_b64 s[54:55], s[0:1]
	s_cbranch_execz .LBB150_87
; %bb.86:                               ;   in Loop: Header=BB150_13 Depth=1
	v_mul_f32_e32 v3, 0x3fb8aa3b, v71
	v_rndne_f32_e32 v5, v3
	s_mov_b32 s0, 0x3fb8aa3b
	v_sub_f32_e32 v6, v3, v5
	v_fma_f32 v3, v71, s0, -v3
	v_fmac_f32_e32 v3, 0x32a5705f, v71
	v_add_f32_e32 v3, v6, v3
	v_cvt_i32_f32_e32 v5, v5
	v_exp_f32_e32 v3, v3
	s_mov_b32 s0, 0xc2ce8ed0
	v_cmp_ngt_f32_e32 vcc, s0, v71
	s_mov_b32 s0, 0x42b17218
	v_ldexp_f32 v3, v3, v5
	v_cndmask_b32_e32 v3, 0, v3, vcc
	v_cmp_nlt_f32_e32 vcc, s0, v71
	v_mov_b32_e32 v5, 0x7f800000
	s_mov_b32 s0, 0x3f2aaaab
	v_cndmask_b32_e32 v5, v5, v3, vcc
	v_add_f32_e32 v3, 1.0, v5
	v_add_f32_e32 v6, -1.0, v3
	v_sub_f32_e32 v7, v6, v3
	v_add_f32_e32 v7, 1.0, v7
	v_sub_f32_e32 v6, v5, v6
	v_add_f32_e32 v34, v6, v7
	v_frexp_mant_f32_e32 v35, v3
	v_cvt_f64_f32_e32 v[6:7], v3
	v_frexp_exp_i32_f64_e32 v6, v[6:7]
	v_cmp_gt_f32_e32 vcc, s0, v35
	s_mov_b32 s0, 0x3f317218
	s_nop 0
	v_subbrev_co_u32_e32 v40, vcc, 0, v6, vcc
	v_sub_u32_e32 v6, 0, v40
	v_ldexp_f32 v3, v3, v6
	v_ldexp_f32 v6, v34, v6
	v_add_f32_e32 v34, -1.0, v3
	v_add_f32_e32 v7, 1.0, v34
	v_sub_f32_e32 v7, v3, v7
	v_add_f32_e32 v35, v6, v7
	v_add_f32_e32 v7, 1.0, v3
	v_add_f32_e32 v36, -1.0, v7
	v_sub_f32_e32 v3, v3, v36
	v_add_f32_e32 v3, v6, v3
	v_add_f32_e32 v41, v7, v3
	v_rcp_f32_e32 v42, v41
	v_sub_f32_e32 v6, v7, v41
	v_add_f32_e32 v7, v34, v35
	v_add_f32_e32 v3, v3, v6
	v_mul_f32_e32 v44, v7, v42
	v_sub_f32_e32 v6, v34, v7
	v_mul_f32_e32 v34, v41, v44
	v_fma_f32 v36, v44, v41, -v34
	v_fmac_f32_e32 v36, v44, v3
	v_add_f32_e32 v43, v35, v6
	v_add_f32_e32 v6, v34, v36
	v_sub_f32_e32 v35, v7, v6
	v_pk_add_f32 v[38:39], v[6:7], v[34:35] neg_lo:[0,1] neg_hi:[0,1]
	v_mov_b32_e32 v37, v6
	v_pk_add_f32 v[6:7], v[38:39], v[36:37] neg_lo:[0,1] neg_hi:[0,1]
	s_nop 0
	v_add_f32_e32 v7, v43, v7
	v_add_f32_e32 v6, v6, v7
	;; [unrolled: 1-line block ×3, first 2 shown]
	v_mul_f32_e32 v43, v42, v7
	v_mul_f32_e32 v34, v41, v43
	v_fma_f32 v36, v43, v41, -v34
	v_fmac_f32_e32 v36, v43, v3
	v_sub_f32_e32 v3, v35, v7
	v_add_f32_e32 v3, v6, v3
	v_add_f32_e32 v6, v34, v36
	v_sub_f32_e32 v35, v7, v6
	v_pk_add_f32 v[38:39], v[6:7], v[34:35] neg_lo:[0,1] neg_hi:[0,1]
	v_mov_b32_e32 v37, v6
	v_pk_add_f32 v[6:7], v[38:39], v[36:37] neg_lo:[0,1] neg_hi:[0,1]
	v_mov_b32_e32 v38, v52
	v_add_f32_e32 v3, v3, v7
	v_add_f32_e32 v3, v6, v3
	v_add_f32_e32 v7, v44, v43
	v_add_f32_e32 v3, v35, v3
	v_sub_f32_e32 v6, v7, v44
	v_mul_f32_e32 v3, v42, v3
	v_sub_f32_e32 v6, v43, v6
	v_add_f32_e32 v3, v6, v3
	v_add_f32_e32 v34, v7, v3
	v_mul_f32_e32 v36, v34, v34
	v_mov_b32_e32 v6, 0x3ecc95a3
	v_fmamk_f32 v6, v36, 0x3e9b6dac, v6
	v_fmaak_f32 v39, v36, v6, 0x3f2aaada
	v_cvt_f32_i32_e32 v6, v40
	v_sub_f32_e32 v7, v34, v7
	v_sub_f32_e32 v3, v3, v7
	v_mul_f32_e32 v7, v34, v36
	v_pk_mul_f32 v[36:37], v[6:7], v[38:39]
	v_ldexp_f32 v35, v34, 1
	v_fma_f32 v34, v6, s0, -v36
	v_fmac_f32_e32 v34, 0xb102e308, v6
	v_pk_add_f32 v[6:7], v[36:37], v[34:35]
	v_ldexp_f32 v3, v3, 1
	v_sub_f32_e32 v35, v7, v35
	v_sub_f32_e32 v35, v37, v35
	v_add_f32_e32 v39, v3, v35
	v_mov_b32_e32 v38, v36
	v_pk_add_f32 v[36:37], v[6:7], v[36:37] neg_lo:[0,1] neg_hi:[0,1]
	v_pk_add_f32 v[40:41], v[6:7], v[38:39]
	v_mov_b32_e32 v35, v6
	v_mov_b32_e32 v37, v41
	v_pk_add_f32 v[42:43], v[34:35], v[36:37] neg_lo:[0,1] neg_hi:[0,1]
	v_pk_add_f32 v[34:35], v[34:35], v[36:37]
	v_mov_b32_e32 v38, v39
	v_mov_b32_e32 v36, v35
	v_pk_add_f32 v[44:45], v[36:37], v[6:7] neg_lo:[0,1] neg_hi:[0,1]
	v_mov_b32_e32 v34, v41
	v_mov_b32_e32 v3, v44
	v_pk_add_f32 v[46:47], v[40:41], v[2:3] neg_lo:[0,1] neg_hi:[0,1]
	v_mov_b32_e32 v40, v7
	v_mov_b32_e32 v41, v44
	;; [unrolled: 1-line block ×3, first 2 shown]
	v_pk_add_f32 v[34:35], v[34:35], v[40:41] neg_lo:[0,1] neg_hi:[0,1]
	v_mov_b32_e32 v39, v6
	v_pk_add_f32 v[6:7], v[38:39], v[34:35] neg_lo:[0,1] neg_hi:[0,1]
	v_mov_b32_e32 v46, v42
	v_pk_add_f32 v[34:35], v[46:47], v[6:7]
	s_mov_b32 s0, 0x7f800000
	v_mov_b32_e32 v38, v35
	v_pk_add_f32 v[38:39], v[34:35], v[38:39]
	v_cmp_eq_f32_e32 vcc, s0, v5
	v_pk_add_f32 v[36:37], v[36:37], v[38:39]
	v_mov_b32_e32 v7, v38
	v_mov_b32_e32 v35, v36
	v_pk_add_f32 v[40:41], v[34:35], v[42:43] neg_lo:[0,1] neg_hi:[0,1]
	s_mov_b32 s0, 0x33800000
	v_sub_f32_e32 v3, v34, v40
	v_pk_add_f32 v[6:7], v[6:7], v[40:41] neg_lo:[0,1] neg_hi:[0,1]
	v_sub_f32_e32 v3, v42, v3
	v_add_f32_e32 v3, v6, v3
	v_add_f32_e32 v3, v3, v7
	v_cmp_gt_f32_e64 s[52:53], s0, v5
	v_add_f32_e32 v3, v36, v3
	s_or_b64 vcc, s[52:53], vcc
	v_cndmask_b32_e32 v71, v3, v5, vcc
.LBB150_87:                             ;   in Loop: Header=BB150_13 Depth=1
	s_or_b64 exec, exec, s[54:55]
	s_waitcnt lgkmcnt(4)
	v_add_f32_e32 v72, s56, v32
	s_mov_b32 s0, 0x41a00000
	v_cmp_ge_f32_e32 vcc, s0, v72
	v_readlane_b32 s0, v95, 24
	v_readlane_b32 s1, v95, 25
	s_and_b64 s[0:1], s[0:1], vcc
	s_and_saveexec_b64 s[54:55], s[0:1]
	s_cbranch_execz .LBB150_89
; %bb.88:                               ;   in Loop: Header=BB150_13 Depth=1
	v_mul_f32_e32 v3, 0x3fb8aa3b, v72
	v_rndne_f32_e32 v5, v3
	s_mov_b32 s0, 0x3fb8aa3b
	v_sub_f32_e32 v6, v3, v5
	v_fma_f32 v3, v72, s0, -v3
	v_fmac_f32_e32 v3, 0x32a5705f, v72
	v_add_f32_e32 v3, v6, v3
	v_cvt_i32_f32_e32 v5, v5
	v_exp_f32_e32 v3, v3
	s_mov_b32 s0, 0xc2ce8ed0
	v_cmp_ngt_f32_e32 vcc, s0, v72
	s_mov_b32 s0, 0x42b17218
	v_ldexp_f32 v3, v3, v5
	v_cndmask_b32_e32 v3, 0, v3, vcc
	v_cmp_nlt_f32_e32 vcc, s0, v72
	v_mov_b32_e32 v5, 0x7f800000
	s_mov_b32 s0, 0x3f2aaaab
	v_cndmask_b32_e32 v5, v5, v3, vcc
	v_add_f32_e32 v3, 1.0, v5
	v_add_f32_e32 v6, -1.0, v3
	v_sub_f32_e32 v7, v6, v3
	v_add_f32_e32 v7, 1.0, v7
	v_sub_f32_e32 v6, v5, v6
	v_add_f32_e32 v32, v6, v7
	v_frexp_mant_f32_e32 v34, v3
	v_cvt_f64_f32_e32 v[6:7], v3
	v_frexp_exp_i32_f64_e32 v6, v[6:7]
	v_cmp_gt_f32_e32 vcc, s0, v34
	s_mov_b32 s0, 0x3f317218
	s_nop 0
	v_subbrev_co_u32_e32 v40, vcc, 0, v6, vcc
	v_sub_u32_e32 v6, 0, v40
	v_ldexp_f32 v3, v3, v6
	v_ldexp_f32 v6, v32, v6
	v_add_f32_e32 v32, -1.0, v3
	v_add_f32_e32 v7, 1.0, v32
	v_sub_f32_e32 v7, v3, v7
	v_add_f32_e32 v34, v6, v7
	v_add_f32_e32 v7, 1.0, v3
	v_add_f32_e32 v35, -1.0, v7
	v_sub_f32_e32 v3, v3, v35
	v_add_f32_e32 v3, v6, v3
	v_add_f32_e32 v41, v7, v3
	v_rcp_f32_e32 v42, v41
	v_sub_f32_e32 v6, v7, v41
	v_add_f32_e32 v7, v32, v34
	v_add_f32_e32 v3, v3, v6
	v_sub_f32_e32 v6, v32, v7
	v_mul_f32_e32 v43, v7, v42
	v_add_f32_e32 v32, v34, v6
	v_mul_f32_e32 v34, v41, v43
	v_fma_f32 v36, v43, v41, -v34
	v_fmac_f32_e32 v36, v43, v3
	v_add_f32_e32 v6, v34, v36
	v_sub_f32_e32 v35, v7, v6
	v_pk_add_f32 v[38:39], v[6:7], v[34:35] neg_lo:[0,1] neg_hi:[0,1]
	v_mov_b32_e32 v37, v6
	v_pk_add_f32 v[6:7], v[38:39], v[36:37] neg_lo:[0,1] neg_hi:[0,1]
	s_nop 0
	v_add_f32_e32 v7, v32, v7
	v_add_f32_e32 v6, v6, v7
	v_add_f32_e32 v7, v35, v6
	v_mul_f32_e32 v32, v42, v7
	v_mul_f32_e32 v34, v41, v32
	v_fma_f32 v36, v32, v41, -v34
	v_fmac_f32_e32 v36, v32, v3
	v_sub_f32_e32 v3, v35, v7
	v_add_f32_e32 v3, v6, v3
	v_add_f32_e32 v6, v34, v36
	v_sub_f32_e32 v35, v7, v6
	v_pk_add_f32 v[38:39], v[6:7], v[34:35] neg_lo:[0,1] neg_hi:[0,1]
	v_mov_b32_e32 v37, v6
	v_pk_add_f32 v[6:7], v[38:39], v[36:37] neg_lo:[0,1] neg_hi:[0,1]
	v_mov_b32_e32 v36, v52
	v_add_f32_e32 v3, v3, v7
	v_add_f32_e32 v3, v6, v3
	;; [unrolled: 1-line block ×4, first 2 shown]
	v_sub_f32_e32 v6, v7, v43
	v_mul_f32_e32 v3, v42, v3
	v_sub_f32_e32 v6, v32, v6
	v_add_f32_e32 v3, v6, v3
	v_add_f32_e32 v32, v7, v3
	v_mul_f32_e32 v34, v32, v32
	v_mov_b32_e32 v6, 0x3ecc95a3
	v_fmamk_f32 v6, v34, 0x3e9b6dac, v6
	v_fmaak_f32 v37, v34, v6, 0x3f2aaada
	v_cvt_f32_i32_e32 v6, v40
	v_sub_f32_e32 v7, v32, v7
	v_sub_f32_e32 v3, v3, v7
	v_mul_f32_e32 v7, v32, v34
	v_pk_mul_f32 v[36:37], v[6:7], v[36:37]
	v_ldexp_f32 v35, v32, 1
	v_fma_f32 v34, v6, s0, -v36
	v_fmac_f32_e32 v34, 0xb102e308, v6
	v_pk_add_f32 v[6:7], v[36:37], v[34:35]
	v_ldexp_f32 v3, v3, 1
	v_sub_f32_e32 v32, v7, v35
	v_sub_f32_e32 v32, v37, v32
	v_add_f32_e32 v39, v3, v32
	v_mov_b32_e32 v38, v36
	v_pk_add_f32 v[36:37], v[6:7], v[36:37] neg_lo:[0,1] neg_hi:[0,1]
	v_pk_add_f32 v[40:41], v[6:7], v[38:39]
	v_mov_b32_e32 v35, v6
	v_mov_b32_e32 v37, v41
	v_pk_add_f32 v[42:43], v[34:35], v[36:37] neg_lo:[0,1] neg_hi:[0,1]
	v_pk_add_f32 v[34:35], v[34:35], v[36:37]
	s_mov_b32 s0, 0x7f800000
	v_mov_b32_e32 v32, v35
	v_pk_add_f32 v[36:37], v[32:33], v[6:7] neg_lo:[0,1] neg_hi:[0,1]
	v_mov_b32_e32 v34, v41
	v_mov_b32_e32 v3, v36
	v_pk_add_f32 v[44:45], v[40:41], v[2:3] neg_lo:[0,1] neg_hi:[0,1]
	v_mov_b32_e32 v40, v7
	v_mov_b32_e32 v41, v36
	;; [unrolled: 1-line block ×3, first 2 shown]
	v_pk_add_f32 v[34:35], v[34:35], v[40:41] neg_lo:[0,1] neg_hi:[0,1]
	v_mov_b32_e32 v36, v39
	v_mov_b32_e32 v37, v6
	v_pk_add_f32 v[6:7], v[36:37], v[34:35] neg_lo:[0,1] neg_hi:[0,1]
	v_mov_b32_e32 v44, v42
	v_pk_add_f32 v[34:35], v[44:45], v[6:7]
	v_cmp_eq_f32_e32 vcc, s0, v5
	v_mov_b32_e32 v36, v35
	v_pk_add_f32 v[36:37], v[34:35], v[36:37]
	s_mov_b32 s0, 0x33800000
	v_pk_add_f32 v[38:39], v[32:33], v[36:37]
	v_mov_b32_e32 v7, v36
	v_mov_b32_e32 v35, v38
	v_pk_add_f32 v[40:41], v[34:35], v[42:43] neg_lo:[0,1] neg_hi:[0,1]
	v_cmp_gt_f32_e64 s[52:53], s0, v5
	v_sub_f32_e32 v3, v34, v40
	v_pk_add_f32 v[6:7], v[6:7], v[40:41] neg_lo:[0,1] neg_hi:[0,1]
	v_sub_f32_e32 v3, v42, v3
	v_add_f32_e32 v3, v6, v3
	v_add_f32_e32 v3, v3, v7
	;; [unrolled: 1-line block ×3, first 2 shown]
	s_or_b64 vcc, s[52:53], vcc
	v_cndmask_b32_e32 v72, v3, v5, vcc
.LBB150_89:                             ;   in Loop: Header=BB150_13 Depth=1
	s_or_b64 exec, exec, s[54:55]
	v_add_f32_e32 v73, s56, v33
	s_mov_b32 s0, 0x41a00000
	v_cmp_ge_f32_e32 vcc, s0, v73
	v_readlane_b32 s0, v95, 24
	v_readlane_b32 s1, v95, 25
	s_and_b64 s[0:1], s[0:1], vcc
	s_and_saveexec_b64 s[54:55], s[0:1]
	s_cbranch_execz .LBB150_91
; %bb.90:                               ;   in Loop: Header=BB150_13 Depth=1
	v_mul_f32_e32 v3, 0x3fb8aa3b, v73
	v_rndne_f32_e32 v5, v3
	s_mov_b32 s0, 0x3fb8aa3b
	v_sub_f32_e32 v6, v3, v5
	v_fma_f32 v3, v73, s0, -v3
	v_fmac_f32_e32 v3, 0x32a5705f, v73
	v_add_f32_e32 v3, v6, v3
	v_cvt_i32_f32_e32 v5, v5
	v_exp_f32_e32 v3, v3
	s_mov_b32 s0, 0xc2ce8ed0
	v_cmp_ngt_f32_e32 vcc, s0, v73
	s_mov_b32 s0, 0x42b17218
	v_ldexp_f32 v3, v3, v5
	v_cndmask_b32_e32 v3, 0, v3, vcc
	v_cmp_nlt_f32_e32 vcc, s0, v73
	v_mov_b32_e32 v5, 0x7f800000
	s_mov_b32 s0, 0x3f2aaaab
	v_cndmask_b32_e32 v5, v5, v3, vcc
	v_add_f32_e32 v3, 1.0, v5
	v_add_f32_e32 v6, -1.0, v3
	v_sub_f32_e32 v7, v6, v3
	v_add_f32_e32 v7, 1.0, v7
	v_sub_f32_e32 v6, v5, v6
	v_add_f32_e32 v32, v6, v7
	v_frexp_mant_f32_e32 v33, v3
	v_cvt_f64_f32_e32 v[6:7], v3
	v_frexp_exp_i32_f64_e32 v6, v[6:7]
	v_cmp_gt_f32_e32 vcc, s0, v33
	s_mov_b32 s0, 0x3f317218
	s_nop 0
	v_subbrev_co_u32_e32 v38, vcc, 0, v6, vcc
	v_sub_u32_e32 v6, 0, v38
	v_ldexp_f32 v3, v3, v6
	v_ldexp_f32 v6, v32, v6
	v_add_f32_e32 v32, -1.0, v3
	v_add_f32_e32 v7, 1.0, v32
	v_sub_f32_e32 v7, v3, v7
	v_add_f32_e32 v33, v6, v7
	v_add_f32_e32 v7, 1.0, v3
	v_add_f32_e32 v34, -1.0, v7
	v_sub_f32_e32 v3, v3, v34
	v_add_f32_e32 v3, v6, v3
	v_add_f32_e32 v39, v7, v3
	v_rcp_f32_e32 v40, v39
	v_sub_f32_e32 v6, v7, v39
	v_add_f32_e32 v7, v32, v33
	v_add_f32_e32 v3, v3, v6
	v_mul_f32_e32 v42, v7, v40
	v_sub_f32_e32 v6, v32, v7
	v_mul_f32_e32 v32, v39, v42
	v_fma_f32 v34, v42, v39, -v32
	v_fmac_f32_e32 v34, v42, v3
	v_add_f32_e32 v41, v33, v6
	v_add_f32_e32 v6, v32, v34
	v_sub_f32_e32 v33, v7, v6
	v_pk_add_f32 v[36:37], v[6:7], v[32:33] neg_lo:[0,1] neg_hi:[0,1]
	v_mov_b32_e32 v35, v6
	v_pk_add_f32 v[6:7], v[36:37], v[34:35] neg_lo:[0,1] neg_hi:[0,1]
	s_nop 0
	v_add_f32_e32 v7, v41, v7
	v_add_f32_e32 v6, v6, v7
	;; [unrolled: 1-line block ×3, first 2 shown]
	v_mul_f32_e32 v41, v40, v7
	v_mul_f32_e32 v32, v39, v41
	v_fma_f32 v34, v41, v39, -v32
	v_fmac_f32_e32 v34, v41, v3
	v_sub_f32_e32 v3, v33, v7
	v_add_f32_e32 v3, v6, v3
	v_add_f32_e32 v6, v32, v34
	v_sub_f32_e32 v33, v7, v6
	v_pk_add_f32 v[36:37], v[6:7], v[32:33] neg_lo:[0,1] neg_hi:[0,1]
	v_mov_b32_e32 v35, v6
	v_pk_add_f32 v[6:7], v[36:37], v[34:35] neg_lo:[0,1] neg_hi:[0,1]
	v_mov_b32_e32 v36, v52
	v_add_f32_e32 v3, v3, v7
	v_add_f32_e32 v3, v6, v3
	;; [unrolled: 1-line block ×4, first 2 shown]
	v_sub_f32_e32 v6, v7, v42
	v_mul_f32_e32 v3, v40, v3
	v_sub_f32_e32 v6, v41, v6
	v_add_f32_e32 v3, v6, v3
	v_add_f32_e32 v32, v7, v3
	v_mul_f32_e32 v34, v32, v32
	v_mov_b32_e32 v6, 0x3ecc95a3
	v_fmamk_f32 v6, v34, 0x3e9b6dac, v6
	v_fmaak_f32 v37, v34, v6, 0x3f2aaada
	v_cvt_f32_i32_e32 v6, v38
	v_sub_f32_e32 v7, v32, v7
	v_sub_f32_e32 v3, v3, v7
	v_mul_f32_e32 v7, v32, v34
	v_pk_mul_f32 v[34:35], v[6:7], v[36:37]
	v_ldexp_f32 v33, v32, 1
	v_fma_f32 v32, v6, s0, -v34
	v_fmac_f32_e32 v32, 0xb102e308, v6
	v_pk_add_f32 v[6:7], v[34:35], v[32:33]
	v_ldexp_f32 v3, v3, 1
	v_sub_f32_e32 v33, v7, v33
	v_sub_f32_e32 v33, v35, v33
	v_add_f32_e32 v37, v3, v33
	v_mov_b32_e32 v36, v34
	v_pk_add_f32 v[34:35], v[6:7], v[34:35] neg_lo:[0,1] neg_hi:[0,1]
	v_pk_add_f32 v[38:39], v[6:7], v[36:37]
	v_mov_b32_e32 v33, v6
	v_mov_b32_e32 v35, v39
	v_pk_add_f32 v[40:41], v[32:33], v[34:35] neg_lo:[0,1] neg_hi:[0,1]
	v_pk_add_f32 v[32:33], v[32:33], v[34:35]
	v_mov_b32_e32 v36, v37
	v_mov_b32_e32 v34, v33
	v_pk_add_f32 v[42:43], v[34:35], v[6:7] neg_lo:[0,1] neg_hi:[0,1]
	v_mov_b32_e32 v32, v39
	v_mov_b32_e32 v3, v42
	v_pk_add_f32 v[44:45], v[38:39], v[2:3] neg_lo:[0,1] neg_hi:[0,1]
	v_mov_b32_e32 v38, v7
	v_mov_b32_e32 v39, v42
	;; [unrolled: 1-line block ×3, first 2 shown]
	v_pk_add_f32 v[32:33], v[32:33], v[38:39] neg_lo:[0,1] neg_hi:[0,1]
	v_mov_b32_e32 v37, v6
	v_pk_add_f32 v[6:7], v[36:37], v[32:33] neg_lo:[0,1] neg_hi:[0,1]
	v_mov_b32_e32 v44, v40
	v_pk_add_f32 v[32:33], v[44:45], v[6:7]
	s_mov_b32 s0, 0x7f800000
	v_mov_b32_e32 v36, v33
	v_pk_add_f32 v[36:37], v[32:33], v[36:37]
	v_cmp_eq_f32_e32 vcc, s0, v5
	v_pk_add_f32 v[34:35], v[34:35], v[36:37]
	v_mov_b32_e32 v7, v36
	v_mov_b32_e32 v33, v34
	v_pk_add_f32 v[38:39], v[32:33], v[40:41] neg_lo:[0,1] neg_hi:[0,1]
	s_mov_b32 s0, 0x33800000
	v_sub_f32_e32 v3, v32, v38
	v_pk_add_f32 v[6:7], v[6:7], v[38:39] neg_lo:[0,1] neg_hi:[0,1]
	v_sub_f32_e32 v3, v40, v3
	v_add_f32_e32 v3, v6, v3
	v_add_f32_e32 v3, v3, v7
	v_cmp_gt_f32_e64 s[52:53], s0, v5
	v_add_f32_e32 v3, v34, v3
	s_or_b64 vcc, s[52:53], vcc
	v_cndmask_b32_e32 v73, v3, v5, vcc
.LBB150_91:                             ;   in Loop: Header=BB150_13 Depth=1
	s_or_b64 exec, exec, s[54:55]
	s_waitcnt lgkmcnt(3)
	v_add_f32_e32 v74, s56, v30
	s_mov_b32 s0, 0x41a00000
	v_cmp_ge_f32_e32 vcc, s0, v74
	v_readlane_b32 s0, v95, 24
	v_readlane_b32 s1, v95, 25
	s_and_b64 s[0:1], s[0:1], vcc
	s_and_saveexec_b64 s[54:55], s[0:1]
	s_cbranch_execz .LBB150_93
; %bb.92:                               ;   in Loop: Header=BB150_13 Depth=1
	v_mul_f32_e32 v3, 0x3fb8aa3b, v74
	v_rndne_f32_e32 v5, v3
	s_mov_b32 s0, 0x3fb8aa3b
	v_sub_f32_e32 v6, v3, v5
	v_fma_f32 v3, v74, s0, -v3
	v_fmac_f32_e32 v3, 0x32a5705f, v74
	v_add_f32_e32 v3, v6, v3
	v_cvt_i32_f32_e32 v5, v5
	v_exp_f32_e32 v3, v3
	s_mov_b32 s0, 0xc2ce8ed0
	v_cmp_ngt_f32_e32 vcc, s0, v74
	s_mov_b32 s0, 0x42b17218
	v_ldexp_f32 v3, v3, v5
	v_cndmask_b32_e32 v3, 0, v3, vcc
	v_cmp_nlt_f32_e32 vcc, s0, v74
	v_mov_b32_e32 v5, 0x7f800000
	s_mov_b32 s0, 0x3f2aaaab
	v_cndmask_b32_e32 v5, v5, v3, vcc
	v_add_f32_e32 v3, 1.0, v5
	v_add_f32_e32 v6, -1.0, v3
	v_sub_f32_e32 v7, v6, v3
	v_add_f32_e32 v7, 1.0, v7
	v_sub_f32_e32 v6, v5, v6
	v_add_f32_e32 v30, v6, v7
	v_frexp_mant_f32_e32 v32, v3
	v_cvt_f64_f32_e32 v[6:7], v3
	v_frexp_exp_i32_f64_e32 v6, v[6:7]
	v_cmp_gt_f32_e32 vcc, s0, v32
	s_mov_b32 s0, 0x3f317218
	s_nop 0
	v_subbrev_co_u32_e32 v38, vcc, 0, v6, vcc
	v_sub_u32_e32 v6, 0, v38
	v_ldexp_f32 v3, v3, v6
	v_ldexp_f32 v6, v30, v6
	v_add_f32_e32 v30, -1.0, v3
	v_add_f32_e32 v7, 1.0, v30
	v_sub_f32_e32 v7, v3, v7
	v_add_f32_e32 v32, v6, v7
	v_add_f32_e32 v7, 1.0, v3
	v_add_f32_e32 v33, -1.0, v7
	v_sub_f32_e32 v3, v3, v33
	v_add_f32_e32 v3, v6, v3
	v_add_f32_e32 v39, v7, v3
	v_rcp_f32_e32 v40, v39
	v_sub_f32_e32 v6, v7, v39
	v_add_f32_e32 v7, v30, v32
	v_add_f32_e32 v3, v3, v6
	v_sub_f32_e32 v6, v30, v7
	v_mul_f32_e32 v41, v7, v40
	v_add_f32_e32 v30, v32, v6
	v_mul_f32_e32 v32, v39, v41
	v_fma_f32 v34, v41, v39, -v32
	v_fmac_f32_e32 v34, v41, v3
	v_add_f32_e32 v6, v32, v34
	v_sub_f32_e32 v33, v7, v6
	v_pk_add_f32 v[36:37], v[6:7], v[32:33] neg_lo:[0,1] neg_hi:[0,1]
	v_mov_b32_e32 v35, v6
	v_pk_add_f32 v[6:7], v[36:37], v[34:35] neg_lo:[0,1] neg_hi:[0,1]
	s_nop 0
	v_add_f32_e32 v7, v30, v7
	v_add_f32_e32 v6, v6, v7
	;; [unrolled: 1-line block ×3, first 2 shown]
	v_mul_f32_e32 v30, v40, v7
	v_mul_f32_e32 v32, v39, v30
	v_fma_f32 v34, v30, v39, -v32
	v_fmac_f32_e32 v34, v30, v3
	v_sub_f32_e32 v3, v33, v7
	v_add_f32_e32 v3, v6, v3
	v_add_f32_e32 v6, v32, v34
	v_sub_f32_e32 v33, v7, v6
	v_pk_add_f32 v[36:37], v[6:7], v[32:33] neg_lo:[0,1] neg_hi:[0,1]
	v_mov_b32_e32 v35, v6
	v_pk_add_f32 v[6:7], v[36:37], v[34:35] neg_lo:[0,1] neg_hi:[0,1]
	v_mov_b32_e32 v34, v52
	v_add_f32_e32 v3, v3, v7
	v_add_f32_e32 v3, v6, v3
	;; [unrolled: 1-line block ×4, first 2 shown]
	v_sub_f32_e32 v6, v7, v41
	v_mul_f32_e32 v3, v40, v3
	v_sub_f32_e32 v6, v30, v6
	v_add_f32_e32 v3, v6, v3
	v_add_f32_e32 v30, v7, v3
	v_mul_f32_e32 v32, v30, v30
	v_mov_b32_e32 v6, 0x3ecc95a3
	v_fmamk_f32 v6, v32, 0x3e9b6dac, v6
	v_fmaak_f32 v35, v32, v6, 0x3f2aaada
	v_cvt_f32_i32_e32 v6, v38
	v_sub_f32_e32 v7, v30, v7
	v_sub_f32_e32 v3, v3, v7
	v_mul_f32_e32 v7, v30, v32
	v_pk_mul_f32 v[34:35], v[6:7], v[34:35]
	v_ldexp_f32 v33, v30, 1
	v_fma_f32 v32, v6, s0, -v34
	v_fmac_f32_e32 v32, 0xb102e308, v6
	v_pk_add_f32 v[6:7], v[34:35], v[32:33]
	v_ldexp_f32 v3, v3, 1
	v_sub_f32_e32 v30, v7, v33
	v_sub_f32_e32 v30, v35, v30
	v_add_f32_e32 v37, v3, v30
	v_mov_b32_e32 v36, v34
	v_pk_add_f32 v[34:35], v[6:7], v[34:35] neg_lo:[0,1] neg_hi:[0,1]
	v_pk_add_f32 v[38:39], v[6:7], v[36:37]
	v_mov_b32_e32 v33, v6
	v_mov_b32_e32 v35, v39
	v_pk_add_f32 v[40:41], v[32:33], v[34:35] neg_lo:[0,1] neg_hi:[0,1]
	v_pk_add_f32 v[32:33], v[32:33], v[34:35]
	s_mov_b32 s0, 0x7f800000
	v_mov_b32_e32 v30, v33
	v_pk_add_f32 v[34:35], v[30:31], v[6:7] neg_lo:[0,1] neg_hi:[0,1]
	v_mov_b32_e32 v32, v39
	v_mov_b32_e32 v3, v34
	v_pk_add_f32 v[42:43], v[38:39], v[2:3] neg_lo:[0,1] neg_hi:[0,1]
	v_mov_b32_e32 v38, v7
	v_mov_b32_e32 v39, v34
	;; [unrolled: 1-line block ×3, first 2 shown]
	v_pk_add_f32 v[32:33], v[32:33], v[38:39] neg_lo:[0,1] neg_hi:[0,1]
	v_mov_b32_e32 v34, v37
	v_mov_b32_e32 v35, v6
	v_pk_add_f32 v[6:7], v[34:35], v[32:33] neg_lo:[0,1] neg_hi:[0,1]
	v_mov_b32_e32 v42, v40
	v_pk_add_f32 v[32:33], v[42:43], v[6:7]
	v_cmp_eq_f32_e32 vcc, s0, v5
	v_mov_b32_e32 v34, v33
	v_pk_add_f32 v[34:35], v[32:33], v[34:35]
	s_mov_b32 s0, 0x33800000
	v_pk_add_f32 v[36:37], v[30:31], v[34:35]
	v_mov_b32_e32 v7, v34
	v_mov_b32_e32 v33, v36
	v_pk_add_f32 v[38:39], v[32:33], v[40:41] neg_lo:[0,1] neg_hi:[0,1]
	v_cmp_gt_f32_e64 s[52:53], s0, v5
	v_sub_f32_e32 v3, v32, v38
	v_pk_add_f32 v[6:7], v[6:7], v[38:39] neg_lo:[0,1] neg_hi:[0,1]
	v_sub_f32_e32 v3, v40, v3
	v_add_f32_e32 v3, v6, v3
	v_add_f32_e32 v3, v3, v7
	;; [unrolled: 1-line block ×3, first 2 shown]
	s_or_b64 vcc, s[52:53], vcc
	v_cndmask_b32_e32 v74, v3, v5, vcc
.LBB150_93:                             ;   in Loop: Header=BB150_13 Depth=1
	s_or_b64 exec, exec, s[54:55]
	v_add_f32_e32 v75, s56, v31
	s_mov_b32 s0, 0x41a00000
	v_cmp_ge_f32_e32 vcc, s0, v75
	v_readlane_b32 s0, v95, 24
	v_readlane_b32 s1, v95, 25
	s_and_b64 s[0:1], s[0:1], vcc
	s_mov_b64 s[54:55], exec
	s_and_b64 s[0:1], s[54:55], s[0:1]
	v_mov_b32_e32 v42, v52
	s_mov_b64 exec, s[0:1]
	s_cbranch_execz .LBB150_95
; %bb.94:                               ;   in Loop: Header=BB150_13 Depth=1
	v_mul_f32_e32 v3, 0x3fb8aa3b, v75
	v_rndne_f32_e32 v5, v3
	s_mov_b32 s0, 0x3fb8aa3b
	v_sub_f32_e32 v6, v3, v5
	v_fma_f32 v3, v75, s0, -v3
	v_fmac_f32_e32 v3, 0x32a5705f, v75
	v_add_f32_e32 v3, v6, v3
	v_cvt_i32_f32_e32 v5, v5
	v_exp_f32_e32 v3, v3
	s_mov_b32 s0, 0xc2ce8ed0
	v_cmp_ngt_f32_e32 vcc, s0, v75
	s_mov_b32 s0, 0x42b17218
	v_ldexp_f32 v3, v3, v5
	v_cndmask_b32_e32 v3, 0, v3, vcc
	v_cmp_nlt_f32_e32 vcc, s0, v75
	v_mov_b32_e32 v5, 0x7f800000
	s_mov_b32 s0, 0x3f2aaaab
	v_cndmask_b32_e32 v5, v5, v3, vcc
	v_add_f32_e32 v3, 1.0, v5
	v_add_f32_e32 v6, -1.0, v3
	v_sub_f32_e32 v7, v6, v3
	v_add_f32_e32 v7, 1.0, v7
	v_sub_f32_e32 v6, v5, v6
	v_add_f32_e32 v30, v6, v7
	v_frexp_mant_f32_e32 v31, v3
	v_cvt_f64_f32_e32 v[6:7], v3
	v_frexp_exp_i32_f64_e32 v6, v[6:7]
	v_cmp_gt_f32_e32 vcc, s0, v31
	s_mov_b32 s0, 0x3f317218
	v_mov_b32_e32 v44, v42
	v_subbrev_co_u32_e32 v36, vcc, 0, v6, vcc
	v_sub_u32_e32 v6, 0, v36
	v_ldexp_f32 v3, v3, v6
	v_ldexp_f32 v6, v30, v6
	v_add_f32_e32 v30, -1.0, v3
	v_add_f32_e32 v7, 1.0, v30
	v_sub_f32_e32 v7, v3, v7
	v_add_f32_e32 v31, v6, v7
	v_add_f32_e32 v7, 1.0, v3
	v_add_f32_e32 v32, -1.0, v7
	v_sub_f32_e32 v3, v3, v32
	v_add_f32_e32 v3, v6, v3
	v_add_f32_e32 v37, v7, v3
	v_rcp_f32_e32 v38, v37
	v_sub_f32_e32 v6, v7, v37
	v_add_f32_e32 v7, v30, v31
	v_add_f32_e32 v3, v3, v6
	v_mul_f32_e32 v40, v7, v38
	v_sub_f32_e32 v6, v30, v7
	v_mul_f32_e32 v30, v37, v40
	v_fma_f32 v32, v40, v37, -v30
	v_fmac_f32_e32 v32, v40, v3
	v_add_f32_e32 v39, v31, v6
	v_add_f32_e32 v6, v30, v32
	v_sub_f32_e32 v31, v7, v6
	v_pk_add_f32 v[34:35], v[6:7], v[30:31] neg_lo:[0,1] neg_hi:[0,1]
	v_mov_b32_e32 v33, v6
	v_pk_add_f32 v[6:7], v[34:35], v[32:33] neg_lo:[0,1] neg_hi:[0,1]
	s_nop 0
	v_add_f32_e32 v7, v39, v7
	v_add_f32_e32 v6, v6, v7
	;; [unrolled: 1-line block ×3, first 2 shown]
	v_mul_f32_e32 v39, v38, v7
	v_mul_f32_e32 v30, v37, v39
	v_fma_f32 v32, v39, v37, -v30
	v_fmac_f32_e32 v32, v39, v3
	v_sub_f32_e32 v3, v31, v7
	v_add_f32_e32 v3, v6, v3
	v_add_f32_e32 v6, v30, v32
	v_sub_f32_e32 v31, v7, v6
	v_pk_add_f32 v[34:35], v[6:7], v[30:31] neg_lo:[0,1] neg_hi:[0,1]
	v_mov_b32_e32 v33, v6
	v_pk_add_f32 v[6:7], v[34:35], v[32:33] neg_lo:[0,1] neg_hi:[0,1]
	s_nop 0
	v_add_f32_e32 v3, v3, v7
	v_add_f32_e32 v3, v6, v3
	;; [unrolled: 1-line block ×4, first 2 shown]
	v_sub_f32_e32 v6, v7, v40
	v_mul_f32_e32 v3, v38, v3
	v_sub_f32_e32 v6, v39, v6
	v_add_f32_e32 v3, v6, v3
	v_add_f32_e32 v30, v7, v3
	v_mul_f32_e32 v32, v30, v30
	v_mov_b32_e32 v6, 0x3ecc95a3
	v_fmamk_f32 v6, v32, 0x3e9b6dac, v6
	v_fmaak_f32 v43, v32, v6, 0x3f2aaada
	v_cvt_f32_i32_e32 v6, v36
	v_sub_f32_e32 v7, v30, v7
	v_sub_f32_e32 v3, v3, v7
	v_mul_f32_e32 v7, v30, v32
	v_pk_mul_f32 v[32:33], v[6:7], v[42:43]
	v_ldexp_f32 v31, v30, 1
	v_fma_f32 v30, v6, s0, -v32
	v_fmac_f32_e32 v30, 0xb102e308, v6
	v_pk_add_f32 v[6:7], v[32:33], v[30:31]
	v_ldexp_f32 v3, v3, 1
	v_sub_f32_e32 v31, v7, v31
	v_sub_f32_e32 v31, v33, v31
	v_add_f32_e32 v35, v3, v31
	v_mov_b32_e32 v34, v32
	v_pk_add_f32 v[32:33], v[6:7], v[32:33] neg_lo:[0,1] neg_hi:[0,1]
	v_pk_add_f32 v[36:37], v[6:7], v[34:35]
	v_mov_b32_e32 v31, v6
	v_mov_b32_e32 v33, v37
	v_pk_add_f32 v[38:39], v[30:31], v[32:33] neg_lo:[0,1] neg_hi:[0,1]
	v_pk_add_f32 v[30:31], v[30:31], v[32:33]
	v_mov_b32_e32 v34, v35
	v_mov_b32_e32 v32, v31
	v_pk_add_f32 v[40:41], v[32:33], v[6:7] neg_lo:[0,1] neg_hi:[0,1]
	v_mov_b32_e32 v30, v37
	v_mov_b32_e32 v3, v40
	v_pk_add_f32 v[42:43], v[36:37], v[2:3] neg_lo:[0,1] neg_hi:[0,1]
	v_mov_b32_e32 v36, v7
	v_mov_b32_e32 v37, v40
	;; [unrolled: 1-line block ×3, first 2 shown]
	v_pk_add_f32 v[30:31], v[30:31], v[36:37] neg_lo:[0,1] neg_hi:[0,1]
	v_mov_b32_e32 v35, v6
	v_pk_add_f32 v[6:7], v[34:35], v[30:31] neg_lo:[0,1] neg_hi:[0,1]
	v_mov_b32_e32 v42, v38
	v_pk_add_f32 v[30:31], v[42:43], v[6:7]
	s_mov_b32 s0, 0x7f800000
	v_mov_b32_e32 v34, v31
	v_pk_add_f32 v[34:35], v[30:31], v[34:35]
	v_cmp_eq_f32_e32 vcc, s0, v5
	v_pk_add_f32 v[32:33], v[32:33], v[34:35]
	v_mov_b32_e32 v7, v34
	v_mov_b32_e32 v31, v32
	v_pk_add_f32 v[36:37], v[30:31], v[38:39] neg_lo:[0,1] neg_hi:[0,1]
	s_mov_b32 s0, 0x33800000
	v_sub_f32_e32 v3, v30, v36
	v_pk_add_f32 v[6:7], v[6:7], v[36:37] neg_lo:[0,1] neg_hi:[0,1]
	v_sub_f32_e32 v3, v38, v3
	v_add_f32_e32 v3, v6, v3
	v_add_f32_e32 v3, v3, v7
	v_cmp_gt_f32_e64 s[52:53], s0, v5
	v_add_f32_e32 v3, v32, v3
	s_or_b64 vcc, s[52:53], vcc
	v_mov_b32_e32 v42, v44
	v_cndmask_b32_e32 v75, v3, v5, vcc
.LBB150_95:                             ;   in Loop: Header=BB150_13 Depth=1
	s_or_b64 exec, exec, s[54:55]
	s_waitcnt lgkmcnt(2)
	v_add_f32_e32 v76, s56, v28
	s_mov_b32 s0, 0x41a00000
	v_cmp_ge_f32_e32 vcc, s0, v76
	v_readlane_b32 s0, v95, 24
	v_readlane_b32 s1, v95, 25
	s_and_b64 s[0:1], s[0:1], vcc
	s_and_saveexec_b64 s[54:55], s[0:1]
	s_cbranch_execz .LBB150_97
; %bb.96:                               ;   in Loop: Header=BB150_13 Depth=1
	v_mul_f32_e32 v3, 0x3fb8aa3b, v76
	v_rndne_f32_e32 v5, v3
	s_mov_b32 s0, 0x3fb8aa3b
	v_sub_f32_e32 v6, v3, v5
	v_fma_f32 v3, v76, s0, -v3
	v_fmac_f32_e32 v3, 0x32a5705f, v76
	v_add_f32_e32 v3, v6, v3
	v_cvt_i32_f32_e32 v5, v5
	v_exp_f32_e32 v3, v3
	s_mov_b32 s0, 0xc2ce8ed0
	v_cmp_ngt_f32_e32 vcc, s0, v76
	s_mov_b32 s0, 0x42b17218
	v_ldexp_f32 v3, v3, v5
	v_cndmask_b32_e32 v3, 0, v3, vcc
	v_cmp_nlt_f32_e32 vcc, s0, v76
	v_mov_b32_e32 v5, 0x7f800000
	s_mov_b32 s0, 0x3f2aaaab
	v_cndmask_b32_e32 v5, v5, v3, vcc
	v_add_f32_e32 v3, 1.0, v5
	v_add_f32_e32 v6, -1.0, v3
	v_sub_f32_e32 v7, v6, v3
	v_add_f32_e32 v7, 1.0, v7
	v_sub_f32_e32 v6, v5, v6
	v_add_f32_e32 v28, v6, v7
	v_frexp_mant_f32_e32 v30, v3
	v_cvt_f64_f32_e32 v[6:7], v3
	v_frexp_exp_i32_f64_e32 v6, v[6:7]
	v_cmp_gt_f32_e32 vcc, s0, v30
	s_mov_b32 s0, 0x3f317218
	s_nop 0
	v_subbrev_co_u32_e32 v36, vcc, 0, v6, vcc
	v_sub_u32_e32 v6, 0, v36
	v_ldexp_f32 v3, v3, v6
	v_ldexp_f32 v6, v28, v6
	v_add_f32_e32 v28, -1.0, v3
	v_add_f32_e32 v7, 1.0, v28
	v_sub_f32_e32 v7, v3, v7
	v_add_f32_e32 v30, v6, v7
	v_add_f32_e32 v7, 1.0, v3
	v_add_f32_e32 v31, -1.0, v7
	v_sub_f32_e32 v3, v3, v31
	v_add_f32_e32 v3, v6, v3
	v_add_f32_e32 v37, v7, v3
	v_rcp_f32_e32 v38, v37
	v_sub_f32_e32 v6, v7, v37
	v_add_f32_e32 v7, v28, v30
	v_add_f32_e32 v3, v3, v6
	v_sub_f32_e32 v6, v28, v7
	v_mul_f32_e32 v39, v7, v38
	v_add_f32_e32 v28, v30, v6
	v_mul_f32_e32 v30, v37, v39
	v_fma_f32 v32, v39, v37, -v30
	v_fmac_f32_e32 v32, v39, v3
	v_add_f32_e32 v6, v30, v32
	v_sub_f32_e32 v31, v7, v6
	v_pk_add_f32 v[34:35], v[6:7], v[30:31] neg_lo:[0,1] neg_hi:[0,1]
	v_mov_b32_e32 v33, v6
	v_pk_add_f32 v[6:7], v[34:35], v[32:33] neg_lo:[0,1] neg_hi:[0,1]
	s_nop 0
	v_add_f32_e32 v7, v28, v7
	v_add_f32_e32 v6, v6, v7
	;; [unrolled: 1-line block ×3, first 2 shown]
	v_mul_f32_e32 v28, v38, v7
	v_mul_f32_e32 v30, v37, v28
	v_fma_f32 v32, v28, v37, -v30
	v_fmac_f32_e32 v32, v28, v3
	v_sub_f32_e32 v3, v31, v7
	v_add_f32_e32 v3, v6, v3
	v_add_f32_e32 v6, v30, v32
	v_sub_f32_e32 v31, v7, v6
	v_pk_add_f32 v[34:35], v[6:7], v[30:31] neg_lo:[0,1] neg_hi:[0,1]
	v_mov_b32_e32 v33, v6
	v_pk_add_f32 v[6:7], v[34:35], v[32:33] neg_lo:[0,1] neg_hi:[0,1]
	s_nop 0
	v_add_f32_e32 v3, v3, v7
	v_add_f32_e32 v3, v6, v3
	;; [unrolled: 1-line block ×4, first 2 shown]
	v_sub_f32_e32 v6, v7, v39
	v_mul_f32_e32 v3, v38, v3
	v_sub_f32_e32 v6, v28, v6
	v_add_f32_e32 v3, v6, v3
	v_add_f32_e32 v28, v7, v3
	v_mul_f32_e32 v30, v28, v28
	v_mov_b32_e32 v6, 0x3ecc95a3
	v_fmamk_f32 v6, v30, 0x3e9b6dac, v6
	v_fmaak_f32 v43, v30, v6, 0x3f2aaada
	v_cvt_f32_i32_e32 v6, v36
	v_sub_f32_e32 v7, v28, v7
	v_sub_f32_e32 v3, v3, v7
	v_mul_f32_e32 v7, v28, v30
	v_pk_mul_f32 v[32:33], v[6:7], v[42:43]
	v_ldexp_f32 v31, v28, 1
	v_fma_f32 v30, v6, s0, -v32
	v_fmac_f32_e32 v30, 0xb102e308, v6
	v_pk_add_f32 v[6:7], v[32:33], v[30:31]
	v_ldexp_f32 v3, v3, 1
	v_sub_f32_e32 v28, v7, v31
	v_sub_f32_e32 v28, v33, v28
	v_add_f32_e32 v35, v3, v28
	v_mov_b32_e32 v34, v32
	v_pk_add_f32 v[32:33], v[6:7], v[32:33] neg_lo:[0,1] neg_hi:[0,1]
	v_pk_add_f32 v[36:37], v[6:7], v[34:35]
	v_mov_b32_e32 v31, v6
	v_mov_b32_e32 v33, v37
	v_pk_add_f32 v[38:39], v[30:31], v[32:33] neg_lo:[0,1] neg_hi:[0,1]
	v_pk_add_f32 v[30:31], v[30:31], v[32:33]
	s_mov_b32 s0, 0x7f800000
	v_mov_b32_e32 v28, v31
	v_pk_add_f32 v[32:33], v[28:29], v[6:7] neg_lo:[0,1] neg_hi:[0,1]
	v_mov_b32_e32 v30, v37
	v_mov_b32_e32 v3, v32
	v_pk_add_f32 v[40:41], v[36:37], v[2:3] neg_lo:[0,1] neg_hi:[0,1]
	v_mov_b32_e32 v36, v7
	v_mov_b32_e32 v37, v32
	;; [unrolled: 1-line block ×3, first 2 shown]
	v_pk_add_f32 v[30:31], v[30:31], v[36:37] neg_lo:[0,1] neg_hi:[0,1]
	v_mov_b32_e32 v32, v35
	v_mov_b32_e32 v33, v6
	v_pk_add_f32 v[6:7], v[32:33], v[30:31] neg_lo:[0,1] neg_hi:[0,1]
	v_mov_b32_e32 v40, v38
	v_pk_add_f32 v[30:31], v[40:41], v[6:7]
	v_cmp_eq_f32_e32 vcc, s0, v5
	v_mov_b32_e32 v32, v31
	v_pk_add_f32 v[32:33], v[30:31], v[32:33]
	s_mov_b32 s0, 0x33800000
	v_pk_add_f32 v[34:35], v[28:29], v[32:33]
	v_mov_b32_e32 v7, v32
	v_mov_b32_e32 v31, v34
	v_pk_add_f32 v[36:37], v[30:31], v[38:39] neg_lo:[0,1] neg_hi:[0,1]
	v_cmp_gt_f32_e64 s[52:53], s0, v5
	v_sub_f32_e32 v3, v30, v36
	v_pk_add_f32 v[6:7], v[6:7], v[36:37] neg_lo:[0,1] neg_hi:[0,1]
	v_sub_f32_e32 v3, v38, v3
	v_add_f32_e32 v3, v6, v3
	v_add_f32_e32 v3, v3, v7
	;; [unrolled: 1-line block ×3, first 2 shown]
	s_or_b64 vcc, s[52:53], vcc
	v_cndmask_b32_e32 v76, v3, v5, vcc
.LBB150_97:                             ;   in Loop: Header=BB150_13 Depth=1
	s_or_b64 exec, exec, s[54:55]
	v_add_f32_e32 v77, s56, v29
	s_mov_b32 s0, 0x41a00000
	v_cmp_ge_f32_e32 vcc, s0, v77
	v_readlane_b32 s0, v95, 24
	v_readlane_b32 s1, v95, 25
	s_and_b64 s[0:1], s[0:1], vcc
	s_and_saveexec_b64 s[54:55], s[0:1]
	s_cbranch_execz .LBB150_99
; %bb.98:                               ;   in Loop: Header=BB150_13 Depth=1
	v_mul_f32_e32 v3, 0x3fb8aa3b, v77
	v_rndne_f32_e32 v5, v3
	s_mov_b32 s0, 0x3fb8aa3b
	v_sub_f32_e32 v6, v3, v5
	v_fma_f32 v3, v77, s0, -v3
	v_fmac_f32_e32 v3, 0x32a5705f, v77
	v_add_f32_e32 v3, v6, v3
	v_cvt_i32_f32_e32 v5, v5
	v_exp_f32_e32 v3, v3
	s_mov_b32 s0, 0xc2ce8ed0
	v_cmp_ngt_f32_e32 vcc, s0, v77
	s_mov_b32 s0, 0x42b17218
	v_ldexp_f32 v3, v3, v5
	v_cndmask_b32_e32 v3, 0, v3, vcc
	v_cmp_nlt_f32_e32 vcc, s0, v77
	v_mov_b32_e32 v5, 0x7f800000
	s_mov_b32 s0, 0x3f2aaaab
	v_cndmask_b32_e32 v5, v5, v3, vcc
	v_add_f32_e32 v3, 1.0, v5
	v_add_f32_e32 v6, -1.0, v3
	v_sub_f32_e32 v7, v6, v3
	v_add_f32_e32 v7, 1.0, v7
	v_sub_f32_e32 v6, v5, v6
	v_add_f32_e32 v28, v6, v7
	v_frexp_mant_f32_e32 v29, v3
	v_cvt_f64_f32_e32 v[6:7], v3
	v_frexp_exp_i32_f64_e32 v6, v[6:7]
	v_cmp_gt_f32_e32 vcc, s0, v29
	s_mov_b32 s0, 0x3f317218
	s_nop 0
	v_subbrev_co_u32_e32 v34, vcc, 0, v6, vcc
	v_sub_u32_e32 v6, 0, v34
	v_ldexp_f32 v3, v3, v6
	v_ldexp_f32 v6, v28, v6
	v_add_f32_e32 v28, -1.0, v3
	v_add_f32_e32 v7, 1.0, v28
	v_sub_f32_e32 v7, v3, v7
	v_add_f32_e32 v29, v6, v7
	v_add_f32_e32 v7, 1.0, v3
	v_add_f32_e32 v30, -1.0, v7
	v_sub_f32_e32 v3, v3, v30
	v_add_f32_e32 v3, v6, v3
	v_add_f32_e32 v35, v7, v3
	v_rcp_f32_e32 v36, v35
	v_sub_f32_e32 v6, v7, v35
	v_add_f32_e32 v7, v28, v29
	v_add_f32_e32 v3, v3, v6
	v_mul_f32_e32 v38, v7, v36
	v_sub_f32_e32 v6, v28, v7
	v_mul_f32_e32 v28, v35, v38
	v_fma_f32 v30, v38, v35, -v28
	v_fmac_f32_e32 v30, v38, v3
	v_add_f32_e32 v37, v29, v6
	v_add_f32_e32 v6, v28, v30
	v_sub_f32_e32 v29, v7, v6
	v_pk_add_f32 v[32:33], v[6:7], v[28:29] neg_lo:[0,1] neg_hi:[0,1]
	v_mov_b32_e32 v31, v6
	v_pk_add_f32 v[6:7], v[32:33], v[30:31] neg_lo:[0,1] neg_hi:[0,1]
	s_nop 0
	v_add_f32_e32 v7, v37, v7
	v_add_f32_e32 v6, v6, v7
	;; [unrolled: 1-line block ×3, first 2 shown]
	v_mul_f32_e32 v37, v36, v7
	v_mul_f32_e32 v28, v35, v37
	v_fma_f32 v30, v37, v35, -v28
	v_fmac_f32_e32 v30, v37, v3
	v_sub_f32_e32 v3, v29, v7
	v_add_f32_e32 v3, v6, v3
	v_add_f32_e32 v6, v28, v30
	v_sub_f32_e32 v29, v7, v6
	v_pk_add_f32 v[32:33], v[6:7], v[28:29] neg_lo:[0,1] neg_hi:[0,1]
	v_mov_b32_e32 v31, v6
	v_pk_add_f32 v[6:7], v[32:33], v[30:31] neg_lo:[0,1] neg_hi:[0,1]
	s_nop 0
	v_add_f32_e32 v3, v3, v7
	v_add_f32_e32 v3, v6, v3
	;; [unrolled: 1-line block ×4, first 2 shown]
	v_sub_f32_e32 v6, v7, v38
	v_mul_f32_e32 v3, v36, v3
	v_sub_f32_e32 v6, v37, v6
	v_add_f32_e32 v3, v6, v3
	v_add_f32_e32 v28, v7, v3
	v_mul_f32_e32 v30, v28, v28
	v_mov_b32_e32 v6, 0x3ecc95a3
	v_fmamk_f32 v6, v30, 0x3e9b6dac, v6
	v_fmaak_f32 v43, v30, v6, 0x3f2aaada
	v_cvt_f32_i32_e32 v6, v34
	v_sub_f32_e32 v7, v28, v7
	v_sub_f32_e32 v3, v3, v7
	v_mul_f32_e32 v7, v28, v30
	v_pk_mul_f32 v[30:31], v[6:7], v[42:43]
	v_ldexp_f32 v29, v28, 1
	v_fma_f32 v28, v6, s0, -v30
	v_fmac_f32_e32 v28, 0xb102e308, v6
	v_pk_add_f32 v[6:7], v[30:31], v[28:29]
	v_ldexp_f32 v3, v3, 1
	v_sub_f32_e32 v29, v7, v29
	v_sub_f32_e32 v29, v31, v29
	v_add_f32_e32 v33, v3, v29
	v_mov_b32_e32 v32, v30
	v_pk_add_f32 v[30:31], v[6:7], v[30:31] neg_lo:[0,1] neg_hi:[0,1]
	v_pk_add_f32 v[34:35], v[6:7], v[32:33]
	v_mov_b32_e32 v29, v6
	v_mov_b32_e32 v31, v35
	v_pk_add_f32 v[36:37], v[28:29], v[30:31] neg_lo:[0,1] neg_hi:[0,1]
	v_pk_add_f32 v[28:29], v[28:29], v[30:31]
	v_mov_b32_e32 v32, v33
	v_mov_b32_e32 v30, v29
	v_pk_add_f32 v[38:39], v[30:31], v[6:7] neg_lo:[0,1] neg_hi:[0,1]
	v_mov_b32_e32 v28, v35
	v_mov_b32_e32 v3, v38
	v_pk_add_f32 v[40:41], v[34:35], v[2:3] neg_lo:[0,1] neg_hi:[0,1]
	v_mov_b32_e32 v34, v7
	v_mov_b32_e32 v35, v38
	;; [unrolled: 1-line block ×3, first 2 shown]
	v_pk_add_f32 v[28:29], v[28:29], v[34:35] neg_lo:[0,1] neg_hi:[0,1]
	v_mov_b32_e32 v33, v6
	v_pk_add_f32 v[6:7], v[32:33], v[28:29] neg_lo:[0,1] neg_hi:[0,1]
	v_mov_b32_e32 v40, v36
	v_pk_add_f32 v[28:29], v[40:41], v[6:7]
	s_mov_b32 s0, 0x7f800000
	v_mov_b32_e32 v32, v29
	v_pk_add_f32 v[32:33], v[28:29], v[32:33]
	v_cmp_eq_f32_e32 vcc, s0, v5
	v_pk_add_f32 v[30:31], v[30:31], v[32:33]
	v_mov_b32_e32 v7, v32
	v_mov_b32_e32 v29, v30
	v_pk_add_f32 v[34:35], v[28:29], v[36:37] neg_lo:[0,1] neg_hi:[0,1]
	s_mov_b32 s0, 0x33800000
	v_sub_f32_e32 v3, v28, v34
	v_pk_add_f32 v[6:7], v[6:7], v[34:35] neg_lo:[0,1] neg_hi:[0,1]
	v_sub_f32_e32 v3, v36, v3
	v_add_f32_e32 v3, v6, v3
	v_add_f32_e32 v3, v3, v7
	v_cmp_gt_f32_e64 s[52:53], s0, v5
	v_add_f32_e32 v3, v30, v3
	s_or_b64 vcc, s[52:53], vcc
	v_cndmask_b32_e32 v77, v3, v5, vcc
.LBB150_99:                             ;   in Loop: Header=BB150_13 Depth=1
	s_or_b64 exec, exec, s[54:55]
	s_waitcnt lgkmcnt(1)
	v_add_f32_e32 v78, s56, v26
	s_mov_b32 s0, 0x41a00000
	v_cmp_ge_f32_e32 vcc, s0, v78
	v_readlane_b32 s0, v95, 24
	v_readlane_b32 s1, v95, 25
	s_and_b64 s[0:1], s[0:1], vcc
	s_and_saveexec_b64 s[54:55], s[0:1]
	s_cbranch_execz .LBB150_101
; %bb.100:                              ;   in Loop: Header=BB150_13 Depth=1
	v_mul_f32_e32 v3, 0x3fb8aa3b, v78
	v_rndne_f32_e32 v5, v3
	s_mov_b32 s0, 0x3fb8aa3b
	v_sub_f32_e32 v6, v3, v5
	v_fma_f32 v3, v78, s0, -v3
	v_fmac_f32_e32 v3, 0x32a5705f, v78
	v_add_f32_e32 v3, v6, v3
	v_cvt_i32_f32_e32 v5, v5
	v_exp_f32_e32 v3, v3
	s_mov_b32 s0, 0xc2ce8ed0
	v_cmp_ngt_f32_e32 vcc, s0, v78
	s_mov_b32 s0, 0x42b17218
	v_ldexp_f32 v3, v3, v5
	v_cndmask_b32_e32 v3, 0, v3, vcc
	v_cmp_nlt_f32_e32 vcc, s0, v78
	v_mov_b32_e32 v5, 0x7f800000
	s_mov_b32 s0, 0x3f2aaaab
	v_cndmask_b32_e32 v5, v5, v3, vcc
	v_add_f32_e32 v3, 1.0, v5
	v_add_f32_e32 v6, -1.0, v3
	v_sub_f32_e32 v7, v6, v3
	v_add_f32_e32 v7, 1.0, v7
	v_sub_f32_e32 v6, v5, v6
	v_add_f32_e32 v26, v6, v7
	v_frexp_mant_f32_e32 v28, v3
	v_cvt_f64_f32_e32 v[6:7], v3
	v_frexp_exp_i32_f64_e32 v6, v[6:7]
	v_cmp_gt_f32_e32 vcc, s0, v28
	s_mov_b32 s0, 0x3f317218
	s_nop 0
	v_subbrev_co_u32_e32 v34, vcc, 0, v6, vcc
	v_sub_u32_e32 v6, 0, v34
	v_ldexp_f32 v3, v3, v6
	v_ldexp_f32 v6, v26, v6
	v_add_f32_e32 v26, -1.0, v3
	v_add_f32_e32 v7, 1.0, v26
	v_sub_f32_e32 v7, v3, v7
	v_add_f32_e32 v28, v6, v7
	v_add_f32_e32 v7, 1.0, v3
	v_add_f32_e32 v29, -1.0, v7
	v_sub_f32_e32 v3, v3, v29
	v_add_f32_e32 v3, v6, v3
	v_add_f32_e32 v35, v7, v3
	v_rcp_f32_e32 v36, v35
	v_sub_f32_e32 v6, v7, v35
	v_add_f32_e32 v7, v26, v28
	v_add_f32_e32 v3, v3, v6
	v_sub_f32_e32 v6, v26, v7
	v_mul_f32_e32 v37, v7, v36
	v_add_f32_e32 v26, v28, v6
	v_mul_f32_e32 v28, v35, v37
	v_fma_f32 v30, v37, v35, -v28
	v_fmac_f32_e32 v30, v37, v3
	v_add_f32_e32 v6, v28, v30
	v_sub_f32_e32 v29, v7, v6
	v_pk_add_f32 v[32:33], v[6:7], v[28:29] neg_lo:[0,1] neg_hi:[0,1]
	v_mov_b32_e32 v31, v6
	v_pk_add_f32 v[6:7], v[32:33], v[30:31] neg_lo:[0,1] neg_hi:[0,1]
	s_nop 0
	v_add_f32_e32 v7, v26, v7
	v_add_f32_e32 v6, v6, v7
	;; [unrolled: 1-line block ×3, first 2 shown]
	v_mul_f32_e32 v26, v36, v7
	v_mul_f32_e32 v28, v35, v26
	v_fma_f32 v30, v26, v35, -v28
	v_fmac_f32_e32 v30, v26, v3
	v_sub_f32_e32 v3, v29, v7
	v_add_f32_e32 v3, v6, v3
	v_add_f32_e32 v6, v28, v30
	v_sub_f32_e32 v29, v7, v6
	v_pk_add_f32 v[32:33], v[6:7], v[28:29] neg_lo:[0,1] neg_hi:[0,1]
	v_mov_b32_e32 v31, v6
	v_pk_add_f32 v[6:7], v[32:33], v[30:31] neg_lo:[0,1] neg_hi:[0,1]
	s_nop 0
	v_add_f32_e32 v3, v3, v7
	v_add_f32_e32 v3, v6, v3
	;; [unrolled: 1-line block ×4, first 2 shown]
	v_sub_f32_e32 v6, v7, v37
	v_mul_f32_e32 v3, v36, v3
	v_sub_f32_e32 v6, v26, v6
	v_add_f32_e32 v3, v6, v3
	v_add_f32_e32 v26, v7, v3
	v_mul_f32_e32 v28, v26, v26
	v_mov_b32_e32 v6, 0x3ecc95a3
	v_fmamk_f32 v6, v28, 0x3e9b6dac, v6
	v_fmaak_f32 v43, v28, v6, 0x3f2aaada
	v_cvt_f32_i32_e32 v6, v34
	v_sub_f32_e32 v7, v26, v7
	v_sub_f32_e32 v3, v3, v7
	v_mul_f32_e32 v7, v26, v28
	v_pk_mul_f32 v[30:31], v[6:7], v[42:43]
	v_ldexp_f32 v29, v26, 1
	v_fma_f32 v28, v6, s0, -v30
	v_fmac_f32_e32 v28, 0xb102e308, v6
	v_pk_add_f32 v[6:7], v[30:31], v[28:29]
	v_ldexp_f32 v3, v3, 1
	v_sub_f32_e32 v26, v7, v29
	v_sub_f32_e32 v26, v31, v26
	v_add_f32_e32 v33, v3, v26
	v_mov_b32_e32 v32, v30
	v_pk_add_f32 v[30:31], v[6:7], v[30:31] neg_lo:[0,1] neg_hi:[0,1]
	v_pk_add_f32 v[34:35], v[6:7], v[32:33]
	v_mov_b32_e32 v29, v6
	v_mov_b32_e32 v31, v35
	v_pk_add_f32 v[36:37], v[28:29], v[30:31] neg_lo:[0,1] neg_hi:[0,1]
	v_pk_add_f32 v[28:29], v[28:29], v[30:31]
	s_mov_b32 s0, 0x7f800000
	v_mov_b32_e32 v26, v29
	v_pk_add_f32 v[30:31], v[26:27], v[6:7] neg_lo:[0,1] neg_hi:[0,1]
	v_mov_b32_e32 v28, v35
	v_mov_b32_e32 v3, v30
	v_pk_add_f32 v[38:39], v[34:35], v[2:3] neg_lo:[0,1] neg_hi:[0,1]
	v_mov_b32_e32 v34, v7
	v_mov_b32_e32 v35, v30
	;; [unrolled: 1-line block ×3, first 2 shown]
	v_pk_add_f32 v[28:29], v[28:29], v[34:35] neg_lo:[0,1] neg_hi:[0,1]
	v_mov_b32_e32 v30, v33
	v_mov_b32_e32 v31, v6
	v_pk_add_f32 v[6:7], v[30:31], v[28:29] neg_lo:[0,1] neg_hi:[0,1]
	v_mov_b32_e32 v38, v36
	v_pk_add_f32 v[28:29], v[38:39], v[6:7]
	v_cmp_eq_f32_e32 vcc, s0, v5
	v_mov_b32_e32 v30, v29
	v_pk_add_f32 v[30:31], v[28:29], v[30:31]
	s_mov_b32 s0, 0x33800000
	v_pk_add_f32 v[32:33], v[26:27], v[30:31]
	v_mov_b32_e32 v7, v30
	v_mov_b32_e32 v29, v32
	v_pk_add_f32 v[34:35], v[28:29], v[36:37] neg_lo:[0,1] neg_hi:[0,1]
	v_cmp_gt_f32_e64 s[52:53], s0, v5
	v_sub_f32_e32 v3, v28, v34
	v_pk_add_f32 v[6:7], v[6:7], v[34:35] neg_lo:[0,1] neg_hi:[0,1]
	v_sub_f32_e32 v3, v36, v3
	v_add_f32_e32 v3, v6, v3
	v_add_f32_e32 v3, v3, v7
	;; [unrolled: 1-line block ×3, first 2 shown]
	s_or_b64 vcc, s[52:53], vcc
	v_cndmask_b32_e32 v78, v3, v5, vcc
.LBB150_101:                            ;   in Loop: Header=BB150_13 Depth=1
	s_or_b64 exec, exec, s[54:55]
	v_add_f32_e32 v3, s56, v27
	s_mov_b32 s0, 0x41a00000
	v_cmp_ge_f32_e32 vcc, s0, v3
	v_readlane_b32 s0, v95, 24
	v_readlane_b32 s1, v95, 25
	s_and_b64 s[0:1], s[0:1], vcc
	s_and_saveexec_b64 s[54:55], s[0:1]
	s_cbranch_execz .LBB150_103
; %bb.102:                              ;   in Loop: Header=BB150_13 Depth=1
	v_mul_f32_e32 v5, 0x3fb8aa3b, v3
	v_rndne_f32_e32 v6, v5
	s_mov_b32 s0, 0x3fb8aa3b
	v_sub_f32_e32 v7, v5, v6
	v_fma_f32 v5, v3, s0, -v5
	v_fmac_f32_e32 v5, 0x32a5705f, v3
	v_add_f32_e32 v5, v7, v5
	v_cvt_i32_f32_e32 v6, v6
	v_exp_f32_e32 v5, v5
	s_mov_b32 s0, 0xc2ce8ed0
	v_cmp_ngt_f32_e32 vcc, s0, v3
	s_mov_b32 s0, 0x42b17218
	v_ldexp_f32 v5, v5, v6
	v_cndmask_b32_e32 v5, 0, v5, vcc
	v_cmp_nlt_f32_e32 vcc, s0, v3
	v_mov_b32_e32 v3, 0x7f800000
	s_mov_b32 s0, 0x3f2aaaab
	v_cndmask_b32_e32 v5, v3, v5, vcc
	v_add_f32_e32 v3, 1.0, v5
	v_add_f32_e32 v6, -1.0, v3
	v_sub_f32_e32 v7, v6, v3
	v_add_f32_e32 v7, 1.0, v7
	v_sub_f32_e32 v6, v5, v6
	v_add_f32_e32 v26, v6, v7
	v_frexp_mant_f32_e32 v27, v3
	v_cvt_f64_f32_e32 v[6:7], v3
	v_frexp_exp_i32_f64_e32 v6, v[6:7]
	v_cmp_gt_f32_e32 vcc, s0, v27
	s_mov_b32 s0, 0x3f317218
	s_nop 0
	v_subbrev_co_u32_e32 v32, vcc, 0, v6, vcc
	v_sub_u32_e32 v6, 0, v32
	v_ldexp_f32 v3, v3, v6
	v_ldexp_f32 v6, v26, v6
	v_add_f32_e32 v26, -1.0, v3
	v_add_f32_e32 v7, 1.0, v26
	v_sub_f32_e32 v7, v3, v7
	v_add_f32_e32 v27, v6, v7
	v_add_f32_e32 v7, 1.0, v3
	v_add_f32_e32 v28, -1.0, v7
	v_sub_f32_e32 v3, v3, v28
	v_add_f32_e32 v3, v6, v3
	v_add_f32_e32 v33, v7, v3
	v_rcp_f32_e32 v34, v33
	v_sub_f32_e32 v6, v7, v33
	v_add_f32_e32 v7, v26, v27
	v_add_f32_e32 v3, v3, v6
	v_mul_f32_e32 v36, v7, v34
	v_sub_f32_e32 v6, v26, v7
	v_mul_f32_e32 v26, v33, v36
	v_fma_f32 v28, v36, v33, -v26
	v_fmac_f32_e32 v28, v36, v3
	v_add_f32_e32 v35, v27, v6
	v_add_f32_e32 v6, v26, v28
	v_sub_f32_e32 v27, v7, v6
	v_pk_add_f32 v[30:31], v[6:7], v[26:27] neg_lo:[0,1] neg_hi:[0,1]
	v_mov_b32_e32 v29, v6
	v_pk_add_f32 v[6:7], v[30:31], v[28:29] neg_lo:[0,1] neg_hi:[0,1]
	s_nop 0
	v_add_f32_e32 v7, v35, v7
	v_add_f32_e32 v6, v6, v7
	;; [unrolled: 1-line block ×3, first 2 shown]
	v_mul_f32_e32 v35, v34, v7
	v_mul_f32_e32 v26, v33, v35
	v_fma_f32 v28, v35, v33, -v26
	v_fmac_f32_e32 v28, v35, v3
	v_sub_f32_e32 v3, v27, v7
	v_add_f32_e32 v3, v6, v3
	v_add_f32_e32 v6, v26, v28
	v_sub_f32_e32 v27, v7, v6
	v_pk_add_f32 v[30:31], v[6:7], v[26:27] neg_lo:[0,1] neg_hi:[0,1]
	v_mov_b32_e32 v29, v6
	v_pk_add_f32 v[6:7], v[30:31], v[28:29] neg_lo:[0,1] neg_hi:[0,1]
	s_nop 0
	v_add_f32_e32 v3, v3, v7
	v_add_f32_e32 v3, v6, v3
	;; [unrolled: 1-line block ×4, first 2 shown]
	v_sub_f32_e32 v6, v7, v36
	v_mul_f32_e32 v3, v34, v3
	v_sub_f32_e32 v6, v35, v6
	v_add_f32_e32 v3, v6, v3
	v_add_f32_e32 v26, v7, v3
	v_mul_f32_e32 v28, v26, v26
	v_mov_b32_e32 v6, 0x3ecc95a3
	v_fmamk_f32 v6, v28, 0x3e9b6dac, v6
	v_fmaak_f32 v43, v28, v6, 0x3f2aaada
	v_cvt_f32_i32_e32 v6, v32
	v_sub_f32_e32 v7, v26, v7
	v_sub_f32_e32 v3, v3, v7
	v_mul_f32_e32 v7, v26, v28
	v_pk_mul_f32 v[28:29], v[6:7], v[42:43]
	v_ldexp_f32 v27, v26, 1
	v_fma_f32 v26, v6, s0, -v28
	v_fmac_f32_e32 v26, 0xb102e308, v6
	v_pk_add_f32 v[6:7], v[28:29], v[26:27]
	v_ldexp_f32 v3, v3, 1
	v_sub_f32_e32 v27, v7, v27
	v_sub_f32_e32 v27, v29, v27
	v_add_f32_e32 v31, v3, v27
	v_mov_b32_e32 v30, v28
	v_pk_add_f32 v[28:29], v[6:7], v[28:29] neg_lo:[0,1] neg_hi:[0,1]
	v_pk_add_f32 v[32:33], v[6:7], v[30:31]
	v_mov_b32_e32 v27, v6
	v_mov_b32_e32 v29, v33
	v_pk_add_f32 v[34:35], v[26:27], v[28:29] neg_lo:[0,1] neg_hi:[0,1]
	v_pk_add_f32 v[26:27], v[26:27], v[28:29]
	v_mov_b32_e32 v30, v31
	v_mov_b32_e32 v28, v27
	v_pk_add_f32 v[36:37], v[28:29], v[6:7] neg_lo:[0,1] neg_hi:[0,1]
	v_mov_b32_e32 v26, v33
	v_mov_b32_e32 v3, v36
	v_pk_add_f32 v[38:39], v[32:33], v[2:3] neg_lo:[0,1] neg_hi:[0,1]
	v_mov_b32_e32 v32, v7
	v_mov_b32_e32 v33, v36
	v_mov_b32_e32 v35, v27
	v_pk_add_f32 v[26:27], v[26:27], v[32:33] neg_lo:[0,1] neg_hi:[0,1]
	v_mov_b32_e32 v31, v6
	v_pk_add_f32 v[6:7], v[30:31], v[26:27] neg_lo:[0,1] neg_hi:[0,1]
	v_mov_b32_e32 v38, v34
	v_pk_add_f32 v[26:27], v[38:39], v[6:7]
	s_mov_b32 s0, 0x7f800000
	v_mov_b32_e32 v30, v27
	v_pk_add_f32 v[30:31], v[26:27], v[30:31]
	v_cmp_eq_f32_e32 vcc, s0, v5
	v_pk_add_f32 v[28:29], v[28:29], v[30:31]
	v_mov_b32_e32 v7, v30
	v_mov_b32_e32 v27, v28
	v_pk_add_f32 v[32:33], v[26:27], v[34:35] neg_lo:[0,1] neg_hi:[0,1]
	s_mov_b32 s0, 0x33800000
	v_sub_f32_e32 v3, v26, v32
	v_pk_add_f32 v[6:7], v[6:7], v[32:33] neg_lo:[0,1] neg_hi:[0,1]
	v_sub_f32_e32 v3, v34, v3
	v_add_f32_e32 v3, v6, v3
	v_add_f32_e32 v3, v3, v7
	v_cmp_gt_f32_e64 s[52:53], s0, v5
	v_add_f32_e32 v3, v28, v3
	s_or_b64 vcc, s[52:53], vcc
	v_cndmask_b32_e32 v3, v3, v5, vcc
.LBB150_103:                            ;   in Loop: Header=BB150_13 Depth=1
	s_or_b64 exec, exec, s[54:55]
	s_waitcnt lgkmcnt(0)
	v_add_f32_e32 v80, s56, v24
	s_mov_b32 s0, 0x41a00000
	v_cmp_ge_f32_e32 vcc, s0, v80
	v_readlane_b32 s0, v95, 24
	v_readlane_b32 s1, v95, 25
	s_and_b64 s[0:1], s[0:1], vcc
	s_and_saveexec_b64 s[54:55], s[0:1]
	s_cbranch_execz .LBB150_105
; %bb.104:                              ;   in Loop: Header=BB150_13 Depth=1
	v_mul_f32_e32 v5, 0x3fb8aa3b, v80
	v_rndne_f32_e32 v6, v5
	s_mov_b32 s0, 0x3fb8aa3b
	v_sub_f32_e32 v7, v5, v6
	v_fma_f32 v5, v80, s0, -v5
	v_fmac_f32_e32 v5, 0x32a5705f, v80
	v_add_f32_e32 v5, v7, v5
	v_cvt_i32_f32_e32 v6, v6
	v_exp_f32_e32 v5, v5
	s_mov_b32 s0, 0xc2ce8ed0
	v_cmp_ngt_f32_e32 vcc, s0, v80
	s_mov_b32 s0, 0x42b17218
	v_ldexp_f32 v5, v5, v6
	v_cndmask_b32_e32 v5, 0, v5, vcc
	v_cmp_nlt_f32_e32 vcc, s0, v80
	v_mov_b32_e32 v6, 0x7f800000
	s_mov_b32 s0, 0x3f2aaaab
	v_cndmask_b32_e32 v38, v6, v5, vcc
	v_add_f32_e32 v5, 1.0, v38
	v_add_f32_e32 v6, -1.0, v5
	v_sub_f32_e32 v7, v6, v5
	v_add_f32_e32 v7, 1.0, v7
	v_sub_f32_e32 v6, v38, v6
	v_add_f32_e32 v24, v6, v7
	v_frexp_mant_f32_e32 v26, v5
	v_cvt_f64_f32_e32 v[6:7], v5
	v_frexp_exp_i32_f64_e32 v6, v[6:7]
	v_cmp_gt_f32_e32 vcc, s0, v26
	s_mov_b32 s0, 0x3f317218
	s_nop 0
	v_subbrev_co_u32_e32 v32, vcc, 0, v6, vcc
	v_sub_u32_e32 v6, 0, v32
	v_ldexp_f32 v5, v5, v6
	v_ldexp_f32 v6, v24, v6
	v_add_f32_e32 v24, -1.0, v5
	v_add_f32_e32 v7, 1.0, v24
	v_sub_f32_e32 v7, v5, v7
	v_add_f32_e32 v26, v6, v7
	v_add_f32_e32 v7, 1.0, v5
	v_add_f32_e32 v27, -1.0, v7
	v_sub_f32_e32 v5, v5, v27
	v_add_f32_e32 v5, v6, v5
	v_add_f32_e32 v33, v7, v5
	v_rcp_f32_e32 v34, v33
	v_sub_f32_e32 v6, v7, v33
	v_add_f32_e32 v7, v24, v26
	v_add_f32_e32 v5, v5, v6
	v_sub_f32_e32 v6, v24, v7
	v_mul_f32_e32 v35, v7, v34
	v_add_f32_e32 v24, v26, v6
	v_mul_f32_e32 v26, v33, v35
	v_fma_f32 v28, v35, v33, -v26
	v_fmac_f32_e32 v28, v35, v5
	v_add_f32_e32 v6, v26, v28
	v_sub_f32_e32 v27, v7, v6
	v_pk_add_f32 v[30:31], v[6:7], v[26:27] neg_lo:[0,1] neg_hi:[0,1]
	v_mov_b32_e32 v29, v6
	v_pk_add_f32 v[6:7], v[30:31], v[28:29] neg_lo:[0,1] neg_hi:[0,1]
	s_nop 0
	v_add_f32_e32 v7, v24, v7
	v_add_f32_e32 v6, v6, v7
	;; [unrolled: 1-line block ×3, first 2 shown]
	v_mul_f32_e32 v24, v34, v7
	v_mul_f32_e32 v26, v33, v24
	v_fma_f32 v28, v24, v33, -v26
	v_fmac_f32_e32 v28, v24, v5
	v_sub_f32_e32 v5, v27, v7
	v_add_f32_e32 v5, v6, v5
	v_add_f32_e32 v6, v26, v28
	v_sub_f32_e32 v27, v7, v6
	v_pk_add_f32 v[30:31], v[6:7], v[26:27] neg_lo:[0,1] neg_hi:[0,1]
	v_mov_b32_e32 v29, v6
	v_pk_add_f32 v[6:7], v[30:31], v[28:29] neg_lo:[0,1] neg_hi:[0,1]
	s_nop 0
	v_add_f32_e32 v5, v5, v7
	v_add_f32_e32 v5, v6, v5
	;; [unrolled: 1-line block ×4, first 2 shown]
	v_sub_f32_e32 v6, v7, v35
	v_mul_f32_e32 v5, v34, v5
	v_sub_f32_e32 v6, v24, v6
	v_add_f32_e32 v5, v6, v5
	v_add_f32_e32 v24, v7, v5
	v_mul_f32_e32 v26, v24, v24
	v_mov_b32_e32 v6, 0x3ecc95a3
	v_fmamk_f32 v6, v26, 0x3e9b6dac, v6
	v_fmaak_f32 v43, v26, v6, 0x3f2aaada
	v_cvt_f32_i32_e32 v6, v32
	v_sub_f32_e32 v7, v24, v7
	v_sub_f32_e32 v5, v5, v7
	v_mul_f32_e32 v7, v24, v26
	v_pk_mul_f32 v[28:29], v[6:7], v[42:43]
	v_ldexp_f32 v27, v24, 1
	v_fma_f32 v26, v6, s0, -v28
	v_fmac_f32_e32 v26, 0xb102e308, v6
	v_pk_add_f32 v[6:7], v[28:29], v[26:27]
	v_ldexp_f32 v5, v5, 1
	v_sub_f32_e32 v24, v7, v27
	v_sub_f32_e32 v24, v29, v24
	v_add_f32_e32 v31, v5, v24
	v_mov_b32_e32 v30, v28
	v_pk_add_f32 v[28:29], v[6:7], v[28:29] neg_lo:[0,1] neg_hi:[0,1]
	v_pk_add_f32 v[32:33], v[6:7], v[30:31]
	v_mov_b32_e32 v27, v6
	v_mov_b32_e32 v29, v33
	v_pk_add_f32 v[34:35], v[26:27], v[28:29] neg_lo:[0,1] neg_hi:[0,1]
	v_pk_add_f32 v[26:27], v[26:27], v[28:29]
	s_mov_b32 s0, 0x7f800000
	v_mov_b32_e32 v24, v27
	v_pk_add_f32 v[28:29], v[24:25], v[6:7] neg_lo:[0,1] neg_hi:[0,1]
	v_mov_b32_e32 v26, v33
	v_mov_b32_e32 v5, v28
	v_pk_add_f32 v[36:37], v[32:33], v[4:5] neg_lo:[0,1] neg_hi:[0,1]
	v_mov_b32_e32 v32, v7
	v_mov_b32_e32 v33, v28
	;; [unrolled: 1-line block ×3, first 2 shown]
	v_pk_add_f32 v[26:27], v[26:27], v[32:33] neg_lo:[0,1] neg_hi:[0,1]
	v_mov_b32_e32 v28, v31
	v_mov_b32_e32 v29, v6
	v_pk_add_f32 v[6:7], v[28:29], v[26:27] neg_lo:[0,1] neg_hi:[0,1]
	v_mov_b32_e32 v36, v34
	v_pk_add_f32 v[26:27], v[36:37], v[6:7]
	v_cmp_eq_f32_e32 vcc, s0, v38
	v_mov_b32_e32 v28, v27
	v_pk_add_f32 v[28:29], v[26:27], v[28:29]
	s_mov_b32 s0, 0x33800000
	v_pk_add_f32 v[30:31], v[24:25], v[28:29]
	v_mov_b32_e32 v7, v28
	v_mov_b32_e32 v27, v30
	v_pk_add_f32 v[32:33], v[26:27], v[34:35] neg_lo:[0,1] neg_hi:[0,1]
	v_cmp_gt_f32_e64 s[52:53], s0, v38
	v_sub_f32_e32 v5, v26, v32
	v_pk_add_f32 v[6:7], v[6:7], v[32:33] neg_lo:[0,1] neg_hi:[0,1]
	v_sub_f32_e32 v5, v34, v5
	v_add_f32_e32 v5, v6, v5
	v_add_f32_e32 v5, v5, v7
	;; [unrolled: 1-line block ×3, first 2 shown]
	s_or_b64 vcc, s[52:53], vcc
	v_cndmask_b32_e32 v80, v5, v38, vcc
.LBB150_105:                            ;   in Loop: Header=BB150_13 Depth=1
	s_or_b64 exec, exec, s[54:55]
	v_add_f32_e32 v7, s56, v25
	s_mov_b32 s0, 0x41a00000
	v_cmp_ge_f32_e32 vcc, s0, v7
	v_readlane_b32 s0, v95, 24
	v_readlane_b32 s1, v95, 25
	s_and_b64 s[0:1], s[0:1], vcc
	s_and_saveexec_b64 s[54:55], s[0:1]
	s_cbranch_execz .LBB150_107
; %bb.106:                              ;   in Loop: Header=BB150_13 Depth=1
	v_mul_f32_e32 v5, 0x3fb8aa3b, v7
	v_rndne_f32_e32 v6, v5
	s_mov_b32 s0, 0x3fb8aa3b
	v_sub_f32_e32 v24, v5, v6
	v_fma_f32 v5, v7, s0, -v5
	v_fmac_f32_e32 v5, 0x32a5705f, v7
	v_add_f32_e32 v5, v24, v5
	v_cvt_i32_f32_e32 v6, v6
	v_exp_f32_e32 v5, v5
	s_mov_b32 s0, 0xc2ce8ed0
	v_cmp_ngt_f32_e32 vcc, s0, v7
	s_mov_b32 s0, 0x42b17218
	v_ldexp_f32 v5, v5, v6
	v_cndmask_b32_e32 v5, 0, v5, vcc
	v_cmp_nlt_f32_e32 vcc, s0, v7
	v_mov_b32_e32 v6, 0x7f800000
	s_mov_b32 s0, 0x3f2aaaab
	v_cndmask_b32_e32 v38, v6, v5, vcc
	v_add_f32_e32 v5, 1.0, v38
	v_add_f32_e32 v6, -1.0, v5
	v_sub_f32_e32 v7, v6, v5
	v_add_f32_e32 v7, 1.0, v7
	v_sub_f32_e32 v6, v38, v6
	v_add_f32_e32 v24, v6, v7
	v_frexp_mant_f32_e32 v25, v5
	v_cvt_f64_f32_e32 v[6:7], v5
	v_frexp_exp_i32_f64_e32 v6, v[6:7]
	v_cmp_gt_f32_e32 vcc, s0, v25
	s_mov_b32 s0, 0x3f317218
	s_nop 0
	v_subbrev_co_u32_e32 v30, vcc, 0, v6, vcc
	v_sub_u32_e32 v6, 0, v30
	v_ldexp_f32 v5, v5, v6
	v_ldexp_f32 v6, v24, v6
	v_add_f32_e32 v24, -1.0, v5
	v_add_f32_e32 v7, 1.0, v24
	v_sub_f32_e32 v7, v5, v7
	v_add_f32_e32 v25, v6, v7
	v_add_f32_e32 v7, 1.0, v5
	v_add_f32_e32 v26, -1.0, v7
	v_sub_f32_e32 v5, v5, v26
	v_add_f32_e32 v5, v6, v5
	v_add_f32_e32 v31, v7, v5
	v_rcp_f32_e32 v32, v31
	v_sub_f32_e32 v6, v7, v31
	v_add_f32_e32 v7, v24, v25
	v_add_f32_e32 v5, v5, v6
	v_mul_f32_e32 v34, v7, v32
	v_sub_f32_e32 v6, v24, v7
	v_mul_f32_e32 v24, v31, v34
	v_fma_f32 v26, v34, v31, -v24
	v_fmac_f32_e32 v26, v34, v5
	v_add_f32_e32 v33, v25, v6
	v_add_f32_e32 v6, v24, v26
	v_sub_f32_e32 v25, v7, v6
	v_pk_add_f32 v[28:29], v[6:7], v[24:25] neg_lo:[0,1] neg_hi:[0,1]
	v_mov_b32_e32 v27, v6
	v_pk_add_f32 v[6:7], v[28:29], v[26:27] neg_lo:[0,1] neg_hi:[0,1]
	s_nop 0
	v_add_f32_e32 v7, v33, v7
	v_add_f32_e32 v6, v6, v7
	;; [unrolled: 1-line block ×3, first 2 shown]
	v_mul_f32_e32 v33, v32, v7
	v_mul_f32_e32 v24, v31, v33
	v_fma_f32 v26, v33, v31, -v24
	v_fmac_f32_e32 v26, v33, v5
	v_sub_f32_e32 v5, v25, v7
	v_add_f32_e32 v5, v6, v5
	v_add_f32_e32 v6, v24, v26
	v_sub_f32_e32 v25, v7, v6
	v_pk_add_f32 v[28:29], v[6:7], v[24:25] neg_lo:[0,1] neg_hi:[0,1]
	v_mov_b32_e32 v27, v6
	v_pk_add_f32 v[6:7], v[28:29], v[26:27] neg_lo:[0,1] neg_hi:[0,1]
	s_nop 0
	v_add_f32_e32 v5, v5, v7
	v_add_f32_e32 v5, v6, v5
	;; [unrolled: 1-line block ×4, first 2 shown]
	v_sub_f32_e32 v6, v7, v34
	v_mul_f32_e32 v5, v32, v5
	v_sub_f32_e32 v6, v33, v6
	v_add_f32_e32 v5, v6, v5
	v_add_f32_e32 v24, v7, v5
	v_mul_f32_e32 v26, v24, v24
	v_mov_b32_e32 v6, 0x3ecc95a3
	v_fmamk_f32 v6, v26, 0x3e9b6dac, v6
	v_fmaak_f32 v43, v26, v6, 0x3f2aaada
	v_cvt_f32_i32_e32 v6, v30
	v_sub_f32_e32 v7, v24, v7
	v_sub_f32_e32 v5, v5, v7
	v_mul_f32_e32 v7, v24, v26
	v_pk_mul_f32 v[26:27], v[6:7], v[42:43]
	v_ldexp_f32 v25, v24, 1
	v_fma_f32 v24, v6, s0, -v26
	v_fmac_f32_e32 v24, 0xb102e308, v6
	v_pk_add_f32 v[6:7], v[26:27], v[24:25]
	v_ldexp_f32 v5, v5, 1
	v_sub_f32_e32 v25, v7, v25
	v_sub_f32_e32 v25, v27, v25
	v_add_f32_e32 v29, v5, v25
	v_mov_b32_e32 v28, v26
	v_pk_add_f32 v[26:27], v[6:7], v[26:27] neg_lo:[0,1] neg_hi:[0,1]
	v_pk_add_f32 v[30:31], v[6:7], v[28:29]
	v_mov_b32_e32 v25, v6
	v_mov_b32_e32 v27, v31
	v_pk_add_f32 v[32:33], v[24:25], v[26:27] neg_lo:[0,1] neg_hi:[0,1]
	v_pk_add_f32 v[24:25], v[24:25], v[26:27]
	v_mov_b32_e32 v28, v29
	v_mov_b32_e32 v26, v25
	v_pk_add_f32 v[34:35], v[26:27], v[6:7] neg_lo:[0,1] neg_hi:[0,1]
	v_mov_b32_e32 v24, v31
	v_mov_b32_e32 v5, v34
	v_pk_add_f32 v[36:37], v[30:31], v[4:5] neg_lo:[0,1] neg_hi:[0,1]
	v_mov_b32_e32 v30, v7
	v_mov_b32_e32 v31, v34
	;; [unrolled: 1-line block ×3, first 2 shown]
	v_pk_add_f32 v[24:25], v[24:25], v[30:31] neg_lo:[0,1] neg_hi:[0,1]
	v_mov_b32_e32 v29, v6
	v_pk_add_f32 v[6:7], v[28:29], v[24:25] neg_lo:[0,1] neg_hi:[0,1]
	v_mov_b32_e32 v36, v32
	v_pk_add_f32 v[24:25], v[36:37], v[6:7]
	s_mov_b32 s0, 0x7f800000
	v_mov_b32_e32 v28, v25
	v_pk_add_f32 v[28:29], v[24:25], v[28:29]
	v_cmp_eq_f32_e32 vcc, s0, v38
	v_pk_add_f32 v[26:27], v[26:27], v[28:29]
	v_mov_b32_e32 v7, v28
	v_mov_b32_e32 v25, v26
	v_pk_add_f32 v[30:31], v[24:25], v[32:33] neg_lo:[0,1] neg_hi:[0,1]
	s_mov_b32 s0, 0x33800000
	v_sub_f32_e32 v5, v24, v30
	v_pk_add_f32 v[6:7], v[6:7], v[30:31] neg_lo:[0,1] neg_hi:[0,1]
	v_sub_f32_e32 v5, v32, v5
	v_add_f32_e32 v5, v6, v5
	v_add_f32_e32 v5, v5, v7
	v_cmp_gt_f32_e64 s[52:53], s0, v38
	v_add_f32_e32 v5, v26, v5
	s_or_b64 vcc, s[52:53], vcc
	v_cndmask_b32_e32 v7, v5, v38, vcc
.LBB150_107:                            ;   in Loop: Header=BB150_13 Depth=1
	s_or_b64 exec, exec, s[54:55]
	v_readlane_b32 s0, v95, 2
	s_waitcnt lgkmcnt(0)
	; wave barrier
	s_nop 0
	v_mul_f32_e32 v24, s0, v22
	v_mul_f32_e32 v27, s0, v21
	;; [unrolled: 1-line block ×16, first 2 shown]
	v_readlane_b32 s0, v95, 27
	v_readlane_b32 s1, v95, 28
	s_and_b64 vcc, exec, s[0:1]
	s_cbranch_vccz .LBB150_200
; %bb.108:                              ;   in Loop: Header=BB150_13 Depth=1
	v_writelane_b32 v95, s6, 51
	scratch_store_dwordx2 off, v[42:43], off offset:196 ; 8-byte Folded Spill
	s_cmp_lg_u32 s8, 0
	v_writelane_b32 v95, s7, 52
	v_lshl_add_u64 v[40:41], s[6:7], 0, v[0:1]
	v_writelane_b32 v95, s4, 53
	s_cselect_b64 s[86:87], -1, 0
	s_mov_b32 s92, 0
	v_lshl_add_u64 v[42:43], s[4:5], 0, v[0:1]
	v_mul_f32_e32 v0, v22, v80
	scratch_store_dword off, v0, off offset:72 ; 4-byte Folded Spill
	v_mul_f32_e32 v0, v21, v3
	scratch_store_dword off, v0, off offset:76 ; 4-byte Folded Spill
	;; [unrolled: 2-line block ×14, first 2 shown]
	scratch_load_dword v0, off, off offset:64 ; 4-byte Folded Reload
	v_writelane_b32 v95, s5, 54
	v_mul_f32_e32 v5, v23, v7
	v_readlane_b32 s0, v95, 41
	v_writelane_b32 v95, s8, 55
	s_cmp_eq_u32 s8, s0
	v_readlane_b32 s0, v95, 30
	v_readlane_b32 s1, v95, 31
	s_cselect_b64 s[90:91], -1, 0
	s_mov_b32 s96, s92
	s_mov_b32 s94, s92
	;; [unrolled: 1-line block ×3, first 2 shown]
	scratch_store_dword off, v5, off offset:68 ; 4-byte Folded Spill
	s_waitcnt vmcnt(1)
	v_mul_f32_e32 v0, v8, v0
	scratch_store_dword off, v0, off offset:128 ; 4-byte Folded Spill
	scratch_load_dword v0, off, off offset:280 ; 4-byte Folded Reload
	s_waitcnt vmcnt(0)
	v_cmp_gt_u32_e32 vcc, s82, v0
	scratch_load_dword v0, off, off offset:284 ; 4-byte Folded Reload
	s_or_b64 s[52:53], s[0:1], vcc
	s_waitcnt vmcnt(0)
	v_cmp_gt_u32_e32 vcc, s82, v0
	scratch_load_dword v0, off, off offset:288 ; 4-byte Folded Reload
	s_or_b64 s[54:55], s[0:1], vcc
	;; [unrolled: 4-line block ×15, first 2 shown]
	s_waitcnt vmcnt(0)
	v_cmp_gt_u32_e32 vcc, s82, v0
	s_or_b64 s[82:83], s[0:1], vcc
	v_readlane_b32 s0, v95, 26
	v_readlane_b32 s1, v95, 44
	s_branch .LBB150_110
.LBB150_109:                            ;   in Loop: Header=BB150_110 Depth=2
	s_or_b64 exec, exec, s[84:85]
	v_mul_f32_e32 v48, v79, v94
	v_fma_f32 v5, v79, v5, v46
	v_cndmask_b32_e64 v46, v5, v46, s[16:17]
	v_cndmask_b32_e64 v5, v48, v79, s[16:17]
	s_waitcnt lgkmcnt(0)
	v_fmac_f32_e32 v46, v62, v5
	v_fmac_f32_e32 v47, v46, v6
	;; [unrolled: 1-line block ×10, first 2 shown]
	v_readlane_b32 s4, v95, 18
	v_fmac_f32_e32 v56, v61, v88
	v_readlane_b32 s5, v95, 19
	v_readlane_b32 s6, v95, 20
	;; [unrolled: 1-line block ×3, first 2 shown]
	v_fmac_f32_e32 v57, v56, v89
	s_add_i32 s98, s98, s6
	v_readlane_b32 s4, v95, 14
	v_fmac_f32_e32 v52, v57, v90
	v_readlane_b32 s5, v95, 15
	v_readlane_b32 s6, v95, 16
	;; [unrolled: 1-line block ×3, first 2 shown]
	v_fmac_f32_e32 v53, v52, v91
	s_add_i32 s94, s94, s4
	v_readlane_b32 s4, v95, 6
	v_fmac_f32_e32 v44, v53, v92
	v_readlane_b32 s5, v95, 7
	v_readlane_b32 s8, v95, 10
	v_fmac_f32_e32 v45, v44, v93
	s_add_i32 s1, s1, 8
	s_add_i32 s0, s0, -1
	s_add_i32 s96, s96, s8
	s_add_i32 s92, s92, s5
	v_pk_fma_f32 v[38:39], v[22:23], v[46:47], v[38:39]
	v_pk_fma_f32 v[36:37], v[20:21], v[50:51], v[36:37]
	;; [unrolled: 1-line block ×7, first 2 shown]
	s_cmp_eq_u32 s0, 0
	v_pk_fma_f32 v[24:25], v[8:9], v[44:45], v[24:25]
	v_readlane_b32 s6, v95, 8
	v_readlane_b32 s7, v95, 9
	;; [unrolled: 1-line block ×5, first 2 shown]
	s_cbranch_scc1 .LBB150_199
.LBB150_110:                            ;   Parent Loop BB150_13 Depth=1
                                        ; =>  This Inner Loop Header: Depth=2
	s_lshl_b64 s[84:85], s[92:93], 2
	s_add_u32 s84, s99, s84
	v_readlane_b32 s4, v95, 5
	s_addc_u32 s85, s4, s85
	global_load_dword v62, v1, s[84:85]
	s_mov_b32 s97, s93
	v_lshl_add_u64 v[8:9], s[96:97], 2, v[40:41]
	v_mov_b32_e32 v0, 0
	v_mov_b32_e32 v6, 0
	s_and_saveexec_b64 s[84:85], s[18:19]
	s_cbranch_execz .LBB150_112
; %bb.111:                              ;   in Loop: Header=BB150_110 Depth=2
	global_load_dword v6, v[8:9], off
.LBB150_112:                            ;   in Loop: Header=BB150_110 Depth=2
	s_or_b64 exec, exec, s[84:85]
	s_and_saveexec_b64 s[84:85], s[20:21]
	s_cbranch_execz .LBB150_114
; %bb.113:                              ;   in Loop: Header=BB150_110 Depth=2
	global_load_dword v0, v[8:9], off offset:256
.LBB150_114:                            ;   in Loop: Header=BB150_110 Depth=2
	s_or_b64 exec, exec, s[84:85]
	v_mov_b32_e32 v10, 0
	v_mov_b32_e32 v11, 0
	s_and_saveexec_b64 s[84:85], s[22:23]
	s_cbranch_execz .LBB150_116
; %bb.115:                              ;   in Loop: Header=BB150_110 Depth=2
	global_load_dword v11, v[8:9], off offset:512
.LBB150_116:                            ;   in Loop: Header=BB150_110 Depth=2
	s_or_b64 exec, exec, s[84:85]
	s_and_saveexec_b64 s[84:85], s[24:25]
	s_cbranch_execz .LBB150_118
; %bb.117:                              ;   in Loop: Header=BB150_110 Depth=2
	global_load_dword v10, v[8:9], off offset:768
.LBB150_118:                            ;   in Loop: Header=BB150_110 Depth=2
	s_or_b64 exec, exec, s[84:85]
	v_mov_b32_e32 v12, 0
	v_mov_b32_e32 v13, 0
	s_and_saveexec_b64 s[84:85], s[26:27]
	s_cbranch_execz .LBB150_120
; %bb.119:                              ;   in Loop: Header=BB150_110 Depth=2
	global_load_dword v13, v[8:9], off offset:1024
.LBB150_120:                            ;   in Loop: Header=BB150_110 Depth=2
	;; [unrolled: 14-line block ×7, first 2 shown]
	s_or_b64 exec, exec, s[84:85]
	s_and_saveexec_b64 s[84:85], s[50:51]
	s_cbranch_execz .LBB150_142
; %bb.141:                              ;   in Loop: Header=BB150_110 Depth=2
	global_load_dword v21, v[8:9], off offset:3840
.LBB150_142:                            ;   in Loop: Header=BB150_110 Depth=2
	s_or_b64 exec, exec, s[84:85]
	scratch_load_dword v8, off, off         ; 4-byte Folded Reload
	s_mov_b32 s95, s93
	s_waitcnt vmcnt(0)
	ds_write_b32 v8, v6
	scratch_load_dword v6, off, off offset:4 ; 4-byte Folded Reload
	v_lshl_add_u64 v[8:9], s[94:95], 2, v[42:43]
	s_waitcnt vmcnt(0)
	ds_write_b32 v6, v0 offset:256
	scratch_load_dword v0, off, off offset:8 ; 4-byte Folded Reload
	v_mov_b32_e32 v6, 0
	s_waitcnt vmcnt(0)
	ds_write_b32 v0, v11 offset:512
	scratch_load_dword v0, off, off offset:12 ; 4-byte Folded Reload
	s_waitcnt vmcnt(0)
	ds_write_b32 v0, v10 offset:768
	scratch_load_dword v0, off, off offset:16 ; 4-byte Folded Reload
	;; [unrolled: 3-line block ×13, first 2 shown]
	s_waitcnt vmcnt(0)
	ds_write_b32 v0, v21 offset:3840
	; wave barrier
	ds_read2_b32 v[46:47], v64 offset1:1
	ds_read2_b32 v[50:51], v64 offset0:2 offset1:3
	ds_read2_b32 v[54:55], v64 offset0:4 offset1:5
	;; [unrolled: 1-line block ×7, first 2 shown]
	v_mov_b32_e32 v0, 0
	s_and_saveexec_b64 s[84:85], s[18:19]
	s_cbranch_execz .LBB150_144
; %bb.143:                              ;   in Loop: Header=BB150_110 Depth=2
	global_load_dword v6, v[8:9], off
.LBB150_144:                            ;   in Loop: Header=BB150_110 Depth=2
	s_or_b64 exec, exec, s[84:85]
	s_and_saveexec_b64 s[84:85], s[20:21]
	s_cbranch_execz .LBB150_146
; %bb.145:                              ;   in Loop: Header=BB150_110 Depth=2
	global_load_dword v0, v[8:9], off offset:256
.LBB150_146:                            ;   in Loop: Header=BB150_110 Depth=2
	s_or_b64 exec, exec, s[84:85]
	v_mov_b32_e32 v10, 0
	v_mov_b32_e32 v11, 0
	s_and_saveexec_b64 s[84:85], s[22:23]
	s_cbranch_execz .LBB150_148
; %bb.147:                              ;   in Loop: Header=BB150_110 Depth=2
	global_load_dword v11, v[8:9], off offset:512
.LBB150_148:                            ;   in Loop: Header=BB150_110 Depth=2
	s_or_b64 exec, exec, s[84:85]
	s_and_saveexec_b64 s[84:85], s[24:25]
	s_cbranch_execz .LBB150_150
; %bb.149:                              ;   in Loop: Header=BB150_110 Depth=2
	global_load_dword v10, v[8:9], off offset:768
.LBB150_150:                            ;   in Loop: Header=BB150_110 Depth=2
	s_or_b64 exec, exec, s[84:85]
	v_mov_b32_e32 v12, 0
	v_mov_b32_e32 v13, 0
	s_and_saveexec_b64 s[84:85], s[26:27]
	s_cbranch_execz .LBB150_152
; %bb.151:                              ;   in Loop: Header=BB150_110 Depth=2
	global_load_dword v13, v[8:9], off offset:1024
.LBB150_152:                            ;   in Loop: Header=BB150_110 Depth=2
	;; [unrolled: 14-line block ×7, first 2 shown]
	s_or_b64 exec, exec, s[84:85]
	s_and_saveexec_b64 s[84:85], s[50:51]
	s_cbranch_execz .LBB150_174
; %bb.173:                              ;   in Loop: Header=BB150_110 Depth=2
	global_load_dword v21, v[8:9], off offset:3840
.LBB150_174:                            ;   in Loop: Header=BB150_110 Depth=2
	s_or_b64 exec, exec, s[84:85]
	scratch_load_dword v8, off, off         ; 4-byte Folded Reload
	s_andn2_b64 vcc, exec, s[86:87]
	s_waitcnt vmcnt(0)
	ds_write_b32 v8, v6 offset:4224
	scratch_load_dword v6, off, off offset:132 ; 4-byte Folded Reload
	s_waitcnt vmcnt(0)
	ds_write_b32 v6, v0 offset:256
	scratch_load_dword v0, off, off offset:136 ; 4-byte Folded Reload
	;; [unrolled: 3-line block ×15, first 2 shown]
	s_waitcnt vmcnt(0)
	ds_write_b32 v0, v21 offset:3840
	; wave barrier
	v_add_u32_e32 v0, 0x1080, v64
	ds_read2_b32 v[20:21], v4 offset0:2 offset1:3
	ds_read2_b32 v[18:19], v4 offset0:4 offset1:5
	;; [unrolled: 1-line block ×6, first 2 shown]
	ds_read2_b32 v[22:23], v0 offset1:1
	ds_read2_b32 v[8:9], v4 offset0:14 offset1:15
	s_cbranch_vccnz .LBB150_176
; %bb.175:                              ;   in Loop: Header=BB150_110 Depth=2
	v_mov_b32_e32 v0, s1
	ds_read_b64 v[48:49], v0
	s_cbranch_execz .LBB150_177
	s_branch .LBB150_180
.LBB150_176:                            ;   in Loop: Header=BB150_110 Depth=2
                                        ; implicit-def: $vgpr49
.LBB150_177:                            ;   in Loop: Header=BB150_110 Depth=2
	v_readlane_b32 s84, v95, 0
	v_readlane_b32 s85, v95, 1
	s_andn2_b64 vcc, exec, s[84:85]
	s_waitcnt lgkmcnt(0)
	v_mov_b32_e32 v49, 0
	s_cbranch_vccnz .LBB150_179
; %bb.178:                              ;   in Loop: Header=BB150_110 Depth=2
	s_mov_b32 s99, s93
	s_lshl_b64 s[84:85], s[98:99], 2
	v_readlane_b32 s4, v95, 22
	s_add_u32 s84, s4, s84
	v_readlane_b32 s4, v95, 23
	s_addc_u32 s85, s4, s85
	global_load_dword v49, v1, s[84:85]
	v_readlane_b32 s99, v95, 45
.LBB150_179:                            ;   in Loop: Header=BB150_110 Depth=2
	v_mov_b32_e32 v48, 1.0
.LBB150_180:                            ;   in Loop: Header=BB150_110 Depth=2
	scratch_load_dword v5, off, off offset:64 ; 4-byte Folded Reload
	v_mul_f32_e32 v62, 0x3fb8aa3b, v62
	v_readlane_b32 s4, v95, 32
	v_readlane_b32 s5, v95, 33
	s_waitcnt vmcnt(0)
	v_mul_f32_e32 v0, v62, v5
	v_cmp_gt_f32_e32 vcc, s33, v0
	s_nop 1
	v_cndmask_b32_e32 v0, 0, v2, vcc
	v_fmac_f32_e32 v0, v62, v5
	scratch_load_dword v5, off, off offset:128 ; 4-byte Folded Reload
	v_exp_f32_e32 v0, v0
	v_cndmask_b32_e32 v6, 1.0, v65, vcc
	v_mul_f32_e32 v0, v0, v6
	v_mul_f32_e32 v6, v62, v67
	v_cmp_gt_f32_e32 vcc, s33, v6
	v_cndmask_b32_e64 v79, 1.0, v0, s[52:53]
	s_waitcnt vmcnt(0) lgkmcnt(14)
	v_mul_f32_e32 v5, v46, v5
	v_cndmask_b32_e64 v46, 0, v5, s[52:53]
	scratch_load_dword v5, off, off offset:124 ; 4-byte Folded Reload
	v_cndmask_b32_e32 v6, 0, v2, vcc
	v_fmac_f32_e32 v6, v62, v67
	v_exp_f32_e32 v6, v6
	v_cndmask_b32_e32 v0, 1.0, v65, vcc
	v_mul_f32_e32 v0, v6, v0
	v_mul_f32_e32 v6, v62, v68
	v_cmp_gt_f32_e32 vcc, s33, v6
	s_waitcnt vmcnt(0)
	v_mul_f32_e32 v5, v47, v5
	v_cndmask_b32_e64 v47, 0, v5, s[54:55]
	scratch_load_dword v5, off, off offset:120 ; 4-byte Folded Reload
	v_cndmask_b32_e32 v6, 0, v2, vcc
	v_fmac_f32_e32 v6, v62, v68
	v_exp_f32_e32 v63, v6
	v_cndmask_b32_e64 v6, 1.0, v0, s[54:55]
	v_cndmask_b32_e32 v0, 1.0, v65, vcc
	v_mul_f32_e32 v0, v63, v0
	v_cndmask_b32_e64 v81, 1.0, v0, s[56:57]
	s_waitcnt vmcnt(0)
	v_mul_f32_e32 v5, v50, v5
	v_mul_f32_e32 v50, v62, v69
	v_cmp_gt_f32_e32 vcc, s33, v50
	s_nop 1
	v_cndmask_b32_e32 v50, 0, v2, vcc
	v_fmac_f32_e32 v50, v62, v69
	v_exp_f32_e32 v63, v50
	v_cndmask_b32_e64 v50, 0, v5, s[56:57]
	scratch_load_dword v5, off, off offset:116 ; 4-byte Folded Reload
	v_cndmask_b32_e32 v0, 1.0, v65, vcc
	v_mul_f32_e32 v0, v63, v0
	v_cndmask_b32_e64 v0, 1.0, v0, s[58:59]
	s_waitcnt vmcnt(0)
	v_mul_f32_e32 v5, v51, v5
	v_mul_f32_e32 v51, v62, v70
	v_cmp_gt_f32_e32 vcc, s33, v51
	s_nop 1
	v_cndmask_b32_e32 v51, 0, v2, vcc
	v_fmac_f32_e32 v51, v62, v70
	v_exp_f32_e32 v63, v51
	v_cndmask_b32_e64 v51, 0, v5, s[58:59]
	v_cndmask_b32_e32 v5, 1.0, v65, vcc
	v_mul_f32_e32 v5, v63, v5
	scratch_load_dword v63, off, off offset:112 ; 4-byte Folded Reload
	v_cndmask_b32_e64 v82, 1.0, v5, s[60:61]
	s_waitcnt vmcnt(0)
	v_mul_f32_e32 v54, v54, v63
	v_mul_f32_e32 v63, v62, v71
	v_cmp_gt_f32_e32 vcc, s33, v63
	v_cndmask_b32_e64 v54, 0, v54, s[60:61]
	s_nop 0
	v_cndmask_b32_e32 v63, 0, v2, vcc
	v_fmac_f32_e32 v63, v62, v71
	v_exp_f32_e32 v63, v63
	v_cndmask_b32_e32 v5, 1.0, v65, vcc
	v_mul_f32_e32 v5, v63, v5
	scratch_load_dword v63, off, off offset:108 ; 4-byte Folded Reload
	v_cndmask_b32_e64 v83, 1.0, v5, s[62:63]
	s_waitcnt vmcnt(0)
	v_mul_f32_e32 v55, v55, v63
	v_mul_f32_e32 v63, v62, v72
	v_cmp_gt_f32_e32 vcc, s33, v63
	v_cndmask_b32_e64 v55, 0, v55, s[62:63]
	s_nop 0
	v_cndmask_b32_e32 v63, 0, v2, vcc
	v_fmac_f32_e32 v63, v62, v72
	v_exp_f32_e32 v63, v63
	;; [unrolled: 13-line block ×11, first 2 shown]
	v_cndmask_b32_e32 v5, 1.0, v65, vcc
	v_mul_f32_e32 v5, v62, v5
	scratch_load_dword v62, off, off offset:68 ; 4-byte Folded Reload
	v_cndmask_b32_e64 v93, 1.0, v5, s[82:83]
	v_mul_f32_e32 v5, v6, v79
	v_mul_f32_e32 v5, v5, v81
	;; [unrolled: 1-line block ×14, first 2 shown]
	s_waitcnt vmcnt(0)
	v_mul_f32_e32 v45, v45, v62
	v_fma_f32 v62, v6, v46, v47
	v_fma_f32 v62, v62, v81, v50
	;; [unrolled: 1-line block ×13, first 2 shown]
	v_cndmask_b32_e64 v45, 0, v45, s[82:83]
	v_fma_f32 v63, v62, v92, v44
	v_mul_f32_e32 v62, v5, v93
	v_fma_f32 v66, v63, v93, v45
	s_nop 0
	v_mov_b32_dpp v94, v62 row_shr:1 row_mask:0xf bank_mask:0xf
	v_mov_b32_dpp v5, v66 row_shr:1 row_mask:0xf bank_mask:0xf
	s_and_saveexec_b64 s[84:85], s[4:5]
; %bb.181:                              ;   in Loop: Header=BB150_110 Depth=2
	v_mul_f32_e32 v94, v62, v94
	v_fmac_f32_e32 v66, v62, v5
	v_mov_b32_e32 v62, v94
; %bb.182:                              ;   in Loop: Header=BB150_110 Depth=2
	s_or_b64 exec, exec, s[84:85]
	v_readlane_b32 s4, v95, 34
	v_mov_b32_dpp v5, v62 row_shr:2 row_mask:0xf bank_mask:0xf
	v_mov_b32_dpp v94, v66 row_shr:2 row_mask:0xf bank_mask:0xf
	v_readlane_b32 s5, v95, 35
	s_and_saveexec_b64 s[84:85], s[4:5]
; %bb.183:                              ;   in Loop: Header=BB150_110 Depth=2
	v_fmac_f32_e32 v66, v62, v94
	v_mul_f32_e32 v62, v62, v5
; %bb.184:                              ;   in Loop: Header=BB150_110 Depth=2
	s_or_b64 exec, exec, s[84:85]
	s_nop 0
	v_mov_b32_dpp v5, v62 row_shr:4 row_mask:0xf bank_mask:0xf
	v_mov_b32_dpp v94, v66 row_shr:4 row_mask:0xf bank_mask:0xf
	s_and_saveexec_b64 s[84:85], s[2:3]
; %bb.185:                              ;   in Loop: Header=BB150_110 Depth=2
	v_fmac_f32_e32 v66, v62, v94
	v_mul_f32_e32 v62, v62, v5
; %bb.186:                              ;   in Loop: Header=BB150_110 Depth=2
	s_or_b64 exec, exec, s[84:85]
	v_readlane_b32 s4, v95, 36
	v_mov_b32_dpp v5, v62 row_shr:8 row_mask:0xf bank_mask:0xf
	v_mov_b32_dpp v94, v66 row_shr:8 row_mask:0xf bank_mask:0xf
	v_readlane_b32 s5, v95, 37
	s_and_saveexec_b64 s[84:85], s[4:5]
; %bb.187:                              ;   in Loop: Header=BB150_110 Depth=2
	v_fmac_f32_e32 v66, v62, v94
	v_mul_f32_e32 v62, v62, v5
; %bb.188:                              ;   in Loop: Header=BB150_110 Depth=2
	s_or_b64 exec, exec, s[84:85]
	v_readlane_b32 s4, v95, 38
	v_mov_b32_dpp v5, v62 row_bcast:15 row_mask:0xf bank_mask:0xf
	v_mov_b32_dpp v94, v66 row_bcast:15 row_mask:0xf bank_mask:0xf
	v_readlane_b32 s5, v95, 39
	s_and_saveexec_b64 s[84:85], s[4:5]
; %bb.189:                              ;   in Loop: Header=BB150_110 Depth=2
	v_fmac_f32_e32 v66, v62, v94
	v_mul_f32_e32 v62, v62, v5
; %bb.190:                              ;   in Loop: Header=BB150_110 Depth=2
	s_or_b64 exec, exec, s[84:85]
	s_nop 0
	v_mov_b32_dpp v5, v62 row_bcast:31 row_mask:0xf bank_mask:0xf
	v_mov_b32_dpp v94, v66 row_bcast:31 row_mask:0xf bank_mask:0xf
	v_mov_b32_e32 v63, v66
	v_mul_f32_e32 v5, v62, v5
	v_fmac_f32_e32 v63, v62, v94
	v_readlane_b32 s4, v95, 42
	v_cndmask_b32_e64 v62, v62, v5, s[12:13]
	v_cndmask_b32_e64 v63, v66, v63, s[12:13]
	v_readlane_b32 s5, v95, 43
	s_and_saveexec_b64 s[84:85], s[4:5]
	s_cbranch_execz .LBB150_192
; %bb.191:                              ;   in Loop: Header=BB150_110 Depth=2
	ds_write_b64 v1, v[62:63] offset:8448
.LBB150_192:                            ;   in Loop: Header=BB150_110 Depth=2
	s_or_b64 exec, exec, s[84:85]
	scratch_load_dword v5, off, off offset:192 ; 4-byte Folded Reload
	s_waitcnt lgkmcnt(0)
	; wave barrier
	s_waitcnt vmcnt(0) lgkmcnt(0)
	ds_bpermute_b32 v94, v5, v62
	ds_bpermute_b32 v5, v5, v63
	v_mov_b32_e32 v63, v49
	s_and_saveexec_b64 s[84:85], s[14:15]
	s_cbranch_execz .LBB150_196
; %bb.193:                              ;   in Loop: Header=BB150_110 Depth=2
	ds_read_b64 v[62:63], v1 offset:8448
	s_and_saveexec_b64 s[88:89], s[16:17]
	s_cbranch_execz .LBB150_195
; %bb.194:                              ;   in Loop: Header=BB150_110 Depth=2
	ds_write_b64 v1, v[48:49] offset:8448
.LBB150_195:                            ;   in Loop: Header=BB150_110 Depth=2
	s_or_b64 exec, exec, s[88:89]
	s_waitcnt lgkmcnt(0)
	v_fmac_f32_e32 v63, v49, v62
	v_mul_f32_e32 v48, v48, v62
	v_mov_b32_e32 v49, v63
.LBB150_196:                            ;   in Loop: Header=BB150_110 Depth=2
	s_or_b64 exec, exec, s[84:85]
	s_waitcnt lgkmcnt(0)
	; wave barrier
	s_waitcnt lgkmcnt(0)
	ds_read_b32 v62, v1 offset:8452
	s_and_saveexec_b64 s[84:85], s[16:17]
	s_cbranch_execz .LBB150_109
; %bb.197:                              ;   in Loop: Header=BB150_110 Depth=2
	v_mov_b32_e32 v66, s1
	s_andn2_b64 vcc, exec, s[90:91]
	ds_write_b64 v66, v[48:49]
	s_cbranch_vccnz .LBB150_109
; %bb.198:                              ;   in Loop: Header=BB150_110 Depth=2
	s_mov_b32 s99, s93
	s_lshl_b64 s[88:89], s[98:99], 2
	v_readlane_b32 s4, v95, 22
	s_add_u32 s88, s4, s88
	v_readlane_b32 s4, v95, 23
	v_readlane_b32 s99, v95, 45
	s_addc_u32 s89, s4, s89
	global_store_dword v1, v63, s[88:89]
	s_branch .LBB150_109
.LBB150_199:                            ;   in Loop: Header=BB150_13 Depth=1
	scratch_load_dwordx2 v[42:43], off, off offset:196 ; 8-byte Folded Reload
	v_readlane_b32 s6, v95, 51
	v_readlane_b32 s4, v95, 53
	;; [unrolled: 1-line block ×6, first 2 shown]
.LBB150_200:                            ;   in Loop: Header=BB150_13 Depth=1
	s_waitcnt lgkmcnt(0)
	; wave barrier
	ds_write2_b32 v64, v38, v39 offset1:1
	ds_write2_b32 v64, v36, v37 offset0:2 offset1:3
	ds_write2_b32 v64, v34, v35 offset0:4 offset1:5
	;; [unrolled: 1-line block ×7, first 2 shown]
	; wave barrier
	scratch_load_dword v0, off, off offset:4 ; 4-byte Folded Reload
	scratch_load_dwordx2 v[8:9], off, off offset:272 ; 8-byte Folded Reload
	v_readlane_b32 s0, v95, 47
	v_readlane_b32 s1, v95, 48
	s_mov_b32 s1, s93
	s_waitcnt vmcnt(1)
	ds_read_b32 v19, v0 offset:256
	scratch_load_dword v0, off, off offset:8 ; 4-byte Folded Reload
	s_waitcnt vmcnt(1)
	v_lshl_add_u64 v[8:9], s[0:1], 2, v[8:9]
	s_waitcnt vmcnt(0)
	ds_read_b32 v18, v0 offset:512
	scratch_load_dword v0, off, off offset:12 ; 4-byte Folded Reload
	s_waitcnt vmcnt(0)
	ds_read_b32 v17, v0 offset:768
	scratch_load_dword v0, off, off offset:16 ; 4-byte Folded Reload
	;; [unrolled: 3-line block ×13, first 2 shown]
	s_waitcnt vmcnt(0)
	ds_read_b32 v0, v0 offset:3840
	s_and_saveexec_b64 s[52:53], s[18:19]
	s_cbranch_execnz .LBB150_218
; %bb.201:                              ;   in Loop: Header=BB150_13 Depth=1
	s_or_b64 exec, exec, s[52:53]
	s_and_saveexec_b64 s[18:19], s[20:21]
	s_cbranch_execnz .LBB150_219
.LBB150_202:                            ;   in Loop: Header=BB150_13 Depth=1
	s_or_b64 exec, exec, s[18:19]
	s_and_saveexec_b64 s[18:19], s[22:23]
	s_cbranch_execnz .LBB150_220
.LBB150_203:                            ;   in Loop: Header=BB150_13 Depth=1
	s_or_b64 exec, exec, s[18:19]
	s_and_saveexec_b64 s[18:19], s[24:25]
	s_cbranch_execnz .LBB150_221
.LBB150_204:                            ;   in Loop: Header=BB150_13 Depth=1
	s_or_b64 exec, exec, s[18:19]
	s_and_saveexec_b64 s[18:19], s[26:27]
	s_cbranch_execnz .LBB150_222
.LBB150_205:                            ;   in Loop: Header=BB150_13 Depth=1
	s_or_b64 exec, exec, s[18:19]
	s_and_saveexec_b64 s[18:19], s[28:29]
	s_cbranch_execnz .LBB150_223
.LBB150_206:                            ;   in Loop: Header=BB150_13 Depth=1
	s_or_b64 exec, exec, s[18:19]
	s_and_saveexec_b64 s[18:19], s[30:31]
	s_cbranch_execnz .LBB150_224
.LBB150_207:                            ;   in Loop: Header=BB150_13 Depth=1
	s_or_b64 exec, exec, s[18:19]
	s_and_saveexec_b64 s[18:19], s[34:35]
	s_cbranch_execnz .LBB150_225
.LBB150_208:                            ;   in Loop: Header=BB150_13 Depth=1
	s_or_b64 exec, exec, s[18:19]
	s_and_saveexec_b64 s[18:19], s[36:37]
	s_cbranch_execnz .LBB150_226
.LBB150_209:                            ;   in Loop: Header=BB150_13 Depth=1
	s_or_b64 exec, exec, s[18:19]
	s_and_saveexec_b64 s[18:19], s[38:39]
	s_cbranch_execnz .LBB150_227
.LBB150_210:                            ;   in Loop: Header=BB150_13 Depth=1
	s_or_b64 exec, exec, s[18:19]
	s_and_saveexec_b64 s[18:19], s[40:41]
	s_cbranch_execnz .LBB150_228
.LBB150_211:                            ;   in Loop: Header=BB150_13 Depth=1
	s_or_b64 exec, exec, s[18:19]
	s_and_saveexec_b64 s[18:19], s[42:43]
	s_cbranch_execnz .LBB150_229
.LBB150_212:                            ;   in Loop: Header=BB150_13 Depth=1
	s_or_b64 exec, exec, s[18:19]
	s_and_saveexec_b64 s[18:19], s[44:45]
	s_cbranch_execnz .LBB150_230
.LBB150_213:                            ;   in Loop: Header=BB150_13 Depth=1
	s_or_b64 exec, exec, s[18:19]
	s_and_saveexec_b64 s[18:19], s[46:47]
	s_cbranch_execnz .LBB150_231
.LBB150_214:                            ;   in Loop: Header=BB150_13 Depth=1
	s_or_b64 exec, exec, s[18:19]
	s_and_saveexec_b64 s[18:19], s[48:49]
	s_cbranch_execnz .LBB150_232
.LBB150_215:                            ;   in Loop: Header=BB150_13 Depth=1
	s_or_b64 exec, exec, s[18:19]
	s_and_saveexec_b64 s[18:19], s[50:51]
	s_cbranch_execz .LBB150_12
	s_branch .LBB150_233
.LBB150_216:                            ;   in Loop: Header=BB150_13 Depth=1
	global_load_dword v36, v[24:25], off offset:3328
	s_or_b64 exec, exec, s[52:53]
	s_and_saveexec_b64 s[52:53], s[48:49]
	s_cbranch_execz .LBB150_73
.LBB150_217:                            ;   in Loop: Header=BB150_13 Depth=1
	global_load_dword v35, v[24:25], off offset:3584
	s_or_b64 exec, exec, s[52:53]
	v_mov_b32_e32 v37, 0
	s_and_saveexec_b64 s[52:53], s[50:51]
	s_cbranch_execnz .LBB150_74
	s_branch .LBB150_75
.LBB150_218:                            ;   in Loop: Header=BB150_13 Depth=1
	scratch_load_dword v20, off, off        ; 4-byte Folded Reload
	s_waitcnt vmcnt(0)
	ds_read_b32 v20, v20
	s_waitcnt lgkmcnt(0)
	global_store_dword v[8:9], v20, off
	s_or_b64 exec, exec, s[52:53]
	s_and_saveexec_b64 s[18:19], s[20:21]
	s_cbranch_execz .LBB150_202
.LBB150_219:                            ;   in Loop: Header=BB150_13 Depth=1
	s_waitcnt lgkmcnt(14)
	global_store_dword v[8:9], v19, off offset:256
	s_or_b64 exec, exec, s[18:19]
	s_and_saveexec_b64 s[18:19], s[22:23]
	s_cbranch_execz .LBB150_203
.LBB150_220:                            ;   in Loop: Header=BB150_13 Depth=1
	s_waitcnt lgkmcnt(13)
	global_store_dword v[8:9], v18, off offset:512
	s_or_b64 exec, exec, s[18:19]
	s_and_saveexec_b64 s[18:19], s[24:25]
	s_cbranch_execz .LBB150_204
.LBB150_221:                            ;   in Loop: Header=BB150_13 Depth=1
	s_waitcnt lgkmcnt(12)
	global_store_dword v[8:9], v17, off offset:768
	s_or_b64 exec, exec, s[18:19]
	s_and_saveexec_b64 s[18:19], s[26:27]
	s_cbranch_execz .LBB150_205
.LBB150_222:                            ;   in Loop: Header=BB150_13 Depth=1
	s_waitcnt lgkmcnt(11)
	global_store_dword v[8:9], v16, off offset:1024
	s_or_b64 exec, exec, s[18:19]
	s_and_saveexec_b64 s[18:19], s[28:29]
	s_cbranch_execz .LBB150_206
.LBB150_223:                            ;   in Loop: Header=BB150_13 Depth=1
	s_waitcnt lgkmcnt(10)
	global_store_dword v[8:9], v15, off offset:1280
	s_or_b64 exec, exec, s[18:19]
	s_and_saveexec_b64 s[18:19], s[30:31]
	s_cbranch_execz .LBB150_207
.LBB150_224:                            ;   in Loop: Header=BB150_13 Depth=1
	s_waitcnt lgkmcnt(9)
	global_store_dword v[8:9], v14, off offset:1536
	s_or_b64 exec, exec, s[18:19]
	s_and_saveexec_b64 s[18:19], s[34:35]
	s_cbranch_execz .LBB150_208
.LBB150_225:                            ;   in Loop: Header=BB150_13 Depth=1
	s_waitcnt lgkmcnt(8)
	global_store_dword v[8:9], v13, off offset:1792
	s_or_b64 exec, exec, s[18:19]
	s_and_saveexec_b64 s[18:19], s[36:37]
	s_cbranch_execz .LBB150_209
.LBB150_226:                            ;   in Loop: Header=BB150_13 Depth=1
	s_waitcnt lgkmcnt(7)
	global_store_dword v[8:9], v12, off offset:2048
	s_or_b64 exec, exec, s[18:19]
	s_and_saveexec_b64 s[18:19], s[38:39]
	s_cbranch_execz .LBB150_210
.LBB150_227:                            ;   in Loop: Header=BB150_13 Depth=1
	s_waitcnt lgkmcnt(6)
	global_store_dword v[8:9], v11, off offset:2304
	s_or_b64 exec, exec, s[18:19]
	s_and_saveexec_b64 s[18:19], s[40:41]
	s_cbranch_execz .LBB150_211
.LBB150_228:                            ;   in Loop: Header=BB150_13 Depth=1
	s_waitcnt lgkmcnt(5)
	global_store_dword v[8:9], v10, off offset:2560
	s_or_b64 exec, exec, s[18:19]
	s_and_saveexec_b64 s[18:19], s[42:43]
	s_cbranch_execz .LBB150_212
.LBB150_229:                            ;   in Loop: Header=BB150_13 Depth=1
	s_waitcnt lgkmcnt(4)
	global_store_dword v[8:9], v7, off offset:2816
	s_or_b64 exec, exec, s[18:19]
	s_and_saveexec_b64 s[18:19], s[44:45]
	s_cbranch_execz .LBB150_213
.LBB150_230:                            ;   in Loop: Header=BB150_13 Depth=1
	s_waitcnt lgkmcnt(3)
	global_store_dword v[8:9], v6, off offset:3072
	s_or_b64 exec, exec, s[18:19]
	s_and_saveexec_b64 s[18:19], s[46:47]
	s_cbranch_execz .LBB150_214
.LBB150_231:                            ;   in Loop: Header=BB150_13 Depth=1
	s_waitcnt lgkmcnt(2)
	global_store_dword v[8:9], v5, off offset:3328
	s_or_b64 exec, exec, s[18:19]
	s_and_saveexec_b64 s[18:19], s[48:49]
	s_cbranch_execz .LBB150_215
.LBB150_232:                            ;   in Loop: Header=BB150_13 Depth=1
	s_waitcnt lgkmcnt(1)
	global_store_dword v[8:9], v3, off offset:3584
	s_or_b64 exec, exec, s[18:19]
	s_and_saveexec_b64 s[18:19], s[50:51]
	s_cbranch_execz .LBB150_12
.LBB150_233:                            ;   in Loop: Header=BB150_13 Depth=1
	s_waitcnt lgkmcnt(0)
	global_store_dword v[8:9], v0, off offset:3840
	s_branch .LBB150_12
.LBB150_234:
	s_endpgm
	.section	.rodata,"a",@progbits
	.p2align	6, 0x0
	.amdhsa_kernel _Z25selective_scan_fwd_kernelI32Selective_Scan_fwd_kernel_traitsILi64ELi16ELi1ELb0ELb1ELb1ELb0ELb1EfffEEv13SSMParamsBase
		.amdhsa_group_segment_fixed_size 0
		.amdhsa_private_segment_fixed_size 348
		.amdhsa_kernarg_size 248
		.amdhsa_user_sgpr_count 2
		.amdhsa_user_sgpr_dispatch_ptr 0
		.amdhsa_user_sgpr_queue_ptr 0
		.amdhsa_user_sgpr_kernarg_segment_ptr 1
		.amdhsa_user_sgpr_dispatch_id 0
		.amdhsa_user_sgpr_kernarg_preload_length 0
		.amdhsa_user_sgpr_kernarg_preload_offset 0
		.amdhsa_user_sgpr_private_segment_size 0
		.amdhsa_uses_dynamic_stack 0
		.amdhsa_enable_private_segment 1
		.amdhsa_system_sgpr_workgroup_id_x 1
		.amdhsa_system_sgpr_workgroup_id_y 1
		.amdhsa_system_sgpr_workgroup_id_z 0
		.amdhsa_system_sgpr_workgroup_info 0
		.amdhsa_system_vgpr_workitem_id 0
		.amdhsa_next_free_vgpr 96
		.amdhsa_next_free_sgpr 100
		.amdhsa_accum_offset 96
		.amdhsa_reserve_vcc 1
		.amdhsa_float_round_mode_32 0
		.amdhsa_float_round_mode_16_64 0
		.amdhsa_float_denorm_mode_32 3
		.amdhsa_float_denorm_mode_16_64 3
		.amdhsa_dx10_clamp 1
		.amdhsa_ieee_mode 1
		.amdhsa_fp16_overflow 0
		.amdhsa_tg_split 0
		.amdhsa_exception_fp_ieee_invalid_op 0
		.amdhsa_exception_fp_denorm_src 0
		.amdhsa_exception_fp_ieee_div_zero 0
		.amdhsa_exception_fp_ieee_overflow 0
		.amdhsa_exception_fp_ieee_underflow 0
		.amdhsa_exception_fp_ieee_inexact 0
		.amdhsa_exception_int_div_zero 0
	.end_amdhsa_kernel
	.section	.text._Z25selective_scan_fwd_kernelI32Selective_Scan_fwd_kernel_traitsILi64ELi16ELi1ELb0ELb1ELb1ELb0ELb1EfffEEv13SSMParamsBase,"axG",@progbits,_Z25selective_scan_fwd_kernelI32Selective_Scan_fwd_kernel_traitsILi64ELi16ELi1ELb0ELb1ELb1ELb0ELb1EfffEEv13SSMParamsBase,comdat
.Lfunc_end150:
	.size	_Z25selective_scan_fwd_kernelI32Selective_Scan_fwd_kernel_traitsILi64ELi16ELi1ELb0ELb1ELb1ELb0ELb1EfffEEv13SSMParamsBase, .Lfunc_end150-_Z25selective_scan_fwd_kernelI32Selective_Scan_fwd_kernel_traitsILi64ELi16ELi1ELb0ELb1ELb1ELb0ELb1EfffEEv13SSMParamsBase
                                        ; -- End function
	.section	.AMDGPU.csdata,"",@progbits
; Kernel info:
; codeLenInByte = 22532
; NumSgprs: 106
; NumVgprs: 96
; NumAgprs: 0
; TotalNumVgprs: 96
; ScratchSize: 348
; MemoryBound: 0
; FloatMode: 240
; IeeeMode: 1
; LDSByteSize: 0 bytes/workgroup (compile time only)
; SGPRBlocks: 13
; VGPRBlocks: 11
; NumSGPRsForWavesPerEU: 106
; NumVGPRsForWavesPerEU: 96
; AccumOffset: 96
; Occupancy: 5
; WaveLimiterHint : 1
; COMPUTE_PGM_RSRC2:SCRATCH_EN: 1
; COMPUTE_PGM_RSRC2:USER_SGPR: 2
; COMPUTE_PGM_RSRC2:TRAP_HANDLER: 0
; COMPUTE_PGM_RSRC2:TGID_X_EN: 1
; COMPUTE_PGM_RSRC2:TGID_Y_EN: 1
; COMPUTE_PGM_RSRC2:TGID_Z_EN: 0
; COMPUTE_PGM_RSRC2:TIDIG_COMP_CNT: 0
; COMPUTE_PGM_RSRC3_GFX90A:ACCUM_OFFSET: 23
; COMPUTE_PGM_RSRC3_GFX90A:TG_SPLIT: 0
	.section	.text._Z25selective_scan_fwd_kernelI32Selective_Scan_fwd_kernel_traitsILi64ELi16ELi1ELb0ELb1ELb1ELb0ELb0EfffEEv13SSMParamsBase,"axG",@progbits,_Z25selective_scan_fwd_kernelI32Selective_Scan_fwd_kernel_traitsILi64ELi16ELi1ELb0ELb1ELb1ELb0ELb0EfffEEv13SSMParamsBase,comdat
	.protected	_Z25selective_scan_fwd_kernelI32Selective_Scan_fwd_kernel_traitsILi64ELi16ELi1ELb0ELb1ELb1ELb0ELb0EfffEEv13SSMParamsBase ; -- Begin function _Z25selective_scan_fwd_kernelI32Selective_Scan_fwd_kernel_traitsILi64ELi16ELi1ELb0ELb1ELb1ELb0ELb0EfffEEv13SSMParamsBase
	.globl	_Z25selective_scan_fwd_kernelI32Selective_Scan_fwd_kernel_traitsILi64ELi16ELi1ELb0ELb1ELb1ELb0ELb0EfffEEv13SSMParamsBase
	.p2align	8
	.type	_Z25selective_scan_fwd_kernelI32Selective_Scan_fwd_kernel_traitsILi64ELi16ELi1ELb0ELb1ELb1ELb0ELb0EfffEEv13SSMParamsBase,@function
_Z25selective_scan_fwd_kernelI32Selective_Scan_fwd_kernel_traitsILi64ELi16ELi1ELb0ELb1ELb1ELb0ELb0EfffEEv13SSMParamsBase: ; @_Z25selective_scan_fwd_kernelI32Selective_Scan_fwd_kernel_traitsILi64ELi16ELi1ELb0ELb1ELb1ELb0ELb0EfffEEv13SSMParamsBase
; %bb.0:
	s_load_dword s27, s[0:1], 0x18
	s_load_dwordx4 s[4:7], s[0:1], 0xe8
	s_mov_b32 s20, s3
                                        ; implicit-def: $vgpr95 : SGPR spill to VGPR lane
	s_waitcnt lgkmcnt(0)
	s_abs_i32 s26, s27
	v_cvt_f32_u32_e32 v1, s26
	s_cmp_eq_u64 s[6:7], 0
	v_rcp_iflag_f32_e32 v1, v1
	s_nop 0
	v_mul_f32_e32 v1, 0x4f7ffffe, v1
	v_cvt_u32_f32_e32 v1, v1
	s_nop 0
	v_readfirstlane_b32 s22, v1
	s_cbranch_scc1 .LBB151_2
; %bb.1:
	s_ashr_i32 s3, s2, 31
	s_add_u32 s6, s6, s2
	s_addc_u32 s7, s7, s3
	v_mov_b32_e32 v1, 0
	global_load_ubyte v1, v1, s[6:7]
	s_waitcnt vmcnt(0)
	v_and_b32_e32 v1, 1, v1
	v_cmp_eq_u32_e64 s[6:7], 1, v1
	s_branch .LBB151_3
.LBB151_2:
	s_mov_b64 s[6:7], 0
.LBB151_3:
	s_nop 0
	v_writelane_b32 v95, s6, 0
	s_cmp_eq_u64 s[4:5], 0
	s_nop 0
	v_writelane_b32 v95, s7, 1
	s_load_dwordx2 s[6:7], s[0:1], 0x20
	s_cbranch_scc1 .LBB151_5
; %bb.4:
	s_ashr_i32 s3, s2, 31
	s_lshl_b64 s[8:9], s[2:3], 2
	s_add_u32 s4, s4, s8
	s_addc_u32 s5, s5, s9
	s_load_dword s24, s[4:5], 0x0
	s_waitcnt lgkmcnt(0)
	s_ashr_i32 s25, s24, 31
	s_cmp_eq_u64 s[6:7], s[24:25]
	s_cbranch_scc0 .LBB151_6
	s_branch .LBB151_234
.LBB151_5:
	s_mov_b32 s24, s2
	s_ashr_i32 s25, s24, 31
	s_waitcnt lgkmcnt(0)
	s_cmp_eq_u64 s[6:7], s[24:25]
	s_cbranch_scc1 .LBB151_234
.LBB151_6:
	s_load_dwordx16 s[4:19], s[0:1], 0x88
	s_load_dwordx2 s[54:55], s[0:1], 0x8
	s_mov_b32 s3, 0
	s_mov_b32 s33, 0
	v_writelane_b32 v95, s3, 2
	s_waitcnt lgkmcnt(0)
	s_cmp_eq_u64 s[10:11], 0
	s_cbranch_scc1 .LBB151_8
; %bb.7:
	s_ashr_i32 s21, s20, 31
	s_lshl_b64 s[28:29], s[20:21], 2
	s_add_u32 s10, s10, s28
	s_addc_u32 s11, s11, s29
	s_load_dword s3, s[10:11], 0x0
	s_waitcnt lgkmcnt(0)
	v_writelane_b32 v95, s3, 2
.LBB151_8:
	s_cmp_eq_u64 s[16:17], 0
	s_cbranch_scc1 .LBB151_10
; %bb.9:
	s_ashr_i32 s21, s20, 31
	s_lshl_b64 s[10:11], s[20:21], 2
	s_add_u32 s10, s16, s10
	s_addc_u32 s11, s17, s11
	s_load_dword s33, s[10:11], 0x0
.LBB151_10:
	s_cmp_lt_i32 s54, 1
	s_cbranch_scc1 .LBB151_234
; %bb.11:
	s_sub_i32 s3, 0, s26
	s_mul_i32 s3, s3, s22
	s_mul_hi_u32 s3, s22, s3
	s_abs_i32 s21, s20
	s_add_i32 s3, s22, s3
	s_load_dwordx8 s[36:43], s[0:1], 0x2c
	s_load_dwordx2 s[10:11], s[0:1], 0x5c
	s_load_dwordx4 s[28:31], s[0:1], 0x4c
	s_load_dwordx4 s[44:47], s[0:1], 0x7c
	s_load_dwordx2 s[22:23], s[0:1], 0x6c
	s_load_dwordx2 s[16:17], s[0:1], 0xc8
	s_mul_hi_u32 s3, s21, s3
	s_load_dword s25, s[0:1], 0x28
	s_ashr_i32 s0, s20, 31
	s_ashr_i32 s1, s27, 31
	s_xor_b32 s0, s0, s1
	s_mul_i32 s1, s3, s26
	v_mbcnt_lo_u32_b32 v2, -1, 0
	s_sub_i32 s1, s21, s1
	v_mbcnt_hi_u32_b32 v20, -1, v2
	s_add_i32 s21, s3, 1
	s_sub_i32 s27, s1, s26
	v_lshrrev_b32_e32 v2, 5, v20
	s_cmp_ge_u32 s1, s26
	v_add_u32_e32 v2, v2, v20
	s_cselect_b32 s3, s21, s3
	v_add_u32_e32 v3, 64, v20
	v_lshl_add_u32 v2, v2, 2, 0
	s_cselect_b32 s1, s27, s1
	s_add_i32 s21, s3, 1
	scratch_store_dword off, v2, off        ; 4-byte Folded Spill
	scratch_store_dword off, v3, off offset:212 ; 4-byte Folded Spill
	v_lshrrev_b32_e32 v2, 5, v3
	s_cmp_ge_u32 s1, s26
	v_add_lshl_u32 v2, v2, v20, 2
	s_cselect_b32 s1, s21, s3
	v_or_b32_e32 v4, 0x80, v20
	v_add_u32_e32 v3, 0, v2
	s_xor_b32 s1, s1, s0
	s_waitcnt lgkmcnt(0)
	s_mul_i32 s88, s30, s2
	s_mov_b32 s89, 0
	scratch_store_dword off, v3, off offset:4 ; 4-byte Folded Spill
	scratch_store_dword off, v4, off offset:216 ; 4-byte Folded Spill
	v_lshrrev_b32_e32 v3, 5, v4
	s_sub_i32 s3, s1, s0
	s_lshl_b64 s[0:1], s[88:89], 2
	v_add_lshl_u32 v3, v3, v20, 2
	s_add_u32 s12, s12, s0
	s_mul_i32 s88, s31, s20
	v_add_u32_e32 v5, 0xc0, v20
	v_add_u32_e32 v4, 0, v3
	s_addc_u32 s13, s13, s1
	s_lshl_b64 s[0:1], s[88:89], 2
	scratch_store_dword off, v4, off offset:8 ; 4-byte Folded Spill
	scratch_store_dword off, v5, off offset:220 ; 4-byte Folded Spill
	v_lshrrev_b32_e32 v4, 5, v5
	s_add_u32 s26, s12, s0
	s_mul_i32 s88, s10, s2
	v_add_lshl_u32 v4, v4, v20, 2
	s_addc_u32 s27, s13, s1
	s_lshl_b64 s[0:1], s[88:89], 2
	v_or_b32_e32 v6, 0x100, v20
	v_add_u32_e32 v5, 0, v4
	s_add_u32 s10, s14, s0
	s_mul_i32 s88, s11, s20
	scratch_store_dword off, v5, off offset:12 ; 4-byte Folded Spill
	scratch_store_dword off, v6, off offset:224 ; 4-byte Folded Spill
	v_lshrrev_b32_e32 v5, 5, v6
	s_addc_u32 s12, s15, s1
	s_lshl_b64 s[0:1], s[88:89], 2
	v_add_lshl_u32 v5, v5, v20, 2
	s_add_u32 s0, s10, s0
	v_add_u32_e32 v7, 0x140, v20
	v_add_u32_e32 v6, 0, v5
	s_addc_u32 s1, s12, s1
	scratch_store_dword off, v6, off offset:16 ; 4-byte Folded Spill
	scratch_store_dword off, v7, off offset:228 ; 4-byte Folded Spill
	v_lshrrev_b32_e32 v6, 5, v7
	v_writelane_b32 v95, s0, 3
	s_mul_i32 s88, s36, s20
	v_add_lshl_u32 v6, v6, v20, 2
	v_writelane_b32 v95, s1, 4
	s_lshl_b64 s[0:1], s[88:89], 2
	v_or_b32_e32 v8, 0x180, v20
	v_add_u32_e32 v7, 0, v6
	s_add_u32 s97, s4, s0
	scratch_store_dword off, v7, off offset:20 ; 4-byte Folded Spill
	scratch_store_dword off, v8, off offset:232 ; 4-byte Folded Spill
	v_lshrrev_b32_e32 v7, 5, v8
	s_addc_u32 s0, s5, s1
	v_add_lshl_u32 v7, v7, v20, 2
	v_writelane_b32 v95, s0, 5
	s_mul_i32 s88, s38, s2
	v_add_u32_e32 v9, 0x1c0, v20
	v_add_u32_e32 v8, 0, v7
	s_lshl_b64 s[0:1], s[88:89], 2
	s_mul_i32 s88, s3, s41
	v_writelane_b32 v95, s36, 6
	scratch_store_dword off, v8, off offset:24 ; 4-byte Folded Spill
	scratch_store_dword off, v9, off offset:236 ; 4-byte Folded Spill
	v_lshrrev_b32_e32 v8, 5, v9
	v_writelane_b32 v95, s37, 7
	v_add_lshl_u32 v8, v8, v20, 2
	v_writelane_b32 v95, s38, 8
	v_or_b32_e32 v10, 0x200, v20
	v_add_u32_e32 v9, 0, v8
	v_writelane_b32 v95, s39, 9
	scratch_store_dword off, v9, off offset:28 ; 4-byte Folded Spill
	scratch_store_dword off, v10, off offset:240 ; 4-byte Folded Spill
	v_lshrrev_b32_e32 v9, 5, v10
	v_writelane_b32 v95, s40, 10
	v_add_lshl_u32 v9, v9, v20, 2
	s_add_u32 s4, s6, s0
	v_writelane_b32 v95, s41, 11
	v_add_u32_e32 v11, 0x240, v20
	v_add_u32_e32 v10, 0, v9
	s_addc_u32 s5, s7, s1
	s_lshl_b64 s[0:1], s[88:89], 2
	v_writelane_b32 v95, s42, 12
	scratch_store_dword off, v10, off offset:32 ; 4-byte Folded Spill
	scratch_store_dword off, v11, off offset:244 ; 4-byte Folded Spill
	v_lshrrev_b32_e32 v10, 5, v11
	s_add_u32 s6, s4, s0
	v_writelane_b32 v95, s43, 13
	s_mul_i32 s88, s42, s2
	v_add_lshl_u32 v10, v10, v20, 2
	s_addc_u32 s7, s5, s1
	s_lshl_b64 s[0:1], s[88:89], 2
	v_writelane_b32 v95, s28, 14
	v_or_b32_e32 v12, 0x280, v20
	v_add_u32_e32 v11, 0, v10
	s_add_u32 s4, s8, s0
	v_writelane_b32 v95, s29, 15
	s_mul_i32 s88, s3, s29
	scratch_store_dword off, v11, off offset:36 ; 4-byte Folded Spill
	scratch_store_dword off, v12, off offset:248 ; 4-byte Folded Spill
	v_lshrrev_b32_e32 v11, 5, v12
	s_addc_u32 s5, s9, s1
	v_writelane_b32 v95, s30, 16
	s_lshl_b64 s[0:1], s[88:89], 2
	v_add_lshl_u32 v11, v11, v20, 2
	v_writelane_b32 v95, s31, 17
	s_add_u32 s8, s4, s0
	s_mul_i32 s88, s24, s44
	v_add_u32_e32 v13, 0x2c0, v20
	v_add_u32_e32 v12, 0, v11
	s_addc_u32 s9, s5, s1
	s_lshl_b64 s[0:1], s[88:89], 2
	v_writelane_b32 v95, s44, 18
	scratch_store_dword off, v12, off offset:40 ; 4-byte Folded Spill
	scratch_store_dword off, v13, off offset:252 ; 4-byte Folded Spill
	v_lshrrev_b32_e32 v12, 5, v13
	s_add_u32 s3, s16, s0
	v_writelane_b32 v95, s45, 19
	s_mul_i32 s88, s45, s20
	v_add_lshl_u32 v12, v12, v20, 2
	s_addc_u32 s4, s17, s1
	v_writelane_b32 v95, s46, 20
	s_lshl_b64 s[0:1], s[88:89], 2
	v_or_b32_e32 v14, 0x300, v20
	v_add_u32_e32 v13, 0, v12
	v_writelane_b32 v95, s47, 21
	s_add_u32 s0, s3, s0
	scratch_store_dword off, v13, off offset:44 ; 4-byte Folded Spill
	scratch_store_dword off, v14, off offset:256 ; 4-byte Folded Spill
	v_lshrrev_b32_e32 v13, 5, v14
	v_writelane_b32 v95, s0, 22
	s_addc_u32 s0, s4, s1
	v_add_lshl_u32 v13, v13, v20, 2
	v_writelane_b32 v95, s0, 23
	s_add_i32 s0, s54, 0x7ff
	v_add_u32_e32 v15, 0x340, v20
	v_add_u32_e32 v14, 0, v13
	s_lshr_b32 s1, s0, 11
	scratch_store_dword off, v14, off offset:48 ; 4-byte Folded Spill
	scratch_store_dword off, v15, off offset:260 ; 4-byte Folded Spill
	v_lshrrev_b32_e32 v14, 5, v15
	v_add_lshl_u32 v14, v14, v20, 2
	s_bitcmp1_b32 s25, 0
	v_or_b32_e32 v16, 0x380, v20
	v_add_u32_e32 v15, 0, v14
	s_cselect_b64 s[4:5], -1, 0
	scratch_store_dword off, v15, off offset:52 ; 4-byte Folded Spill
	scratch_store_dword off, v16, off offset:264 ; 4-byte Folded Spill
	v_lshrrev_b32_e32 v15, 5, v16
	v_writelane_b32 v95, s4, 24
	s_cmp_gt_i32 s55, 0
	v_add_lshl_u32 v15, v15, v20, 2
	v_writelane_b32 v95, s5, 25
	s_cselect_b64 s[4:5], -1, 0
	s_add_i32 s0, 0, 0x1080
	v_add_u32_e32 v16, 0, v15
	v_add_u32_e32 v2, s0, v2
	;; [unrolled: 1-line block ×3, first 2 shown]
	scratch_store_dword off, v16, off offset:56 ; 4-byte Folded Spill
	scratch_store_dword off, v17, off offset:268 ; 4-byte Folded Spill
	;; [unrolled: 1-line block ×3, first 2 shown]
	v_add_u32_e32 v2, s0, v3
	scratch_store_dword off, v2, off offset:136 ; 4-byte Folded Spill
	v_add_u32_e32 v2, s0, v4
	scratch_store_dword off, v2, off offset:140 ; 4-byte Folded Spill
	;; [unrolled: 2-line block ×7, first 2 shown]
	v_add_u32_e32 v2, s0, v10
	v_lshrrev_b32_e32 v16, 5, v17
	scratch_store_dword off, v2, off offset:164 ; 4-byte Folded Spill
	v_add_u32_e32 v2, s0, v11
	v_add_lshl_u32 v16, v16, v20, 2
	scratch_store_dword off, v2, off offset:168 ; 4-byte Folded Spill
	v_add_u32_e32 v2, s0, v12
	v_add_u32_e32 v17, 0, v16
	scratch_store_dword off, v2, off offset:172 ; 4-byte Folded Spill
	v_add_u32_e32 v2, s0, v13
	scratch_store_dword off, v17, off offset:60 ; 4-byte Folded Spill
	v_lshlrev_b32_e32 v17, 4, v20
	v_bfe_u32 v18, v20, 1, 27
	scratch_store_dword off, v2, off offset:176 ; 4-byte Folded Spill
	v_add_u32_e32 v2, s0, v14
	v_add_lshl_u32 v17, v18, v17, 2
	scratch_store_dword off, v2, off offset:180 ; 4-byte Folded Spill
	v_add_u32_e32 v2, s0, v15
	scratch_store_dword off, v2, off offset:184 ; 4-byte Folded Spill
	v_add_u32_e32 v2, s0, v16
	v_add_u32_e32 v4, s0, v17
	s_and_b32 s0, s54, 0x3ff
	v_writelane_b32 v95, s4, 26
	s_cmp_eq_u32 s0, 0
	scratch_store_dword off, v2, off offset:188 ; 4-byte Folded Spill
	v_writelane_b32 v95, s5, 27
	s_cselect_b64 s[4:5], -1, 0
	v_writelane_b32 v95, s4, 28
	v_and_b32_e32 v2, 15, v20
	v_cmp_lt_u32_e64 s[84:85], 3, v2
	v_writelane_b32 v95, s5, 29
	v_cmp_ne_u32_e64 s[4:5], 0, v2
	v_and_b32_e32 v3, 64, v20
	v_lshlrev_b32_e32 v19, 4, v0
	v_writelane_b32 v95, s4, 30
	s_mul_i32 s88, s22, s2
	s_add_i32 s0, s1, -1
	v_writelane_b32 v95, s5, 31
	v_cmp_lt_u32_e64 s[4:5], 1, v2
	s_lshl_b64 s[2:3], s[88:89], 2
	s_mul_i32 s88, s23, s20
	v_writelane_b32 v95, s4, 32
	v_mov_b32_e32 v1, 0
	v_cmp_gt_u32_e64 s[14:15], 64, v0
	v_writelane_b32 v95, s5, 33
	v_cmp_lt_u32_e64 s[4:5], 7, v2
	v_and_b32_e32 v2, 16, v20
	v_cmp_eq_u32_e64 s[16:17], 0, v0
	v_writelane_b32 v95, s4, 34
	v_add_u32_e32 v64, 0, v17
	v_cmp_lt_u32_e64 s[12:13], 31, v20
	v_writelane_b32 v95, s5, 35
	v_cmp_ne_u32_e64 s[4:5], 0, v2
	v_add_u32_e32 v2, -1, v20
	v_cmp_lt_i32_e32 vcc, v2, v3
	v_writelane_b32 v95, s4, 36
	s_mov_b32 s91, 0xc2fc0000
	v_cndmask_b32_e32 v2, v2, v20, vcc
	v_lshlrev_b32_e32 v2, 2, v2
	scratch_store_dword off, v2, off offset:192 ; 4-byte Folded Spill
	v_or_b32_e32 v2, 1, v19
	scratch_store_dword off, v2, off offset:284 ; 4-byte Folded Spill
	v_or_b32_e32 v2, 2, v19
	;; [unrolled: 2-line block ×4, first 2 shown]
	v_writelane_b32 v95, s5, 37
	scratch_store_dword off, v2, off offset:296 ; 4-byte Folded Spill
	v_or_b32_e32 v2, 5, v19
	v_writelane_b32 v95, s1, 38
	scratch_store_dword off, v2, off offset:300 ; 4-byte Folded Spill
	v_or_b32_e32 v2, 6, v19
	v_writelane_b32 v95, s0, 39
	s_add_u32 s0, s18, s2
	scratch_store_dword off, v2, off offset:304 ; 4-byte Folded Spill
                                        ; implicit-def: $vgpr2
	s_addc_u32 s1, s19, s3
	v_cmp_eq_u32_e64 s[2:3], 63, v0
	v_or_b32_e32 v2, 7, v19
	scratch_store_dword off, v2, off offset:308 ; 4-byte Folded Spill
	v_writelane_b32 v95, s2, 40
	v_or_b32_e32 v2, 8, v19
	scratch_store_dword off, v2, off offset:312 ; 4-byte Folded Spill
	v_writelane_b32 v95, s3, 41
	s_lshl_b64 s[2:3], s[88:89], 2
	v_or_b32_e32 v2, 9, v19
	s_add_u32 s2, s0, s2
	scratch_store_dword off, v2, off offset:316 ; 4-byte Folded Spill
	v_or_b32_e32 v2, 10, v19
	s_addc_u32 s3, s1, s3
	s_add_i32 s0, 0, 0x2108
	scratch_store_dword off, v2, off offset:320 ; 4-byte Folded Spill
	v_or_b32_e32 v2, 11, v19
	v_writelane_b32 v95, s0, 42
	scratch_store_dword off, v2, off offset:324 ; 4-byte Folded Spill
	v_or_b32_e32 v2, 12, v19
	scratch_store_dword off, v2, off offset:328 ; 4-byte Folded Spill
	v_or_b32_e32 v2, 13, v19
	v_writelane_b32 v95, s97, 43
	v_mov_b32_e32 v0, v20
	scratch_store_dword off, v2, off offset:332 ; 4-byte Folded Spill
	v_or_b32_e32 v2, 14, v19
	v_writelane_b32 v95, s54, 44
	scratch_store_dwordx2 off, v[0:1], off offset:204 ; 8-byte Folded Spill
	v_lshlrev_b32_e32 v0, 2, v20
	scratch_store_dword off, v2, off offset:336 ; 4-byte Folded Spill
	scratch_store_dword off, v19, off offset:280 ; 4-byte Folded Spill
	v_or_b32_e32 v2, 15, v19
	v_writelane_b32 v95, s55, 45
	s_mov_b32 s4, 0
	scratch_store_dword off, v2, off offset:340 ; 4-byte Folded Spill
	v_mov_b32_e32 v2, 0x42800000
	v_mov_b32_e32 v65, 0x1f800000
	v_lshl_add_u64 v[6:7], s[2:3], 0, v[0:1]
	v_mov_b32_e32 v42, 0x3f317218
	v_writelane_b32 v95, s33, 46
	scratch_store_dwordx2 off, v[6:7], off offset:272 ; 8-byte Folded Spill
	s_branch .LBB151_13
.LBB151_12:                             ;   in Loop: Header=BB151_13 Depth=1
	s_or_b64 exec, exec, s[2:3]
	v_readlane_b32 s0, v95, 3
	v_readlane_b32 s1, v95, 4
	s_add_u32 s0, s0, 0x1000
	s_addc_u32 s1, s1, 0
	v_writelane_b32 v95, s0, 3
	s_nop 1
	v_writelane_b32 v95, s1, 4
	s_nop 0
	v_readlane_b32 s26, v95, 49
	v_readlane_b32 s27, v95, 50
	s_add_u32 s26, s26, 0x1000
	s_addc_u32 s27, s27, 0
	s_add_u32 s6, s6, 0x1000
	s_addc_u32 s7, s7, 0
	;; [unrolled: 2-line block ×3, first 2 shown]
	s_add_i32 s4, s4, 1
	v_readlane_b32 s0, v95, 38
	s_cmp_eq_u32 s4, s0
	s_cbranch_scc1 .LBB151_234
.LBB151_13:                             ; =>This Loop Header: Depth=1
                                        ;     Child Loop BB151_110 Depth 2
	s_waitcnt lgkmcnt(0)
	; wave barrier
	s_waitcnt lgkmcnt(3)
	scratch_load_dwordx2 v[6:7], off, off offset:204 ; 8-byte Folded Reload
	s_lshl_b32 s2, s4, 10
	s_mov_b32 s0, s2
	v_writelane_b32 v95, s0, 47
	s_sub_i32 s82, s54, s2
	s_waitcnt lgkmcnt(2)
	v_mov_b32_e32 v5, 0
	v_writelane_b32 v95, s1, 48
	v_writelane_b32 v95, s26, 49
	s_waitcnt vmcnt(0) lgkmcnt(0)
	v_lshlrev_b32_e32 v0, 2, v6
	v_writelane_b32 v95, s27, 50
	v_lshl_add_u64 v[8:9], s[26:27], 0, v[0:1]
	v_cmp_gt_u32_e64 s[18:19], s82, v6
	s_and_saveexec_b64 s[2:3], s[18:19]
	s_cbranch_execz .LBB151_15
; %bb.14:                               ;   in Loop: Header=BB151_13 Depth=1
	global_load_dword v5, v[8:9], off
.LBB151_15:                             ;   in Loop: Header=BB151_13 Depth=1
	s_or_b64 exec, exec, s[2:3]
	scratch_load_dword v3, off, off offset:212 ; 4-byte Folded Reload
	v_mov_b32_e32 v6, 0
	v_mov_b32_e32 v7, 0
	s_waitcnt vmcnt(0)
	v_cmp_gt_u32_e64 s[20:21], s82, v3
	s_and_saveexec_b64 s[2:3], s[20:21]
	s_cbranch_execz .LBB151_17
; %bb.16:                               ;   in Loop: Header=BB151_13 Depth=1
	global_load_dword v7, v[8:9], off offset:256
.LBB151_17:                             ;   in Loop: Header=BB151_13 Depth=1
	s_or_b64 exec, exec, s[2:3]
	scratch_load_dword v3, off, off offset:216 ; 4-byte Folded Reload
	s_waitcnt vmcnt(0)
	v_cmp_gt_u32_e64 s[22:23], s82, v3
	s_and_saveexec_b64 s[2:3], s[22:23]
	s_cbranch_execz .LBB151_19
; %bb.18:                               ;   in Loop: Header=BB151_13 Depth=1
	global_load_dword v6, v[8:9], off offset:512
.LBB151_19:                             ;   in Loop: Header=BB151_13 Depth=1
	s_or_b64 exec, exec, s[2:3]
	scratch_load_dword v3, off, off offset:220 ; 4-byte Folded Reload
	v_mov_b32_e32 v10, 0
	v_mov_b32_e32 v11, 0
	s_waitcnt vmcnt(0)
	v_cmp_gt_u32_e64 s[24:25], s82, v3
	s_and_saveexec_b64 s[2:3], s[24:25]
	s_cbranch_execz .LBB151_21
; %bb.20:                               ;   in Loop: Header=BB151_13 Depth=1
	global_load_dword v11, v[8:9], off offset:768
.LBB151_21:                             ;   in Loop: Header=BB151_13 Depth=1
	s_or_b64 exec, exec, s[2:3]
	scratch_load_dword v3, off, off offset:224 ; 4-byte Folded Reload
	s_waitcnt vmcnt(0)
	v_cmp_gt_u32_e64 s[26:27], s82, v3
	s_and_saveexec_b64 s[2:3], s[26:27]
	s_cbranch_execz .LBB151_23
; %bb.22:                               ;   in Loop: Header=BB151_13 Depth=1
	global_load_dword v10, v[8:9], off offset:1024
.LBB151_23:                             ;   in Loop: Header=BB151_13 Depth=1
	;; [unrolled: 20-line block ×7, first 2 shown]
	s_or_b64 exec, exec, s[2:3]
	scratch_load_dword v3, off, off offset:268 ; 4-byte Folded Reload
	v_mov_b32_e32 v22, 0
	s_waitcnt vmcnt(0)
	v_cmp_gt_u32_e64 s[50:51], s82, v3
	v_mov_b32_e32 v3, 0
	s_and_saveexec_b64 s[2:3], s[50:51]
	s_cbranch_execz .LBB151_45
; %bb.44:                               ;   in Loop: Header=BB151_13 Depth=1
	global_load_dword v22, v[8:9], off offset:3840
.LBB151_45:                             ;   in Loop: Header=BB151_13 Depth=1
	s_or_b64 exec, exec, s[2:3]
	scratch_load_dword v8, off, off         ; 4-byte Folded Reload
	v_readlane_b32 s0, v95, 3
	v_readlane_b32 s1, v95, 4
	s_waitcnt vmcnt(0)
	ds_write_b32 v8, v5
	scratch_load_dword v5, off, off offset:4 ; 4-byte Folded Reload
	v_lshl_add_u64 v[24:25], s[0:1], 0, v[0:1]
	s_waitcnt vmcnt(0)
	ds_write_b32 v5, v7 offset:256
	scratch_load_dword v5, off, off offset:8 ; 4-byte Folded Reload
	s_waitcnt vmcnt(0)
	ds_write_b32 v5, v6 offset:512
	scratch_load_dword v5, off, off offset:12 ; 4-byte Folded Reload
	;; [unrolled: 3-line block ×14, first 2 shown]
	s_waitcnt vmcnt(0)
	ds_write_b32 v5, v22 offset:3840
	; wave barrier
	ds_read2_b32 v[8:9], v64 offset1:1
	ds_read2_b32 v[10:11], v64 offset0:2 offset1:3
	ds_read2_b32 v[12:13], v64 offset0:4 offset1:5
	;; [unrolled: 1-line block ×7, first 2 shown]
	s_waitcnt lgkmcnt(0)
	; wave barrier
	s_waitcnt lgkmcnt(0)
	s_and_saveexec_b64 s[2:3], s[18:19]
	s_cbranch_execz .LBB151_47
; %bb.46:                               ;   in Loop: Header=BB151_13 Depth=1
	global_load_dword v3, v[24:25], off
.LBB151_47:                             ;   in Loop: Header=BB151_13 Depth=1
	s_or_b64 exec, exec, s[2:3]
	v_mov_b32_e32 v5, 0
	v_mov_b32_e32 v6, 0
	s_and_saveexec_b64 s[2:3], s[20:21]
	s_cbranch_execz .LBB151_49
; %bb.48:                               ;   in Loop: Header=BB151_13 Depth=1
	global_load_dword v6, v[24:25], off offset:256
.LBB151_49:                             ;   in Loop: Header=BB151_13 Depth=1
	s_or_b64 exec, exec, s[2:3]
	s_and_saveexec_b64 s[2:3], s[22:23]
	s_cbranch_execz .LBB151_51
; %bb.50:                               ;   in Loop: Header=BB151_13 Depth=1
	global_load_dword v5, v[24:25], off offset:512
.LBB151_51:                             ;   in Loop: Header=BB151_13 Depth=1
	s_or_b64 exec, exec, s[2:3]
	v_mov_b32_e32 v7, 0
	v_mov_b32_e32 v26, 0
	s_and_saveexec_b64 s[2:3], s[24:25]
	s_cbranch_execz .LBB151_53
; %bb.52:                               ;   in Loop: Header=BB151_13 Depth=1
	global_load_dword v26, v[24:25], off offset:768
.LBB151_53:                             ;   in Loop: Header=BB151_13 Depth=1
	s_or_b64 exec, exec, s[2:3]
	s_and_saveexec_b64 s[2:3], s[26:27]
	s_cbranch_execz .LBB151_55
; %bb.54:                               ;   in Loop: Header=BB151_13 Depth=1
	global_load_dword v7, v[24:25], off offset:1024
.LBB151_55:                             ;   in Loop: Header=BB151_13 Depth=1
	;; [unrolled: 14-line block ×6, first 2 shown]
	s_or_b64 exec, exec, s[2:3]
	v_mov_b32_e32 v35, 0
	v_mov_b32_e32 v36, 0
	s_and_saveexec_b64 s[2:3], s[46:47]
	s_cbranch_execnz .LBB151_216
; %bb.72:                               ;   in Loop: Header=BB151_13 Depth=1
	s_or_b64 exec, exec, s[2:3]
	s_and_saveexec_b64 s[2:3], s[48:49]
	s_cbranch_execnz .LBB151_217
.LBB151_73:                             ;   in Loop: Header=BB151_13 Depth=1
	s_or_b64 exec, exec, s[2:3]
	v_mov_b32_e32 v37, 0
	s_and_saveexec_b64 s[2:3], s[50:51]
	s_cbranch_execz .LBB151_75
.LBB151_74:                             ;   in Loop: Header=BB151_13 Depth=1
	global_load_dword v37, v[24:25], off offset:3840
.LBB151_75:                             ;   in Loop: Header=BB151_13 Depth=1
	s_or_b64 exec, exec, s[2:3]
	scratch_load_dword v24, off, off        ; 4-byte Folded Reload
	s_mov_b32 s0, 0x41a00000
	v_mov_b32_e32 v52, v42
	s_waitcnt vmcnt(0)
	ds_write_b32 v24, v3
	scratch_load_dword v3, off, off offset:4 ; 4-byte Folded Reload
	s_waitcnt vmcnt(0)
	ds_write_b32 v3, v6 offset:256
	scratch_load_dword v3, off, off offset:8 ; 4-byte Folded Reload
	s_waitcnt vmcnt(0)
	ds_write_b32 v3, v5 offset:512
	;; [unrolled: 3-line block ×15, first 2 shown]
	; wave barrier
	ds_read2_b32 v[38:39], v64 offset1:1
	ds_read2_b32 v[36:37], v64 offset0:2 offset1:3
	ds_read2_b32 v[34:35], v64 offset0:4 offset1:5
	;; [unrolled: 1-line block ×7, first 2 shown]
	s_waitcnt lgkmcnt(7)
	v_add_f32_e32 v3, s33, v38
	v_cmp_ge_f32_e32 vcc, s0, v3
	v_readlane_b32 s0, v95, 24
	v_readlane_b32 s1, v95, 25
	s_and_b64 s[2:3], s[0:1], vcc
	scratch_store_dword off, v3, off offset:64 ; 4-byte Folded Spill
	s_and_saveexec_b64 s[52:53], s[2:3]
	s_cbranch_execz .LBB151_77
; %bb.76:                               ;   in Loop: Header=BB151_13 Depth=1
	scratch_load_dword v7, off, off offset:64 ; 4-byte Folded Reload
	s_mov_b32 s0, 0x3fb8aa3b
	s_waitcnt vmcnt(0)
	v_mul_f32_e32 v3, 0x3fb8aa3b, v7
	v_rndne_f32_e32 v5, v3
	v_sub_f32_e32 v6, v3, v5
	v_fma_f32 v3, v7, s0, -v3
	v_fmac_f32_e32 v3, 0x32a5705f, v7
	v_add_f32_e32 v3, v6, v3
	v_cvt_i32_f32_e32 v5, v5
	v_exp_f32_e32 v3, v3
	s_mov_b32 s0, 0xc2ce8ed0
	v_cmp_ngt_f32_e32 vcc, s0, v7
	s_mov_b32 s0, 0x42b17218
	v_ldexp_f32 v3, v3, v5
	v_cndmask_b32_e32 v3, 0, v3, vcc
	v_cmp_nlt_f32_e32 vcc, s0, v7
	v_mov_b32_e32 v5, 0x7f800000
	s_mov_b32 s0, 0x3f2aaaab
	v_cndmask_b32_e32 v5, v5, v3, vcc
	v_add_f32_e32 v3, 1.0, v5
	v_add_f32_e32 v6, -1.0, v3
	v_sub_f32_e32 v7, v6, v3
	v_add_f32_e32 v7, 1.0, v7
	v_sub_f32_e32 v6, v5, v6
	v_add_f32_e32 v38, v6, v7
	v_frexp_mant_f32_e32 v40, v3
	v_cvt_f64_f32_e32 v[6:7], v3
	v_frexp_exp_i32_f64_e32 v6, v[6:7]
	v_cmp_gt_f32_e32 vcc, s0, v40
	s_mov_b32 s0, 0x3f317218
	s_nop 0
	v_subbrev_co_u32_e32 v46, vcc, 0, v6, vcc
	v_sub_u32_e32 v6, 0, v46
	v_ldexp_f32 v3, v3, v6
	v_ldexp_f32 v6, v38, v6
	v_add_f32_e32 v38, -1.0, v3
	v_add_f32_e32 v7, 1.0, v38
	v_sub_f32_e32 v7, v3, v7
	v_add_f32_e32 v40, v6, v7
	v_add_f32_e32 v7, 1.0, v3
	v_add_f32_e32 v41, -1.0, v7
	v_sub_f32_e32 v3, v3, v41
	v_add_f32_e32 v3, v6, v3
	v_add_f32_e32 v47, v7, v3
	v_rcp_f32_e32 v48, v47
	v_sub_f32_e32 v6, v7, v47
	v_add_f32_e32 v7, v38, v40
	v_add_f32_e32 v3, v3, v6
	v_sub_f32_e32 v6, v38, v7
	v_mul_f32_e32 v49, v7, v48
	v_add_f32_e32 v38, v40, v6
	v_mul_f32_e32 v40, v47, v49
	v_fma_f32 v42, v49, v47, -v40
	v_fmac_f32_e32 v42, v49, v3
	v_add_f32_e32 v6, v40, v42
	v_sub_f32_e32 v41, v7, v6
	v_pk_add_f32 v[44:45], v[6:7], v[40:41] neg_lo:[0,1] neg_hi:[0,1]
	v_mov_b32_e32 v43, v6
	v_pk_add_f32 v[6:7], v[44:45], v[42:43] neg_lo:[0,1] neg_hi:[0,1]
	s_nop 0
	v_add_f32_e32 v7, v38, v7
	v_add_f32_e32 v6, v6, v7
	;; [unrolled: 1-line block ×3, first 2 shown]
	v_mul_f32_e32 v38, v48, v7
	v_mul_f32_e32 v40, v47, v38
	v_fma_f32 v42, v38, v47, -v40
	v_fmac_f32_e32 v42, v38, v3
	v_sub_f32_e32 v3, v41, v7
	v_add_f32_e32 v3, v6, v3
	v_add_f32_e32 v6, v40, v42
	v_sub_f32_e32 v41, v7, v6
	v_pk_add_f32 v[44:45], v[6:7], v[40:41] neg_lo:[0,1] neg_hi:[0,1]
	v_mov_b32_e32 v43, v6
	v_pk_add_f32 v[6:7], v[44:45], v[42:43] neg_lo:[0,1] neg_hi:[0,1]
	v_mov_b32_e32 v42, v52
	v_add_f32_e32 v3, v3, v7
	v_add_f32_e32 v3, v6, v3
	;; [unrolled: 1-line block ×4, first 2 shown]
	v_sub_f32_e32 v6, v7, v49
	v_mul_f32_e32 v3, v48, v3
	v_sub_f32_e32 v6, v38, v6
	v_add_f32_e32 v3, v6, v3
	v_add_f32_e32 v38, v7, v3
	v_mul_f32_e32 v40, v38, v38
	v_mov_b32_e32 v6, 0x3ecc95a3
	v_fmamk_f32 v6, v40, 0x3e9b6dac, v6
	v_fmaak_f32 v43, v40, v6, 0x3f2aaada
	v_cvt_f32_i32_e32 v6, v46
	v_sub_f32_e32 v7, v38, v7
	v_sub_f32_e32 v3, v3, v7
	v_mul_f32_e32 v7, v38, v40
	v_pk_mul_f32 v[42:43], v[6:7], v[42:43]
	v_ldexp_f32 v41, v38, 1
	v_fma_f32 v40, v6, s0, -v42
	v_fmac_f32_e32 v40, 0xb102e308, v6
	v_pk_add_f32 v[6:7], v[42:43], v[40:41]
	v_ldexp_f32 v3, v3, 1
	v_sub_f32_e32 v38, v7, v41
	v_sub_f32_e32 v38, v43, v38
	v_add_f32_e32 v45, v3, v38
	v_mov_b32_e32 v44, v42
	v_pk_add_f32 v[42:43], v[6:7], v[42:43] neg_lo:[0,1] neg_hi:[0,1]
	v_pk_add_f32 v[46:47], v[6:7], v[44:45]
	v_mov_b32_e32 v41, v6
	v_mov_b32_e32 v43, v47
	v_pk_add_f32 v[48:49], v[40:41], v[42:43] neg_lo:[0,1] neg_hi:[0,1]
	v_pk_add_f32 v[40:41], v[40:41], v[42:43]
	s_mov_b32 s0, 0x7f800000
	v_mov_b32_e32 v38, v41
	v_pk_add_f32 v[42:43], v[38:39], v[6:7] neg_lo:[0,1] neg_hi:[0,1]
	v_mov_b32_e32 v40, v47
	v_mov_b32_e32 v3, v42
	v_pk_add_f32 v[50:51], v[46:47], v[2:3] neg_lo:[0,1] neg_hi:[0,1]
	v_mov_b32_e32 v46, v7
	v_mov_b32_e32 v47, v42
	;; [unrolled: 1-line block ×3, first 2 shown]
	v_pk_add_f32 v[40:41], v[40:41], v[46:47] neg_lo:[0,1] neg_hi:[0,1]
	v_mov_b32_e32 v42, v45
	v_mov_b32_e32 v43, v6
	v_pk_add_f32 v[6:7], v[42:43], v[40:41] neg_lo:[0,1] neg_hi:[0,1]
	v_mov_b32_e32 v50, v48
	v_pk_add_f32 v[40:41], v[50:51], v[6:7]
	v_cmp_eq_f32_e32 vcc, s0, v5
	v_mov_b32_e32 v42, v41
	v_pk_add_f32 v[42:43], v[40:41], v[42:43]
	s_mov_b32 s0, 0x33800000
	v_pk_add_f32 v[44:45], v[38:39], v[42:43]
	v_mov_b32_e32 v7, v42
	v_mov_b32_e32 v41, v44
	v_pk_add_f32 v[46:47], v[40:41], v[48:49] neg_lo:[0,1] neg_hi:[0,1]
	v_cmp_gt_f32_e64 s[2:3], s0, v5
	v_sub_f32_e32 v3, v40, v46
	v_pk_add_f32 v[6:7], v[6:7], v[46:47] neg_lo:[0,1] neg_hi:[0,1]
	v_sub_f32_e32 v3, v48, v3
	v_add_f32_e32 v3, v6, v3
	v_add_f32_e32 v3, v3, v7
	;; [unrolled: 1-line block ×3, first 2 shown]
	s_or_b64 vcc, s[2:3], vcc
	v_cndmask_b32_e32 v3, v3, v5, vcc
	scratch_store_dword off, v3, off offset:64 ; 4-byte Folded Spill
.LBB151_77:                             ;   in Loop: Header=BB151_13 Depth=1
	s_or_b64 exec, exec, s[52:53]
	v_add_f32_e32 v67, s33, v39
	s_mov_b32 s0, 0x41a00000
	v_cmp_ge_f32_e32 vcc, s0, v67
	v_readlane_b32 s0, v95, 24
	v_readlane_b32 s1, v95, 25
	s_and_b64 s[2:3], s[0:1], vcc
	s_and_saveexec_b64 s[52:53], s[2:3]
	s_cbranch_execz .LBB151_79
; %bb.78:                               ;   in Loop: Header=BB151_13 Depth=1
	v_mul_f32_e32 v3, 0x3fb8aa3b, v67
	v_rndne_f32_e32 v5, v3
	s_mov_b32 s0, 0x3fb8aa3b
	v_sub_f32_e32 v6, v3, v5
	v_fma_f32 v3, v67, s0, -v3
	v_fmac_f32_e32 v3, 0x32a5705f, v67
	v_add_f32_e32 v3, v6, v3
	v_cvt_i32_f32_e32 v5, v5
	v_exp_f32_e32 v3, v3
	s_mov_b32 s0, 0xc2ce8ed0
	v_cmp_ngt_f32_e32 vcc, s0, v67
	s_mov_b32 s0, 0x42b17218
	v_ldexp_f32 v3, v3, v5
	v_cndmask_b32_e32 v3, 0, v3, vcc
	v_cmp_nlt_f32_e32 vcc, s0, v67
	v_mov_b32_e32 v5, 0x7f800000
	s_mov_b32 s0, 0x3f2aaaab
	v_cndmask_b32_e32 v5, v5, v3, vcc
	v_add_f32_e32 v3, 1.0, v5
	v_add_f32_e32 v6, -1.0, v3
	v_sub_f32_e32 v7, v6, v3
	v_add_f32_e32 v7, 1.0, v7
	v_sub_f32_e32 v6, v5, v6
	v_add_f32_e32 v38, v6, v7
	v_frexp_mant_f32_e32 v39, v3
	v_cvt_f64_f32_e32 v[6:7], v3
	v_frexp_exp_i32_f64_e32 v6, v[6:7]
	v_cmp_gt_f32_e32 vcc, s0, v39
	s_mov_b32 s0, 0x3f317218
	s_nop 0
	v_subbrev_co_u32_e32 v44, vcc, 0, v6, vcc
	v_sub_u32_e32 v6, 0, v44
	v_ldexp_f32 v3, v3, v6
	v_ldexp_f32 v6, v38, v6
	v_add_f32_e32 v38, -1.0, v3
	v_add_f32_e32 v7, 1.0, v38
	v_sub_f32_e32 v7, v3, v7
	v_add_f32_e32 v39, v6, v7
	v_add_f32_e32 v7, 1.0, v3
	v_add_f32_e32 v40, -1.0, v7
	v_sub_f32_e32 v3, v3, v40
	v_add_f32_e32 v3, v6, v3
	v_add_f32_e32 v45, v7, v3
	v_rcp_f32_e32 v46, v45
	v_sub_f32_e32 v6, v7, v45
	v_add_f32_e32 v7, v38, v39
	v_add_f32_e32 v3, v3, v6
	v_mul_f32_e32 v48, v7, v46
	v_sub_f32_e32 v6, v38, v7
	v_mul_f32_e32 v38, v45, v48
	v_fma_f32 v40, v48, v45, -v38
	v_fmac_f32_e32 v40, v48, v3
	v_add_f32_e32 v47, v39, v6
	v_add_f32_e32 v6, v38, v40
	v_sub_f32_e32 v39, v7, v6
	v_pk_add_f32 v[42:43], v[6:7], v[38:39] neg_lo:[0,1] neg_hi:[0,1]
	v_mov_b32_e32 v41, v6
	v_pk_add_f32 v[6:7], v[42:43], v[40:41] neg_lo:[0,1] neg_hi:[0,1]
	s_nop 0
	v_add_f32_e32 v7, v47, v7
	v_add_f32_e32 v6, v6, v7
	;; [unrolled: 1-line block ×3, first 2 shown]
	v_mul_f32_e32 v47, v46, v7
	v_mul_f32_e32 v38, v45, v47
	v_fma_f32 v40, v47, v45, -v38
	v_fmac_f32_e32 v40, v47, v3
	v_sub_f32_e32 v3, v39, v7
	v_add_f32_e32 v3, v6, v3
	v_add_f32_e32 v6, v38, v40
	v_sub_f32_e32 v39, v7, v6
	v_pk_add_f32 v[42:43], v[6:7], v[38:39] neg_lo:[0,1] neg_hi:[0,1]
	v_mov_b32_e32 v41, v6
	v_pk_add_f32 v[6:7], v[42:43], v[40:41] neg_lo:[0,1] neg_hi:[0,1]
	v_mov_b32_e32 v42, v52
	v_add_f32_e32 v3, v3, v7
	v_add_f32_e32 v3, v6, v3
	;; [unrolled: 1-line block ×4, first 2 shown]
	v_sub_f32_e32 v6, v7, v48
	v_mul_f32_e32 v3, v46, v3
	v_sub_f32_e32 v6, v47, v6
	v_add_f32_e32 v3, v6, v3
	v_add_f32_e32 v38, v7, v3
	v_mul_f32_e32 v40, v38, v38
	v_mov_b32_e32 v6, 0x3ecc95a3
	v_fmamk_f32 v6, v40, 0x3e9b6dac, v6
	v_fmaak_f32 v43, v40, v6, 0x3f2aaada
	v_cvt_f32_i32_e32 v6, v44
	v_sub_f32_e32 v7, v38, v7
	v_sub_f32_e32 v3, v3, v7
	v_mul_f32_e32 v7, v38, v40
	v_pk_mul_f32 v[40:41], v[6:7], v[42:43]
	v_ldexp_f32 v39, v38, 1
	v_fma_f32 v38, v6, s0, -v40
	v_fmac_f32_e32 v38, 0xb102e308, v6
	v_pk_add_f32 v[6:7], v[40:41], v[38:39]
	v_ldexp_f32 v3, v3, 1
	v_sub_f32_e32 v39, v7, v39
	v_sub_f32_e32 v39, v41, v39
	v_add_f32_e32 v43, v3, v39
	v_mov_b32_e32 v42, v40
	v_pk_add_f32 v[40:41], v[6:7], v[40:41] neg_lo:[0,1] neg_hi:[0,1]
	v_pk_add_f32 v[44:45], v[6:7], v[42:43]
	v_mov_b32_e32 v39, v6
	v_mov_b32_e32 v41, v45
	v_pk_add_f32 v[46:47], v[38:39], v[40:41] neg_lo:[0,1] neg_hi:[0,1]
	v_pk_add_f32 v[38:39], v[38:39], v[40:41]
	v_mov_b32_e32 v42, v43
	v_mov_b32_e32 v40, v39
	v_pk_add_f32 v[48:49], v[40:41], v[6:7] neg_lo:[0,1] neg_hi:[0,1]
	v_mov_b32_e32 v38, v45
	v_mov_b32_e32 v3, v48
	v_pk_add_f32 v[50:51], v[44:45], v[2:3] neg_lo:[0,1] neg_hi:[0,1]
	v_mov_b32_e32 v44, v7
	v_mov_b32_e32 v45, v48
	;; [unrolled: 1-line block ×3, first 2 shown]
	v_pk_add_f32 v[38:39], v[38:39], v[44:45] neg_lo:[0,1] neg_hi:[0,1]
	v_mov_b32_e32 v43, v6
	v_pk_add_f32 v[6:7], v[42:43], v[38:39] neg_lo:[0,1] neg_hi:[0,1]
	v_mov_b32_e32 v50, v46
	v_pk_add_f32 v[38:39], v[50:51], v[6:7]
	s_mov_b32 s0, 0x7f800000
	v_mov_b32_e32 v42, v39
	v_pk_add_f32 v[42:43], v[38:39], v[42:43]
	v_cmp_eq_f32_e32 vcc, s0, v5
	v_pk_add_f32 v[40:41], v[40:41], v[42:43]
	v_mov_b32_e32 v7, v42
	v_mov_b32_e32 v39, v40
	v_pk_add_f32 v[44:45], v[38:39], v[46:47] neg_lo:[0,1] neg_hi:[0,1]
	s_mov_b32 s0, 0x33800000
	v_sub_f32_e32 v3, v38, v44
	v_pk_add_f32 v[6:7], v[6:7], v[44:45] neg_lo:[0,1] neg_hi:[0,1]
	v_sub_f32_e32 v3, v46, v3
	v_add_f32_e32 v3, v6, v3
	v_add_f32_e32 v3, v3, v7
	v_cmp_gt_f32_e64 s[2:3], s0, v5
	v_add_f32_e32 v3, v40, v3
	s_or_b64 vcc, s[2:3], vcc
	v_cndmask_b32_e32 v67, v3, v5, vcc
.LBB151_79:                             ;   in Loop: Header=BB151_13 Depth=1
	s_or_b64 exec, exec, s[52:53]
	s_waitcnt lgkmcnt(6)
	v_add_f32_e32 v68, s33, v36
	s_mov_b32 s0, 0x41a00000
	v_cmp_ge_f32_e32 vcc, s0, v68
	v_readlane_b32 s0, v95, 24
	v_readlane_b32 s1, v95, 25
	s_and_b64 s[2:3], s[0:1], vcc
	s_and_saveexec_b64 s[52:53], s[2:3]
	s_cbranch_execz .LBB151_81
; %bb.80:                               ;   in Loop: Header=BB151_13 Depth=1
	v_mul_f32_e32 v3, 0x3fb8aa3b, v68
	v_rndne_f32_e32 v5, v3
	s_mov_b32 s0, 0x3fb8aa3b
	v_sub_f32_e32 v6, v3, v5
	v_fma_f32 v3, v68, s0, -v3
	v_fmac_f32_e32 v3, 0x32a5705f, v68
	v_add_f32_e32 v3, v6, v3
	v_cvt_i32_f32_e32 v5, v5
	v_exp_f32_e32 v3, v3
	s_mov_b32 s0, 0xc2ce8ed0
	v_cmp_ngt_f32_e32 vcc, s0, v68
	s_mov_b32 s0, 0x42b17218
	v_ldexp_f32 v3, v3, v5
	v_cndmask_b32_e32 v3, 0, v3, vcc
	v_cmp_nlt_f32_e32 vcc, s0, v68
	v_mov_b32_e32 v5, 0x7f800000
	s_mov_b32 s0, 0x3f2aaaab
	v_cndmask_b32_e32 v5, v5, v3, vcc
	v_add_f32_e32 v3, 1.0, v5
	v_add_f32_e32 v6, -1.0, v3
	v_sub_f32_e32 v7, v6, v3
	v_add_f32_e32 v7, 1.0, v7
	v_sub_f32_e32 v6, v5, v6
	v_add_f32_e32 v36, v6, v7
	v_frexp_mant_f32_e32 v38, v3
	v_cvt_f64_f32_e32 v[6:7], v3
	v_frexp_exp_i32_f64_e32 v6, v[6:7]
	v_cmp_gt_f32_e32 vcc, s0, v38
	s_mov_b32 s0, 0x3f317218
	s_nop 0
	v_subbrev_co_u32_e32 v44, vcc, 0, v6, vcc
	v_sub_u32_e32 v6, 0, v44
	v_ldexp_f32 v3, v3, v6
	v_ldexp_f32 v6, v36, v6
	v_add_f32_e32 v36, -1.0, v3
	v_add_f32_e32 v7, 1.0, v36
	v_sub_f32_e32 v7, v3, v7
	v_add_f32_e32 v38, v6, v7
	v_add_f32_e32 v7, 1.0, v3
	v_add_f32_e32 v39, -1.0, v7
	v_sub_f32_e32 v3, v3, v39
	v_add_f32_e32 v3, v6, v3
	v_add_f32_e32 v45, v7, v3
	v_rcp_f32_e32 v46, v45
	v_sub_f32_e32 v6, v7, v45
	v_add_f32_e32 v7, v36, v38
	v_add_f32_e32 v3, v3, v6
	v_sub_f32_e32 v6, v36, v7
	v_mul_f32_e32 v47, v7, v46
	v_add_f32_e32 v36, v38, v6
	v_mul_f32_e32 v38, v45, v47
	v_fma_f32 v40, v47, v45, -v38
	v_fmac_f32_e32 v40, v47, v3
	v_add_f32_e32 v6, v38, v40
	v_sub_f32_e32 v39, v7, v6
	v_pk_add_f32 v[42:43], v[6:7], v[38:39] neg_lo:[0,1] neg_hi:[0,1]
	v_mov_b32_e32 v41, v6
	v_pk_add_f32 v[6:7], v[42:43], v[40:41] neg_lo:[0,1] neg_hi:[0,1]
	s_nop 0
	v_add_f32_e32 v7, v36, v7
	v_add_f32_e32 v6, v6, v7
	;; [unrolled: 1-line block ×3, first 2 shown]
	v_mul_f32_e32 v36, v46, v7
	v_mul_f32_e32 v38, v45, v36
	v_fma_f32 v40, v36, v45, -v38
	v_fmac_f32_e32 v40, v36, v3
	v_sub_f32_e32 v3, v39, v7
	v_add_f32_e32 v3, v6, v3
	v_add_f32_e32 v6, v38, v40
	v_sub_f32_e32 v39, v7, v6
	v_pk_add_f32 v[42:43], v[6:7], v[38:39] neg_lo:[0,1] neg_hi:[0,1]
	v_mov_b32_e32 v41, v6
	v_pk_add_f32 v[6:7], v[42:43], v[40:41] neg_lo:[0,1] neg_hi:[0,1]
	v_mov_b32_e32 v40, v52
	v_add_f32_e32 v3, v3, v7
	v_add_f32_e32 v3, v6, v3
	;; [unrolled: 1-line block ×4, first 2 shown]
	v_sub_f32_e32 v6, v7, v47
	v_mul_f32_e32 v3, v46, v3
	v_sub_f32_e32 v6, v36, v6
	v_add_f32_e32 v3, v6, v3
	v_add_f32_e32 v36, v7, v3
	v_mul_f32_e32 v38, v36, v36
	v_mov_b32_e32 v6, 0x3ecc95a3
	v_fmamk_f32 v6, v38, 0x3e9b6dac, v6
	v_fmaak_f32 v41, v38, v6, 0x3f2aaada
	v_cvt_f32_i32_e32 v6, v44
	v_sub_f32_e32 v7, v36, v7
	v_sub_f32_e32 v3, v3, v7
	v_mul_f32_e32 v7, v36, v38
	v_pk_mul_f32 v[40:41], v[6:7], v[40:41]
	v_ldexp_f32 v39, v36, 1
	v_fma_f32 v38, v6, s0, -v40
	v_fmac_f32_e32 v38, 0xb102e308, v6
	v_pk_add_f32 v[6:7], v[40:41], v[38:39]
	v_ldexp_f32 v3, v3, 1
	v_sub_f32_e32 v36, v7, v39
	v_sub_f32_e32 v36, v41, v36
	v_add_f32_e32 v43, v3, v36
	v_mov_b32_e32 v42, v40
	v_pk_add_f32 v[40:41], v[6:7], v[40:41] neg_lo:[0,1] neg_hi:[0,1]
	v_pk_add_f32 v[44:45], v[6:7], v[42:43]
	v_mov_b32_e32 v39, v6
	v_mov_b32_e32 v41, v45
	v_pk_add_f32 v[46:47], v[38:39], v[40:41] neg_lo:[0,1] neg_hi:[0,1]
	v_pk_add_f32 v[38:39], v[38:39], v[40:41]
	s_mov_b32 s0, 0x7f800000
	v_mov_b32_e32 v36, v39
	v_pk_add_f32 v[40:41], v[36:37], v[6:7] neg_lo:[0,1] neg_hi:[0,1]
	v_mov_b32_e32 v38, v45
	v_mov_b32_e32 v3, v40
	v_pk_add_f32 v[48:49], v[44:45], v[2:3] neg_lo:[0,1] neg_hi:[0,1]
	v_mov_b32_e32 v44, v7
	v_mov_b32_e32 v45, v40
	;; [unrolled: 1-line block ×3, first 2 shown]
	v_pk_add_f32 v[38:39], v[38:39], v[44:45] neg_lo:[0,1] neg_hi:[0,1]
	v_mov_b32_e32 v40, v43
	v_mov_b32_e32 v41, v6
	v_pk_add_f32 v[6:7], v[40:41], v[38:39] neg_lo:[0,1] neg_hi:[0,1]
	v_mov_b32_e32 v48, v46
	v_pk_add_f32 v[38:39], v[48:49], v[6:7]
	v_cmp_eq_f32_e32 vcc, s0, v5
	v_mov_b32_e32 v40, v39
	v_pk_add_f32 v[40:41], v[38:39], v[40:41]
	s_mov_b32 s0, 0x33800000
	v_pk_add_f32 v[42:43], v[36:37], v[40:41]
	v_mov_b32_e32 v7, v40
	v_mov_b32_e32 v39, v42
	v_pk_add_f32 v[44:45], v[38:39], v[46:47] neg_lo:[0,1] neg_hi:[0,1]
	v_cmp_gt_f32_e64 s[2:3], s0, v5
	v_sub_f32_e32 v3, v38, v44
	v_pk_add_f32 v[6:7], v[6:7], v[44:45] neg_lo:[0,1] neg_hi:[0,1]
	v_sub_f32_e32 v3, v46, v3
	v_add_f32_e32 v3, v6, v3
	v_add_f32_e32 v3, v3, v7
	;; [unrolled: 1-line block ×3, first 2 shown]
	s_or_b64 vcc, s[2:3], vcc
	v_cndmask_b32_e32 v68, v3, v5, vcc
.LBB151_81:                             ;   in Loop: Header=BB151_13 Depth=1
	s_or_b64 exec, exec, s[52:53]
	v_add_f32_e32 v69, s33, v37
	s_mov_b32 s0, 0x41a00000
	v_cmp_ge_f32_e32 vcc, s0, v69
	v_readlane_b32 s0, v95, 24
	v_readlane_b32 s1, v95, 25
	s_and_b64 s[2:3], s[0:1], vcc
	s_and_saveexec_b64 s[52:53], s[2:3]
	s_cbranch_execz .LBB151_83
; %bb.82:                               ;   in Loop: Header=BB151_13 Depth=1
	v_mul_f32_e32 v3, 0x3fb8aa3b, v69
	v_rndne_f32_e32 v5, v3
	s_mov_b32 s0, 0x3fb8aa3b
	v_sub_f32_e32 v6, v3, v5
	v_fma_f32 v3, v69, s0, -v3
	v_fmac_f32_e32 v3, 0x32a5705f, v69
	v_add_f32_e32 v3, v6, v3
	v_cvt_i32_f32_e32 v5, v5
	v_exp_f32_e32 v3, v3
	s_mov_b32 s0, 0xc2ce8ed0
	v_cmp_ngt_f32_e32 vcc, s0, v69
	s_mov_b32 s0, 0x42b17218
	v_ldexp_f32 v3, v3, v5
	v_cndmask_b32_e32 v3, 0, v3, vcc
	v_cmp_nlt_f32_e32 vcc, s0, v69
	v_mov_b32_e32 v5, 0x7f800000
	s_mov_b32 s0, 0x3f2aaaab
	v_cndmask_b32_e32 v5, v5, v3, vcc
	v_add_f32_e32 v3, 1.0, v5
	v_add_f32_e32 v6, -1.0, v3
	v_sub_f32_e32 v7, v6, v3
	v_add_f32_e32 v7, 1.0, v7
	v_sub_f32_e32 v6, v5, v6
	v_add_f32_e32 v36, v6, v7
	v_frexp_mant_f32_e32 v37, v3
	v_cvt_f64_f32_e32 v[6:7], v3
	v_frexp_exp_i32_f64_e32 v6, v[6:7]
	v_cmp_gt_f32_e32 vcc, s0, v37
	s_mov_b32 s0, 0x3f317218
	s_nop 0
	v_subbrev_co_u32_e32 v42, vcc, 0, v6, vcc
	v_sub_u32_e32 v6, 0, v42
	v_ldexp_f32 v3, v3, v6
	v_ldexp_f32 v6, v36, v6
	v_add_f32_e32 v36, -1.0, v3
	v_add_f32_e32 v7, 1.0, v36
	v_sub_f32_e32 v7, v3, v7
	v_add_f32_e32 v37, v6, v7
	v_add_f32_e32 v7, 1.0, v3
	v_add_f32_e32 v38, -1.0, v7
	v_sub_f32_e32 v3, v3, v38
	v_add_f32_e32 v3, v6, v3
	v_add_f32_e32 v43, v7, v3
	v_rcp_f32_e32 v44, v43
	v_sub_f32_e32 v6, v7, v43
	v_add_f32_e32 v7, v36, v37
	v_add_f32_e32 v3, v3, v6
	v_mul_f32_e32 v46, v7, v44
	v_sub_f32_e32 v6, v36, v7
	v_mul_f32_e32 v36, v43, v46
	v_fma_f32 v38, v46, v43, -v36
	v_fmac_f32_e32 v38, v46, v3
	v_add_f32_e32 v45, v37, v6
	v_add_f32_e32 v6, v36, v38
	v_sub_f32_e32 v37, v7, v6
	v_pk_add_f32 v[40:41], v[6:7], v[36:37] neg_lo:[0,1] neg_hi:[0,1]
	v_mov_b32_e32 v39, v6
	v_pk_add_f32 v[6:7], v[40:41], v[38:39] neg_lo:[0,1] neg_hi:[0,1]
	s_nop 0
	v_add_f32_e32 v7, v45, v7
	v_add_f32_e32 v6, v6, v7
	;; [unrolled: 1-line block ×3, first 2 shown]
	v_mul_f32_e32 v45, v44, v7
	v_mul_f32_e32 v36, v43, v45
	v_fma_f32 v38, v45, v43, -v36
	v_fmac_f32_e32 v38, v45, v3
	v_sub_f32_e32 v3, v37, v7
	v_add_f32_e32 v3, v6, v3
	v_add_f32_e32 v6, v36, v38
	v_sub_f32_e32 v37, v7, v6
	v_pk_add_f32 v[40:41], v[6:7], v[36:37] neg_lo:[0,1] neg_hi:[0,1]
	v_mov_b32_e32 v39, v6
	v_pk_add_f32 v[6:7], v[40:41], v[38:39] neg_lo:[0,1] neg_hi:[0,1]
	v_mov_b32_e32 v40, v52
	v_add_f32_e32 v3, v3, v7
	v_add_f32_e32 v3, v6, v3
	;; [unrolled: 1-line block ×4, first 2 shown]
	v_sub_f32_e32 v6, v7, v46
	v_mul_f32_e32 v3, v44, v3
	v_sub_f32_e32 v6, v45, v6
	v_add_f32_e32 v3, v6, v3
	v_add_f32_e32 v36, v7, v3
	v_mul_f32_e32 v38, v36, v36
	v_mov_b32_e32 v6, 0x3ecc95a3
	v_fmamk_f32 v6, v38, 0x3e9b6dac, v6
	v_fmaak_f32 v41, v38, v6, 0x3f2aaada
	v_cvt_f32_i32_e32 v6, v42
	v_sub_f32_e32 v7, v36, v7
	v_sub_f32_e32 v3, v3, v7
	v_mul_f32_e32 v7, v36, v38
	v_pk_mul_f32 v[38:39], v[6:7], v[40:41]
	v_ldexp_f32 v37, v36, 1
	v_fma_f32 v36, v6, s0, -v38
	v_fmac_f32_e32 v36, 0xb102e308, v6
	v_pk_add_f32 v[6:7], v[38:39], v[36:37]
	v_ldexp_f32 v3, v3, 1
	v_sub_f32_e32 v37, v7, v37
	v_sub_f32_e32 v37, v39, v37
	v_add_f32_e32 v41, v3, v37
	v_mov_b32_e32 v40, v38
	v_pk_add_f32 v[38:39], v[6:7], v[38:39] neg_lo:[0,1] neg_hi:[0,1]
	v_pk_add_f32 v[42:43], v[6:7], v[40:41]
	v_mov_b32_e32 v37, v6
	v_mov_b32_e32 v39, v43
	v_pk_add_f32 v[44:45], v[36:37], v[38:39] neg_lo:[0,1] neg_hi:[0,1]
	v_pk_add_f32 v[36:37], v[36:37], v[38:39]
	v_mov_b32_e32 v40, v41
	v_mov_b32_e32 v38, v37
	v_pk_add_f32 v[46:47], v[38:39], v[6:7] neg_lo:[0,1] neg_hi:[0,1]
	v_mov_b32_e32 v36, v43
	v_mov_b32_e32 v3, v46
	v_pk_add_f32 v[48:49], v[42:43], v[2:3] neg_lo:[0,1] neg_hi:[0,1]
	v_mov_b32_e32 v42, v7
	v_mov_b32_e32 v43, v46
	;; [unrolled: 1-line block ×3, first 2 shown]
	v_pk_add_f32 v[36:37], v[36:37], v[42:43] neg_lo:[0,1] neg_hi:[0,1]
	v_mov_b32_e32 v41, v6
	v_pk_add_f32 v[6:7], v[40:41], v[36:37] neg_lo:[0,1] neg_hi:[0,1]
	v_mov_b32_e32 v48, v44
	v_pk_add_f32 v[36:37], v[48:49], v[6:7]
	s_mov_b32 s0, 0x7f800000
	v_mov_b32_e32 v40, v37
	v_pk_add_f32 v[40:41], v[36:37], v[40:41]
	v_cmp_eq_f32_e32 vcc, s0, v5
	v_pk_add_f32 v[38:39], v[38:39], v[40:41]
	v_mov_b32_e32 v7, v40
	v_mov_b32_e32 v37, v38
	v_pk_add_f32 v[42:43], v[36:37], v[44:45] neg_lo:[0,1] neg_hi:[0,1]
	s_mov_b32 s0, 0x33800000
	v_sub_f32_e32 v3, v36, v42
	v_pk_add_f32 v[6:7], v[6:7], v[42:43] neg_lo:[0,1] neg_hi:[0,1]
	v_sub_f32_e32 v3, v44, v3
	v_add_f32_e32 v3, v6, v3
	v_add_f32_e32 v3, v3, v7
	v_cmp_gt_f32_e64 s[2:3], s0, v5
	v_add_f32_e32 v3, v38, v3
	s_or_b64 vcc, s[2:3], vcc
	v_cndmask_b32_e32 v69, v3, v5, vcc
.LBB151_83:                             ;   in Loop: Header=BB151_13 Depth=1
	s_or_b64 exec, exec, s[52:53]
	s_waitcnt lgkmcnt(5)
	v_add_f32_e32 v70, s33, v34
	s_mov_b32 s0, 0x41a00000
	v_cmp_ge_f32_e32 vcc, s0, v70
	v_readlane_b32 s0, v95, 24
	v_readlane_b32 s1, v95, 25
	s_and_b64 s[2:3], s[0:1], vcc
	s_and_saveexec_b64 s[52:53], s[2:3]
	s_cbranch_execz .LBB151_85
; %bb.84:                               ;   in Loop: Header=BB151_13 Depth=1
	v_mul_f32_e32 v3, 0x3fb8aa3b, v70
	v_rndne_f32_e32 v5, v3
	s_mov_b32 s0, 0x3fb8aa3b
	v_sub_f32_e32 v6, v3, v5
	v_fma_f32 v3, v70, s0, -v3
	v_fmac_f32_e32 v3, 0x32a5705f, v70
	v_add_f32_e32 v3, v6, v3
	v_cvt_i32_f32_e32 v5, v5
	v_exp_f32_e32 v3, v3
	s_mov_b32 s0, 0xc2ce8ed0
	v_cmp_ngt_f32_e32 vcc, s0, v70
	s_mov_b32 s0, 0x42b17218
	v_ldexp_f32 v3, v3, v5
	v_cndmask_b32_e32 v3, 0, v3, vcc
	v_cmp_nlt_f32_e32 vcc, s0, v70
	v_mov_b32_e32 v5, 0x7f800000
	s_mov_b32 s0, 0x3f2aaaab
	v_cndmask_b32_e32 v5, v5, v3, vcc
	v_add_f32_e32 v3, 1.0, v5
	v_add_f32_e32 v6, -1.0, v3
	v_sub_f32_e32 v7, v6, v3
	v_add_f32_e32 v7, 1.0, v7
	v_sub_f32_e32 v6, v5, v6
	v_add_f32_e32 v34, v6, v7
	v_frexp_mant_f32_e32 v36, v3
	v_cvt_f64_f32_e32 v[6:7], v3
	v_frexp_exp_i32_f64_e32 v6, v[6:7]
	v_cmp_gt_f32_e32 vcc, s0, v36
	s_mov_b32 s0, 0x3f317218
	s_nop 0
	v_subbrev_co_u32_e32 v42, vcc, 0, v6, vcc
	v_sub_u32_e32 v6, 0, v42
	v_ldexp_f32 v3, v3, v6
	v_ldexp_f32 v6, v34, v6
	v_add_f32_e32 v34, -1.0, v3
	v_add_f32_e32 v7, 1.0, v34
	v_sub_f32_e32 v7, v3, v7
	v_add_f32_e32 v36, v6, v7
	v_add_f32_e32 v7, 1.0, v3
	v_add_f32_e32 v37, -1.0, v7
	v_sub_f32_e32 v3, v3, v37
	v_add_f32_e32 v3, v6, v3
	v_add_f32_e32 v43, v7, v3
	v_rcp_f32_e32 v44, v43
	v_sub_f32_e32 v6, v7, v43
	v_add_f32_e32 v7, v34, v36
	v_add_f32_e32 v3, v3, v6
	v_sub_f32_e32 v6, v34, v7
	v_mul_f32_e32 v45, v7, v44
	v_add_f32_e32 v34, v36, v6
	v_mul_f32_e32 v36, v43, v45
	v_fma_f32 v38, v45, v43, -v36
	v_fmac_f32_e32 v38, v45, v3
	v_add_f32_e32 v6, v36, v38
	v_sub_f32_e32 v37, v7, v6
	v_pk_add_f32 v[40:41], v[6:7], v[36:37] neg_lo:[0,1] neg_hi:[0,1]
	v_mov_b32_e32 v39, v6
	v_pk_add_f32 v[6:7], v[40:41], v[38:39] neg_lo:[0,1] neg_hi:[0,1]
	s_nop 0
	v_add_f32_e32 v7, v34, v7
	v_add_f32_e32 v6, v6, v7
	;; [unrolled: 1-line block ×3, first 2 shown]
	v_mul_f32_e32 v34, v44, v7
	v_mul_f32_e32 v36, v43, v34
	v_fma_f32 v38, v34, v43, -v36
	v_fmac_f32_e32 v38, v34, v3
	v_sub_f32_e32 v3, v37, v7
	v_add_f32_e32 v3, v6, v3
	v_add_f32_e32 v6, v36, v38
	v_sub_f32_e32 v37, v7, v6
	v_pk_add_f32 v[40:41], v[6:7], v[36:37] neg_lo:[0,1] neg_hi:[0,1]
	v_mov_b32_e32 v39, v6
	v_pk_add_f32 v[6:7], v[40:41], v[38:39] neg_lo:[0,1] neg_hi:[0,1]
	v_mov_b32_e32 v38, v52
	v_add_f32_e32 v3, v3, v7
	v_add_f32_e32 v3, v6, v3
	;; [unrolled: 1-line block ×4, first 2 shown]
	v_sub_f32_e32 v6, v7, v45
	v_mul_f32_e32 v3, v44, v3
	v_sub_f32_e32 v6, v34, v6
	v_add_f32_e32 v3, v6, v3
	v_add_f32_e32 v34, v7, v3
	v_mul_f32_e32 v36, v34, v34
	v_mov_b32_e32 v6, 0x3ecc95a3
	v_fmamk_f32 v6, v36, 0x3e9b6dac, v6
	v_fmaak_f32 v39, v36, v6, 0x3f2aaada
	v_cvt_f32_i32_e32 v6, v42
	v_sub_f32_e32 v7, v34, v7
	v_sub_f32_e32 v3, v3, v7
	v_mul_f32_e32 v7, v34, v36
	v_pk_mul_f32 v[38:39], v[6:7], v[38:39]
	v_ldexp_f32 v37, v34, 1
	v_fma_f32 v36, v6, s0, -v38
	v_fmac_f32_e32 v36, 0xb102e308, v6
	v_pk_add_f32 v[6:7], v[38:39], v[36:37]
	v_ldexp_f32 v3, v3, 1
	v_sub_f32_e32 v34, v7, v37
	v_sub_f32_e32 v34, v39, v34
	v_add_f32_e32 v41, v3, v34
	v_mov_b32_e32 v40, v38
	v_pk_add_f32 v[38:39], v[6:7], v[38:39] neg_lo:[0,1] neg_hi:[0,1]
	v_pk_add_f32 v[42:43], v[6:7], v[40:41]
	v_mov_b32_e32 v37, v6
	v_mov_b32_e32 v39, v43
	v_pk_add_f32 v[44:45], v[36:37], v[38:39] neg_lo:[0,1] neg_hi:[0,1]
	v_pk_add_f32 v[36:37], v[36:37], v[38:39]
	s_mov_b32 s0, 0x7f800000
	v_mov_b32_e32 v34, v37
	v_pk_add_f32 v[38:39], v[34:35], v[6:7] neg_lo:[0,1] neg_hi:[0,1]
	v_mov_b32_e32 v36, v43
	v_mov_b32_e32 v3, v38
	v_pk_add_f32 v[46:47], v[42:43], v[2:3] neg_lo:[0,1] neg_hi:[0,1]
	v_mov_b32_e32 v42, v7
	v_mov_b32_e32 v43, v38
	v_mov_b32_e32 v45, v37
	v_pk_add_f32 v[36:37], v[36:37], v[42:43] neg_lo:[0,1] neg_hi:[0,1]
	v_mov_b32_e32 v38, v41
	v_mov_b32_e32 v39, v6
	v_pk_add_f32 v[6:7], v[38:39], v[36:37] neg_lo:[0,1] neg_hi:[0,1]
	v_mov_b32_e32 v46, v44
	v_pk_add_f32 v[36:37], v[46:47], v[6:7]
	v_cmp_eq_f32_e32 vcc, s0, v5
	v_mov_b32_e32 v38, v37
	v_pk_add_f32 v[38:39], v[36:37], v[38:39]
	s_mov_b32 s0, 0x33800000
	v_pk_add_f32 v[40:41], v[34:35], v[38:39]
	v_mov_b32_e32 v7, v38
	v_mov_b32_e32 v37, v40
	v_pk_add_f32 v[42:43], v[36:37], v[44:45] neg_lo:[0,1] neg_hi:[0,1]
	v_cmp_gt_f32_e64 s[2:3], s0, v5
	v_sub_f32_e32 v3, v36, v42
	v_pk_add_f32 v[6:7], v[6:7], v[42:43] neg_lo:[0,1] neg_hi:[0,1]
	v_sub_f32_e32 v3, v44, v3
	v_add_f32_e32 v3, v6, v3
	v_add_f32_e32 v3, v3, v7
	;; [unrolled: 1-line block ×3, first 2 shown]
	s_or_b64 vcc, s[2:3], vcc
	v_cndmask_b32_e32 v70, v3, v5, vcc
.LBB151_85:                             ;   in Loop: Header=BB151_13 Depth=1
	s_or_b64 exec, exec, s[52:53]
	v_add_f32_e32 v71, s33, v35
	s_mov_b32 s0, 0x41a00000
	v_cmp_ge_f32_e32 vcc, s0, v71
	v_readlane_b32 s0, v95, 24
	v_readlane_b32 s1, v95, 25
	s_and_b64 s[2:3], s[0:1], vcc
	s_and_saveexec_b64 s[52:53], s[2:3]
	s_cbranch_execz .LBB151_87
; %bb.86:                               ;   in Loop: Header=BB151_13 Depth=1
	v_mul_f32_e32 v3, 0x3fb8aa3b, v71
	v_rndne_f32_e32 v5, v3
	s_mov_b32 s0, 0x3fb8aa3b
	v_sub_f32_e32 v6, v3, v5
	v_fma_f32 v3, v71, s0, -v3
	v_fmac_f32_e32 v3, 0x32a5705f, v71
	v_add_f32_e32 v3, v6, v3
	v_cvt_i32_f32_e32 v5, v5
	v_exp_f32_e32 v3, v3
	s_mov_b32 s0, 0xc2ce8ed0
	v_cmp_ngt_f32_e32 vcc, s0, v71
	s_mov_b32 s0, 0x42b17218
	v_ldexp_f32 v3, v3, v5
	v_cndmask_b32_e32 v3, 0, v3, vcc
	v_cmp_nlt_f32_e32 vcc, s0, v71
	v_mov_b32_e32 v5, 0x7f800000
	s_mov_b32 s0, 0x3f2aaaab
	v_cndmask_b32_e32 v5, v5, v3, vcc
	v_add_f32_e32 v3, 1.0, v5
	v_add_f32_e32 v6, -1.0, v3
	v_sub_f32_e32 v7, v6, v3
	v_add_f32_e32 v7, 1.0, v7
	v_sub_f32_e32 v6, v5, v6
	v_add_f32_e32 v34, v6, v7
	v_frexp_mant_f32_e32 v35, v3
	v_cvt_f64_f32_e32 v[6:7], v3
	v_frexp_exp_i32_f64_e32 v6, v[6:7]
	v_cmp_gt_f32_e32 vcc, s0, v35
	s_mov_b32 s0, 0x3f317218
	s_nop 0
	v_subbrev_co_u32_e32 v40, vcc, 0, v6, vcc
	v_sub_u32_e32 v6, 0, v40
	v_ldexp_f32 v3, v3, v6
	v_ldexp_f32 v6, v34, v6
	v_add_f32_e32 v34, -1.0, v3
	v_add_f32_e32 v7, 1.0, v34
	v_sub_f32_e32 v7, v3, v7
	v_add_f32_e32 v35, v6, v7
	v_add_f32_e32 v7, 1.0, v3
	v_add_f32_e32 v36, -1.0, v7
	v_sub_f32_e32 v3, v3, v36
	v_add_f32_e32 v3, v6, v3
	v_add_f32_e32 v41, v7, v3
	v_rcp_f32_e32 v42, v41
	v_sub_f32_e32 v6, v7, v41
	v_add_f32_e32 v7, v34, v35
	v_add_f32_e32 v3, v3, v6
	v_mul_f32_e32 v44, v7, v42
	v_sub_f32_e32 v6, v34, v7
	v_mul_f32_e32 v34, v41, v44
	v_fma_f32 v36, v44, v41, -v34
	v_fmac_f32_e32 v36, v44, v3
	v_add_f32_e32 v43, v35, v6
	v_add_f32_e32 v6, v34, v36
	v_sub_f32_e32 v35, v7, v6
	v_pk_add_f32 v[38:39], v[6:7], v[34:35] neg_lo:[0,1] neg_hi:[0,1]
	v_mov_b32_e32 v37, v6
	v_pk_add_f32 v[6:7], v[38:39], v[36:37] neg_lo:[0,1] neg_hi:[0,1]
	s_nop 0
	v_add_f32_e32 v7, v43, v7
	v_add_f32_e32 v6, v6, v7
	;; [unrolled: 1-line block ×3, first 2 shown]
	v_mul_f32_e32 v43, v42, v7
	v_mul_f32_e32 v34, v41, v43
	v_fma_f32 v36, v43, v41, -v34
	v_fmac_f32_e32 v36, v43, v3
	v_sub_f32_e32 v3, v35, v7
	v_add_f32_e32 v3, v6, v3
	v_add_f32_e32 v6, v34, v36
	v_sub_f32_e32 v35, v7, v6
	v_pk_add_f32 v[38:39], v[6:7], v[34:35] neg_lo:[0,1] neg_hi:[0,1]
	v_mov_b32_e32 v37, v6
	v_pk_add_f32 v[6:7], v[38:39], v[36:37] neg_lo:[0,1] neg_hi:[0,1]
	v_mov_b32_e32 v38, v52
	v_add_f32_e32 v3, v3, v7
	v_add_f32_e32 v3, v6, v3
	;; [unrolled: 1-line block ×4, first 2 shown]
	v_sub_f32_e32 v6, v7, v44
	v_mul_f32_e32 v3, v42, v3
	v_sub_f32_e32 v6, v43, v6
	v_add_f32_e32 v3, v6, v3
	v_add_f32_e32 v34, v7, v3
	v_mul_f32_e32 v36, v34, v34
	v_mov_b32_e32 v6, 0x3ecc95a3
	v_fmamk_f32 v6, v36, 0x3e9b6dac, v6
	v_fmaak_f32 v39, v36, v6, 0x3f2aaada
	v_cvt_f32_i32_e32 v6, v40
	v_sub_f32_e32 v7, v34, v7
	v_sub_f32_e32 v3, v3, v7
	v_mul_f32_e32 v7, v34, v36
	v_pk_mul_f32 v[36:37], v[6:7], v[38:39]
	v_ldexp_f32 v35, v34, 1
	v_fma_f32 v34, v6, s0, -v36
	v_fmac_f32_e32 v34, 0xb102e308, v6
	v_pk_add_f32 v[6:7], v[36:37], v[34:35]
	v_ldexp_f32 v3, v3, 1
	v_sub_f32_e32 v35, v7, v35
	v_sub_f32_e32 v35, v37, v35
	v_add_f32_e32 v39, v3, v35
	v_mov_b32_e32 v38, v36
	v_pk_add_f32 v[36:37], v[6:7], v[36:37] neg_lo:[0,1] neg_hi:[0,1]
	v_pk_add_f32 v[40:41], v[6:7], v[38:39]
	v_mov_b32_e32 v35, v6
	v_mov_b32_e32 v37, v41
	v_pk_add_f32 v[42:43], v[34:35], v[36:37] neg_lo:[0,1] neg_hi:[0,1]
	v_pk_add_f32 v[34:35], v[34:35], v[36:37]
	v_mov_b32_e32 v38, v39
	v_mov_b32_e32 v36, v35
	v_pk_add_f32 v[44:45], v[36:37], v[6:7] neg_lo:[0,1] neg_hi:[0,1]
	v_mov_b32_e32 v34, v41
	v_mov_b32_e32 v3, v44
	v_pk_add_f32 v[46:47], v[40:41], v[2:3] neg_lo:[0,1] neg_hi:[0,1]
	v_mov_b32_e32 v40, v7
	v_mov_b32_e32 v41, v44
	;; [unrolled: 1-line block ×3, first 2 shown]
	v_pk_add_f32 v[34:35], v[34:35], v[40:41] neg_lo:[0,1] neg_hi:[0,1]
	v_mov_b32_e32 v39, v6
	v_pk_add_f32 v[6:7], v[38:39], v[34:35] neg_lo:[0,1] neg_hi:[0,1]
	v_mov_b32_e32 v46, v42
	v_pk_add_f32 v[34:35], v[46:47], v[6:7]
	s_mov_b32 s0, 0x7f800000
	v_mov_b32_e32 v38, v35
	v_pk_add_f32 v[38:39], v[34:35], v[38:39]
	v_cmp_eq_f32_e32 vcc, s0, v5
	v_pk_add_f32 v[36:37], v[36:37], v[38:39]
	v_mov_b32_e32 v7, v38
	v_mov_b32_e32 v35, v36
	v_pk_add_f32 v[40:41], v[34:35], v[42:43] neg_lo:[0,1] neg_hi:[0,1]
	s_mov_b32 s0, 0x33800000
	v_sub_f32_e32 v3, v34, v40
	v_pk_add_f32 v[6:7], v[6:7], v[40:41] neg_lo:[0,1] neg_hi:[0,1]
	v_sub_f32_e32 v3, v42, v3
	v_add_f32_e32 v3, v6, v3
	v_add_f32_e32 v3, v3, v7
	v_cmp_gt_f32_e64 s[2:3], s0, v5
	v_add_f32_e32 v3, v36, v3
	s_or_b64 vcc, s[2:3], vcc
	v_cndmask_b32_e32 v71, v3, v5, vcc
.LBB151_87:                             ;   in Loop: Header=BB151_13 Depth=1
	s_or_b64 exec, exec, s[52:53]
	s_waitcnt lgkmcnt(4)
	v_add_f32_e32 v72, s33, v32
	s_mov_b32 s0, 0x41a00000
	v_cmp_ge_f32_e32 vcc, s0, v72
	v_readlane_b32 s0, v95, 24
	v_readlane_b32 s1, v95, 25
	s_and_b64 s[2:3], s[0:1], vcc
	s_and_saveexec_b64 s[52:53], s[2:3]
	s_cbranch_execz .LBB151_89
; %bb.88:                               ;   in Loop: Header=BB151_13 Depth=1
	v_mul_f32_e32 v3, 0x3fb8aa3b, v72
	v_rndne_f32_e32 v5, v3
	s_mov_b32 s0, 0x3fb8aa3b
	v_sub_f32_e32 v6, v3, v5
	v_fma_f32 v3, v72, s0, -v3
	v_fmac_f32_e32 v3, 0x32a5705f, v72
	v_add_f32_e32 v3, v6, v3
	v_cvt_i32_f32_e32 v5, v5
	v_exp_f32_e32 v3, v3
	s_mov_b32 s0, 0xc2ce8ed0
	v_cmp_ngt_f32_e32 vcc, s0, v72
	s_mov_b32 s0, 0x42b17218
	v_ldexp_f32 v3, v3, v5
	v_cndmask_b32_e32 v3, 0, v3, vcc
	v_cmp_nlt_f32_e32 vcc, s0, v72
	v_mov_b32_e32 v5, 0x7f800000
	s_mov_b32 s0, 0x3f2aaaab
	v_cndmask_b32_e32 v5, v5, v3, vcc
	v_add_f32_e32 v3, 1.0, v5
	v_add_f32_e32 v6, -1.0, v3
	v_sub_f32_e32 v7, v6, v3
	v_add_f32_e32 v7, 1.0, v7
	v_sub_f32_e32 v6, v5, v6
	v_add_f32_e32 v32, v6, v7
	v_frexp_mant_f32_e32 v34, v3
	v_cvt_f64_f32_e32 v[6:7], v3
	v_frexp_exp_i32_f64_e32 v6, v[6:7]
	v_cmp_gt_f32_e32 vcc, s0, v34
	s_mov_b32 s0, 0x3f317218
	s_nop 0
	v_subbrev_co_u32_e32 v40, vcc, 0, v6, vcc
	v_sub_u32_e32 v6, 0, v40
	v_ldexp_f32 v3, v3, v6
	v_ldexp_f32 v6, v32, v6
	v_add_f32_e32 v32, -1.0, v3
	v_add_f32_e32 v7, 1.0, v32
	v_sub_f32_e32 v7, v3, v7
	v_add_f32_e32 v34, v6, v7
	v_add_f32_e32 v7, 1.0, v3
	v_add_f32_e32 v35, -1.0, v7
	v_sub_f32_e32 v3, v3, v35
	v_add_f32_e32 v3, v6, v3
	v_add_f32_e32 v41, v7, v3
	v_rcp_f32_e32 v42, v41
	v_sub_f32_e32 v6, v7, v41
	v_add_f32_e32 v7, v32, v34
	v_add_f32_e32 v3, v3, v6
	v_sub_f32_e32 v6, v32, v7
	v_mul_f32_e32 v43, v7, v42
	v_add_f32_e32 v32, v34, v6
	v_mul_f32_e32 v34, v41, v43
	v_fma_f32 v36, v43, v41, -v34
	v_fmac_f32_e32 v36, v43, v3
	v_add_f32_e32 v6, v34, v36
	v_sub_f32_e32 v35, v7, v6
	v_pk_add_f32 v[38:39], v[6:7], v[34:35] neg_lo:[0,1] neg_hi:[0,1]
	v_mov_b32_e32 v37, v6
	v_pk_add_f32 v[6:7], v[38:39], v[36:37] neg_lo:[0,1] neg_hi:[0,1]
	s_nop 0
	v_add_f32_e32 v7, v32, v7
	v_add_f32_e32 v6, v6, v7
	;; [unrolled: 1-line block ×3, first 2 shown]
	v_mul_f32_e32 v32, v42, v7
	v_mul_f32_e32 v34, v41, v32
	v_fma_f32 v36, v32, v41, -v34
	v_fmac_f32_e32 v36, v32, v3
	v_sub_f32_e32 v3, v35, v7
	v_add_f32_e32 v3, v6, v3
	v_add_f32_e32 v6, v34, v36
	v_sub_f32_e32 v35, v7, v6
	v_pk_add_f32 v[38:39], v[6:7], v[34:35] neg_lo:[0,1] neg_hi:[0,1]
	v_mov_b32_e32 v37, v6
	v_pk_add_f32 v[6:7], v[38:39], v[36:37] neg_lo:[0,1] neg_hi:[0,1]
	v_mov_b32_e32 v36, v52
	v_add_f32_e32 v3, v3, v7
	v_add_f32_e32 v3, v6, v3
	;; [unrolled: 1-line block ×4, first 2 shown]
	v_sub_f32_e32 v6, v7, v43
	v_mul_f32_e32 v3, v42, v3
	v_sub_f32_e32 v6, v32, v6
	v_add_f32_e32 v3, v6, v3
	v_add_f32_e32 v32, v7, v3
	v_mul_f32_e32 v34, v32, v32
	v_mov_b32_e32 v6, 0x3ecc95a3
	v_fmamk_f32 v6, v34, 0x3e9b6dac, v6
	v_fmaak_f32 v37, v34, v6, 0x3f2aaada
	v_cvt_f32_i32_e32 v6, v40
	v_sub_f32_e32 v7, v32, v7
	v_sub_f32_e32 v3, v3, v7
	v_mul_f32_e32 v7, v32, v34
	v_pk_mul_f32 v[36:37], v[6:7], v[36:37]
	v_ldexp_f32 v35, v32, 1
	v_fma_f32 v34, v6, s0, -v36
	v_fmac_f32_e32 v34, 0xb102e308, v6
	v_pk_add_f32 v[6:7], v[36:37], v[34:35]
	v_ldexp_f32 v3, v3, 1
	v_sub_f32_e32 v32, v7, v35
	v_sub_f32_e32 v32, v37, v32
	v_add_f32_e32 v39, v3, v32
	v_mov_b32_e32 v38, v36
	v_pk_add_f32 v[36:37], v[6:7], v[36:37] neg_lo:[0,1] neg_hi:[0,1]
	v_pk_add_f32 v[40:41], v[6:7], v[38:39]
	v_mov_b32_e32 v35, v6
	v_mov_b32_e32 v37, v41
	v_pk_add_f32 v[42:43], v[34:35], v[36:37] neg_lo:[0,1] neg_hi:[0,1]
	v_pk_add_f32 v[34:35], v[34:35], v[36:37]
	s_mov_b32 s0, 0x7f800000
	v_mov_b32_e32 v32, v35
	v_pk_add_f32 v[36:37], v[32:33], v[6:7] neg_lo:[0,1] neg_hi:[0,1]
	v_mov_b32_e32 v34, v41
	v_mov_b32_e32 v3, v36
	v_pk_add_f32 v[44:45], v[40:41], v[2:3] neg_lo:[0,1] neg_hi:[0,1]
	v_mov_b32_e32 v40, v7
	v_mov_b32_e32 v41, v36
	;; [unrolled: 1-line block ×3, first 2 shown]
	v_pk_add_f32 v[34:35], v[34:35], v[40:41] neg_lo:[0,1] neg_hi:[0,1]
	v_mov_b32_e32 v36, v39
	v_mov_b32_e32 v37, v6
	v_pk_add_f32 v[6:7], v[36:37], v[34:35] neg_lo:[0,1] neg_hi:[0,1]
	v_mov_b32_e32 v44, v42
	v_pk_add_f32 v[34:35], v[44:45], v[6:7]
	v_cmp_eq_f32_e32 vcc, s0, v5
	v_mov_b32_e32 v36, v35
	v_pk_add_f32 v[36:37], v[34:35], v[36:37]
	s_mov_b32 s0, 0x33800000
	v_pk_add_f32 v[38:39], v[32:33], v[36:37]
	v_mov_b32_e32 v7, v36
	v_mov_b32_e32 v35, v38
	v_pk_add_f32 v[40:41], v[34:35], v[42:43] neg_lo:[0,1] neg_hi:[0,1]
	v_cmp_gt_f32_e64 s[2:3], s0, v5
	v_sub_f32_e32 v3, v34, v40
	v_pk_add_f32 v[6:7], v[6:7], v[40:41] neg_lo:[0,1] neg_hi:[0,1]
	v_sub_f32_e32 v3, v42, v3
	v_add_f32_e32 v3, v6, v3
	v_add_f32_e32 v3, v3, v7
	;; [unrolled: 1-line block ×3, first 2 shown]
	s_or_b64 vcc, s[2:3], vcc
	v_cndmask_b32_e32 v72, v3, v5, vcc
.LBB151_89:                             ;   in Loop: Header=BB151_13 Depth=1
	s_or_b64 exec, exec, s[52:53]
	v_add_f32_e32 v73, s33, v33
	s_mov_b32 s0, 0x41a00000
	v_cmp_ge_f32_e32 vcc, s0, v73
	v_readlane_b32 s0, v95, 24
	v_readlane_b32 s1, v95, 25
	s_and_b64 s[2:3], s[0:1], vcc
	s_and_saveexec_b64 s[52:53], s[2:3]
	s_cbranch_execz .LBB151_91
; %bb.90:                               ;   in Loop: Header=BB151_13 Depth=1
	v_mul_f32_e32 v3, 0x3fb8aa3b, v73
	v_rndne_f32_e32 v5, v3
	s_mov_b32 s0, 0x3fb8aa3b
	v_sub_f32_e32 v6, v3, v5
	v_fma_f32 v3, v73, s0, -v3
	v_fmac_f32_e32 v3, 0x32a5705f, v73
	v_add_f32_e32 v3, v6, v3
	v_cvt_i32_f32_e32 v5, v5
	v_exp_f32_e32 v3, v3
	s_mov_b32 s0, 0xc2ce8ed0
	v_cmp_ngt_f32_e32 vcc, s0, v73
	s_mov_b32 s0, 0x42b17218
	v_ldexp_f32 v3, v3, v5
	v_cndmask_b32_e32 v3, 0, v3, vcc
	v_cmp_nlt_f32_e32 vcc, s0, v73
	v_mov_b32_e32 v5, 0x7f800000
	s_mov_b32 s0, 0x3f2aaaab
	v_cndmask_b32_e32 v5, v5, v3, vcc
	v_add_f32_e32 v3, 1.0, v5
	v_add_f32_e32 v6, -1.0, v3
	v_sub_f32_e32 v7, v6, v3
	v_add_f32_e32 v7, 1.0, v7
	v_sub_f32_e32 v6, v5, v6
	v_add_f32_e32 v32, v6, v7
	v_frexp_mant_f32_e32 v33, v3
	v_cvt_f64_f32_e32 v[6:7], v3
	v_frexp_exp_i32_f64_e32 v6, v[6:7]
	v_cmp_gt_f32_e32 vcc, s0, v33
	s_mov_b32 s0, 0x3f317218
	s_nop 0
	v_subbrev_co_u32_e32 v38, vcc, 0, v6, vcc
	v_sub_u32_e32 v6, 0, v38
	v_ldexp_f32 v3, v3, v6
	v_ldexp_f32 v6, v32, v6
	v_add_f32_e32 v32, -1.0, v3
	v_add_f32_e32 v7, 1.0, v32
	v_sub_f32_e32 v7, v3, v7
	v_add_f32_e32 v33, v6, v7
	v_add_f32_e32 v7, 1.0, v3
	v_add_f32_e32 v34, -1.0, v7
	v_sub_f32_e32 v3, v3, v34
	v_add_f32_e32 v3, v6, v3
	v_add_f32_e32 v39, v7, v3
	v_rcp_f32_e32 v40, v39
	v_sub_f32_e32 v6, v7, v39
	v_add_f32_e32 v7, v32, v33
	v_add_f32_e32 v3, v3, v6
	v_mul_f32_e32 v42, v7, v40
	v_sub_f32_e32 v6, v32, v7
	v_mul_f32_e32 v32, v39, v42
	v_fma_f32 v34, v42, v39, -v32
	v_fmac_f32_e32 v34, v42, v3
	v_add_f32_e32 v41, v33, v6
	v_add_f32_e32 v6, v32, v34
	v_sub_f32_e32 v33, v7, v6
	v_pk_add_f32 v[36:37], v[6:7], v[32:33] neg_lo:[0,1] neg_hi:[0,1]
	v_mov_b32_e32 v35, v6
	v_pk_add_f32 v[6:7], v[36:37], v[34:35] neg_lo:[0,1] neg_hi:[0,1]
	s_nop 0
	v_add_f32_e32 v7, v41, v7
	v_add_f32_e32 v6, v6, v7
	;; [unrolled: 1-line block ×3, first 2 shown]
	v_mul_f32_e32 v41, v40, v7
	v_mul_f32_e32 v32, v39, v41
	v_fma_f32 v34, v41, v39, -v32
	v_fmac_f32_e32 v34, v41, v3
	v_sub_f32_e32 v3, v33, v7
	v_add_f32_e32 v3, v6, v3
	v_add_f32_e32 v6, v32, v34
	v_sub_f32_e32 v33, v7, v6
	v_pk_add_f32 v[36:37], v[6:7], v[32:33] neg_lo:[0,1] neg_hi:[0,1]
	v_mov_b32_e32 v35, v6
	v_pk_add_f32 v[6:7], v[36:37], v[34:35] neg_lo:[0,1] neg_hi:[0,1]
	v_mov_b32_e32 v36, v52
	v_add_f32_e32 v3, v3, v7
	v_add_f32_e32 v3, v6, v3
	;; [unrolled: 1-line block ×4, first 2 shown]
	v_sub_f32_e32 v6, v7, v42
	v_mul_f32_e32 v3, v40, v3
	v_sub_f32_e32 v6, v41, v6
	v_add_f32_e32 v3, v6, v3
	v_add_f32_e32 v32, v7, v3
	v_mul_f32_e32 v34, v32, v32
	v_mov_b32_e32 v6, 0x3ecc95a3
	v_fmamk_f32 v6, v34, 0x3e9b6dac, v6
	v_fmaak_f32 v37, v34, v6, 0x3f2aaada
	v_cvt_f32_i32_e32 v6, v38
	v_sub_f32_e32 v7, v32, v7
	v_sub_f32_e32 v3, v3, v7
	v_mul_f32_e32 v7, v32, v34
	v_pk_mul_f32 v[34:35], v[6:7], v[36:37]
	v_ldexp_f32 v33, v32, 1
	v_fma_f32 v32, v6, s0, -v34
	v_fmac_f32_e32 v32, 0xb102e308, v6
	v_pk_add_f32 v[6:7], v[34:35], v[32:33]
	v_ldexp_f32 v3, v3, 1
	v_sub_f32_e32 v33, v7, v33
	v_sub_f32_e32 v33, v35, v33
	v_add_f32_e32 v37, v3, v33
	v_mov_b32_e32 v36, v34
	v_pk_add_f32 v[34:35], v[6:7], v[34:35] neg_lo:[0,1] neg_hi:[0,1]
	v_pk_add_f32 v[38:39], v[6:7], v[36:37]
	v_mov_b32_e32 v33, v6
	v_mov_b32_e32 v35, v39
	v_pk_add_f32 v[40:41], v[32:33], v[34:35] neg_lo:[0,1] neg_hi:[0,1]
	v_pk_add_f32 v[32:33], v[32:33], v[34:35]
	v_mov_b32_e32 v36, v37
	v_mov_b32_e32 v34, v33
	v_pk_add_f32 v[42:43], v[34:35], v[6:7] neg_lo:[0,1] neg_hi:[0,1]
	v_mov_b32_e32 v32, v39
	v_mov_b32_e32 v3, v42
	v_pk_add_f32 v[44:45], v[38:39], v[2:3] neg_lo:[0,1] neg_hi:[0,1]
	v_mov_b32_e32 v38, v7
	v_mov_b32_e32 v39, v42
	;; [unrolled: 1-line block ×3, first 2 shown]
	v_pk_add_f32 v[32:33], v[32:33], v[38:39] neg_lo:[0,1] neg_hi:[0,1]
	v_mov_b32_e32 v37, v6
	v_pk_add_f32 v[6:7], v[36:37], v[32:33] neg_lo:[0,1] neg_hi:[0,1]
	v_mov_b32_e32 v44, v40
	v_pk_add_f32 v[32:33], v[44:45], v[6:7]
	s_mov_b32 s0, 0x7f800000
	v_mov_b32_e32 v36, v33
	v_pk_add_f32 v[36:37], v[32:33], v[36:37]
	v_cmp_eq_f32_e32 vcc, s0, v5
	v_pk_add_f32 v[34:35], v[34:35], v[36:37]
	v_mov_b32_e32 v7, v36
	v_mov_b32_e32 v33, v34
	v_pk_add_f32 v[38:39], v[32:33], v[40:41] neg_lo:[0,1] neg_hi:[0,1]
	s_mov_b32 s0, 0x33800000
	v_sub_f32_e32 v3, v32, v38
	v_pk_add_f32 v[6:7], v[6:7], v[38:39] neg_lo:[0,1] neg_hi:[0,1]
	v_sub_f32_e32 v3, v40, v3
	v_add_f32_e32 v3, v6, v3
	v_add_f32_e32 v3, v3, v7
	v_cmp_gt_f32_e64 s[2:3], s0, v5
	v_add_f32_e32 v3, v34, v3
	s_or_b64 vcc, s[2:3], vcc
	v_cndmask_b32_e32 v73, v3, v5, vcc
.LBB151_91:                             ;   in Loop: Header=BB151_13 Depth=1
	s_or_b64 exec, exec, s[52:53]
	s_waitcnt lgkmcnt(3)
	v_add_f32_e32 v74, s33, v30
	s_mov_b32 s0, 0x41a00000
	v_cmp_ge_f32_e32 vcc, s0, v74
	v_readlane_b32 s0, v95, 24
	v_readlane_b32 s1, v95, 25
	s_and_b64 s[2:3], s[0:1], vcc
	s_and_saveexec_b64 s[52:53], s[2:3]
	s_cbranch_execz .LBB151_93
; %bb.92:                               ;   in Loop: Header=BB151_13 Depth=1
	v_mul_f32_e32 v3, 0x3fb8aa3b, v74
	v_rndne_f32_e32 v5, v3
	s_mov_b32 s0, 0x3fb8aa3b
	v_sub_f32_e32 v6, v3, v5
	v_fma_f32 v3, v74, s0, -v3
	v_fmac_f32_e32 v3, 0x32a5705f, v74
	v_add_f32_e32 v3, v6, v3
	v_cvt_i32_f32_e32 v5, v5
	v_exp_f32_e32 v3, v3
	s_mov_b32 s0, 0xc2ce8ed0
	v_cmp_ngt_f32_e32 vcc, s0, v74
	s_mov_b32 s0, 0x42b17218
	v_ldexp_f32 v3, v3, v5
	v_cndmask_b32_e32 v3, 0, v3, vcc
	v_cmp_nlt_f32_e32 vcc, s0, v74
	v_mov_b32_e32 v5, 0x7f800000
	s_mov_b32 s0, 0x3f2aaaab
	v_cndmask_b32_e32 v5, v5, v3, vcc
	v_add_f32_e32 v3, 1.0, v5
	v_add_f32_e32 v6, -1.0, v3
	v_sub_f32_e32 v7, v6, v3
	v_add_f32_e32 v7, 1.0, v7
	v_sub_f32_e32 v6, v5, v6
	v_add_f32_e32 v30, v6, v7
	v_frexp_mant_f32_e32 v32, v3
	v_cvt_f64_f32_e32 v[6:7], v3
	v_frexp_exp_i32_f64_e32 v6, v[6:7]
	v_cmp_gt_f32_e32 vcc, s0, v32
	s_mov_b32 s0, 0x3f317218
	s_nop 0
	v_subbrev_co_u32_e32 v38, vcc, 0, v6, vcc
	v_sub_u32_e32 v6, 0, v38
	v_ldexp_f32 v3, v3, v6
	v_ldexp_f32 v6, v30, v6
	v_add_f32_e32 v30, -1.0, v3
	v_add_f32_e32 v7, 1.0, v30
	v_sub_f32_e32 v7, v3, v7
	v_add_f32_e32 v32, v6, v7
	v_add_f32_e32 v7, 1.0, v3
	v_add_f32_e32 v33, -1.0, v7
	v_sub_f32_e32 v3, v3, v33
	v_add_f32_e32 v3, v6, v3
	v_add_f32_e32 v39, v7, v3
	v_rcp_f32_e32 v40, v39
	v_sub_f32_e32 v6, v7, v39
	v_add_f32_e32 v7, v30, v32
	v_add_f32_e32 v3, v3, v6
	v_sub_f32_e32 v6, v30, v7
	v_mul_f32_e32 v41, v7, v40
	v_add_f32_e32 v30, v32, v6
	v_mul_f32_e32 v32, v39, v41
	v_fma_f32 v34, v41, v39, -v32
	v_fmac_f32_e32 v34, v41, v3
	v_add_f32_e32 v6, v32, v34
	v_sub_f32_e32 v33, v7, v6
	v_pk_add_f32 v[36:37], v[6:7], v[32:33] neg_lo:[0,1] neg_hi:[0,1]
	v_mov_b32_e32 v35, v6
	v_pk_add_f32 v[6:7], v[36:37], v[34:35] neg_lo:[0,1] neg_hi:[0,1]
	s_nop 0
	v_add_f32_e32 v7, v30, v7
	v_add_f32_e32 v6, v6, v7
	;; [unrolled: 1-line block ×3, first 2 shown]
	v_mul_f32_e32 v30, v40, v7
	v_mul_f32_e32 v32, v39, v30
	v_fma_f32 v34, v30, v39, -v32
	v_fmac_f32_e32 v34, v30, v3
	v_sub_f32_e32 v3, v33, v7
	v_add_f32_e32 v3, v6, v3
	v_add_f32_e32 v6, v32, v34
	v_sub_f32_e32 v33, v7, v6
	v_pk_add_f32 v[36:37], v[6:7], v[32:33] neg_lo:[0,1] neg_hi:[0,1]
	v_mov_b32_e32 v35, v6
	v_pk_add_f32 v[6:7], v[36:37], v[34:35] neg_lo:[0,1] neg_hi:[0,1]
	v_mov_b32_e32 v34, v52
	v_add_f32_e32 v3, v3, v7
	v_add_f32_e32 v3, v6, v3
	;; [unrolled: 1-line block ×4, first 2 shown]
	v_sub_f32_e32 v6, v7, v41
	v_mul_f32_e32 v3, v40, v3
	v_sub_f32_e32 v6, v30, v6
	v_add_f32_e32 v3, v6, v3
	v_add_f32_e32 v30, v7, v3
	v_mul_f32_e32 v32, v30, v30
	v_mov_b32_e32 v6, 0x3ecc95a3
	v_fmamk_f32 v6, v32, 0x3e9b6dac, v6
	v_fmaak_f32 v35, v32, v6, 0x3f2aaada
	v_cvt_f32_i32_e32 v6, v38
	v_sub_f32_e32 v7, v30, v7
	v_sub_f32_e32 v3, v3, v7
	v_mul_f32_e32 v7, v30, v32
	v_pk_mul_f32 v[34:35], v[6:7], v[34:35]
	v_ldexp_f32 v33, v30, 1
	v_fma_f32 v32, v6, s0, -v34
	v_fmac_f32_e32 v32, 0xb102e308, v6
	v_pk_add_f32 v[6:7], v[34:35], v[32:33]
	v_ldexp_f32 v3, v3, 1
	v_sub_f32_e32 v30, v7, v33
	v_sub_f32_e32 v30, v35, v30
	v_add_f32_e32 v37, v3, v30
	v_mov_b32_e32 v36, v34
	v_pk_add_f32 v[34:35], v[6:7], v[34:35] neg_lo:[0,1] neg_hi:[0,1]
	v_pk_add_f32 v[38:39], v[6:7], v[36:37]
	v_mov_b32_e32 v33, v6
	v_mov_b32_e32 v35, v39
	v_pk_add_f32 v[40:41], v[32:33], v[34:35] neg_lo:[0,1] neg_hi:[0,1]
	v_pk_add_f32 v[32:33], v[32:33], v[34:35]
	s_mov_b32 s0, 0x7f800000
	v_mov_b32_e32 v30, v33
	v_pk_add_f32 v[34:35], v[30:31], v[6:7] neg_lo:[0,1] neg_hi:[0,1]
	v_mov_b32_e32 v32, v39
	v_mov_b32_e32 v3, v34
	v_pk_add_f32 v[42:43], v[38:39], v[2:3] neg_lo:[0,1] neg_hi:[0,1]
	v_mov_b32_e32 v38, v7
	v_mov_b32_e32 v39, v34
	;; [unrolled: 1-line block ×3, first 2 shown]
	v_pk_add_f32 v[32:33], v[32:33], v[38:39] neg_lo:[0,1] neg_hi:[0,1]
	v_mov_b32_e32 v34, v37
	v_mov_b32_e32 v35, v6
	v_pk_add_f32 v[6:7], v[34:35], v[32:33] neg_lo:[0,1] neg_hi:[0,1]
	v_mov_b32_e32 v42, v40
	v_pk_add_f32 v[32:33], v[42:43], v[6:7]
	v_cmp_eq_f32_e32 vcc, s0, v5
	v_mov_b32_e32 v34, v33
	v_pk_add_f32 v[34:35], v[32:33], v[34:35]
	s_mov_b32 s0, 0x33800000
	v_pk_add_f32 v[36:37], v[30:31], v[34:35]
	v_mov_b32_e32 v7, v34
	v_mov_b32_e32 v33, v36
	v_pk_add_f32 v[38:39], v[32:33], v[40:41] neg_lo:[0,1] neg_hi:[0,1]
	v_cmp_gt_f32_e64 s[2:3], s0, v5
	v_sub_f32_e32 v3, v32, v38
	v_pk_add_f32 v[6:7], v[6:7], v[38:39] neg_lo:[0,1] neg_hi:[0,1]
	v_sub_f32_e32 v3, v40, v3
	v_add_f32_e32 v3, v6, v3
	v_add_f32_e32 v3, v3, v7
	;; [unrolled: 1-line block ×3, first 2 shown]
	s_or_b64 vcc, s[2:3], vcc
	v_cndmask_b32_e32 v74, v3, v5, vcc
.LBB151_93:                             ;   in Loop: Header=BB151_13 Depth=1
	s_or_b64 exec, exec, s[52:53]
	v_add_f32_e32 v75, s33, v31
	s_mov_b32 s0, 0x41a00000
	v_cmp_ge_f32_e32 vcc, s0, v75
	v_readlane_b32 s0, v95, 24
	v_readlane_b32 s1, v95, 25
	s_and_b64 s[2:3], s[0:1], vcc
	s_mov_b64 s[52:53], exec
	s_and_b64 s[2:3], s[52:53], s[2:3]
	v_mov_b32_e32 v42, v52
	s_mov_b64 exec, s[2:3]
	s_cbranch_execz .LBB151_95
; %bb.94:                               ;   in Loop: Header=BB151_13 Depth=1
	v_mul_f32_e32 v3, 0x3fb8aa3b, v75
	v_rndne_f32_e32 v5, v3
	s_mov_b32 s0, 0x3fb8aa3b
	v_sub_f32_e32 v6, v3, v5
	v_fma_f32 v3, v75, s0, -v3
	v_fmac_f32_e32 v3, 0x32a5705f, v75
	v_add_f32_e32 v3, v6, v3
	v_cvt_i32_f32_e32 v5, v5
	v_exp_f32_e32 v3, v3
	s_mov_b32 s0, 0xc2ce8ed0
	v_cmp_ngt_f32_e32 vcc, s0, v75
	s_mov_b32 s0, 0x42b17218
	v_ldexp_f32 v3, v3, v5
	v_cndmask_b32_e32 v3, 0, v3, vcc
	v_cmp_nlt_f32_e32 vcc, s0, v75
	v_mov_b32_e32 v5, 0x7f800000
	s_mov_b32 s0, 0x3f2aaaab
	v_cndmask_b32_e32 v5, v5, v3, vcc
	v_add_f32_e32 v3, 1.0, v5
	v_add_f32_e32 v6, -1.0, v3
	v_sub_f32_e32 v7, v6, v3
	v_add_f32_e32 v7, 1.0, v7
	v_sub_f32_e32 v6, v5, v6
	v_add_f32_e32 v30, v6, v7
	v_frexp_mant_f32_e32 v31, v3
	v_cvt_f64_f32_e32 v[6:7], v3
	v_frexp_exp_i32_f64_e32 v6, v[6:7]
	v_cmp_gt_f32_e32 vcc, s0, v31
	s_mov_b32 s0, 0x3f317218
	v_mov_b32_e32 v44, v42
	v_subbrev_co_u32_e32 v36, vcc, 0, v6, vcc
	v_sub_u32_e32 v6, 0, v36
	v_ldexp_f32 v3, v3, v6
	v_ldexp_f32 v6, v30, v6
	v_add_f32_e32 v30, -1.0, v3
	v_add_f32_e32 v7, 1.0, v30
	v_sub_f32_e32 v7, v3, v7
	v_add_f32_e32 v31, v6, v7
	v_add_f32_e32 v7, 1.0, v3
	v_add_f32_e32 v32, -1.0, v7
	v_sub_f32_e32 v3, v3, v32
	v_add_f32_e32 v3, v6, v3
	v_add_f32_e32 v37, v7, v3
	v_rcp_f32_e32 v38, v37
	v_sub_f32_e32 v6, v7, v37
	v_add_f32_e32 v7, v30, v31
	v_add_f32_e32 v3, v3, v6
	v_mul_f32_e32 v40, v7, v38
	v_sub_f32_e32 v6, v30, v7
	v_mul_f32_e32 v30, v37, v40
	v_fma_f32 v32, v40, v37, -v30
	v_fmac_f32_e32 v32, v40, v3
	v_add_f32_e32 v39, v31, v6
	v_add_f32_e32 v6, v30, v32
	v_sub_f32_e32 v31, v7, v6
	v_pk_add_f32 v[34:35], v[6:7], v[30:31] neg_lo:[0,1] neg_hi:[0,1]
	v_mov_b32_e32 v33, v6
	v_pk_add_f32 v[6:7], v[34:35], v[32:33] neg_lo:[0,1] neg_hi:[0,1]
	s_nop 0
	v_add_f32_e32 v7, v39, v7
	v_add_f32_e32 v6, v6, v7
	v_add_f32_e32 v7, v31, v6
	v_mul_f32_e32 v39, v38, v7
	v_mul_f32_e32 v30, v37, v39
	v_fma_f32 v32, v39, v37, -v30
	v_fmac_f32_e32 v32, v39, v3
	v_sub_f32_e32 v3, v31, v7
	v_add_f32_e32 v3, v6, v3
	v_add_f32_e32 v6, v30, v32
	v_sub_f32_e32 v31, v7, v6
	v_pk_add_f32 v[34:35], v[6:7], v[30:31] neg_lo:[0,1] neg_hi:[0,1]
	v_mov_b32_e32 v33, v6
	v_pk_add_f32 v[6:7], v[34:35], v[32:33] neg_lo:[0,1] neg_hi:[0,1]
	s_nop 0
	v_add_f32_e32 v3, v3, v7
	v_add_f32_e32 v3, v6, v3
	;; [unrolled: 1-line block ×4, first 2 shown]
	v_sub_f32_e32 v6, v7, v40
	v_mul_f32_e32 v3, v38, v3
	v_sub_f32_e32 v6, v39, v6
	v_add_f32_e32 v3, v6, v3
	v_add_f32_e32 v30, v7, v3
	v_mul_f32_e32 v32, v30, v30
	v_mov_b32_e32 v6, 0x3ecc95a3
	v_fmamk_f32 v6, v32, 0x3e9b6dac, v6
	v_fmaak_f32 v43, v32, v6, 0x3f2aaada
	v_cvt_f32_i32_e32 v6, v36
	v_sub_f32_e32 v7, v30, v7
	v_sub_f32_e32 v3, v3, v7
	v_mul_f32_e32 v7, v30, v32
	v_pk_mul_f32 v[32:33], v[6:7], v[42:43]
	v_ldexp_f32 v31, v30, 1
	v_fma_f32 v30, v6, s0, -v32
	v_fmac_f32_e32 v30, 0xb102e308, v6
	v_pk_add_f32 v[6:7], v[32:33], v[30:31]
	v_ldexp_f32 v3, v3, 1
	v_sub_f32_e32 v31, v7, v31
	v_sub_f32_e32 v31, v33, v31
	v_add_f32_e32 v35, v3, v31
	v_mov_b32_e32 v34, v32
	v_pk_add_f32 v[32:33], v[6:7], v[32:33] neg_lo:[0,1] neg_hi:[0,1]
	v_pk_add_f32 v[36:37], v[6:7], v[34:35]
	v_mov_b32_e32 v31, v6
	v_mov_b32_e32 v33, v37
	v_pk_add_f32 v[38:39], v[30:31], v[32:33] neg_lo:[0,1] neg_hi:[0,1]
	v_pk_add_f32 v[30:31], v[30:31], v[32:33]
	v_mov_b32_e32 v34, v35
	v_mov_b32_e32 v32, v31
	v_pk_add_f32 v[40:41], v[32:33], v[6:7] neg_lo:[0,1] neg_hi:[0,1]
	v_mov_b32_e32 v30, v37
	v_mov_b32_e32 v3, v40
	v_pk_add_f32 v[42:43], v[36:37], v[2:3] neg_lo:[0,1] neg_hi:[0,1]
	v_mov_b32_e32 v36, v7
	v_mov_b32_e32 v37, v40
	;; [unrolled: 1-line block ×3, first 2 shown]
	v_pk_add_f32 v[30:31], v[30:31], v[36:37] neg_lo:[0,1] neg_hi:[0,1]
	v_mov_b32_e32 v35, v6
	v_pk_add_f32 v[6:7], v[34:35], v[30:31] neg_lo:[0,1] neg_hi:[0,1]
	v_mov_b32_e32 v42, v38
	v_pk_add_f32 v[30:31], v[42:43], v[6:7]
	s_mov_b32 s0, 0x7f800000
	v_mov_b32_e32 v34, v31
	v_pk_add_f32 v[34:35], v[30:31], v[34:35]
	v_cmp_eq_f32_e32 vcc, s0, v5
	v_pk_add_f32 v[32:33], v[32:33], v[34:35]
	v_mov_b32_e32 v7, v34
	v_mov_b32_e32 v31, v32
	v_pk_add_f32 v[36:37], v[30:31], v[38:39] neg_lo:[0,1] neg_hi:[0,1]
	s_mov_b32 s0, 0x33800000
	v_sub_f32_e32 v3, v30, v36
	v_pk_add_f32 v[6:7], v[6:7], v[36:37] neg_lo:[0,1] neg_hi:[0,1]
	v_sub_f32_e32 v3, v38, v3
	v_add_f32_e32 v3, v6, v3
	v_add_f32_e32 v3, v3, v7
	v_cmp_gt_f32_e64 s[2:3], s0, v5
	v_add_f32_e32 v3, v32, v3
	s_or_b64 vcc, s[2:3], vcc
	v_mov_b32_e32 v42, v44
	v_cndmask_b32_e32 v75, v3, v5, vcc
.LBB151_95:                             ;   in Loop: Header=BB151_13 Depth=1
	s_or_b64 exec, exec, s[52:53]
	s_waitcnt lgkmcnt(2)
	v_add_f32_e32 v76, s33, v28
	s_mov_b32 s0, 0x41a00000
	v_cmp_ge_f32_e32 vcc, s0, v76
	v_readlane_b32 s0, v95, 24
	v_readlane_b32 s1, v95, 25
	s_and_b64 s[2:3], s[0:1], vcc
	s_and_saveexec_b64 s[52:53], s[2:3]
	s_cbranch_execz .LBB151_97
; %bb.96:                               ;   in Loop: Header=BB151_13 Depth=1
	v_mul_f32_e32 v3, 0x3fb8aa3b, v76
	v_rndne_f32_e32 v5, v3
	s_mov_b32 s0, 0x3fb8aa3b
	v_sub_f32_e32 v6, v3, v5
	v_fma_f32 v3, v76, s0, -v3
	v_fmac_f32_e32 v3, 0x32a5705f, v76
	v_add_f32_e32 v3, v6, v3
	v_cvt_i32_f32_e32 v5, v5
	v_exp_f32_e32 v3, v3
	s_mov_b32 s0, 0xc2ce8ed0
	v_cmp_ngt_f32_e32 vcc, s0, v76
	s_mov_b32 s0, 0x42b17218
	v_ldexp_f32 v3, v3, v5
	v_cndmask_b32_e32 v3, 0, v3, vcc
	v_cmp_nlt_f32_e32 vcc, s0, v76
	v_mov_b32_e32 v5, 0x7f800000
	s_mov_b32 s0, 0x3f2aaaab
	v_cndmask_b32_e32 v5, v5, v3, vcc
	v_add_f32_e32 v3, 1.0, v5
	v_add_f32_e32 v6, -1.0, v3
	v_sub_f32_e32 v7, v6, v3
	v_add_f32_e32 v7, 1.0, v7
	v_sub_f32_e32 v6, v5, v6
	v_add_f32_e32 v28, v6, v7
	v_frexp_mant_f32_e32 v30, v3
	v_cvt_f64_f32_e32 v[6:7], v3
	v_frexp_exp_i32_f64_e32 v6, v[6:7]
	v_cmp_gt_f32_e32 vcc, s0, v30
	s_mov_b32 s0, 0x3f317218
	s_nop 0
	v_subbrev_co_u32_e32 v36, vcc, 0, v6, vcc
	v_sub_u32_e32 v6, 0, v36
	v_ldexp_f32 v3, v3, v6
	v_ldexp_f32 v6, v28, v6
	v_add_f32_e32 v28, -1.0, v3
	v_add_f32_e32 v7, 1.0, v28
	v_sub_f32_e32 v7, v3, v7
	v_add_f32_e32 v30, v6, v7
	v_add_f32_e32 v7, 1.0, v3
	v_add_f32_e32 v31, -1.0, v7
	v_sub_f32_e32 v3, v3, v31
	v_add_f32_e32 v3, v6, v3
	v_add_f32_e32 v37, v7, v3
	v_rcp_f32_e32 v38, v37
	v_sub_f32_e32 v6, v7, v37
	v_add_f32_e32 v7, v28, v30
	v_add_f32_e32 v3, v3, v6
	v_sub_f32_e32 v6, v28, v7
	v_mul_f32_e32 v39, v7, v38
	v_add_f32_e32 v28, v30, v6
	v_mul_f32_e32 v30, v37, v39
	v_fma_f32 v32, v39, v37, -v30
	v_fmac_f32_e32 v32, v39, v3
	v_add_f32_e32 v6, v30, v32
	v_sub_f32_e32 v31, v7, v6
	v_pk_add_f32 v[34:35], v[6:7], v[30:31] neg_lo:[0,1] neg_hi:[0,1]
	v_mov_b32_e32 v33, v6
	v_pk_add_f32 v[6:7], v[34:35], v[32:33] neg_lo:[0,1] neg_hi:[0,1]
	s_nop 0
	v_add_f32_e32 v7, v28, v7
	v_add_f32_e32 v6, v6, v7
	;; [unrolled: 1-line block ×3, first 2 shown]
	v_mul_f32_e32 v28, v38, v7
	v_mul_f32_e32 v30, v37, v28
	v_fma_f32 v32, v28, v37, -v30
	v_fmac_f32_e32 v32, v28, v3
	v_sub_f32_e32 v3, v31, v7
	v_add_f32_e32 v3, v6, v3
	v_add_f32_e32 v6, v30, v32
	v_sub_f32_e32 v31, v7, v6
	v_pk_add_f32 v[34:35], v[6:7], v[30:31] neg_lo:[0,1] neg_hi:[0,1]
	v_mov_b32_e32 v33, v6
	v_pk_add_f32 v[6:7], v[34:35], v[32:33] neg_lo:[0,1] neg_hi:[0,1]
	s_nop 0
	v_add_f32_e32 v3, v3, v7
	v_add_f32_e32 v3, v6, v3
	;; [unrolled: 1-line block ×4, first 2 shown]
	v_sub_f32_e32 v6, v7, v39
	v_mul_f32_e32 v3, v38, v3
	v_sub_f32_e32 v6, v28, v6
	v_add_f32_e32 v3, v6, v3
	v_add_f32_e32 v28, v7, v3
	v_mul_f32_e32 v30, v28, v28
	v_mov_b32_e32 v6, 0x3ecc95a3
	v_fmamk_f32 v6, v30, 0x3e9b6dac, v6
	v_fmaak_f32 v43, v30, v6, 0x3f2aaada
	v_cvt_f32_i32_e32 v6, v36
	v_sub_f32_e32 v7, v28, v7
	v_sub_f32_e32 v3, v3, v7
	v_mul_f32_e32 v7, v28, v30
	v_pk_mul_f32 v[32:33], v[6:7], v[42:43]
	v_ldexp_f32 v31, v28, 1
	v_fma_f32 v30, v6, s0, -v32
	v_fmac_f32_e32 v30, 0xb102e308, v6
	v_pk_add_f32 v[6:7], v[32:33], v[30:31]
	v_ldexp_f32 v3, v3, 1
	v_sub_f32_e32 v28, v7, v31
	v_sub_f32_e32 v28, v33, v28
	v_add_f32_e32 v35, v3, v28
	v_mov_b32_e32 v34, v32
	v_pk_add_f32 v[32:33], v[6:7], v[32:33] neg_lo:[0,1] neg_hi:[0,1]
	v_pk_add_f32 v[36:37], v[6:7], v[34:35]
	v_mov_b32_e32 v31, v6
	v_mov_b32_e32 v33, v37
	v_pk_add_f32 v[38:39], v[30:31], v[32:33] neg_lo:[0,1] neg_hi:[0,1]
	v_pk_add_f32 v[30:31], v[30:31], v[32:33]
	s_mov_b32 s0, 0x7f800000
	v_mov_b32_e32 v28, v31
	v_pk_add_f32 v[32:33], v[28:29], v[6:7] neg_lo:[0,1] neg_hi:[0,1]
	v_mov_b32_e32 v30, v37
	v_mov_b32_e32 v3, v32
	v_pk_add_f32 v[40:41], v[36:37], v[2:3] neg_lo:[0,1] neg_hi:[0,1]
	v_mov_b32_e32 v36, v7
	v_mov_b32_e32 v37, v32
	v_mov_b32_e32 v39, v31
	v_pk_add_f32 v[30:31], v[30:31], v[36:37] neg_lo:[0,1] neg_hi:[0,1]
	v_mov_b32_e32 v32, v35
	v_mov_b32_e32 v33, v6
	v_pk_add_f32 v[6:7], v[32:33], v[30:31] neg_lo:[0,1] neg_hi:[0,1]
	v_mov_b32_e32 v40, v38
	v_pk_add_f32 v[30:31], v[40:41], v[6:7]
	v_cmp_eq_f32_e32 vcc, s0, v5
	v_mov_b32_e32 v32, v31
	v_pk_add_f32 v[32:33], v[30:31], v[32:33]
	s_mov_b32 s0, 0x33800000
	v_pk_add_f32 v[34:35], v[28:29], v[32:33]
	v_mov_b32_e32 v7, v32
	v_mov_b32_e32 v31, v34
	v_pk_add_f32 v[36:37], v[30:31], v[38:39] neg_lo:[0,1] neg_hi:[0,1]
	v_cmp_gt_f32_e64 s[2:3], s0, v5
	v_sub_f32_e32 v3, v30, v36
	v_pk_add_f32 v[6:7], v[6:7], v[36:37] neg_lo:[0,1] neg_hi:[0,1]
	v_sub_f32_e32 v3, v38, v3
	v_add_f32_e32 v3, v6, v3
	v_add_f32_e32 v3, v3, v7
	;; [unrolled: 1-line block ×3, first 2 shown]
	s_or_b64 vcc, s[2:3], vcc
	v_cndmask_b32_e32 v76, v3, v5, vcc
.LBB151_97:                             ;   in Loop: Header=BB151_13 Depth=1
	s_or_b64 exec, exec, s[52:53]
	v_add_f32_e32 v77, s33, v29
	s_mov_b32 s0, 0x41a00000
	v_cmp_ge_f32_e32 vcc, s0, v77
	v_readlane_b32 s0, v95, 24
	v_readlane_b32 s1, v95, 25
	s_and_b64 s[2:3], s[0:1], vcc
	s_and_saveexec_b64 s[52:53], s[2:3]
	s_cbranch_execz .LBB151_99
; %bb.98:                               ;   in Loop: Header=BB151_13 Depth=1
	v_mul_f32_e32 v3, 0x3fb8aa3b, v77
	v_rndne_f32_e32 v5, v3
	s_mov_b32 s0, 0x3fb8aa3b
	v_sub_f32_e32 v6, v3, v5
	v_fma_f32 v3, v77, s0, -v3
	v_fmac_f32_e32 v3, 0x32a5705f, v77
	v_add_f32_e32 v3, v6, v3
	v_cvt_i32_f32_e32 v5, v5
	v_exp_f32_e32 v3, v3
	s_mov_b32 s0, 0xc2ce8ed0
	v_cmp_ngt_f32_e32 vcc, s0, v77
	s_mov_b32 s0, 0x42b17218
	v_ldexp_f32 v3, v3, v5
	v_cndmask_b32_e32 v3, 0, v3, vcc
	v_cmp_nlt_f32_e32 vcc, s0, v77
	v_mov_b32_e32 v5, 0x7f800000
	s_mov_b32 s0, 0x3f2aaaab
	v_cndmask_b32_e32 v5, v5, v3, vcc
	v_add_f32_e32 v3, 1.0, v5
	v_add_f32_e32 v6, -1.0, v3
	v_sub_f32_e32 v7, v6, v3
	v_add_f32_e32 v7, 1.0, v7
	v_sub_f32_e32 v6, v5, v6
	v_add_f32_e32 v28, v6, v7
	v_frexp_mant_f32_e32 v29, v3
	v_cvt_f64_f32_e32 v[6:7], v3
	v_frexp_exp_i32_f64_e32 v6, v[6:7]
	v_cmp_gt_f32_e32 vcc, s0, v29
	s_mov_b32 s0, 0x3f317218
	s_nop 0
	v_subbrev_co_u32_e32 v34, vcc, 0, v6, vcc
	v_sub_u32_e32 v6, 0, v34
	v_ldexp_f32 v3, v3, v6
	v_ldexp_f32 v6, v28, v6
	v_add_f32_e32 v28, -1.0, v3
	v_add_f32_e32 v7, 1.0, v28
	v_sub_f32_e32 v7, v3, v7
	v_add_f32_e32 v29, v6, v7
	v_add_f32_e32 v7, 1.0, v3
	v_add_f32_e32 v30, -1.0, v7
	v_sub_f32_e32 v3, v3, v30
	v_add_f32_e32 v3, v6, v3
	v_add_f32_e32 v35, v7, v3
	v_rcp_f32_e32 v36, v35
	v_sub_f32_e32 v6, v7, v35
	v_add_f32_e32 v7, v28, v29
	v_add_f32_e32 v3, v3, v6
	v_mul_f32_e32 v38, v7, v36
	v_sub_f32_e32 v6, v28, v7
	v_mul_f32_e32 v28, v35, v38
	v_fma_f32 v30, v38, v35, -v28
	v_fmac_f32_e32 v30, v38, v3
	v_add_f32_e32 v37, v29, v6
	v_add_f32_e32 v6, v28, v30
	v_sub_f32_e32 v29, v7, v6
	v_pk_add_f32 v[32:33], v[6:7], v[28:29] neg_lo:[0,1] neg_hi:[0,1]
	v_mov_b32_e32 v31, v6
	v_pk_add_f32 v[6:7], v[32:33], v[30:31] neg_lo:[0,1] neg_hi:[0,1]
	s_nop 0
	v_add_f32_e32 v7, v37, v7
	v_add_f32_e32 v6, v6, v7
	;; [unrolled: 1-line block ×3, first 2 shown]
	v_mul_f32_e32 v37, v36, v7
	v_mul_f32_e32 v28, v35, v37
	v_fma_f32 v30, v37, v35, -v28
	v_fmac_f32_e32 v30, v37, v3
	v_sub_f32_e32 v3, v29, v7
	v_add_f32_e32 v3, v6, v3
	v_add_f32_e32 v6, v28, v30
	v_sub_f32_e32 v29, v7, v6
	v_pk_add_f32 v[32:33], v[6:7], v[28:29] neg_lo:[0,1] neg_hi:[0,1]
	v_mov_b32_e32 v31, v6
	v_pk_add_f32 v[6:7], v[32:33], v[30:31] neg_lo:[0,1] neg_hi:[0,1]
	s_nop 0
	v_add_f32_e32 v3, v3, v7
	v_add_f32_e32 v3, v6, v3
	;; [unrolled: 1-line block ×4, first 2 shown]
	v_sub_f32_e32 v6, v7, v38
	v_mul_f32_e32 v3, v36, v3
	v_sub_f32_e32 v6, v37, v6
	v_add_f32_e32 v3, v6, v3
	v_add_f32_e32 v28, v7, v3
	v_mul_f32_e32 v30, v28, v28
	v_mov_b32_e32 v6, 0x3ecc95a3
	v_fmamk_f32 v6, v30, 0x3e9b6dac, v6
	v_fmaak_f32 v43, v30, v6, 0x3f2aaada
	v_cvt_f32_i32_e32 v6, v34
	v_sub_f32_e32 v7, v28, v7
	v_sub_f32_e32 v3, v3, v7
	v_mul_f32_e32 v7, v28, v30
	v_pk_mul_f32 v[30:31], v[6:7], v[42:43]
	v_ldexp_f32 v29, v28, 1
	v_fma_f32 v28, v6, s0, -v30
	v_fmac_f32_e32 v28, 0xb102e308, v6
	v_pk_add_f32 v[6:7], v[30:31], v[28:29]
	v_ldexp_f32 v3, v3, 1
	v_sub_f32_e32 v29, v7, v29
	v_sub_f32_e32 v29, v31, v29
	v_add_f32_e32 v33, v3, v29
	v_mov_b32_e32 v32, v30
	v_pk_add_f32 v[30:31], v[6:7], v[30:31] neg_lo:[0,1] neg_hi:[0,1]
	v_pk_add_f32 v[34:35], v[6:7], v[32:33]
	v_mov_b32_e32 v29, v6
	v_mov_b32_e32 v31, v35
	v_pk_add_f32 v[36:37], v[28:29], v[30:31] neg_lo:[0,1] neg_hi:[0,1]
	v_pk_add_f32 v[28:29], v[28:29], v[30:31]
	v_mov_b32_e32 v32, v33
	v_mov_b32_e32 v30, v29
	v_pk_add_f32 v[38:39], v[30:31], v[6:7] neg_lo:[0,1] neg_hi:[0,1]
	v_mov_b32_e32 v28, v35
	v_mov_b32_e32 v3, v38
	v_pk_add_f32 v[40:41], v[34:35], v[2:3] neg_lo:[0,1] neg_hi:[0,1]
	v_mov_b32_e32 v34, v7
	v_mov_b32_e32 v35, v38
	;; [unrolled: 1-line block ×3, first 2 shown]
	v_pk_add_f32 v[28:29], v[28:29], v[34:35] neg_lo:[0,1] neg_hi:[0,1]
	v_mov_b32_e32 v33, v6
	v_pk_add_f32 v[6:7], v[32:33], v[28:29] neg_lo:[0,1] neg_hi:[0,1]
	v_mov_b32_e32 v40, v36
	v_pk_add_f32 v[28:29], v[40:41], v[6:7]
	s_mov_b32 s0, 0x7f800000
	v_mov_b32_e32 v32, v29
	v_pk_add_f32 v[32:33], v[28:29], v[32:33]
	v_cmp_eq_f32_e32 vcc, s0, v5
	v_pk_add_f32 v[30:31], v[30:31], v[32:33]
	v_mov_b32_e32 v7, v32
	v_mov_b32_e32 v29, v30
	v_pk_add_f32 v[34:35], v[28:29], v[36:37] neg_lo:[0,1] neg_hi:[0,1]
	s_mov_b32 s0, 0x33800000
	v_sub_f32_e32 v3, v28, v34
	v_pk_add_f32 v[6:7], v[6:7], v[34:35] neg_lo:[0,1] neg_hi:[0,1]
	v_sub_f32_e32 v3, v36, v3
	v_add_f32_e32 v3, v6, v3
	v_add_f32_e32 v3, v3, v7
	v_cmp_gt_f32_e64 s[2:3], s0, v5
	v_add_f32_e32 v3, v30, v3
	s_or_b64 vcc, s[2:3], vcc
	v_cndmask_b32_e32 v77, v3, v5, vcc
.LBB151_99:                             ;   in Loop: Header=BB151_13 Depth=1
	s_or_b64 exec, exec, s[52:53]
	s_waitcnt lgkmcnt(1)
	v_add_f32_e32 v78, s33, v26
	s_mov_b32 s0, 0x41a00000
	v_cmp_ge_f32_e32 vcc, s0, v78
	v_readlane_b32 s0, v95, 24
	v_readlane_b32 s1, v95, 25
	s_and_b64 s[2:3], s[0:1], vcc
	s_and_saveexec_b64 s[52:53], s[2:3]
	s_cbranch_execz .LBB151_101
; %bb.100:                              ;   in Loop: Header=BB151_13 Depth=1
	v_mul_f32_e32 v3, 0x3fb8aa3b, v78
	v_rndne_f32_e32 v5, v3
	s_mov_b32 s0, 0x3fb8aa3b
	v_sub_f32_e32 v6, v3, v5
	v_fma_f32 v3, v78, s0, -v3
	v_fmac_f32_e32 v3, 0x32a5705f, v78
	v_add_f32_e32 v3, v6, v3
	v_cvt_i32_f32_e32 v5, v5
	v_exp_f32_e32 v3, v3
	s_mov_b32 s0, 0xc2ce8ed0
	v_cmp_ngt_f32_e32 vcc, s0, v78
	s_mov_b32 s0, 0x42b17218
	v_ldexp_f32 v3, v3, v5
	v_cndmask_b32_e32 v3, 0, v3, vcc
	v_cmp_nlt_f32_e32 vcc, s0, v78
	v_mov_b32_e32 v5, 0x7f800000
	s_mov_b32 s0, 0x3f2aaaab
	v_cndmask_b32_e32 v5, v5, v3, vcc
	v_add_f32_e32 v3, 1.0, v5
	v_add_f32_e32 v6, -1.0, v3
	v_sub_f32_e32 v7, v6, v3
	v_add_f32_e32 v7, 1.0, v7
	v_sub_f32_e32 v6, v5, v6
	v_add_f32_e32 v26, v6, v7
	v_frexp_mant_f32_e32 v28, v3
	v_cvt_f64_f32_e32 v[6:7], v3
	v_frexp_exp_i32_f64_e32 v6, v[6:7]
	v_cmp_gt_f32_e32 vcc, s0, v28
	s_mov_b32 s0, 0x3f317218
	s_nop 0
	v_subbrev_co_u32_e32 v34, vcc, 0, v6, vcc
	v_sub_u32_e32 v6, 0, v34
	v_ldexp_f32 v3, v3, v6
	v_ldexp_f32 v6, v26, v6
	v_add_f32_e32 v26, -1.0, v3
	v_add_f32_e32 v7, 1.0, v26
	v_sub_f32_e32 v7, v3, v7
	v_add_f32_e32 v28, v6, v7
	v_add_f32_e32 v7, 1.0, v3
	v_add_f32_e32 v29, -1.0, v7
	v_sub_f32_e32 v3, v3, v29
	v_add_f32_e32 v3, v6, v3
	v_add_f32_e32 v35, v7, v3
	v_rcp_f32_e32 v36, v35
	v_sub_f32_e32 v6, v7, v35
	v_add_f32_e32 v7, v26, v28
	v_add_f32_e32 v3, v3, v6
	v_sub_f32_e32 v6, v26, v7
	v_mul_f32_e32 v37, v7, v36
	v_add_f32_e32 v26, v28, v6
	v_mul_f32_e32 v28, v35, v37
	v_fma_f32 v30, v37, v35, -v28
	v_fmac_f32_e32 v30, v37, v3
	v_add_f32_e32 v6, v28, v30
	v_sub_f32_e32 v29, v7, v6
	v_pk_add_f32 v[32:33], v[6:7], v[28:29] neg_lo:[0,1] neg_hi:[0,1]
	v_mov_b32_e32 v31, v6
	v_pk_add_f32 v[6:7], v[32:33], v[30:31] neg_lo:[0,1] neg_hi:[0,1]
	s_nop 0
	v_add_f32_e32 v7, v26, v7
	v_add_f32_e32 v6, v6, v7
	v_add_f32_e32 v7, v29, v6
	v_mul_f32_e32 v26, v36, v7
	v_mul_f32_e32 v28, v35, v26
	v_fma_f32 v30, v26, v35, -v28
	v_fmac_f32_e32 v30, v26, v3
	v_sub_f32_e32 v3, v29, v7
	v_add_f32_e32 v3, v6, v3
	v_add_f32_e32 v6, v28, v30
	v_sub_f32_e32 v29, v7, v6
	v_pk_add_f32 v[32:33], v[6:7], v[28:29] neg_lo:[0,1] neg_hi:[0,1]
	v_mov_b32_e32 v31, v6
	v_pk_add_f32 v[6:7], v[32:33], v[30:31] neg_lo:[0,1] neg_hi:[0,1]
	s_nop 0
	v_add_f32_e32 v3, v3, v7
	v_add_f32_e32 v3, v6, v3
	;; [unrolled: 1-line block ×4, first 2 shown]
	v_sub_f32_e32 v6, v7, v37
	v_mul_f32_e32 v3, v36, v3
	v_sub_f32_e32 v6, v26, v6
	v_add_f32_e32 v3, v6, v3
	v_add_f32_e32 v26, v7, v3
	v_mul_f32_e32 v28, v26, v26
	v_mov_b32_e32 v6, 0x3ecc95a3
	v_fmamk_f32 v6, v28, 0x3e9b6dac, v6
	v_fmaak_f32 v43, v28, v6, 0x3f2aaada
	v_cvt_f32_i32_e32 v6, v34
	v_sub_f32_e32 v7, v26, v7
	v_sub_f32_e32 v3, v3, v7
	v_mul_f32_e32 v7, v26, v28
	v_pk_mul_f32 v[30:31], v[6:7], v[42:43]
	v_ldexp_f32 v29, v26, 1
	v_fma_f32 v28, v6, s0, -v30
	v_fmac_f32_e32 v28, 0xb102e308, v6
	v_pk_add_f32 v[6:7], v[30:31], v[28:29]
	v_ldexp_f32 v3, v3, 1
	v_sub_f32_e32 v26, v7, v29
	v_sub_f32_e32 v26, v31, v26
	v_add_f32_e32 v33, v3, v26
	v_mov_b32_e32 v32, v30
	v_pk_add_f32 v[30:31], v[6:7], v[30:31] neg_lo:[0,1] neg_hi:[0,1]
	v_pk_add_f32 v[34:35], v[6:7], v[32:33]
	v_mov_b32_e32 v29, v6
	v_mov_b32_e32 v31, v35
	v_pk_add_f32 v[36:37], v[28:29], v[30:31] neg_lo:[0,1] neg_hi:[0,1]
	v_pk_add_f32 v[28:29], v[28:29], v[30:31]
	s_mov_b32 s0, 0x7f800000
	v_mov_b32_e32 v26, v29
	v_pk_add_f32 v[30:31], v[26:27], v[6:7] neg_lo:[0,1] neg_hi:[0,1]
	v_mov_b32_e32 v28, v35
	v_mov_b32_e32 v3, v30
	v_pk_add_f32 v[38:39], v[34:35], v[2:3] neg_lo:[0,1] neg_hi:[0,1]
	v_mov_b32_e32 v34, v7
	v_mov_b32_e32 v35, v30
	;; [unrolled: 1-line block ×3, first 2 shown]
	v_pk_add_f32 v[28:29], v[28:29], v[34:35] neg_lo:[0,1] neg_hi:[0,1]
	v_mov_b32_e32 v30, v33
	v_mov_b32_e32 v31, v6
	v_pk_add_f32 v[6:7], v[30:31], v[28:29] neg_lo:[0,1] neg_hi:[0,1]
	v_mov_b32_e32 v38, v36
	v_pk_add_f32 v[28:29], v[38:39], v[6:7]
	v_cmp_eq_f32_e32 vcc, s0, v5
	v_mov_b32_e32 v30, v29
	v_pk_add_f32 v[30:31], v[28:29], v[30:31]
	s_mov_b32 s0, 0x33800000
	v_pk_add_f32 v[32:33], v[26:27], v[30:31]
	v_mov_b32_e32 v7, v30
	v_mov_b32_e32 v29, v32
	v_pk_add_f32 v[34:35], v[28:29], v[36:37] neg_lo:[0,1] neg_hi:[0,1]
	v_cmp_gt_f32_e64 s[2:3], s0, v5
	v_sub_f32_e32 v3, v28, v34
	v_pk_add_f32 v[6:7], v[6:7], v[34:35] neg_lo:[0,1] neg_hi:[0,1]
	v_sub_f32_e32 v3, v36, v3
	v_add_f32_e32 v3, v6, v3
	v_add_f32_e32 v3, v3, v7
	;; [unrolled: 1-line block ×3, first 2 shown]
	s_or_b64 vcc, s[2:3], vcc
	v_cndmask_b32_e32 v78, v3, v5, vcc
.LBB151_101:                            ;   in Loop: Header=BB151_13 Depth=1
	s_or_b64 exec, exec, s[52:53]
	v_add_f32_e32 v3, s33, v27
	s_mov_b32 s0, 0x41a00000
	v_cmp_ge_f32_e32 vcc, s0, v3
	v_readlane_b32 s0, v95, 24
	v_readlane_b32 s1, v95, 25
	s_and_b64 s[2:3], s[0:1], vcc
	s_and_saveexec_b64 s[52:53], s[2:3]
	s_cbranch_execz .LBB151_103
; %bb.102:                              ;   in Loop: Header=BB151_13 Depth=1
	v_mul_f32_e32 v5, 0x3fb8aa3b, v3
	v_rndne_f32_e32 v6, v5
	s_mov_b32 s0, 0x3fb8aa3b
	v_sub_f32_e32 v7, v5, v6
	v_fma_f32 v5, v3, s0, -v5
	v_fmac_f32_e32 v5, 0x32a5705f, v3
	v_add_f32_e32 v5, v7, v5
	v_cvt_i32_f32_e32 v6, v6
	v_exp_f32_e32 v5, v5
	s_mov_b32 s0, 0xc2ce8ed0
	v_cmp_ngt_f32_e32 vcc, s0, v3
	s_mov_b32 s0, 0x42b17218
	v_ldexp_f32 v5, v5, v6
	v_cndmask_b32_e32 v5, 0, v5, vcc
	v_cmp_nlt_f32_e32 vcc, s0, v3
	v_mov_b32_e32 v3, 0x7f800000
	s_mov_b32 s0, 0x3f2aaaab
	v_cndmask_b32_e32 v5, v3, v5, vcc
	v_add_f32_e32 v3, 1.0, v5
	v_add_f32_e32 v6, -1.0, v3
	v_sub_f32_e32 v7, v6, v3
	v_add_f32_e32 v7, 1.0, v7
	v_sub_f32_e32 v6, v5, v6
	v_add_f32_e32 v26, v6, v7
	v_frexp_mant_f32_e32 v27, v3
	v_cvt_f64_f32_e32 v[6:7], v3
	v_frexp_exp_i32_f64_e32 v6, v[6:7]
	v_cmp_gt_f32_e32 vcc, s0, v27
	s_mov_b32 s0, 0x3f317218
	s_nop 0
	v_subbrev_co_u32_e32 v32, vcc, 0, v6, vcc
	v_sub_u32_e32 v6, 0, v32
	v_ldexp_f32 v3, v3, v6
	v_ldexp_f32 v6, v26, v6
	v_add_f32_e32 v26, -1.0, v3
	v_add_f32_e32 v7, 1.0, v26
	v_sub_f32_e32 v7, v3, v7
	v_add_f32_e32 v27, v6, v7
	v_add_f32_e32 v7, 1.0, v3
	v_add_f32_e32 v28, -1.0, v7
	v_sub_f32_e32 v3, v3, v28
	v_add_f32_e32 v3, v6, v3
	v_add_f32_e32 v33, v7, v3
	v_rcp_f32_e32 v34, v33
	v_sub_f32_e32 v6, v7, v33
	v_add_f32_e32 v7, v26, v27
	v_add_f32_e32 v3, v3, v6
	v_mul_f32_e32 v36, v7, v34
	v_sub_f32_e32 v6, v26, v7
	v_mul_f32_e32 v26, v33, v36
	v_fma_f32 v28, v36, v33, -v26
	v_fmac_f32_e32 v28, v36, v3
	v_add_f32_e32 v35, v27, v6
	v_add_f32_e32 v6, v26, v28
	v_sub_f32_e32 v27, v7, v6
	v_pk_add_f32 v[30:31], v[6:7], v[26:27] neg_lo:[0,1] neg_hi:[0,1]
	v_mov_b32_e32 v29, v6
	v_pk_add_f32 v[6:7], v[30:31], v[28:29] neg_lo:[0,1] neg_hi:[0,1]
	s_nop 0
	v_add_f32_e32 v7, v35, v7
	v_add_f32_e32 v6, v6, v7
	;; [unrolled: 1-line block ×3, first 2 shown]
	v_mul_f32_e32 v35, v34, v7
	v_mul_f32_e32 v26, v33, v35
	v_fma_f32 v28, v35, v33, -v26
	v_fmac_f32_e32 v28, v35, v3
	v_sub_f32_e32 v3, v27, v7
	v_add_f32_e32 v3, v6, v3
	v_add_f32_e32 v6, v26, v28
	v_sub_f32_e32 v27, v7, v6
	v_pk_add_f32 v[30:31], v[6:7], v[26:27] neg_lo:[0,1] neg_hi:[0,1]
	v_mov_b32_e32 v29, v6
	v_pk_add_f32 v[6:7], v[30:31], v[28:29] neg_lo:[0,1] neg_hi:[0,1]
	s_nop 0
	v_add_f32_e32 v3, v3, v7
	v_add_f32_e32 v3, v6, v3
	;; [unrolled: 1-line block ×4, first 2 shown]
	v_sub_f32_e32 v6, v7, v36
	v_mul_f32_e32 v3, v34, v3
	v_sub_f32_e32 v6, v35, v6
	v_add_f32_e32 v3, v6, v3
	v_add_f32_e32 v26, v7, v3
	v_mul_f32_e32 v28, v26, v26
	v_mov_b32_e32 v6, 0x3ecc95a3
	v_fmamk_f32 v6, v28, 0x3e9b6dac, v6
	v_fmaak_f32 v43, v28, v6, 0x3f2aaada
	v_cvt_f32_i32_e32 v6, v32
	v_sub_f32_e32 v7, v26, v7
	v_sub_f32_e32 v3, v3, v7
	v_mul_f32_e32 v7, v26, v28
	v_pk_mul_f32 v[28:29], v[6:7], v[42:43]
	v_ldexp_f32 v27, v26, 1
	v_fma_f32 v26, v6, s0, -v28
	v_fmac_f32_e32 v26, 0xb102e308, v6
	v_pk_add_f32 v[6:7], v[28:29], v[26:27]
	v_ldexp_f32 v3, v3, 1
	v_sub_f32_e32 v27, v7, v27
	v_sub_f32_e32 v27, v29, v27
	v_add_f32_e32 v31, v3, v27
	v_mov_b32_e32 v30, v28
	v_pk_add_f32 v[28:29], v[6:7], v[28:29] neg_lo:[0,1] neg_hi:[0,1]
	v_pk_add_f32 v[32:33], v[6:7], v[30:31]
	v_mov_b32_e32 v27, v6
	v_mov_b32_e32 v29, v33
	v_pk_add_f32 v[34:35], v[26:27], v[28:29] neg_lo:[0,1] neg_hi:[0,1]
	v_pk_add_f32 v[26:27], v[26:27], v[28:29]
	v_mov_b32_e32 v30, v31
	v_mov_b32_e32 v28, v27
	v_pk_add_f32 v[36:37], v[28:29], v[6:7] neg_lo:[0,1] neg_hi:[0,1]
	v_mov_b32_e32 v26, v33
	v_mov_b32_e32 v3, v36
	v_pk_add_f32 v[38:39], v[32:33], v[2:3] neg_lo:[0,1] neg_hi:[0,1]
	v_mov_b32_e32 v32, v7
	v_mov_b32_e32 v33, v36
	;; [unrolled: 1-line block ×3, first 2 shown]
	v_pk_add_f32 v[26:27], v[26:27], v[32:33] neg_lo:[0,1] neg_hi:[0,1]
	v_mov_b32_e32 v31, v6
	v_pk_add_f32 v[6:7], v[30:31], v[26:27] neg_lo:[0,1] neg_hi:[0,1]
	v_mov_b32_e32 v38, v34
	v_pk_add_f32 v[26:27], v[38:39], v[6:7]
	s_mov_b32 s0, 0x7f800000
	v_mov_b32_e32 v30, v27
	v_pk_add_f32 v[30:31], v[26:27], v[30:31]
	v_cmp_eq_f32_e32 vcc, s0, v5
	v_pk_add_f32 v[28:29], v[28:29], v[30:31]
	v_mov_b32_e32 v7, v30
	v_mov_b32_e32 v27, v28
	v_pk_add_f32 v[32:33], v[26:27], v[34:35] neg_lo:[0,1] neg_hi:[0,1]
	s_mov_b32 s0, 0x33800000
	v_sub_f32_e32 v3, v26, v32
	v_pk_add_f32 v[6:7], v[6:7], v[32:33] neg_lo:[0,1] neg_hi:[0,1]
	v_sub_f32_e32 v3, v34, v3
	v_add_f32_e32 v3, v6, v3
	v_add_f32_e32 v3, v3, v7
	v_cmp_gt_f32_e64 s[2:3], s0, v5
	v_add_f32_e32 v3, v28, v3
	s_or_b64 vcc, s[2:3], vcc
	v_cndmask_b32_e32 v3, v3, v5, vcc
.LBB151_103:                            ;   in Loop: Header=BB151_13 Depth=1
	s_or_b64 exec, exec, s[52:53]
	s_waitcnt lgkmcnt(0)
	v_add_f32_e32 v80, s33, v24
	s_mov_b32 s0, 0x41a00000
	v_cmp_ge_f32_e32 vcc, s0, v80
	v_readlane_b32 s0, v95, 24
	v_readlane_b32 s1, v95, 25
	s_and_b64 s[2:3], s[0:1], vcc
	s_and_saveexec_b64 s[52:53], s[2:3]
	s_cbranch_execz .LBB151_105
; %bb.104:                              ;   in Loop: Header=BB151_13 Depth=1
	v_mul_f32_e32 v5, 0x3fb8aa3b, v80
	v_rndne_f32_e32 v6, v5
	s_mov_b32 s0, 0x3fb8aa3b
	v_sub_f32_e32 v7, v5, v6
	v_fma_f32 v5, v80, s0, -v5
	v_fmac_f32_e32 v5, 0x32a5705f, v80
	v_add_f32_e32 v5, v7, v5
	v_cvt_i32_f32_e32 v6, v6
	v_exp_f32_e32 v5, v5
	s_mov_b32 s0, 0xc2ce8ed0
	v_cmp_ngt_f32_e32 vcc, s0, v80
	s_mov_b32 s0, 0x42b17218
	v_ldexp_f32 v5, v5, v6
	v_cndmask_b32_e32 v5, 0, v5, vcc
	v_cmp_nlt_f32_e32 vcc, s0, v80
	v_mov_b32_e32 v6, 0x7f800000
	s_mov_b32 s0, 0x3f2aaaab
	v_cndmask_b32_e32 v38, v6, v5, vcc
	v_add_f32_e32 v5, 1.0, v38
	v_add_f32_e32 v6, -1.0, v5
	v_sub_f32_e32 v7, v6, v5
	v_add_f32_e32 v7, 1.0, v7
	v_sub_f32_e32 v6, v38, v6
	v_add_f32_e32 v24, v6, v7
	v_frexp_mant_f32_e32 v26, v5
	v_cvt_f64_f32_e32 v[6:7], v5
	v_frexp_exp_i32_f64_e32 v6, v[6:7]
	v_cmp_gt_f32_e32 vcc, s0, v26
	s_mov_b32 s0, 0x3f317218
	s_nop 0
	v_subbrev_co_u32_e32 v32, vcc, 0, v6, vcc
	v_sub_u32_e32 v6, 0, v32
	v_ldexp_f32 v5, v5, v6
	v_ldexp_f32 v6, v24, v6
	v_add_f32_e32 v24, -1.0, v5
	v_add_f32_e32 v7, 1.0, v24
	v_sub_f32_e32 v7, v5, v7
	v_add_f32_e32 v26, v6, v7
	v_add_f32_e32 v7, 1.0, v5
	v_add_f32_e32 v27, -1.0, v7
	v_sub_f32_e32 v5, v5, v27
	v_add_f32_e32 v5, v6, v5
	v_add_f32_e32 v33, v7, v5
	v_rcp_f32_e32 v34, v33
	v_sub_f32_e32 v6, v7, v33
	v_add_f32_e32 v7, v24, v26
	v_add_f32_e32 v5, v5, v6
	v_sub_f32_e32 v6, v24, v7
	v_mul_f32_e32 v35, v7, v34
	v_add_f32_e32 v24, v26, v6
	v_mul_f32_e32 v26, v33, v35
	v_fma_f32 v28, v35, v33, -v26
	v_fmac_f32_e32 v28, v35, v5
	v_add_f32_e32 v6, v26, v28
	v_sub_f32_e32 v27, v7, v6
	v_pk_add_f32 v[30:31], v[6:7], v[26:27] neg_lo:[0,1] neg_hi:[0,1]
	v_mov_b32_e32 v29, v6
	v_pk_add_f32 v[6:7], v[30:31], v[28:29] neg_lo:[0,1] neg_hi:[0,1]
	s_nop 0
	v_add_f32_e32 v7, v24, v7
	v_add_f32_e32 v6, v6, v7
	;; [unrolled: 1-line block ×3, first 2 shown]
	v_mul_f32_e32 v24, v34, v7
	v_mul_f32_e32 v26, v33, v24
	v_fma_f32 v28, v24, v33, -v26
	v_fmac_f32_e32 v28, v24, v5
	v_sub_f32_e32 v5, v27, v7
	v_add_f32_e32 v5, v6, v5
	v_add_f32_e32 v6, v26, v28
	v_sub_f32_e32 v27, v7, v6
	v_pk_add_f32 v[30:31], v[6:7], v[26:27] neg_lo:[0,1] neg_hi:[0,1]
	v_mov_b32_e32 v29, v6
	v_pk_add_f32 v[6:7], v[30:31], v[28:29] neg_lo:[0,1] neg_hi:[0,1]
	s_nop 0
	v_add_f32_e32 v5, v5, v7
	v_add_f32_e32 v5, v6, v5
	;; [unrolled: 1-line block ×4, first 2 shown]
	v_sub_f32_e32 v6, v7, v35
	v_mul_f32_e32 v5, v34, v5
	v_sub_f32_e32 v6, v24, v6
	v_add_f32_e32 v5, v6, v5
	v_add_f32_e32 v24, v7, v5
	v_mul_f32_e32 v26, v24, v24
	v_mov_b32_e32 v6, 0x3ecc95a3
	v_fmamk_f32 v6, v26, 0x3e9b6dac, v6
	v_fmaak_f32 v43, v26, v6, 0x3f2aaada
	v_cvt_f32_i32_e32 v6, v32
	v_sub_f32_e32 v7, v24, v7
	v_sub_f32_e32 v5, v5, v7
	v_mul_f32_e32 v7, v24, v26
	v_pk_mul_f32 v[28:29], v[6:7], v[42:43]
	v_ldexp_f32 v27, v24, 1
	v_fma_f32 v26, v6, s0, -v28
	v_fmac_f32_e32 v26, 0xb102e308, v6
	v_pk_add_f32 v[6:7], v[28:29], v[26:27]
	v_ldexp_f32 v5, v5, 1
	v_sub_f32_e32 v24, v7, v27
	v_sub_f32_e32 v24, v29, v24
	v_add_f32_e32 v31, v5, v24
	v_mov_b32_e32 v30, v28
	v_pk_add_f32 v[28:29], v[6:7], v[28:29] neg_lo:[0,1] neg_hi:[0,1]
	v_pk_add_f32 v[32:33], v[6:7], v[30:31]
	v_mov_b32_e32 v27, v6
	v_mov_b32_e32 v29, v33
	v_pk_add_f32 v[34:35], v[26:27], v[28:29] neg_lo:[0,1] neg_hi:[0,1]
	v_pk_add_f32 v[26:27], v[26:27], v[28:29]
	s_mov_b32 s0, 0x7f800000
	v_mov_b32_e32 v24, v27
	v_pk_add_f32 v[28:29], v[24:25], v[6:7] neg_lo:[0,1] neg_hi:[0,1]
	v_mov_b32_e32 v26, v33
	v_mov_b32_e32 v5, v28
	v_pk_add_f32 v[36:37], v[32:33], v[4:5] neg_lo:[0,1] neg_hi:[0,1]
	v_mov_b32_e32 v32, v7
	v_mov_b32_e32 v33, v28
	;; [unrolled: 1-line block ×3, first 2 shown]
	v_pk_add_f32 v[26:27], v[26:27], v[32:33] neg_lo:[0,1] neg_hi:[0,1]
	v_mov_b32_e32 v28, v31
	v_mov_b32_e32 v29, v6
	v_pk_add_f32 v[6:7], v[28:29], v[26:27] neg_lo:[0,1] neg_hi:[0,1]
	v_mov_b32_e32 v36, v34
	v_pk_add_f32 v[26:27], v[36:37], v[6:7]
	v_cmp_eq_f32_e32 vcc, s0, v38
	v_mov_b32_e32 v28, v27
	v_pk_add_f32 v[28:29], v[26:27], v[28:29]
	s_mov_b32 s0, 0x33800000
	v_pk_add_f32 v[30:31], v[24:25], v[28:29]
	v_mov_b32_e32 v7, v28
	v_mov_b32_e32 v27, v30
	v_pk_add_f32 v[32:33], v[26:27], v[34:35] neg_lo:[0,1] neg_hi:[0,1]
	v_cmp_gt_f32_e64 s[2:3], s0, v38
	v_sub_f32_e32 v5, v26, v32
	v_pk_add_f32 v[6:7], v[6:7], v[32:33] neg_lo:[0,1] neg_hi:[0,1]
	v_sub_f32_e32 v5, v34, v5
	v_add_f32_e32 v5, v6, v5
	v_add_f32_e32 v5, v5, v7
	;; [unrolled: 1-line block ×3, first 2 shown]
	s_or_b64 vcc, s[2:3], vcc
	v_cndmask_b32_e32 v80, v5, v38, vcc
.LBB151_105:                            ;   in Loop: Header=BB151_13 Depth=1
	s_or_b64 exec, exec, s[52:53]
	v_add_f32_e32 v7, s33, v25
	s_mov_b32 s0, 0x41a00000
	v_cmp_ge_f32_e32 vcc, s0, v7
	v_readlane_b32 s0, v95, 24
	v_readlane_b32 s1, v95, 25
	s_and_b64 s[2:3], s[0:1], vcc
	s_and_saveexec_b64 s[52:53], s[2:3]
	s_cbranch_execz .LBB151_107
; %bb.106:                              ;   in Loop: Header=BB151_13 Depth=1
	v_mul_f32_e32 v5, 0x3fb8aa3b, v7
	v_rndne_f32_e32 v6, v5
	s_mov_b32 s0, 0x3fb8aa3b
	v_sub_f32_e32 v24, v5, v6
	v_fma_f32 v5, v7, s0, -v5
	v_fmac_f32_e32 v5, 0x32a5705f, v7
	v_add_f32_e32 v5, v24, v5
	v_cvt_i32_f32_e32 v6, v6
	v_exp_f32_e32 v5, v5
	s_mov_b32 s0, 0xc2ce8ed0
	v_cmp_ngt_f32_e32 vcc, s0, v7
	s_mov_b32 s0, 0x42b17218
	v_ldexp_f32 v5, v5, v6
	v_cndmask_b32_e32 v5, 0, v5, vcc
	v_cmp_nlt_f32_e32 vcc, s0, v7
	v_mov_b32_e32 v6, 0x7f800000
	s_mov_b32 s0, 0x3f2aaaab
	v_cndmask_b32_e32 v38, v6, v5, vcc
	v_add_f32_e32 v5, 1.0, v38
	v_add_f32_e32 v6, -1.0, v5
	v_sub_f32_e32 v7, v6, v5
	v_add_f32_e32 v7, 1.0, v7
	v_sub_f32_e32 v6, v38, v6
	v_add_f32_e32 v24, v6, v7
	v_frexp_mant_f32_e32 v25, v5
	v_cvt_f64_f32_e32 v[6:7], v5
	v_frexp_exp_i32_f64_e32 v6, v[6:7]
	v_cmp_gt_f32_e32 vcc, s0, v25
	s_mov_b32 s0, 0x3f317218
	s_nop 0
	v_subbrev_co_u32_e32 v30, vcc, 0, v6, vcc
	v_sub_u32_e32 v6, 0, v30
	v_ldexp_f32 v5, v5, v6
	v_ldexp_f32 v6, v24, v6
	v_add_f32_e32 v24, -1.0, v5
	v_add_f32_e32 v7, 1.0, v24
	v_sub_f32_e32 v7, v5, v7
	v_add_f32_e32 v25, v6, v7
	v_add_f32_e32 v7, 1.0, v5
	v_add_f32_e32 v26, -1.0, v7
	v_sub_f32_e32 v5, v5, v26
	v_add_f32_e32 v5, v6, v5
	v_add_f32_e32 v31, v7, v5
	v_rcp_f32_e32 v32, v31
	v_sub_f32_e32 v6, v7, v31
	v_add_f32_e32 v7, v24, v25
	v_add_f32_e32 v5, v5, v6
	v_mul_f32_e32 v34, v7, v32
	v_sub_f32_e32 v6, v24, v7
	v_mul_f32_e32 v24, v31, v34
	v_fma_f32 v26, v34, v31, -v24
	v_fmac_f32_e32 v26, v34, v5
	v_add_f32_e32 v33, v25, v6
	v_add_f32_e32 v6, v24, v26
	v_sub_f32_e32 v25, v7, v6
	v_pk_add_f32 v[28:29], v[6:7], v[24:25] neg_lo:[0,1] neg_hi:[0,1]
	v_mov_b32_e32 v27, v6
	v_pk_add_f32 v[6:7], v[28:29], v[26:27] neg_lo:[0,1] neg_hi:[0,1]
	s_nop 0
	v_add_f32_e32 v7, v33, v7
	v_add_f32_e32 v6, v6, v7
	v_add_f32_e32 v7, v25, v6
	v_mul_f32_e32 v33, v32, v7
	v_mul_f32_e32 v24, v31, v33
	v_fma_f32 v26, v33, v31, -v24
	v_fmac_f32_e32 v26, v33, v5
	v_sub_f32_e32 v5, v25, v7
	v_add_f32_e32 v5, v6, v5
	v_add_f32_e32 v6, v24, v26
	v_sub_f32_e32 v25, v7, v6
	v_pk_add_f32 v[28:29], v[6:7], v[24:25] neg_lo:[0,1] neg_hi:[0,1]
	v_mov_b32_e32 v27, v6
	v_pk_add_f32 v[6:7], v[28:29], v[26:27] neg_lo:[0,1] neg_hi:[0,1]
	s_nop 0
	v_add_f32_e32 v5, v5, v7
	v_add_f32_e32 v5, v6, v5
	;; [unrolled: 1-line block ×4, first 2 shown]
	v_sub_f32_e32 v6, v7, v34
	v_mul_f32_e32 v5, v32, v5
	v_sub_f32_e32 v6, v33, v6
	v_add_f32_e32 v5, v6, v5
	v_add_f32_e32 v24, v7, v5
	v_mul_f32_e32 v26, v24, v24
	v_mov_b32_e32 v6, 0x3ecc95a3
	v_fmamk_f32 v6, v26, 0x3e9b6dac, v6
	v_fmaak_f32 v43, v26, v6, 0x3f2aaada
	v_cvt_f32_i32_e32 v6, v30
	v_sub_f32_e32 v7, v24, v7
	v_sub_f32_e32 v5, v5, v7
	v_mul_f32_e32 v7, v24, v26
	v_pk_mul_f32 v[26:27], v[6:7], v[42:43]
	v_ldexp_f32 v25, v24, 1
	v_fma_f32 v24, v6, s0, -v26
	v_fmac_f32_e32 v24, 0xb102e308, v6
	v_pk_add_f32 v[6:7], v[26:27], v[24:25]
	v_ldexp_f32 v5, v5, 1
	v_sub_f32_e32 v25, v7, v25
	v_sub_f32_e32 v25, v27, v25
	v_add_f32_e32 v29, v5, v25
	v_mov_b32_e32 v28, v26
	v_pk_add_f32 v[26:27], v[6:7], v[26:27] neg_lo:[0,1] neg_hi:[0,1]
	v_pk_add_f32 v[30:31], v[6:7], v[28:29]
	v_mov_b32_e32 v25, v6
	v_mov_b32_e32 v27, v31
	v_pk_add_f32 v[32:33], v[24:25], v[26:27] neg_lo:[0,1] neg_hi:[0,1]
	v_pk_add_f32 v[24:25], v[24:25], v[26:27]
	v_mov_b32_e32 v28, v29
	v_mov_b32_e32 v26, v25
	v_pk_add_f32 v[34:35], v[26:27], v[6:7] neg_lo:[0,1] neg_hi:[0,1]
	v_mov_b32_e32 v24, v31
	v_mov_b32_e32 v5, v34
	v_pk_add_f32 v[36:37], v[30:31], v[4:5] neg_lo:[0,1] neg_hi:[0,1]
	v_mov_b32_e32 v30, v7
	v_mov_b32_e32 v31, v34
	v_mov_b32_e32 v33, v25
	v_pk_add_f32 v[24:25], v[24:25], v[30:31] neg_lo:[0,1] neg_hi:[0,1]
	v_mov_b32_e32 v29, v6
	v_pk_add_f32 v[6:7], v[28:29], v[24:25] neg_lo:[0,1] neg_hi:[0,1]
	v_mov_b32_e32 v36, v32
	v_pk_add_f32 v[24:25], v[36:37], v[6:7]
	s_mov_b32 s0, 0x7f800000
	v_mov_b32_e32 v28, v25
	v_pk_add_f32 v[28:29], v[24:25], v[28:29]
	v_cmp_eq_f32_e32 vcc, s0, v38
	v_pk_add_f32 v[26:27], v[26:27], v[28:29]
	v_mov_b32_e32 v7, v28
	v_mov_b32_e32 v25, v26
	v_pk_add_f32 v[30:31], v[24:25], v[32:33] neg_lo:[0,1] neg_hi:[0,1]
	s_mov_b32 s0, 0x33800000
	v_sub_f32_e32 v5, v24, v30
	v_pk_add_f32 v[6:7], v[6:7], v[30:31] neg_lo:[0,1] neg_hi:[0,1]
	v_sub_f32_e32 v5, v32, v5
	v_add_f32_e32 v5, v6, v5
	v_add_f32_e32 v5, v5, v7
	v_cmp_gt_f32_e64 s[2:3], s0, v38
	v_add_f32_e32 v5, v26, v5
	s_or_b64 vcc, s[2:3], vcc
	v_cndmask_b32_e32 v7, v5, v38, vcc
.LBB151_107:                            ;   in Loop: Header=BB151_13 Depth=1
	s_or_b64 exec, exec, s[52:53]
	v_readlane_b32 s0, v95, 2
	s_waitcnt lgkmcnt(0)
	; wave barrier
	s_nop 0
	v_mul_f32_e32 v24, s0, v22
	v_mul_f32_e32 v27, s0, v21
	;; [unrolled: 1-line block ×16, first 2 shown]
	v_readlane_b32 s0, v95, 26
	v_readlane_b32 s1, v95, 27
	s_and_b64 vcc, exec, s[0:1]
	s_cbranch_vccz .LBB151_200
; %bb.108:                              ;   in Loop: Header=BB151_13 Depth=1
	v_writelane_b32 v95, s6, 51
	scratch_store_dwordx2 off, v[42:43], off offset:196 ; 8-byte Folded Spill
	s_cmp_lg_u32 s4, 0
	v_writelane_b32 v95, s7, 52
	v_lshl_add_u64 v[40:41], s[6:7], 0, v[0:1]
	v_writelane_b32 v95, s8, 53
	s_cselect_b64 s[2:3], -1, 0
	s_mov_b32 s88, 0
	v_lshl_add_u64 v[42:43], s[8:9], 0, v[0:1]
	v_mul_f32_e32 v0, v22, v80
	scratch_store_dword off, v0, off offset:72 ; 4-byte Folded Spill
	v_mul_f32_e32 v0, v21, v3
	scratch_store_dword off, v0, off offset:76 ; 4-byte Folded Spill
	v_mul_f32_e32 v0, v20, v78
	scratch_store_dword off, v0, off offset:80 ; 4-byte Folded Spill
	v_mul_f32_e32 v0, v19, v77
	scratch_store_dword off, v0, off offset:84 ; 4-byte Folded Spill
	v_mul_f32_e32 v0, v18, v76
	scratch_store_dword off, v0, off offset:88 ; 4-byte Folded Spill
	v_mul_f32_e32 v0, v17, v75
	scratch_store_dword off, v0, off offset:92 ; 4-byte Folded Spill
	v_mul_f32_e32 v0, v16, v74
	scratch_store_dword off, v0, off offset:96 ; 4-byte Folded Spill
	v_mul_f32_e32 v0, v15, v73
	scratch_store_dword off, v0, off offset:100 ; 4-byte Folded Spill
	v_mul_f32_e32 v0, v14, v72
	scratch_store_dword off, v0, off offset:104 ; 4-byte Folded Spill
	v_mul_f32_e32 v0, v13, v71
	scratch_store_dword off, v0, off offset:108 ; 4-byte Folded Spill
	v_mul_f32_e32 v0, v12, v70
	scratch_store_dword off, v0, off offset:112 ; 4-byte Folded Spill
	v_mul_f32_e32 v0, v11, v69
	scratch_store_dword off, v0, off offset:116 ; 4-byte Folded Spill
	v_mul_f32_e32 v0, v10, v68
	scratch_store_dword off, v0, off offset:120 ; 4-byte Folded Spill
	v_mul_f32_e32 v0, v9, v67
	scratch_store_dword off, v0, off offset:124 ; 4-byte Folded Spill
	scratch_load_dword v0, off, off offset:64 ; 4-byte Folded Reload
	v_writelane_b32 v95, s9, 54
	v_mul_f32_e32 v5, v23, v7
	v_readlane_b32 s0, v95, 39
	v_writelane_b32 v95, s4, 55
	s_cmp_eq_u32 s4, s0
	v_readlane_b32 s4, v95, 28
	v_readlane_b32 s5, v95, 29
	s_cselect_b64 s[94:95], -1, 0
	s_mov_b64 s[0:1], s[54:55]
	s_mov_b32 s86, s88
	s_mov_b32 s98, s88
	;; [unrolled: 1-line block ×4, first 2 shown]
	v_readlane_b32 s90, v95, 42
	scratch_store_dword off, v5, off offset:68 ; 4-byte Folded Spill
	s_waitcnt vmcnt(1)
	v_mul_f32_e32 v0, v8, v0
	scratch_store_dword off, v0, off offset:128 ; 4-byte Folded Spill
	scratch_load_dword v0, off, off offset:280 ; 4-byte Folded Reload
	s_waitcnt vmcnt(0)
	v_cmp_gt_u32_e32 vcc, s82, v0
	scratch_load_dword v0, off, off offset:284 ; 4-byte Folded Reload
	s_or_b64 s[52:53], s[4:5], vcc
	s_waitcnt vmcnt(0)
	v_cmp_gt_u32_e32 vcc, s82, v0
	scratch_load_dword v0, off, off offset:288 ; 4-byte Folded Reload
	s_or_b64 s[54:55], s[4:5], vcc
	;; [unrolled: 4-line block ×15, first 2 shown]
	s_waitcnt vmcnt(0)
	v_cmp_gt_u32_e32 vcc, s82, v0
	s_or_b64 s[82:83], s[4:5], vcc
	s_branch .LBB151_110
.LBB151_109:                            ;   in Loop: Header=BB151_110 Depth=2
	s_or_b64 exec, exec, s[92:93]
	v_mul_f32_e32 v48, v79, v94
	v_fma_f32 v5, v79, v5, v46
	v_cndmask_b32_e64 v46, v5, v46, s[16:17]
	v_cndmask_b32_e64 v5, v48, v79, s[16:17]
	s_waitcnt lgkmcnt(0)
	v_fmac_f32_e32 v46, v62, v5
	v_fmac_f32_e32 v47, v46, v6
	;; [unrolled: 1-line block ×10, first 2 shown]
	v_readlane_b32 s4, v95, 18
	v_fmac_f32_e32 v56, v61, v88
	v_readlane_b32 s5, v95, 19
	v_readlane_b32 s6, v95, 20
	;; [unrolled: 1-line block ×3, first 2 shown]
	v_fmac_f32_e32 v57, v56, v89
	s_add_i32 s96, s96, s6
	v_readlane_b32 s4, v95, 14
	v_fmac_f32_e32 v52, v57, v90
	v_readlane_b32 s5, v95, 15
	v_readlane_b32 s6, v95, 16
	;; [unrolled: 1-line block ×3, first 2 shown]
	v_fmac_f32_e32 v53, v52, v91
	s_add_i32 s98, s98, s4
	v_readlane_b32 s4, v95, 6
	v_fmac_f32_e32 v44, v53, v92
	v_readlane_b32 s5, v95, 7
	v_readlane_b32 s8, v95, 10
	v_fmac_f32_e32 v45, v44, v93
	s_add_i32 s90, s90, 8
	s_add_i32 s33, s33, -1
	s_add_i32 s86, s86, s8
	s_add_i32 s88, s88, s5
	v_pk_fma_f32 v[38:39], v[22:23], v[46:47], v[38:39]
	v_pk_fma_f32 v[36:37], v[20:21], v[50:51], v[36:37]
	;; [unrolled: 1-line block ×7, first 2 shown]
	s_cmp_eq_u32 s33, 0
	v_pk_fma_f32 v[24:25], v[8:9], v[44:45], v[24:25]
	v_readlane_b32 s6, v95, 8
	v_readlane_b32 s7, v95, 9
	;; [unrolled: 1-line block ×5, first 2 shown]
	s_cbranch_scc1 .LBB151_199
.LBB151_110:                            ;   Parent Loop BB151_13 Depth=1
                                        ; =>  This Inner Loop Header: Depth=2
	s_lshl_b64 s[92:93], s[88:89], 2
	s_add_u32 s92, s97, s92
	v_readlane_b32 s0, v95, 5
	s_addc_u32 s93, s0, s93
	global_load_dword v62, v1, s[92:93]
	s_mov_b32 s87, s89
	v_lshl_add_u64 v[8:9], s[86:87], 2, v[40:41]
	v_mov_b32_e32 v0, 0
	v_mov_b32_e32 v6, 0
	s_and_saveexec_b64 s[92:93], s[18:19]
	s_cbranch_execz .LBB151_112
; %bb.111:                              ;   in Loop: Header=BB151_110 Depth=2
	global_load_dword v6, v[8:9], off
.LBB151_112:                            ;   in Loop: Header=BB151_110 Depth=2
	s_or_b64 exec, exec, s[92:93]
	s_and_saveexec_b64 s[92:93], s[20:21]
	s_cbranch_execz .LBB151_114
; %bb.113:                              ;   in Loop: Header=BB151_110 Depth=2
	global_load_dword v0, v[8:9], off offset:256
.LBB151_114:                            ;   in Loop: Header=BB151_110 Depth=2
	s_or_b64 exec, exec, s[92:93]
	v_mov_b32_e32 v10, 0
	v_mov_b32_e32 v11, 0
	s_and_saveexec_b64 s[92:93], s[22:23]
	s_cbranch_execz .LBB151_116
; %bb.115:                              ;   in Loop: Header=BB151_110 Depth=2
	global_load_dword v11, v[8:9], off offset:512
.LBB151_116:                            ;   in Loop: Header=BB151_110 Depth=2
	s_or_b64 exec, exec, s[92:93]
	s_and_saveexec_b64 s[92:93], s[24:25]
	s_cbranch_execz .LBB151_118
; %bb.117:                              ;   in Loop: Header=BB151_110 Depth=2
	global_load_dword v10, v[8:9], off offset:768
.LBB151_118:                            ;   in Loop: Header=BB151_110 Depth=2
	s_or_b64 exec, exec, s[92:93]
	v_mov_b32_e32 v12, 0
	v_mov_b32_e32 v13, 0
	s_and_saveexec_b64 s[92:93], s[26:27]
	s_cbranch_execz .LBB151_120
; %bb.119:                              ;   in Loop: Header=BB151_110 Depth=2
	global_load_dword v13, v[8:9], off offset:1024
.LBB151_120:                            ;   in Loop: Header=BB151_110 Depth=2
	s_or_b64 exec, exec, s[92:93]
	s_and_saveexec_b64 s[92:93], s[28:29]
	s_cbranch_execz .LBB151_122
; %bb.121:                              ;   in Loop: Header=BB151_110 Depth=2
	global_load_dword v12, v[8:9], off offset:1280
.LBB151_122:                            ;   in Loop: Header=BB151_110 Depth=2
	s_or_b64 exec, exec, s[92:93]
	v_mov_b32_e32 v14, 0
	v_mov_b32_e32 v15, 0
	s_and_saveexec_b64 s[92:93], s[30:31]
	s_cbranch_execz .LBB151_124
; %bb.123:                              ;   in Loop: Header=BB151_110 Depth=2
	global_load_dword v15, v[8:9], off offset:1536
.LBB151_124:                            ;   in Loop: Header=BB151_110 Depth=2
	s_or_b64 exec, exec, s[92:93]
	s_and_saveexec_b64 s[92:93], s[34:35]
	s_cbranch_execz .LBB151_126
; %bb.125:                              ;   in Loop: Header=BB151_110 Depth=2
	global_load_dword v14, v[8:9], off offset:1792
.LBB151_126:                            ;   in Loop: Header=BB151_110 Depth=2
	s_or_b64 exec, exec, s[92:93]
	v_mov_b32_e32 v16, 0
	v_mov_b32_e32 v17, 0
	s_and_saveexec_b64 s[92:93], s[36:37]
	s_cbranch_execz .LBB151_128
; %bb.127:                              ;   in Loop: Header=BB151_110 Depth=2
	global_load_dword v17, v[8:9], off offset:2048
.LBB151_128:                            ;   in Loop: Header=BB151_110 Depth=2
	s_or_b64 exec, exec, s[92:93]
	s_and_saveexec_b64 s[92:93], s[38:39]
	s_cbranch_execz .LBB151_130
; %bb.129:                              ;   in Loop: Header=BB151_110 Depth=2
	global_load_dword v16, v[8:9], off offset:2304
.LBB151_130:                            ;   in Loop: Header=BB151_110 Depth=2
	s_or_b64 exec, exec, s[92:93]
	v_mov_b32_e32 v18, 0
	v_mov_b32_e32 v19, 0
	s_and_saveexec_b64 s[92:93], s[40:41]
	s_cbranch_execz .LBB151_132
; %bb.131:                              ;   in Loop: Header=BB151_110 Depth=2
	global_load_dword v19, v[8:9], off offset:2560
.LBB151_132:                            ;   in Loop: Header=BB151_110 Depth=2
	s_or_b64 exec, exec, s[92:93]
	s_and_saveexec_b64 s[92:93], s[42:43]
	s_cbranch_execz .LBB151_134
; %bb.133:                              ;   in Loop: Header=BB151_110 Depth=2
	global_load_dword v18, v[8:9], off offset:2816
.LBB151_134:                            ;   in Loop: Header=BB151_110 Depth=2
	s_or_b64 exec, exec, s[92:93]
	v_mov_b32_e32 v5, 0
	v_mov_b32_e32 v20, 0
	s_and_saveexec_b64 s[92:93], s[44:45]
	s_cbranch_execz .LBB151_136
; %bb.135:                              ;   in Loop: Header=BB151_110 Depth=2
	global_load_dword v20, v[8:9], off offset:3072
.LBB151_136:                            ;   in Loop: Header=BB151_110 Depth=2
	s_or_b64 exec, exec, s[92:93]
	s_and_saveexec_b64 s[92:93], s[46:47]
	s_cbranch_execz .LBB151_138
; %bb.137:                              ;   in Loop: Header=BB151_110 Depth=2
	global_load_dword v5, v[8:9], off offset:3328
.LBB151_138:                            ;   in Loop: Header=BB151_110 Depth=2
	s_or_b64 exec, exec, s[92:93]
	v_mov_b32_e32 v21, 0
	v_mov_b32_e32 v22, 0
	s_and_saveexec_b64 s[92:93], s[48:49]
	s_cbranch_execz .LBB151_140
; %bb.139:                              ;   in Loop: Header=BB151_110 Depth=2
	global_load_dword v22, v[8:9], off offset:3584
.LBB151_140:                            ;   in Loop: Header=BB151_110 Depth=2
	s_or_b64 exec, exec, s[92:93]
	s_and_saveexec_b64 s[92:93], s[50:51]
	s_cbranch_execz .LBB151_142
; %bb.141:                              ;   in Loop: Header=BB151_110 Depth=2
	global_load_dword v21, v[8:9], off offset:3840
.LBB151_142:                            ;   in Loop: Header=BB151_110 Depth=2
	s_or_b64 exec, exec, s[92:93]
	scratch_load_dword v8, off, off         ; 4-byte Folded Reload
	s_mov_b32 s99, s89
	s_waitcnt vmcnt(0)
	ds_write_b32 v8, v6
	scratch_load_dword v6, off, off offset:4 ; 4-byte Folded Reload
	v_lshl_add_u64 v[8:9], s[98:99], 2, v[42:43]
	s_waitcnt vmcnt(0)
	ds_write_b32 v6, v0 offset:256
	scratch_load_dword v0, off, off offset:8 ; 4-byte Folded Reload
	v_mov_b32_e32 v6, 0
	s_waitcnt vmcnt(0)
	ds_write_b32 v0, v11 offset:512
	scratch_load_dword v0, off, off offset:12 ; 4-byte Folded Reload
	s_waitcnt vmcnt(0)
	ds_write_b32 v0, v10 offset:768
	scratch_load_dword v0, off, off offset:16 ; 4-byte Folded Reload
	;; [unrolled: 3-line block ×13, first 2 shown]
	s_waitcnt vmcnt(0)
	ds_write_b32 v0, v21 offset:3840
	; wave barrier
	ds_read2_b32 v[46:47], v64 offset1:1
	ds_read2_b32 v[50:51], v64 offset0:2 offset1:3
	ds_read2_b32 v[54:55], v64 offset0:4 offset1:5
	;; [unrolled: 1-line block ×7, first 2 shown]
	v_mov_b32_e32 v0, 0
	s_and_saveexec_b64 s[92:93], s[18:19]
	s_cbranch_execz .LBB151_144
; %bb.143:                              ;   in Loop: Header=BB151_110 Depth=2
	global_load_dword v6, v[8:9], off
.LBB151_144:                            ;   in Loop: Header=BB151_110 Depth=2
	s_or_b64 exec, exec, s[92:93]
	s_and_saveexec_b64 s[92:93], s[20:21]
	s_cbranch_execz .LBB151_146
; %bb.145:                              ;   in Loop: Header=BB151_110 Depth=2
	global_load_dword v0, v[8:9], off offset:256
.LBB151_146:                            ;   in Loop: Header=BB151_110 Depth=2
	s_or_b64 exec, exec, s[92:93]
	v_mov_b32_e32 v10, 0
	v_mov_b32_e32 v11, 0
	s_and_saveexec_b64 s[92:93], s[22:23]
	s_cbranch_execz .LBB151_148
; %bb.147:                              ;   in Loop: Header=BB151_110 Depth=2
	global_load_dword v11, v[8:9], off offset:512
.LBB151_148:                            ;   in Loop: Header=BB151_110 Depth=2
	s_or_b64 exec, exec, s[92:93]
	s_and_saveexec_b64 s[92:93], s[24:25]
	s_cbranch_execz .LBB151_150
; %bb.149:                              ;   in Loop: Header=BB151_110 Depth=2
	global_load_dword v10, v[8:9], off offset:768
.LBB151_150:                            ;   in Loop: Header=BB151_110 Depth=2
	s_or_b64 exec, exec, s[92:93]
	v_mov_b32_e32 v12, 0
	v_mov_b32_e32 v13, 0
	s_and_saveexec_b64 s[92:93], s[26:27]
	s_cbranch_execz .LBB151_152
; %bb.151:                              ;   in Loop: Header=BB151_110 Depth=2
	global_load_dword v13, v[8:9], off offset:1024
.LBB151_152:                            ;   in Loop: Header=BB151_110 Depth=2
	;; [unrolled: 14-line block ×7, first 2 shown]
	s_or_b64 exec, exec, s[92:93]
	s_and_saveexec_b64 s[92:93], s[50:51]
	s_cbranch_execz .LBB151_174
; %bb.173:                              ;   in Loop: Header=BB151_110 Depth=2
	global_load_dword v21, v[8:9], off offset:3840
.LBB151_174:                            ;   in Loop: Header=BB151_110 Depth=2
	s_or_b64 exec, exec, s[92:93]
	scratch_load_dword v8, off, off         ; 4-byte Folded Reload
	s_andn2_b64 vcc, exec, s[2:3]
	s_waitcnt vmcnt(0)
	ds_write_b32 v8, v6 offset:4224
	scratch_load_dword v6, off, off offset:132 ; 4-byte Folded Reload
	s_waitcnt vmcnt(0)
	ds_write_b32 v6, v0 offset:256
	scratch_load_dword v0, off, off offset:136 ; 4-byte Folded Reload
	;; [unrolled: 3-line block ×15, first 2 shown]
	s_waitcnt vmcnt(0)
	ds_write_b32 v0, v21 offset:3840
	; wave barrier
	v_add_u32_e32 v0, 0x1080, v64
	ds_read2_b32 v[20:21], v4 offset0:2 offset1:3
	ds_read2_b32 v[18:19], v4 offset0:4 offset1:5
	;; [unrolled: 1-line block ×6, first 2 shown]
	ds_read2_b32 v[22:23], v0 offset1:1
	ds_read2_b32 v[8:9], v4 offset0:14 offset1:15
	s_cbranch_vccnz .LBB151_176
; %bb.175:                              ;   in Loop: Header=BB151_110 Depth=2
	v_mov_b32_e32 v0, s90
	ds_read_b64 v[48:49], v0
	s_cbranch_execz .LBB151_177
	s_branch .LBB151_180
.LBB151_176:                            ;   in Loop: Header=BB151_110 Depth=2
                                        ; implicit-def: $vgpr49
.LBB151_177:                            ;   in Loop: Header=BB151_110 Depth=2
	v_readlane_b32 s0, v95, 0
	v_readlane_b32 s1, v95, 1
	s_andn2_b64 vcc, exec, s[0:1]
	s_waitcnt lgkmcnt(0)
	v_mov_b32_e32 v49, 0
	s_cbranch_vccnz .LBB151_179
; %bb.178:                              ;   in Loop: Header=BB151_110 Depth=2
	s_mov_b32 s97, s89
	s_lshl_b64 s[92:93], s[96:97], 2
	v_readlane_b32 s0, v95, 22
	s_add_u32 s92, s0, s92
	v_readlane_b32 s0, v95, 23
	s_addc_u32 s93, s0, s93
	global_load_dword v49, v1, s[92:93]
	v_readlane_b32 s97, v95, 43
.LBB151_179:                            ;   in Loop: Header=BB151_110 Depth=2
	v_mov_b32_e32 v48, 1.0
.LBB151_180:                            ;   in Loop: Header=BB151_110 Depth=2
	scratch_load_dword v5, off, off offset:64 ; 4-byte Folded Reload
	v_mul_f32_e32 v62, 0x3fb8aa3b, v62
	v_readlane_b32 s0, v95, 30
	v_readlane_b32 s1, v95, 31
	s_waitcnt vmcnt(0)
	v_mul_f32_e32 v0, v62, v5
	v_cmp_gt_f32_e32 vcc, s91, v0
	s_nop 1
	v_cndmask_b32_e32 v0, 0, v2, vcc
	v_fmac_f32_e32 v0, v62, v5
	scratch_load_dword v5, off, off offset:128 ; 4-byte Folded Reload
	v_exp_f32_e32 v0, v0
	v_cndmask_b32_e32 v6, 1.0, v65, vcc
	v_mul_f32_e32 v0, v0, v6
	v_mul_f32_e32 v6, v62, v67
	v_cmp_gt_f32_e32 vcc, s91, v6
	v_cndmask_b32_e64 v79, 1.0, v0, s[52:53]
	s_waitcnt vmcnt(0) lgkmcnt(14)
	v_mul_f32_e32 v5, v46, v5
	v_cndmask_b32_e64 v46, 0, v5, s[52:53]
	scratch_load_dword v5, off, off offset:124 ; 4-byte Folded Reload
	v_cndmask_b32_e32 v6, 0, v2, vcc
	v_fmac_f32_e32 v6, v62, v67
	v_exp_f32_e32 v6, v6
	v_cndmask_b32_e32 v0, 1.0, v65, vcc
	v_mul_f32_e32 v0, v6, v0
	v_mul_f32_e32 v6, v62, v68
	v_cmp_gt_f32_e32 vcc, s91, v6
	s_waitcnt vmcnt(0)
	v_mul_f32_e32 v5, v47, v5
	v_cndmask_b32_e64 v47, 0, v5, s[54:55]
	scratch_load_dword v5, off, off offset:120 ; 4-byte Folded Reload
	v_cndmask_b32_e32 v6, 0, v2, vcc
	v_fmac_f32_e32 v6, v62, v68
	v_exp_f32_e32 v63, v6
	v_cndmask_b32_e64 v6, 1.0, v0, s[54:55]
	v_cndmask_b32_e32 v0, 1.0, v65, vcc
	v_mul_f32_e32 v0, v63, v0
	v_cndmask_b32_e64 v81, 1.0, v0, s[56:57]
	s_waitcnt vmcnt(0)
	v_mul_f32_e32 v5, v50, v5
	v_mul_f32_e32 v50, v62, v69
	v_cmp_gt_f32_e32 vcc, s91, v50
	s_nop 1
	v_cndmask_b32_e32 v50, 0, v2, vcc
	v_fmac_f32_e32 v50, v62, v69
	v_exp_f32_e32 v63, v50
	v_cndmask_b32_e64 v50, 0, v5, s[56:57]
	scratch_load_dword v5, off, off offset:116 ; 4-byte Folded Reload
	v_cndmask_b32_e32 v0, 1.0, v65, vcc
	v_mul_f32_e32 v0, v63, v0
	v_cndmask_b32_e64 v0, 1.0, v0, s[58:59]
	s_waitcnt vmcnt(0)
	v_mul_f32_e32 v5, v51, v5
	v_mul_f32_e32 v51, v62, v70
	v_cmp_gt_f32_e32 vcc, s91, v51
	s_nop 1
	v_cndmask_b32_e32 v51, 0, v2, vcc
	v_fmac_f32_e32 v51, v62, v70
	v_exp_f32_e32 v63, v51
	v_cndmask_b32_e64 v51, 0, v5, s[58:59]
	v_cndmask_b32_e32 v5, 1.0, v65, vcc
	v_mul_f32_e32 v5, v63, v5
	scratch_load_dword v63, off, off offset:112 ; 4-byte Folded Reload
	v_cndmask_b32_e64 v82, 1.0, v5, s[60:61]
	s_waitcnt vmcnt(0)
	v_mul_f32_e32 v54, v54, v63
	v_mul_f32_e32 v63, v62, v71
	v_cmp_gt_f32_e32 vcc, s91, v63
	v_cndmask_b32_e64 v54, 0, v54, s[60:61]
	s_nop 0
	v_cndmask_b32_e32 v63, 0, v2, vcc
	v_fmac_f32_e32 v63, v62, v71
	v_exp_f32_e32 v63, v63
	v_cndmask_b32_e32 v5, 1.0, v65, vcc
	v_mul_f32_e32 v5, v63, v5
	scratch_load_dword v63, off, off offset:108 ; 4-byte Folded Reload
	v_cndmask_b32_e64 v83, 1.0, v5, s[62:63]
	s_waitcnt vmcnt(0)
	v_mul_f32_e32 v55, v55, v63
	v_mul_f32_e32 v63, v62, v72
	v_cmp_gt_f32_e32 vcc, s91, v63
	v_cndmask_b32_e64 v55, 0, v55, s[62:63]
	s_nop 0
	v_cndmask_b32_e32 v63, 0, v2, vcc
	v_fmac_f32_e32 v63, v62, v72
	v_exp_f32_e32 v63, v63
	;; [unrolled: 13-line block ×11, first 2 shown]
	v_cndmask_b32_e32 v5, 1.0, v65, vcc
	v_mul_f32_e32 v5, v62, v5
	scratch_load_dword v62, off, off offset:68 ; 4-byte Folded Reload
	v_cndmask_b32_e64 v93, 1.0, v5, s[82:83]
	v_mul_f32_e32 v5, v6, v79
	v_mul_f32_e32 v5, v5, v81
	;; [unrolled: 1-line block ×14, first 2 shown]
	s_waitcnt vmcnt(0)
	v_mul_f32_e32 v45, v45, v62
	v_fma_f32 v62, v6, v46, v47
	v_fma_f32 v62, v62, v81, v50
	;; [unrolled: 1-line block ×13, first 2 shown]
	v_cndmask_b32_e64 v45, 0, v45, s[82:83]
	v_fma_f32 v63, v62, v92, v44
	v_mul_f32_e32 v62, v5, v93
	v_fma_f32 v66, v63, v93, v45
	s_nop 0
	v_mov_b32_dpp v94, v62 row_shr:1 row_mask:0xf bank_mask:0xf
	v_mov_b32_dpp v5, v66 row_shr:1 row_mask:0xf bank_mask:0xf
	s_and_saveexec_b64 s[92:93], s[0:1]
; %bb.181:                              ;   in Loop: Header=BB151_110 Depth=2
	v_mul_f32_e32 v94, v62, v94
	v_fmac_f32_e32 v66, v62, v5
	v_mov_b32_e32 v62, v94
; %bb.182:                              ;   in Loop: Header=BB151_110 Depth=2
	s_or_b64 exec, exec, s[92:93]
	v_readlane_b32 s0, v95, 32
	v_mov_b32_dpp v5, v62 row_shr:2 row_mask:0xf bank_mask:0xf
	v_mov_b32_dpp v94, v66 row_shr:2 row_mask:0xf bank_mask:0xf
	v_readlane_b32 s1, v95, 33
	s_and_saveexec_b64 s[92:93], s[0:1]
; %bb.183:                              ;   in Loop: Header=BB151_110 Depth=2
	v_fmac_f32_e32 v66, v62, v94
	v_mul_f32_e32 v62, v62, v5
; %bb.184:                              ;   in Loop: Header=BB151_110 Depth=2
	s_or_b64 exec, exec, s[92:93]
	s_nop 0
	v_mov_b32_dpp v5, v62 row_shr:4 row_mask:0xf bank_mask:0xf
	v_mov_b32_dpp v94, v66 row_shr:4 row_mask:0xf bank_mask:0xf
	s_and_saveexec_b64 s[92:93], s[84:85]
; %bb.185:                              ;   in Loop: Header=BB151_110 Depth=2
	v_fmac_f32_e32 v66, v62, v94
	v_mul_f32_e32 v62, v62, v5
; %bb.186:                              ;   in Loop: Header=BB151_110 Depth=2
	s_or_b64 exec, exec, s[92:93]
	v_readlane_b32 s0, v95, 34
	v_mov_b32_dpp v5, v62 row_shr:8 row_mask:0xf bank_mask:0xf
	v_mov_b32_dpp v94, v66 row_shr:8 row_mask:0xf bank_mask:0xf
	v_readlane_b32 s1, v95, 35
	s_and_saveexec_b64 s[92:93], s[0:1]
; %bb.187:                              ;   in Loop: Header=BB151_110 Depth=2
	v_fmac_f32_e32 v66, v62, v94
	v_mul_f32_e32 v62, v62, v5
; %bb.188:                              ;   in Loop: Header=BB151_110 Depth=2
	s_or_b64 exec, exec, s[92:93]
	v_readlane_b32 s0, v95, 36
	v_mov_b32_dpp v5, v62 row_bcast:15 row_mask:0xf bank_mask:0xf
	v_mov_b32_dpp v94, v66 row_bcast:15 row_mask:0xf bank_mask:0xf
	v_readlane_b32 s1, v95, 37
	s_and_saveexec_b64 s[92:93], s[0:1]
; %bb.189:                              ;   in Loop: Header=BB151_110 Depth=2
	v_fmac_f32_e32 v66, v62, v94
	v_mul_f32_e32 v62, v62, v5
; %bb.190:                              ;   in Loop: Header=BB151_110 Depth=2
	s_or_b64 exec, exec, s[92:93]
	s_nop 0
	v_mov_b32_dpp v5, v62 row_bcast:31 row_mask:0xf bank_mask:0xf
	v_mov_b32_dpp v94, v66 row_bcast:31 row_mask:0xf bank_mask:0xf
	v_mov_b32_e32 v63, v66
	v_mul_f32_e32 v5, v62, v5
	v_fmac_f32_e32 v63, v62, v94
	v_readlane_b32 s0, v95, 40
	v_cndmask_b32_e64 v62, v62, v5, s[12:13]
	v_cndmask_b32_e64 v63, v66, v63, s[12:13]
	v_readlane_b32 s1, v95, 41
	s_and_saveexec_b64 s[92:93], s[0:1]
	s_cbranch_execz .LBB151_192
; %bb.191:                              ;   in Loop: Header=BB151_110 Depth=2
	ds_write_b64 v1, v[62:63] offset:8448
.LBB151_192:                            ;   in Loop: Header=BB151_110 Depth=2
	s_or_b64 exec, exec, s[92:93]
	scratch_load_dword v5, off, off offset:192 ; 4-byte Folded Reload
	s_waitcnt lgkmcnt(0)
	; wave barrier
	s_waitcnt vmcnt(0) lgkmcnt(0)
	ds_bpermute_b32 v94, v5, v62
	ds_bpermute_b32 v5, v5, v63
	v_mov_b32_e32 v63, v49
	s_and_saveexec_b64 s[92:93], s[14:15]
	s_cbranch_execz .LBB151_196
; %bb.193:                              ;   in Loop: Header=BB151_110 Depth=2
	ds_read_b64 v[62:63], v1 offset:8448
	s_and_saveexec_b64 vcc, s[16:17]
	s_cbranch_execz .LBB151_195
; %bb.194:                              ;   in Loop: Header=BB151_110 Depth=2
	ds_write_b64 v1, v[48:49] offset:8448
.LBB151_195:                            ;   in Loop: Header=BB151_110 Depth=2
	s_or_b64 exec, exec, vcc
	s_waitcnt lgkmcnt(0)
	v_fmac_f32_e32 v63, v49, v62
	v_mul_f32_e32 v48, v48, v62
	v_mov_b32_e32 v49, v63
.LBB151_196:                            ;   in Loop: Header=BB151_110 Depth=2
	s_or_b64 exec, exec, s[92:93]
	s_waitcnt lgkmcnt(0)
	; wave barrier
	s_waitcnt lgkmcnt(0)
	ds_read_b32 v62, v1 offset:8452
	s_and_saveexec_b64 s[92:93], s[16:17]
	s_cbranch_execz .LBB151_109
; %bb.197:                              ;   in Loop: Header=BB151_110 Depth=2
	v_mov_b32_e32 v66, s90
	s_andn2_b64 vcc, exec, s[94:95]
	ds_write_b64 v66, v[48:49]
	s_cbranch_vccnz .LBB151_109
; %bb.198:                              ;   in Loop: Header=BB151_110 Depth=2
	s_mov_b32 s97, s89
	s_lshl_b64 s[0:1], s[96:97], 2
	v_readlane_b32 s4, v95, 22
	s_add_u32 s0, s4, s0
	v_readlane_b32 s4, v95, 23
	v_readlane_b32 s97, v95, 43
	s_addc_u32 s1, s4, s1
	global_store_dword v1, v63, s[0:1]
	s_branch .LBB151_109
.LBB151_199:                            ;   in Loop: Header=BB151_13 Depth=1
	scratch_load_dwordx2 v[42:43], off, off offset:196 ; 8-byte Folded Reload
	v_readlane_b32 s54, v95, 44
	v_readlane_b32 s6, v95, 51
	;; [unrolled: 1-line block ×8, first 2 shown]
.LBB151_200:                            ;   in Loop: Header=BB151_13 Depth=1
	s_waitcnt lgkmcnt(0)
	; wave barrier
	ds_write2_b32 v64, v38, v39 offset1:1
	ds_write2_b32 v64, v36, v37 offset0:2 offset1:3
	ds_write2_b32 v64, v34, v35 offset0:4 offset1:5
	;; [unrolled: 1-line block ×7, first 2 shown]
	; wave barrier
	scratch_load_dword v0, off, off offset:4 ; 4-byte Folded Reload
	scratch_load_dwordx2 v[8:9], off, off offset:272 ; 8-byte Folded Reload
	v_readlane_b32 s0, v95, 47
	v_readlane_b32 s1, v95, 48
	s_mov_b32 s1, s89
	s_waitcnt vmcnt(1)
	ds_read_b32 v19, v0 offset:256
	scratch_load_dword v0, off, off offset:8 ; 4-byte Folded Reload
	s_waitcnt vmcnt(1)
	v_lshl_add_u64 v[8:9], s[0:1], 2, v[8:9]
	s_waitcnt vmcnt(0)
	ds_read_b32 v18, v0 offset:512
	scratch_load_dword v0, off, off offset:12 ; 4-byte Folded Reload
	s_waitcnt vmcnt(0)
	ds_read_b32 v17, v0 offset:768
	scratch_load_dword v0, off, off offset:16 ; 4-byte Folded Reload
	;; [unrolled: 3-line block ×13, first 2 shown]
	s_waitcnt vmcnt(0)
	ds_read_b32 v0, v0 offset:3840
	s_and_saveexec_b64 s[2:3], s[18:19]
	s_cbranch_execnz .LBB151_218
; %bb.201:                              ;   in Loop: Header=BB151_13 Depth=1
	s_or_b64 exec, exec, s[2:3]
	s_and_saveexec_b64 s[2:3], s[20:21]
	s_cbranch_execnz .LBB151_219
.LBB151_202:                            ;   in Loop: Header=BB151_13 Depth=1
	s_or_b64 exec, exec, s[2:3]
	s_and_saveexec_b64 s[2:3], s[22:23]
	s_cbranch_execnz .LBB151_220
.LBB151_203:                            ;   in Loop: Header=BB151_13 Depth=1
	s_or_b64 exec, exec, s[2:3]
	s_and_saveexec_b64 s[2:3], s[24:25]
	s_cbranch_execnz .LBB151_221
.LBB151_204:                            ;   in Loop: Header=BB151_13 Depth=1
	s_or_b64 exec, exec, s[2:3]
	s_and_saveexec_b64 s[2:3], s[26:27]
	s_cbranch_execnz .LBB151_222
.LBB151_205:                            ;   in Loop: Header=BB151_13 Depth=1
	s_or_b64 exec, exec, s[2:3]
	s_and_saveexec_b64 s[2:3], s[28:29]
	s_cbranch_execnz .LBB151_223
.LBB151_206:                            ;   in Loop: Header=BB151_13 Depth=1
	s_or_b64 exec, exec, s[2:3]
	s_and_saveexec_b64 s[2:3], s[30:31]
	s_cbranch_execnz .LBB151_224
.LBB151_207:                            ;   in Loop: Header=BB151_13 Depth=1
	s_or_b64 exec, exec, s[2:3]
	s_and_saveexec_b64 s[2:3], s[34:35]
	s_cbranch_execnz .LBB151_225
.LBB151_208:                            ;   in Loop: Header=BB151_13 Depth=1
	s_or_b64 exec, exec, s[2:3]
	s_and_saveexec_b64 s[2:3], s[36:37]
	s_cbranch_execnz .LBB151_226
.LBB151_209:                            ;   in Loop: Header=BB151_13 Depth=1
	s_or_b64 exec, exec, s[2:3]
	s_and_saveexec_b64 s[2:3], s[38:39]
	s_cbranch_execnz .LBB151_227
.LBB151_210:                            ;   in Loop: Header=BB151_13 Depth=1
	s_or_b64 exec, exec, s[2:3]
	s_and_saveexec_b64 s[2:3], s[40:41]
	s_cbranch_execnz .LBB151_228
.LBB151_211:                            ;   in Loop: Header=BB151_13 Depth=1
	s_or_b64 exec, exec, s[2:3]
	s_and_saveexec_b64 s[2:3], s[42:43]
	s_cbranch_execnz .LBB151_229
.LBB151_212:                            ;   in Loop: Header=BB151_13 Depth=1
	s_or_b64 exec, exec, s[2:3]
	s_and_saveexec_b64 s[2:3], s[44:45]
	s_cbranch_execnz .LBB151_230
.LBB151_213:                            ;   in Loop: Header=BB151_13 Depth=1
	s_or_b64 exec, exec, s[2:3]
	s_and_saveexec_b64 s[2:3], s[46:47]
	s_cbranch_execnz .LBB151_231
.LBB151_214:                            ;   in Loop: Header=BB151_13 Depth=1
	s_or_b64 exec, exec, s[2:3]
	s_and_saveexec_b64 s[2:3], s[48:49]
	s_cbranch_execnz .LBB151_232
.LBB151_215:                            ;   in Loop: Header=BB151_13 Depth=1
	s_or_b64 exec, exec, s[2:3]
	s_and_saveexec_b64 s[2:3], s[50:51]
	s_cbranch_execz .LBB151_12
	s_branch .LBB151_233
.LBB151_216:                            ;   in Loop: Header=BB151_13 Depth=1
	global_load_dword v36, v[24:25], off offset:3328
	s_or_b64 exec, exec, s[2:3]
	s_and_saveexec_b64 s[2:3], s[48:49]
	s_cbranch_execz .LBB151_73
.LBB151_217:                            ;   in Loop: Header=BB151_13 Depth=1
	global_load_dword v35, v[24:25], off offset:3584
	s_or_b64 exec, exec, s[2:3]
	v_mov_b32_e32 v37, 0
	s_and_saveexec_b64 s[2:3], s[50:51]
	s_cbranch_execnz .LBB151_74
	s_branch .LBB151_75
.LBB151_218:                            ;   in Loop: Header=BB151_13 Depth=1
	scratch_load_dword v20, off, off        ; 4-byte Folded Reload
	s_waitcnt vmcnt(0)
	ds_read_b32 v20, v20
	s_waitcnt lgkmcnt(0)
	global_store_dword v[8:9], v20, off
	s_or_b64 exec, exec, s[2:3]
	s_and_saveexec_b64 s[2:3], s[20:21]
	s_cbranch_execz .LBB151_202
.LBB151_219:                            ;   in Loop: Header=BB151_13 Depth=1
	s_waitcnt lgkmcnt(14)
	global_store_dword v[8:9], v19, off offset:256
	s_or_b64 exec, exec, s[2:3]
	s_and_saveexec_b64 s[2:3], s[22:23]
	s_cbranch_execz .LBB151_203
.LBB151_220:                            ;   in Loop: Header=BB151_13 Depth=1
	s_waitcnt lgkmcnt(13)
	global_store_dword v[8:9], v18, off offset:512
	s_or_b64 exec, exec, s[2:3]
	s_and_saveexec_b64 s[2:3], s[24:25]
	s_cbranch_execz .LBB151_204
.LBB151_221:                            ;   in Loop: Header=BB151_13 Depth=1
	s_waitcnt lgkmcnt(12)
	global_store_dword v[8:9], v17, off offset:768
	s_or_b64 exec, exec, s[2:3]
	s_and_saveexec_b64 s[2:3], s[26:27]
	s_cbranch_execz .LBB151_205
.LBB151_222:                            ;   in Loop: Header=BB151_13 Depth=1
	s_waitcnt lgkmcnt(11)
	global_store_dword v[8:9], v16, off offset:1024
	s_or_b64 exec, exec, s[2:3]
	s_and_saveexec_b64 s[2:3], s[28:29]
	s_cbranch_execz .LBB151_206
.LBB151_223:                            ;   in Loop: Header=BB151_13 Depth=1
	s_waitcnt lgkmcnt(10)
	global_store_dword v[8:9], v15, off offset:1280
	s_or_b64 exec, exec, s[2:3]
	s_and_saveexec_b64 s[2:3], s[30:31]
	s_cbranch_execz .LBB151_207
.LBB151_224:                            ;   in Loop: Header=BB151_13 Depth=1
	s_waitcnt lgkmcnt(9)
	global_store_dword v[8:9], v14, off offset:1536
	s_or_b64 exec, exec, s[2:3]
	s_and_saveexec_b64 s[2:3], s[34:35]
	s_cbranch_execz .LBB151_208
.LBB151_225:                            ;   in Loop: Header=BB151_13 Depth=1
	s_waitcnt lgkmcnt(8)
	global_store_dword v[8:9], v13, off offset:1792
	s_or_b64 exec, exec, s[2:3]
	s_and_saveexec_b64 s[2:3], s[36:37]
	s_cbranch_execz .LBB151_209
.LBB151_226:                            ;   in Loop: Header=BB151_13 Depth=1
	s_waitcnt lgkmcnt(7)
	global_store_dword v[8:9], v12, off offset:2048
	s_or_b64 exec, exec, s[2:3]
	s_and_saveexec_b64 s[2:3], s[38:39]
	s_cbranch_execz .LBB151_210
.LBB151_227:                            ;   in Loop: Header=BB151_13 Depth=1
	s_waitcnt lgkmcnt(6)
	global_store_dword v[8:9], v11, off offset:2304
	s_or_b64 exec, exec, s[2:3]
	s_and_saveexec_b64 s[2:3], s[40:41]
	s_cbranch_execz .LBB151_211
.LBB151_228:                            ;   in Loop: Header=BB151_13 Depth=1
	s_waitcnt lgkmcnt(5)
	global_store_dword v[8:9], v10, off offset:2560
	s_or_b64 exec, exec, s[2:3]
	s_and_saveexec_b64 s[2:3], s[42:43]
	s_cbranch_execz .LBB151_212
.LBB151_229:                            ;   in Loop: Header=BB151_13 Depth=1
	s_waitcnt lgkmcnt(4)
	global_store_dword v[8:9], v7, off offset:2816
	s_or_b64 exec, exec, s[2:3]
	s_and_saveexec_b64 s[2:3], s[44:45]
	s_cbranch_execz .LBB151_213
.LBB151_230:                            ;   in Loop: Header=BB151_13 Depth=1
	s_waitcnt lgkmcnt(3)
	global_store_dword v[8:9], v6, off offset:3072
	s_or_b64 exec, exec, s[2:3]
	s_and_saveexec_b64 s[2:3], s[46:47]
	s_cbranch_execz .LBB151_214
.LBB151_231:                            ;   in Loop: Header=BB151_13 Depth=1
	s_waitcnt lgkmcnt(2)
	global_store_dword v[8:9], v5, off offset:3328
	s_or_b64 exec, exec, s[2:3]
	s_and_saveexec_b64 s[2:3], s[48:49]
	s_cbranch_execz .LBB151_215
.LBB151_232:                            ;   in Loop: Header=BB151_13 Depth=1
	s_waitcnt lgkmcnt(1)
	global_store_dword v[8:9], v3, off offset:3584
	s_or_b64 exec, exec, s[2:3]
	s_and_saveexec_b64 s[2:3], s[50:51]
	s_cbranch_execz .LBB151_12
.LBB151_233:                            ;   in Loop: Header=BB151_13 Depth=1
	s_waitcnt lgkmcnt(0)
	global_store_dword v[8:9], v0, off offset:3840
	s_branch .LBB151_12
.LBB151_234:
	s_endpgm
	.section	.rodata,"a",@progbits
	.p2align	6, 0x0
	.amdhsa_kernel _Z25selective_scan_fwd_kernelI32Selective_Scan_fwd_kernel_traitsILi64ELi16ELi1ELb0ELb1ELb1ELb0ELb0EfffEEv13SSMParamsBase
		.amdhsa_group_segment_fixed_size 0
		.amdhsa_private_segment_fixed_size 348
		.amdhsa_kernarg_size 248
		.amdhsa_user_sgpr_count 2
		.amdhsa_user_sgpr_dispatch_ptr 0
		.amdhsa_user_sgpr_queue_ptr 0
		.amdhsa_user_sgpr_kernarg_segment_ptr 1
		.amdhsa_user_sgpr_dispatch_id 0
		.amdhsa_user_sgpr_kernarg_preload_length 0
		.amdhsa_user_sgpr_kernarg_preload_offset 0
		.amdhsa_user_sgpr_private_segment_size 0
		.amdhsa_uses_dynamic_stack 0
		.amdhsa_enable_private_segment 1
		.amdhsa_system_sgpr_workgroup_id_x 1
		.amdhsa_system_sgpr_workgroup_id_y 1
		.amdhsa_system_sgpr_workgroup_id_z 0
		.amdhsa_system_sgpr_workgroup_info 0
		.amdhsa_system_vgpr_workitem_id 0
		.amdhsa_next_free_vgpr 96
		.amdhsa_next_free_sgpr 100
		.amdhsa_accum_offset 96
		.amdhsa_reserve_vcc 1
		.amdhsa_float_round_mode_32 0
		.amdhsa_float_round_mode_16_64 0
		.amdhsa_float_denorm_mode_32 3
		.amdhsa_float_denorm_mode_16_64 3
		.amdhsa_dx10_clamp 1
		.amdhsa_ieee_mode 1
		.amdhsa_fp16_overflow 0
		.amdhsa_tg_split 0
		.amdhsa_exception_fp_ieee_invalid_op 0
		.amdhsa_exception_fp_denorm_src 0
		.amdhsa_exception_fp_ieee_div_zero 0
		.amdhsa_exception_fp_ieee_overflow 0
		.amdhsa_exception_fp_ieee_underflow 0
		.amdhsa_exception_fp_ieee_inexact 0
		.amdhsa_exception_int_div_zero 0
	.end_amdhsa_kernel
	.section	.text._Z25selective_scan_fwd_kernelI32Selective_Scan_fwd_kernel_traitsILi64ELi16ELi1ELb0ELb1ELb1ELb0ELb0EfffEEv13SSMParamsBase,"axG",@progbits,_Z25selective_scan_fwd_kernelI32Selective_Scan_fwd_kernel_traitsILi64ELi16ELi1ELb0ELb1ELb1ELb0ELb0EfffEEv13SSMParamsBase,comdat
.Lfunc_end151:
	.size	_Z25selective_scan_fwd_kernelI32Selective_Scan_fwd_kernel_traitsILi64ELi16ELi1ELb0ELb1ELb1ELb0ELb0EfffEEv13SSMParamsBase, .Lfunc_end151-_Z25selective_scan_fwd_kernelI32Selective_Scan_fwd_kernel_traitsILi64ELi16ELi1ELb0ELb1ELb1ELb0ELb0EfffEEv13SSMParamsBase
                                        ; -- End function
	.section	.AMDGPU.csdata,"",@progbits
; Kernel info:
; codeLenInByte = 22540
; NumSgprs: 106
; NumVgprs: 96
; NumAgprs: 0
; TotalNumVgprs: 96
; ScratchSize: 348
; MemoryBound: 0
; FloatMode: 240
; IeeeMode: 1
; LDSByteSize: 0 bytes/workgroup (compile time only)
; SGPRBlocks: 13
; VGPRBlocks: 11
; NumSGPRsForWavesPerEU: 106
; NumVGPRsForWavesPerEU: 96
; AccumOffset: 96
; Occupancy: 5
; WaveLimiterHint : 0
; COMPUTE_PGM_RSRC2:SCRATCH_EN: 1
; COMPUTE_PGM_RSRC2:USER_SGPR: 2
; COMPUTE_PGM_RSRC2:TRAP_HANDLER: 0
; COMPUTE_PGM_RSRC2:TGID_X_EN: 1
; COMPUTE_PGM_RSRC2:TGID_Y_EN: 1
; COMPUTE_PGM_RSRC2:TGID_Z_EN: 0
; COMPUTE_PGM_RSRC2:TIDIG_COMP_CNT: 0
; COMPUTE_PGM_RSRC3_GFX90A:ACCUM_OFFSET: 23
; COMPUTE_PGM_RSRC3_GFX90A:TG_SPLIT: 0
	.section	.text._Z25selective_scan_fwd_kernelI32Selective_Scan_fwd_kernel_traitsILi128ELi16ELi1ELb1ELb1ELb1ELb1ELb1EfffEEv13SSMParamsBase,"axG",@progbits,_Z25selective_scan_fwd_kernelI32Selective_Scan_fwd_kernel_traitsILi128ELi16ELi1ELb1ELb1ELb1ELb1ELb1EfffEEv13SSMParamsBase,comdat
	.protected	_Z25selective_scan_fwd_kernelI32Selective_Scan_fwd_kernel_traitsILi128ELi16ELi1ELb1ELb1ELb1ELb1ELb1EfffEEv13SSMParamsBase ; -- Begin function _Z25selective_scan_fwd_kernelI32Selective_Scan_fwd_kernel_traitsILi128ELi16ELi1ELb1ELb1ELb1ELb1ELb1EfffEEv13SSMParamsBase
	.globl	_Z25selective_scan_fwd_kernelI32Selective_Scan_fwd_kernel_traitsILi128ELi16ELi1ELb1ELb1ELb1ELb1ELb1EfffEEv13SSMParamsBase
	.p2align	8
	.type	_Z25selective_scan_fwd_kernelI32Selective_Scan_fwd_kernel_traitsILi128ELi16ELi1ELb1ELb1ELb1ELb1ELb1EfffEEv13SSMParamsBase,@function
_Z25selective_scan_fwd_kernelI32Selective_Scan_fwd_kernel_traitsILi128ELi16ELi1ELb1ELb1ELb1ELb1ELb1EfffEEv13SSMParamsBase: ; @_Z25selective_scan_fwd_kernelI32Selective_Scan_fwd_kernel_traitsILi128ELi16ELi1ELb1ELb1ELb1ELb1ELb1EfffEEv13SSMParamsBase
; %bb.0:
	s_load_dword s36, s[0:1], 0x18
	s_load_dwordx4 s[4:7], s[0:1], 0xe8
	s_load_dwordx8 s[24:31], s[0:1], 0xc8
	s_mov_b32 s34, s3
	s_ashr_i32 s3, s2, 31
	s_lshl_b64 s[8:9], s[2:3], 2
	s_waitcnt lgkmcnt(0)
	s_abs_i32 s33, s36
	v_cvt_f32_u32_e32 v1, s33
	s_add_u32 s30, s30, s8
	s_addc_u32 s31, s31, s9
	s_cmp_eq_u64 s[6:7], 0
	v_rcp_iflag_f32_e32 v1, v1
                                        ; implicit-def: $vgpr166 : SGPR spill to VGPR lane
	s_nop 0
	v_mul_f32_e32 v1, 0x4f7ffffe, v1
	v_cvt_u32_f32_e32 v1, v1
	s_nop 0
	v_readfirstlane_b32 s37, v1
	s_cbranch_scc1 .LBB152_2
; %bb.1:
	s_add_u32 s6, s6, s2
	s_addc_u32 s7, s7, s3
	v_mov_b32_e32 v1, 0
	global_load_ubyte v1, v1, s[6:7]
	s_waitcnt vmcnt(0)
	v_and_b32_e32 v1, 1, v1
	v_cmp_eq_u32_e64 s[6:7], 1, v1
	s_branch .LBB152_3
.LBB152_2:
	s_mov_b64 s[6:7], 0
.LBB152_3:
	s_nop 0
	v_writelane_b32 v166, s6, 0
	s_cmp_eq_u64 s[4:5], 0
	s_nop 0
	v_writelane_b32 v166, s7, 1
	s_load_dwordx2 s[6:7], s[0:1], 0x20
	s_cbranch_scc1 .LBB152_5
; %bb.4:
	s_add_u32 s2, s4, s8
	s_addc_u32 s3, s5, s9
	s_load_dword s2, s[2:3], 0x0
	s_waitcnt lgkmcnt(0)
	s_ashr_i32 s3, s2, 31
.LBB152_5:
	s_waitcnt lgkmcnt(0)
	s_cmp_eq_u64 s[6:7], s[2:3]
	s_cbranch_scc1 .LBB152_302
; %bb.6:
	s_load_dwordx16 s[8:23], s[0:1], 0x88
	s_load_dwordx2 s[6:7], s[30:31], 0x0
	s_mov_b32 s3, 0
	s_mov_b32 s62, 0
	v_writelane_b32 v166, s3, 2
	s_waitcnt lgkmcnt(0)
	s_cmp_eq_u64 s[14:15], 0
	s_cbranch_scc1 .LBB152_8
; %bb.7:
	s_ashr_i32 s35, s34, 31
	s_lshl_b64 s[4:5], s[34:35], 2
	s_add_u32 s4, s14, s4
	s_addc_u32 s5, s15, s5
	s_load_dword s3, s[4:5], 0x0
	s_waitcnt lgkmcnt(0)
	v_writelane_b32 v166, s3, 2
.LBB152_8:
	s_cmp_eq_u64 s[20:21], 0
	s_cbranch_scc1 .LBB152_10
; %bb.9:
	s_ashr_i32 s35, s34, 31
	s_lshl_b64 s[4:5], s[34:35], 2
	s_add_u32 s4, s20, s4
	s_addc_u32 s5, s21, s5
	s_load_dword s62, s[4:5], 0x0
.LBB152_10:
	s_sub_i32 s20, s7, s6
	s_cmp_lt_i32 s20, 1
	s_cbranch_scc1 .LBB152_302
; %bb.11:
	s_sub_i32 s3, 0, s33
	s_mul_i32 s3, s3, s37
	s_mul_hi_u32 s3, s37, s3
	s_abs_i32 s4, s34
	s_add_i32 s37, s37, s3
	s_mul_hi_u32 s3, s4, s37
	s_ashr_i32 s5, s34, 31
	s_ashr_i32 s7, s36, 31
	s_xor_b32 s5, s5, s7
	s_mul_i32 s7, s3, s33
	s_sub_i32 s4, s4, s7
	s_add_i32 s7, s3, 1
	s_sub_i32 s14, s4, s33
	s_cmp_ge_u32 s4, s33
	s_load_dwordx8 s[40:47], s[0:1], 0x2c
	s_load_dwordx8 s[48:55], s[0:1], 0x4c
	s_cselect_b32 s3, s7, s3
	s_cselect_b32 s4, s14, s4
	s_add_i32 s7, s3, 1
	s_cmp_ge_u32 s4, s33
	s_cselect_b32 s3, s7, s3
	s_xor_b32 s3, s3, s5
	s_sub_i32 s3, s3, s5
	s_waitcnt lgkmcnt(0)
	s_mul_i32 s4, s6, s50
	s_mov_b32 s5, 0
	s_lshl_b64 s[14:15], s[4:5], 2
	s_add_u32 s7, s16, s14
	s_mul_i32 s4, s51, s34
	s_addc_u32 s16, s17, s15
	s_lshl_b64 s[14:15], s[4:5], 2
	s_add_u32 s30, s7, s14
	s_mul_i32 s4, s6, s52
	s_addc_u32 s31, s16, s15
	;; [unrolled: 4-line block ×3, first 2 shown]
	s_lshl_b64 s[14:15], s[4:5], 2
	s_add_u32 s14, s7, s14
	s_addc_u32 s15, s16, s15
	v_writelane_b32 v166, s14, 3
	s_mul_i32 s4, s40, s34
	v_mbcnt_lo_u32_b32 v1, -1, 0
	v_writelane_b32 v166, s15, 4
	s_lshl_b64 s[14:15], s[4:5], 2
	s_add_u32 s4, s8, s14
	v_writelane_b32 v166, s4, 5
	s_addc_u32 s4, s9, s15
	v_writelane_b32 v166, s4, 6
	s_mul_i32 s4, s6, s42
	s_lshl_b64 s[8:9], s[4:5], 2
	s_add_u32 s7, s10, s8
	s_mul_i32 s4, s3, s45
	s_addc_u32 s10, s11, s9
	s_lshl_b64 s[8:9], s[4:5], 2
	s_add_u32 s64, s7, s8
	v_writelane_b32 v166, s40, 7
	s_mul_i32 s4, s6, s46
	s_addc_u32 s65, s10, s9
	s_lshl_b64 s[8:9], s[4:5], 2
	s_add_u32 s7, s12, s8
	s_addc_u32 s10, s13, s9
	s_load_dwordx2 s[12:13], s[0:1], 0x7c
	s_mul_i32 s4, s3, s49
	v_writelane_b32 v166, s41, 8
	s_lshl_b64 s[8:9], s[4:5], 2
	v_writelane_b32 v166, s42, 9
	s_add_u32 s66, s7, s8
	v_writelane_b32 v166, s43, 10
	s_addc_u32 s67, s10, s9
	s_load_dwordx4 s[8:11], s[0:1], 0x6c
	s_waitcnt lgkmcnt(0)
	s_mul_i32 s4, s2, s12
	v_writelane_b32 v166, s44, 11
	s_lshl_b64 s[2:3], s[4:5], 2
	v_writelane_b32 v166, s45, 12
	s_mul_i32 s4, s13, s34
	s_add_u32 s7, s24, s2
	v_writelane_b32 v166, s46, 13
	s_addc_u32 s12, s25, s3
	s_lshl_b64 s[2:3], s[4:5], 2
	v_writelane_b32 v166, s47, 14
	s_add_u32 s2, s7, s2
	v_writelane_b32 v166, s2, 15
	s_load_dword s2, s[0:1], 0x28
	s_load_dword s4, s[0:1], 0xc
	s_addc_u32 s3, s12, s3
	v_writelane_b32 v166, s3, 16
	s_add_i32 s3, s20, 0x7ff
	s_lshr_b32 s3, s3, 11
	s_waitcnt lgkmcnt(0)
	s_bitcmp1_b32 s2, 0
	s_cselect_b64 s[12:13], -1, 0
	v_writelane_b32 v166, s12, 17
	v_lshlrev_b32_e32 v21, 4, v0
	s_cmp_gt_i32 s4, 0
	v_writelane_b32 v166, s13, 18
	v_mbcnt_hi_u32_b32 v20, -1, v1
	v_and_b32_e32 v4, 0x400, v21
	v_writelane_b32 v166, s4, 19
	s_cselect_b64 s[12:13], -1, 0
	v_or_b32_e32 v80, v20, v4
	v_writelane_b32 v166, s12, 20
	v_lshrrev_b32_e32 v1, 5, v80
	v_add_u32_e32 v2, 64, v80
	v_writelane_b32 v166, s13, 21
	v_or_b32_e32 v5, 0x80, v80
	v_add_u32_e32 v1, v1, v80
	v_writelane_b32 v166, s20, 22
	v_add_u32_e32 v6, 0xc0, v80
	v_lshl_add_u32 v95, v1, 2, 0
	v_lshrrev_b32_e32 v1, 5, v2
	v_lshrrev_b32_e32 v2, 5, v5
	s_mul_i32 s4, s6, s8
	v_writelane_b32 v166, s3, 23
	s_add_i32 s2, s3, -1
	v_or_b32_e32 v7, 0x100, v80
	v_add_lshl_u32 v5, v2, v80, 2
	v_lshrrev_b32_e32 v2, 5, v6
	s_add_i32 s14, 0, 0x2100
	s_and_b32 s15, s20, 0x7ff
	v_writelane_b32 v166, s2, 24
	s_lshl_b64 s[2:3], s[4:5], 2
	v_add_u32_e32 v8, 0x140, v80
	v_add_lshl_u32 v10, v2, v80, 2
	v_lshrrev_b32_e32 v2, 5, v7
	s_add_u32 s7, s22, s2
	s_mul_i32 s4, s9, s34
	v_or_b32_e32 v9, 0x180, v80
	v_add_lshl_u32 v11, v2, v80, 2
	v_lshrrev_b32_e32 v2, 5, v8
	s_addc_u32 s12, s23, s3
	s_lshl_b64 s[2:3], s[4:5], 2
	s_mul_i32 s4, s6, s54
	v_writelane_b32 v166, s48, 25
	v_add_u32_e32 v14, 0x1c0, v80
	v_add_lshl_u32 v12, v2, v80, 2
	v_lshrrev_b32_e32 v2, 5, v9
	v_writelane_b32 v166, s49, 26
	v_or_b32_e32 v15, 0x200, v80
	v_add_lshl_u32 v13, v2, v80, 2
	v_lshrrev_b32_e32 v2, 5, v14
	v_writelane_b32 v166, s50, 27
	v_add_u32_e32 v16, 0x240, v80
	v_add_lshl_u32 v14, v2, v80, 2
	v_lshrrev_b32_e32 v2, 5, v15
	s_add_u32 s8, s7, s2
	v_writelane_b32 v166, s51, 28
	s_load_dword s0, s[0:1], 0x84
	v_or_b32_e32 v17, 0x280, v80
	v_add_lshl_u32 v15, v2, v80, 2
	v_lshrrev_b32_e32 v2, 5, v16
	s_addc_u32 s9, s12, s3
	s_lshl_b64 s[2:3], s[4:5], 2
	v_writelane_b32 v166, s52, 29
	v_add_u32_e32 v18, 0x2c0, v80
	v_add_lshl_u32 v16, v2, v80, 2
	v_lshrrev_b32_e32 v2, 5, v17
	s_add_u32 s7, s26, s2
	v_writelane_b32 v166, s53, 30
	s_mul_i32 s4, s55, s34
	v_or_b32_e32 v91, 0x300, v80
	v_add_lshl_u32 v17, v2, v80, 2
	v_lshrrev_b32_e32 v2, 5, v18
	s_addc_u32 s13, s27, s3
	v_writelane_b32 v166, s54, 31
	s_lshl_b64 s[2:3], s[4:5], 2
	v_add_u32_e32 v22, 0x340, v80
	v_add_lshl_u32 v18, v2, v80, 2
	v_lshrrev_b32_e32 v2, 5, v91
	v_writelane_b32 v166, s55, 32
	s_add_u32 s12, s7, s2
	v_add_lshl_u32 v19, v2, v80, 2
	v_lshrrev_b32_e32 v2, 5, v22
	s_mul_i32 s4, s6, s10
	s_addc_u32 s13, s13, s3
	s_waitcnt lgkmcnt(0)
	v_writelane_b32 v166, s0, 33
	v_add_lshl_u32 v28, v2, v80, 2
	v_and_b32_e32 v2, 64, v0
	s_lshl_b64 s[0:1], s[4:5], 2
	v_add_u32_e32 v6, v20, v2
	s_add_u32 s2, s28, s0
	s_mul_i32 s4, s11, s34
	v_lshlrev_b32_e32 v7, 4, v6
	v_bfe_u32 v6, v6, 1, 27
	s_addc_u32 s3, s29, s1
	s_lshl_b64 s[0:1], s[4:5], 2
	v_add_lshl_u32 v29, v6, v7, 2
	s_add_u32 s6, s2, s0
	v_and_b32_e32 v6, 15, v20
	s_addc_u32 s7, s3, s1
	v_cmp_lt_u32_e64 s[2:3], 1, v6
	v_cmp_eq_u32_e64 s[0:1], 0, v6
	v_or_b32_e32 v2, 63, v2
	v_writelane_b32 v166, s2, 34
	s_cmp_eq_u32 s15, 0
	v_mov_b32_e32 v3, 0
	v_writelane_b32 v166, s3, 35
	v_cmp_lt_u32_e64 s[2:3], 3, v6
	v_lshlrev_b32_e32 v8, 2, v4
	v_mov_b32_e32 v9, v3
	v_writelane_b32 v166, s2, 36
	v_or_b32_e32 v94, 0x380, v80
	v_add_lshl_u32 v1, v1, v80, 2
	v_writelane_b32 v166, s3, 37
	v_cmp_lt_u32_e64 s[2:3], 7, v6
	v_and_b32_e32 v6, 16, v20
	v_add_u32_e32 v96, 0x3c0, v80
	v_writelane_b32 v166, s2, 38
	v_add_u32_e32 v97, 0, v1
	v_add_u32_e32 v98, s14, v1
	v_writelane_b32 v166, s3, 39
	v_cmp_ne_u32_e64 s[2:3], 0, v6
	v_lshrrev_b32_e32 v1, 3, v0
	v_and_b32_e32 v1, 8, v1
	v_writelane_b32 v166, s2, 40
	v_cmp_lt_u32_e64 s[20:21], 63, v0
	v_cmp_eq_u32_e64 s[22:23], 0, v0
	v_writelane_b32 v166, s3, 41
	v_cmp_eq_u32_e64 s[2:3], v2, v0
	v_and_b32_e32 v2, 1, v20
	v_lshl_add_u32 v130, v0, 3, 0
	v_writelane_b32 v166, s2, 42
	v_add_u32_e32 v99, 0, v5
	v_add_u32_e32 v100, s14, v5
	v_writelane_b32 v166, s3, 43
	v_cmp_eq_u32_e64 s[2:3], 0, v2
	v_lshlrev_b32_e32 v2, 2, v20
	v_lshl_add_u64 v[6:7], s[8:9], 0, v[2:3]
	v_writelane_b32 v166, s2, 44
	v_lshl_add_u64 v[22:23], v[6:7], 0, v[8:9]
	v_lshl_add_u64 v[6:7], s[12:13], 0, v[2:3]
	v_writelane_b32 v166, s3, 45
	s_cselect_b64 s[2:3], -1, 0
	v_writelane_b32 v166, s2, 46
	v_lshl_add_u64 v[24:25], v[6:7], 0, v[8:9]
	v_lshl_add_u64 v[6:7], s[6:7], 0, v[2:3]
	v_writelane_b32 v166, s3, 47
	v_cmp_lt_u32_e64 s[2:3], 31, v20
	v_lshl_add_u64 v[26:27], v[6:7], 0, v[8:9]
	v_add_u32_e32 v2, -1, v20
	v_writelane_b32 v166, s2, 48
	v_and_b32_e32 v6, 64, v20
	v_lshrrev_b32_e32 v7, 5, v94
	v_writelane_b32 v166, s3, 49
	v_cmp_gt_u32_e64 s[2:3], 2, v0
	v_lshrrev_b32_e32 v8, 5, v96
	v_cmp_lt_i32_e32 vcc, v2, v6
	v_writelane_b32 v166, s2, 50
	v_add_lshl_u32 v7, v7, v80, 2
	v_add_lshl_u32 v8, v8, v80, 2
	v_writelane_b32 v166, s3, 51
	v_cmp_gt_u32_e64 s[2:3], 64, v0
	v_cndmask_b32_e32 v0, v2, v20, vcc
	v_add_u32_e32 v101, 0, v10
	v_writelane_b32 v166, s2, 52
	v_add_u32_e32 v102, s14, v10
	v_add_u32_e32 v103, 0, v11
	v_writelane_b32 v166, s3, 53
	s_add_i32 s2, 0, 0x4210
	v_writelane_b32 v166, s2, 54
	v_add_u32_e32 v104, s14, v11
	v_add_u32_e32 v105, 0, v12
	;; [unrolled: 1-line block ×26, first 2 shown]
	v_lshlrev_b32_e32 v131, 2, v0
	v_cmp_eq_u32_e64 s[94:95], 0, v20
	v_lshlrev_b32_e32 v0, 2, v4
	s_mov_b32 s33, 0xc2fc0000
	s_mov_b32 s24, 0
	v_mov_b32_e32 v147, 0x3ecc95a3
	v_mov_b32_e32 v148, 0x7f800000
	;; [unrolled: 1-line block ×5, first 2 shown]
	v_writelane_b32 v166, s62, 55
                                        ; implicit-def: $vgpr1
	s_branch .LBB152_13
.LBB152_12:                             ;   in Loop: Header=BB152_13 Depth=1
	s_or_b64 exec, exec, s[6:7]
	v_readlane_b32 s2, v166, 3
	v_readlane_b32 s3, v166, 4
	s_add_u32 s2, s2, 0x2000
	s_addc_u32 s3, s3, 0
	v_writelane_b32 v166, s2, 3
	s_nop 1
	v_writelane_b32 v166, s3, 4
	s_nop 0
	v_readlane_b32 s30, v166, 58
	v_readlane_b32 s31, v166, 59
	s_add_u32 s30, s30, 0x2000
	s_addc_u32 s31, s31, 0
	s_add_u32 s64, s64, 0x2000
	s_addc_u32 s65, s65, 0
	s_add_u32 s66, s66, 0x2000
	s_addc_u32 s67, s67, 0
	s_add_i32 s24, s24, 1
	v_readlane_b32 s2, v166, 23
	s_cmp_lg_u32 s24, s2
	s_cbranch_scc0 .LBB152_302
.LBB152_13:                             ; =>This Loop Header: Depth=1
                                        ;     Child Loop BB152_110 Depth 2
	s_lshl_b32 s6, s24, 11
	s_mov_b32 s2, s6
	v_readlane_b32 s4, v166, 22
	v_writelane_b32 v166, s2, 56
	s_waitcnt lgkmcnt(1)
	v_lshlrev_b32_e32 v2, 2, v20
	s_sub_i32 s10, s4, s6
	v_writelane_b32 v166, s3, 57
	v_writelane_b32 v166, s30, 58
	s_waitcnt lgkmcnt(0)
	v_mov_b32_e32 v1, v3
	v_cmp_gt_u32_e64 s[96:97], s10, v80
	v_lshl_add_u64 v[4:5], s[30:31], 0, v[2:3]
	v_writelane_b32 v166, s31, 59
	v_lshl_add_u64 v[4:5], v[4:5], 0, v[0:1]
	v_mov_b32_e32 v1, 0
	s_barrier
	s_and_saveexec_b64 s[6:7], s[96:97]
	s_cbranch_execz .LBB152_15
; %bb.14:                               ;   in Loop: Header=BB152_13 Depth=1
	global_load_dword v1, v[4:5], off
.LBB152_15:                             ;   in Loop: Header=BB152_13 Depth=1
	s_or_b64 exec, exec, s[6:7]
	v_add_u32_e32 v6, 64, v80
	v_cmp_gt_u32_e64 s[98:99], s10, v6
	v_mov_b32_e32 v6, 0
	v_mov_b32_e32 v7, 0
	s_and_saveexec_b64 s[6:7], s[98:99]
	s_cbranch_execz .LBB152_17
; %bb.16:                               ;   in Loop: Header=BB152_13 Depth=1
	global_load_dword v7, v[4:5], off offset:256
.LBB152_17:                             ;   in Loop: Header=BB152_13 Depth=1
	s_or_b64 exec, exec, s[6:7]
	v_or_b32_e32 v8, 0x80, v80
	v_cmp_gt_u32_e64 s[2:3], s10, v8
	s_and_saveexec_b64 s[6:7], s[2:3]
	s_cbranch_execz .LBB152_19
; %bb.18:                               ;   in Loop: Header=BB152_13 Depth=1
	global_load_dword v6, v[4:5], off offset:512
.LBB152_19:                             ;   in Loop: Header=BB152_13 Depth=1
	s_or_b64 exec, exec, s[6:7]
	v_add_u32_e32 v8, 0xc0, v80
	v_cmp_gt_u32_e64 s[34:35], s10, v8
	v_mov_b32_e32 v8, 0
	v_mov_b32_e32 v9, 0
	s_and_saveexec_b64 s[6:7], s[34:35]
	s_cbranch_execz .LBB152_21
; %bb.20:                               ;   in Loop: Header=BB152_13 Depth=1
	global_load_dword v9, v[4:5], off offset:768
.LBB152_21:                             ;   in Loop: Header=BB152_13 Depth=1
	s_or_b64 exec, exec, s[6:7]
	v_or_b32_e32 v10, 0x100, v80
	v_cmp_gt_u32_e64 s[36:37], s10, v10
	s_and_saveexec_b64 s[6:7], s[36:37]
	s_cbranch_execz .LBB152_23
; %bb.22:                               ;   in Loop: Header=BB152_13 Depth=1
	global_load_dword v8, v[4:5], off offset:1024
.LBB152_23:                             ;   in Loop: Header=BB152_13 Depth=1
	;; [unrolled: 18-line block ×5, first 2 shown]
	s_or_b64 exec, exec, s[6:7]
	v_add_u32_e32 v16, 0x2c0, v80
	v_cmp_gt_u32_e64 s[50:51], s10, v16
	v_mov_b32_e32 v16, 0
	v_mov_b32_e32 v17, 0
	s_and_saveexec_b64 s[6:7], s[50:51]
	s_cbranch_execz .LBB152_37
; %bb.36:                               ;   in Loop: Header=BB152_13 Depth=1
	global_load_dword v17, v[4:5], off offset:2816
.LBB152_37:                             ;   in Loop: Header=BB152_13 Depth=1
	s_or_b64 exec, exec, s[6:7]
	v_cmp_gt_u32_e64 s[52:53], s10, v91
	s_and_saveexec_b64 s[6:7], s[52:53]
	s_cbranch_execz .LBB152_39
; %bb.38:                               ;   in Loop: Header=BB152_13 Depth=1
	global_load_dword v16, v[4:5], off offset:3072
.LBB152_39:                             ;   in Loop: Header=BB152_13 Depth=1
	s_or_b64 exec, exec, s[6:7]
	v_add_u32_e32 v18, 0x340, v80
	v_cmp_gt_u32_e64 s[54:55], s10, v18
	v_mov_b32_e32 v18, 0
	v_mov_b32_e32 v19, 0
	s_and_saveexec_b64 s[6:7], s[54:55]
	s_cbranch_execz .LBB152_41
; %bb.40:                               ;   in Loop: Header=BB152_13 Depth=1
	global_load_dword v19, v[4:5], off offset:3328
.LBB152_41:                             ;   in Loop: Header=BB152_13 Depth=1
	s_or_b64 exec, exec, s[6:7]
	v_cmp_gt_u32_e64 s[56:57], s10, v94
	s_and_saveexec_b64 s[6:7], s[56:57]
	s_cbranch_execz .LBB152_43
; %bb.42:                               ;   in Loop: Header=BB152_13 Depth=1
	global_load_dword v18, v[4:5], off offset:3584
.LBB152_43:                             ;   in Loop: Header=BB152_13 Depth=1
	s_or_b64 exec, exec, s[6:7]
	v_cmp_gt_u32_e64 s[58:59], s10, v96
	v_mov_b32_e32 v29, 0
	v_mov_b32_e32 v30, 0
	s_and_saveexec_b64 s[6:7], s[58:59]
	s_cbranch_execz .LBB152_45
; %bb.44:                               ;   in Loop: Header=BB152_13 Depth=1
	global_load_dword v30, v[4:5], off offset:3840
.LBB152_45:                             ;   in Loop: Header=BB152_13 Depth=1
	s_or_b64 exec, exec, s[6:7]
	s_waitcnt vmcnt(0)
	ds_write_b32 v95, v1
	ds_write_b32 v97, v7 offset:256
	ds_write_b32 v99, v6 offset:512
	;; [unrolled: 1-line block ×15, first 2 shown]
	; wave barrier
	ds_read2_b32 v[4:5], v127 offset1:1
	ds_read2_b32 v[6:7], v127 offset0:2 offset1:3
	ds_read2_b32 v[8:9], v127 offset0:4 offset1:5
	;; [unrolled: 1-line block ×7, first 2 shown]
	v_readlane_b32 s6, v166, 3
	v_readlane_b32 s7, v166, 4
	v_mov_b32_e32 v1, v3
	s_waitcnt lgkmcnt(0)
	v_lshl_add_u64 v[30:31], s[6:7], 0, v[2:3]
	v_lshl_add_u64 v[30:31], v[30:31], 0, v[0:1]
	s_barrier
	s_and_saveexec_b64 s[6:7], s[96:97]
	s_cbranch_execz .LBB152_47
; %bb.46:                               ;   in Loop: Header=BB152_13 Depth=1
	global_load_dword v29, v[30:31], off
.LBB152_47:                             ;   in Loop: Header=BB152_13 Depth=1
	s_or_b64 exec, exec, s[6:7]
	v_mov_b32_e32 v1, 0
	v_mov_b32_e32 v32, 0
	s_and_saveexec_b64 s[6:7], s[98:99]
	s_cbranch_execz .LBB152_49
; %bb.48:                               ;   in Loop: Header=BB152_13 Depth=1
	global_load_dword v32, v[30:31], off offset:256
.LBB152_49:                             ;   in Loop: Header=BB152_13 Depth=1
	s_or_b64 exec, exec, s[6:7]
	s_and_saveexec_b64 s[6:7], s[2:3]
	s_cbranch_execz .LBB152_51
; %bb.50:                               ;   in Loop: Header=BB152_13 Depth=1
	global_load_dword v1, v[30:31], off offset:512
.LBB152_51:                             ;   in Loop: Header=BB152_13 Depth=1
	s_or_b64 exec, exec, s[6:7]
	v_mov_b32_e32 v33, 0
	v_mov_b32_e32 v34, 0
	s_and_saveexec_b64 s[6:7], s[34:35]
	s_cbranch_execz .LBB152_53
; %bb.52:                               ;   in Loop: Header=BB152_13 Depth=1
	global_load_dword v34, v[30:31], off offset:768
.LBB152_53:                             ;   in Loop: Header=BB152_13 Depth=1
	s_or_b64 exec, exec, s[6:7]
	s_and_saveexec_b64 s[6:7], s[36:37]
	s_cbranch_execz .LBB152_55
; %bb.54:                               ;   in Loop: Header=BB152_13 Depth=1
	global_load_dword v33, v[30:31], off offset:1024
.LBB152_55:                             ;   in Loop: Header=BB152_13 Depth=1
	s_or_b64 exec, exec, s[6:7]
	v_mov_b32_e32 v35, 0
	v_mov_b32_e32 v36, 0
	s_and_saveexec_b64 s[6:7], s[38:39]
	s_cbranch_execz .LBB152_57
; %bb.56:                               ;   in Loop: Header=BB152_13 Depth=1
	global_load_dword v36, v[30:31], off offset:1280
.LBB152_57:                             ;   in Loop: Header=BB152_13 Depth=1
	s_or_b64 exec, exec, s[6:7]
	s_and_saveexec_b64 s[6:7], s[40:41]
	s_cbranch_execz .LBB152_59
; %bb.58:                               ;   in Loop: Header=BB152_13 Depth=1
	global_load_dword v35, v[30:31], off offset:1536
.LBB152_59:                             ;   in Loop: Header=BB152_13 Depth=1
	s_or_b64 exec, exec, s[6:7]
	v_mov_b32_e32 v37, 0
	v_mov_b32_e32 v38, 0
	s_and_saveexec_b64 s[6:7], s[42:43]
	s_cbranch_execz .LBB152_61
; %bb.60:                               ;   in Loop: Header=BB152_13 Depth=1
	global_load_dword v38, v[30:31], off offset:1792
.LBB152_61:                             ;   in Loop: Header=BB152_13 Depth=1
	s_or_b64 exec, exec, s[6:7]
	s_and_saveexec_b64 s[6:7], s[44:45]
	s_cbranch_execz .LBB152_63
; %bb.62:                               ;   in Loop: Header=BB152_13 Depth=1
	global_load_dword v37, v[30:31], off offset:2048
.LBB152_63:                             ;   in Loop: Header=BB152_13 Depth=1
	s_or_b64 exec, exec, s[6:7]
	v_mov_b32_e32 v39, 0
	v_mov_b32_e32 v40, 0
	s_and_saveexec_b64 s[6:7], s[46:47]
	s_cbranch_execz .LBB152_65
; %bb.64:                               ;   in Loop: Header=BB152_13 Depth=1
	global_load_dword v40, v[30:31], off offset:2304
.LBB152_65:                             ;   in Loop: Header=BB152_13 Depth=1
	s_or_b64 exec, exec, s[6:7]
	s_and_saveexec_b64 s[6:7], s[48:49]
	s_cbranch_execz .LBB152_67
; %bb.66:                               ;   in Loop: Header=BB152_13 Depth=1
	global_load_dword v39, v[30:31], off offset:2560
.LBB152_67:                             ;   in Loop: Header=BB152_13 Depth=1
	s_or_b64 exec, exec, s[6:7]
	v_mov_b32_e32 v41, 0
	v_mov_b32_e32 v42, 0
	s_and_saveexec_b64 s[6:7], s[50:51]
	s_cbranch_execz .LBB152_69
; %bb.68:                               ;   in Loop: Header=BB152_13 Depth=1
	global_load_dword v42, v[30:31], off offset:2816
.LBB152_69:                             ;   in Loop: Header=BB152_13 Depth=1
	s_or_b64 exec, exec, s[6:7]
	s_and_saveexec_b64 s[6:7], s[52:53]
	s_cbranch_execz .LBB152_71
; %bb.70:                               ;   in Loop: Header=BB152_13 Depth=1
	global_load_dword v41, v[30:31], off offset:3072
.LBB152_71:                             ;   in Loop: Header=BB152_13 Depth=1
	s_or_b64 exec, exec, s[6:7]
	v_mov_b32_e32 v43, 0
	v_mov_b32_e32 v44, 0
	s_and_saveexec_b64 s[6:7], s[54:55]
	s_cbranch_execnz .LBB152_254
; %bb.72:                               ;   in Loop: Header=BB152_13 Depth=1
	s_or_b64 exec, exec, s[6:7]
	s_and_saveexec_b64 s[6:7], s[56:57]
	s_cbranch_execnz .LBB152_255
.LBB152_73:                             ;   in Loop: Header=BB152_13 Depth=1
	s_or_b64 exec, exec, s[6:7]
	v_mov_b32_e32 v45, 0
	s_and_saveexec_b64 s[6:7], s[58:59]
	s_cbranch_execz .LBB152_75
.LBB152_74:                             ;   in Loop: Header=BB152_13 Depth=1
	global_load_dword v45, v[30:31], off offset:3840
.LBB152_75:                             ;   in Loop: Header=BB152_13 Depth=1
	s_or_b64 exec, exec, s[6:7]
	s_waitcnt vmcnt(0)
	ds_write_b32 v95, v29
	ds_write_b32 v97, v32 offset:256
	ds_write_b32 v99, v1 offset:512
	;; [unrolled: 1-line block ×15, first 2 shown]
	; wave barrier
	ds_read2_b32 v[44:45], v127 offset1:1
	ds_read2_b32 v[42:43], v127 offset0:2 offset1:3
	ds_read2_b32 v[40:41], v127 offset0:4 offset1:5
	;; [unrolled: 1-line block ×7, first 2 shown]
	s_waitcnt lgkmcnt(7)
	v_add_f32_e32 v151, s62, v44
	s_mov_b32 s4, 0x41a00000
	v_readlane_b32 s6, v166, 17
	v_cmp_ge_f32_e32 vcc, s4, v151
	v_readlane_b32 s7, v166, 18
	s_and_b64 s[8:9], s[6:7], vcc
	s_and_saveexec_b64 s[6:7], s[8:9]
	s_cbranch_execz .LBB152_77
; %bb.76:                               ;   in Loop: Header=BB152_13 Depth=1
	v_mul_f32_e32 v1, 0x3fb8aa3b, v151
	v_rndne_f32_e32 v29, v1
	s_mov_b32 s4, 0x3fb8aa3b
	v_sub_f32_e32 v44, v1, v29
	v_fma_f32 v1, v151, s4, -v1
	v_fmac_f32_e32 v1, 0x32a5705f, v151
	v_add_f32_e32 v1, v44, v1
	v_cvt_i32_f32_e32 v29, v29
	v_exp_f32_e32 v1, v1
	s_mov_b32 s4, 0xc2ce8ed0
	v_cmp_ngt_f32_e32 vcc, s4, v151
	s_mov_b32 s4, 0x42b17218
	v_ldexp_f32 v1, v1, v29
	v_cndmask_b32_e32 v1, 0, v1, vcc
	v_cmp_nlt_f32_e32 vcc, s4, v151
	s_mov_b32 s4, 0x3f2aaaab
	s_nop 0
	v_cndmask_b32_e32 v60, v148, v1, vcc
	v_add_f32_e32 v1, 1.0, v60
	v_add_f32_e32 v29, -1.0, v1
	v_sub_f32_e32 v44, v29, v1
	v_add_f32_e32 v44, 1.0, v44
	v_sub_f32_e32 v29, v60, v29
	v_add_f32_e32 v29, v29, v44
	v_frexp_mant_f32_e32 v44, v1
	v_cvt_f64_f32_e32 v[46:47], v1
	v_frexp_exp_i32_f64_e32 v46, v[46:47]
	v_cmp_gt_f32_e32 vcc, s4, v44
	s_mov_b32 s4, 0x3f317218
	s_nop 0
	v_subbrev_co_u32_e32 v44, vcc, 0, v46, vcc
	v_sub_u32_e32 v46, 0, v44
	v_ldexp_f32 v1, v1, v46
	v_ldexp_f32 v29, v29, v46
	v_add_f32_e32 v46, -1.0, v1
	v_add_f32_e32 v47, 1.0, v46
	v_sub_f32_e32 v47, v1, v47
	v_add_f32_e32 v48, v29, v47
	v_add_f32_e32 v47, 1.0, v1
	v_add_f32_e32 v49, -1.0, v47
	v_sub_f32_e32 v1, v1, v49
	v_add_f32_e32 v1, v29, v1
	v_add_f32_e32 v29, v47, v1
	v_rcp_f32_e32 v54, v29
	v_sub_f32_e32 v47, v47, v29
	v_add_f32_e32 v1, v1, v47
	v_add_f32_e32 v47, v46, v48
	v_sub_f32_e32 v46, v46, v47
	v_mul_f32_e32 v56, v47, v54
	v_add_f32_e32 v55, v48, v46
	v_mul_f32_e32 v48, v29, v56
	v_fma_f32 v50, v56, v29, -v48
	v_fmac_f32_e32 v50, v56, v1
	v_add_f32_e32 v46, v48, v50
	v_sub_f32_e32 v49, v47, v46
	v_pk_add_f32 v[52:53], v[46:47], v[48:49] neg_lo:[0,1] neg_hi:[0,1]
	v_mov_b32_e32 v51, v46
	v_pk_add_f32 v[46:47], v[52:53], v[50:51] neg_lo:[0,1] neg_hi:[0,1]
	s_nop 0
	v_add_f32_e32 v47, v55, v47
	v_add_f32_e32 v46, v46, v47
	v_add_f32_e32 v47, v49, v46
	v_mul_f32_e32 v55, v54, v47
	v_mul_f32_e32 v48, v29, v55
	v_fma_f32 v50, v55, v29, -v48
	v_fmac_f32_e32 v50, v55, v1
	v_sub_f32_e32 v1, v49, v47
	v_add_f32_e32 v1, v46, v1
	v_add_f32_e32 v46, v48, v50
	v_sub_f32_e32 v49, v47, v46
	v_pk_add_f32 v[52:53], v[46:47], v[48:49] neg_lo:[0,1] neg_hi:[0,1]
	v_mov_b32_e32 v51, v46
	v_pk_add_f32 v[46:47], v[52:53], v[50:51] neg_lo:[0,1] neg_hi:[0,1]
	s_nop 0
	v_add_f32_e32 v1, v1, v47
	v_add_f32_e32 v1, v46, v1
	v_add_f32_e32 v47, v56, v55
	v_add_f32_e32 v1, v49, v1
	v_sub_f32_e32 v29, v47, v56
	v_mul_f32_e32 v1, v54, v1
	v_sub_f32_e32 v29, v55, v29
	v_add_f32_e32 v1, v29, v1
	v_add_f32_e32 v48, v47, v1
	v_cvt_f32_i32_e32 v46, v44
	v_mul_f32_e32 v50, v48, v48
	v_fmamk_f32 v29, v50, 0x3e9b6dac, v147
	v_fmaak_f32 v29, v50, v29, 0x3f2aaada
	v_sub_f32_e32 v44, v48, v47
	v_mul_f32_e32 v47, v48, v50
	v_pk_mul_f32 v[50:51], v[46:47], v[28:29]
	v_ldexp_f32 v49, v48, 1
	v_fma_f32 v48, v46, s4, -v50
	v_fmac_f32_e32 v48, 0xb102e308, v46
	v_pk_add_f32 v[46:47], v[50:51], v[48:49]
	v_sub_f32_e32 v1, v1, v44
	v_sub_f32_e32 v29, v47, v49
	v_ldexp_f32 v1, v1, 1
	v_sub_f32_e32 v29, v51, v29
	v_add_f32_e32 v53, v1, v29
	v_mov_b32_e32 v52, v50
	v_pk_add_f32 v[50:51], v[46:47], v[50:51] neg_lo:[0,1] neg_hi:[0,1]
	v_pk_add_f32 v[54:55], v[46:47], v[52:53]
	v_mov_b32_e32 v49, v46
	v_mov_b32_e32 v51, v55
	v_pk_add_f32 v[56:57], v[48:49], v[50:51] neg_lo:[0,1] neg_hi:[0,1]
	v_pk_add_f32 v[48:49], v[48:49], v[50:51]
	s_mov_b32 s4, 0x7f800000
	v_mov_b32_e32 v44, v49
	v_pk_add_f32 v[50:51], v[44:45], v[46:47] neg_lo:[0,1] neg_hi:[0,1]
	v_mov_b32_e32 v48, v55
	v_mov_b32_e32 v1, v50
	v_pk_add_f32 v[58:59], v[54:55], v[0:1] neg_lo:[0,1] neg_hi:[0,1]
	v_mov_b32_e32 v54, v47
	v_mov_b32_e32 v55, v50
	;; [unrolled: 1-line block ×3, first 2 shown]
	v_pk_add_f32 v[48:49], v[48:49], v[54:55] neg_lo:[0,1] neg_hi:[0,1]
	v_mov_b32_e32 v50, v53
	v_mov_b32_e32 v51, v46
	v_pk_add_f32 v[46:47], v[50:51], v[48:49] neg_lo:[0,1] neg_hi:[0,1]
	v_mov_b32_e32 v58, v56
	v_pk_add_f32 v[48:49], v[58:59], v[46:47]
	v_cmp_eq_f32_e32 vcc, s4, v60
	v_mov_b32_e32 v50, v49
	v_pk_add_f32 v[50:51], v[48:49], v[50:51]
	s_mov_b32 s4, 0x33800000
	v_pk_add_f32 v[52:53], v[44:45], v[50:51]
	v_mov_b32_e32 v47, v50
	v_mov_b32_e32 v49, v52
	v_pk_add_f32 v[54:55], v[48:49], v[56:57] neg_lo:[0,1] neg_hi:[0,1]
	v_cmp_gt_f32_e64 s[60:61], s4, v60
	v_sub_f32_e32 v1, v48, v54
	v_pk_add_f32 v[46:47], v[46:47], v[54:55] neg_lo:[0,1] neg_hi:[0,1]
	v_sub_f32_e32 v1, v56, v1
	v_add_f32_e32 v1, v46, v1
	v_add_f32_e32 v1, v1, v47
	;; [unrolled: 1-line block ×3, first 2 shown]
	s_or_b64 vcc, s[60:61], vcc
	v_cndmask_b32_e32 v151, v1, v60, vcc
.LBB152_77:                             ;   in Loop: Header=BB152_13 Depth=1
	s_or_b64 exec, exec, s[6:7]
	v_add_f32_e32 v152, s62, v45
	s_mov_b32 s4, 0x41a00000
	v_readlane_b32 s6, v166, 17
	v_cmp_ge_f32_e32 vcc, s4, v152
	v_readlane_b32 s7, v166, 18
	s_and_b64 s[8:9], s[6:7], vcc
	s_and_saveexec_b64 s[6:7], s[8:9]
	s_cbranch_execz .LBB152_79
; %bb.78:                               ;   in Loop: Header=BB152_13 Depth=1
	v_mul_f32_e32 v1, 0x3fb8aa3b, v152
	v_rndne_f32_e32 v29, v1
	s_mov_b32 s4, 0x3fb8aa3b
	v_sub_f32_e32 v44, v1, v29
	v_fma_f32 v1, v152, s4, -v1
	v_fmac_f32_e32 v1, 0x32a5705f, v152
	v_add_f32_e32 v1, v44, v1
	v_cvt_i32_f32_e32 v29, v29
	v_exp_f32_e32 v1, v1
	s_mov_b32 s4, 0xc2ce8ed0
	v_cmp_ngt_f32_e32 vcc, s4, v152
	s_mov_b32 s4, 0x42b17218
	v_ldexp_f32 v1, v1, v29
	v_cndmask_b32_e32 v1, 0, v1, vcc
	v_cmp_nlt_f32_e32 vcc, s4, v152
	s_mov_b32 s4, 0x3f2aaaab
	s_nop 0
	v_cndmask_b32_e32 v60, v148, v1, vcc
	v_add_f32_e32 v1, 1.0, v60
	v_add_f32_e32 v29, -1.0, v1
	v_sub_f32_e32 v44, v29, v1
	v_add_f32_e32 v44, 1.0, v44
	v_sub_f32_e32 v29, v60, v29
	v_add_f32_e32 v29, v29, v44
	v_frexp_mant_f32_e32 v46, v1
	v_cvt_f64_f32_e32 v[44:45], v1
	v_frexp_exp_i32_f64_e32 v44, v[44:45]
	v_cmp_gt_f32_e32 vcc, s4, v46
	s_mov_b32 s4, 0x3f317218
	s_nop 0
	v_subbrev_co_u32_e32 v52, vcc, 0, v44, vcc
	v_sub_u32_e32 v44, 0, v52
	v_ldexp_f32 v1, v1, v44
	v_ldexp_f32 v29, v29, v44
	v_add_f32_e32 v44, -1.0, v1
	v_add_f32_e32 v45, 1.0, v44
	v_sub_f32_e32 v45, v1, v45
	v_add_f32_e32 v46, v29, v45
	v_add_f32_e32 v45, 1.0, v1
	v_add_f32_e32 v47, -1.0, v45
	v_sub_f32_e32 v1, v1, v47
	v_add_f32_e32 v1, v29, v1
	v_add_f32_e32 v29, v45, v1
	v_rcp_f32_e32 v53, v29
	v_sub_f32_e32 v45, v45, v29
	v_add_f32_e32 v1, v1, v45
	v_add_f32_e32 v45, v44, v46
	v_sub_f32_e32 v44, v44, v45
	v_mul_f32_e32 v55, v45, v53
	v_add_f32_e32 v54, v46, v44
	v_mul_f32_e32 v46, v29, v55
	v_fma_f32 v48, v55, v29, -v46
	v_fmac_f32_e32 v48, v55, v1
	v_add_f32_e32 v44, v46, v48
	v_sub_f32_e32 v47, v45, v44
	v_pk_add_f32 v[50:51], v[44:45], v[46:47] neg_lo:[0,1] neg_hi:[0,1]
	v_mov_b32_e32 v49, v44
	v_pk_add_f32 v[44:45], v[50:51], v[48:49] neg_lo:[0,1] neg_hi:[0,1]
	s_nop 0
	v_add_f32_e32 v45, v54, v45
	v_add_f32_e32 v44, v44, v45
	;; [unrolled: 1-line block ×3, first 2 shown]
	v_mul_f32_e32 v54, v53, v45
	v_mul_f32_e32 v46, v29, v54
	v_fma_f32 v48, v54, v29, -v46
	v_fmac_f32_e32 v48, v54, v1
	v_sub_f32_e32 v1, v47, v45
	v_add_f32_e32 v1, v44, v1
	v_add_f32_e32 v44, v46, v48
	v_sub_f32_e32 v47, v45, v44
	v_pk_add_f32 v[50:51], v[44:45], v[46:47] neg_lo:[0,1] neg_hi:[0,1]
	v_mov_b32_e32 v49, v44
	v_pk_add_f32 v[44:45], v[50:51], v[48:49] neg_lo:[0,1] neg_hi:[0,1]
	s_nop 0
	v_add_f32_e32 v1, v1, v45
	v_add_f32_e32 v1, v44, v1
	;; [unrolled: 1-line block ×4, first 2 shown]
	v_sub_f32_e32 v29, v45, v55
	v_mul_f32_e32 v1, v53, v1
	v_sub_f32_e32 v29, v54, v29
	v_add_f32_e32 v1, v29, v1
	v_add_f32_e32 v46, v45, v1
	v_cvt_f32_i32_e32 v44, v52
	v_mul_f32_e32 v48, v46, v46
	v_fmamk_f32 v29, v48, 0x3e9b6dac, v147
	v_sub_f32_e32 v45, v46, v45
	v_fmaak_f32 v29, v48, v29, 0x3f2aaada
	v_sub_f32_e32 v1, v1, v45
	v_mul_f32_e32 v45, v46, v48
	v_pk_mul_f32 v[48:49], v[44:45], v[28:29]
	v_ldexp_f32 v47, v46, 1
	v_fma_f32 v46, v44, s4, -v48
	v_fmac_f32_e32 v46, 0xb102e308, v44
	v_pk_add_f32 v[44:45], v[48:49], v[46:47]
	v_ldexp_f32 v1, v1, 1
	v_sub_f32_e32 v29, v45, v47
	v_sub_f32_e32 v29, v49, v29
	v_add_f32_e32 v51, v1, v29
	v_mov_b32_e32 v50, v48
	v_pk_add_f32 v[48:49], v[44:45], v[48:49] neg_lo:[0,1] neg_hi:[0,1]
	v_pk_add_f32 v[52:53], v[44:45], v[50:51]
	v_mov_b32_e32 v47, v44
	v_mov_b32_e32 v49, v53
	v_pk_add_f32 v[54:55], v[46:47], v[48:49] neg_lo:[0,1] neg_hi:[0,1]
	v_pk_add_f32 v[46:47], v[46:47], v[48:49]
	v_mov_b32_e32 v50, v51
	v_mov_b32_e32 v48, v47
	v_pk_add_f32 v[56:57], v[48:49], v[44:45] neg_lo:[0,1] neg_hi:[0,1]
	v_mov_b32_e32 v46, v53
	v_mov_b32_e32 v1, v56
	v_pk_add_f32 v[58:59], v[52:53], v[0:1] neg_lo:[0,1] neg_hi:[0,1]
	v_mov_b32_e32 v52, v45
	v_mov_b32_e32 v53, v56
	;; [unrolled: 1-line block ×3, first 2 shown]
	v_pk_add_f32 v[46:47], v[46:47], v[52:53] neg_lo:[0,1] neg_hi:[0,1]
	v_mov_b32_e32 v51, v44
	v_pk_add_f32 v[44:45], v[50:51], v[46:47] neg_lo:[0,1] neg_hi:[0,1]
	v_mov_b32_e32 v58, v54
	v_pk_add_f32 v[46:47], v[58:59], v[44:45]
	s_mov_b32 s4, 0x7f800000
	v_mov_b32_e32 v50, v47
	v_pk_add_f32 v[50:51], v[46:47], v[50:51]
	v_cmp_eq_f32_e32 vcc, s4, v60
	v_pk_add_f32 v[48:49], v[48:49], v[50:51]
	v_mov_b32_e32 v45, v50
	v_mov_b32_e32 v47, v48
	v_pk_add_f32 v[52:53], v[46:47], v[54:55] neg_lo:[0,1] neg_hi:[0,1]
	s_mov_b32 s4, 0x33800000
	v_sub_f32_e32 v1, v46, v52
	v_pk_add_f32 v[44:45], v[44:45], v[52:53] neg_lo:[0,1] neg_hi:[0,1]
	v_sub_f32_e32 v1, v54, v1
	v_add_f32_e32 v1, v44, v1
	v_add_f32_e32 v1, v1, v45
	v_cmp_gt_f32_e64 s[60:61], s4, v60
	v_add_f32_e32 v1, v48, v1
	s_or_b64 vcc, s[60:61], vcc
	v_cndmask_b32_e32 v152, v1, v60, vcc
.LBB152_79:                             ;   in Loop: Header=BB152_13 Depth=1
	s_or_b64 exec, exec, s[6:7]
	s_waitcnt lgkmcnt(6)
	v_add_f32_e32 v153, s62, v42
	s_mov_b32 s4, 0x41a00000
	v_readlane_b32 s6, v166, 17
	v_cmp_ge_f32_e32 vcc, s4, v153
	v_readlane_b32 s7, v166, 18
	s_and_b64 s[8:9], s[6:7], vcc
	s_and_saveexec_b64 s[6:7], s[8:9]
	s_cbranch_execz .LBB152_81
; %bb.80:                               ;   in Loop: Header=BB152_13 Depth=1
	v_mul_f32_e32 v1, 0x3fb8aa3b, v153
	v_rndne_f32_e32 v29, v1
	s_mov_b32 s4, 0x3fb8aa3b
	v_sub_f32_e32 v42, v1, v29
	v_fma_f32 v1, v153, s4, -v1
	v_fmac_f32_e32 v1, 0x32a5705f, v153
	v_add_f32_e32 v1, v42, v1
	v_cvt_i32_f32_e32 v29, v29
	v_exp_f32_e32 v1, v1
	s_mov_b32 s4, 0xc2ce8ed0
	v_cmp_ngt_f32_e32 vcc, s4, v153
	s_mov_b32 s4, 0x42b17218
	v_ldexp_f32 v1, v1, v29
	v_cndmask_b32_e32 v1, 0, v1, vcc
	v_cmp_nlt_f32_e32 vcc, s4, v153
	s_mov_b32 s4, 0x3f2aaaab
	s_nop 0
	v_cndmask_b32_e32 v58, v148, v1, vcc
	v_add_f32_e32 v1, 1.0, v58
	v_add_f32_e32 v29, -1.0, v1
	v_sub_f32_e32 v42, v29, v1
	v_add_f32_e32 v42, 1.0, v42
	v_sub_f32_e32 v29, v58, v29
	v_add_f32_e32 v29, v29, v42
	v_frexp_mant_f32_e32 v42, v1
	v_cvt_f64_f32_e32 v[44:45], v1
	v_frexp_exp_i32_f64_e32 v44, v[44:45]
	v_cmp_gt_f32_e32 vcc, s4, v42
	s_mov_b32 s4, 0x3f317218
	s_nop 0
	v_subbrev_co_u32_e32 v42, vcc, 0, v44, vcc
	v_sub_u32_e32 v44, 0, v42
	v_ldexp_f32 v1, v1, v44
	v_ldexp_f32 v29, v29, v44
	v_add_f32_e32 v44, -1.0, v1
	v_add_f32_e32 v45, 1.0, v44
	v_sub_f32_e32 v45, v1, v45
	v_add_f32_e32 v46, v29, v45
	v_add_f32_e32 v45, 1.0, v1
	v_add_f32_e32 v47, -1.0, v45
	v_sub_f32_e32 v1, v1, v47
	v_add_f32_e32 v1, v29, v1
	v_add_f32_e32 v29, v45, v1
	v_rcp_f32_e32 v52, v29
	v_sub_f32_e32 v45, v45, v29
	v_add_f32_e32 v1, v1, v45
	v_add_f32_e32 v45, v44, v46
	v_sub_f32_e32 v44, v44, v45
	v_mul_f32_e32 v54, v45, v52
	v_add_f32_e32 v53, v46, v44
	v_mul_f32_e32 v46, v29, v54
	v_fma_f32 v48, v54, v29, -v46
	v_fmac_f32_e32 v48, v54, v1
	v_add_f32_e32 v44, v46, v48
	v_sub_f32_e32 v47, v45, v44
	v_pk_add_f32 v[50:51], v[44:45], v[46:47] neg_lo:[0,1] neg_hi:[0,1]
	v_mov_b32_e32 v49, v44
	v_pk_add_f32 v[44:45], v[50:51], v[48:49] neg_lo:[0,1] neg_hi:[0,1]
	s_nop 0
	v_add_f32_e32 v45, v53, v45
	v_add_f32_e32 v44, v44, v45
	v_add_f32_e32 v45, v47, v44
	v_mul_f32_e32 v53, v52, v45
	v_mul_f32_e32 v46, v29, v53
	v_fma_f32 v48, v53, v29, -v46
	v_fmac_f32_e32 v48, v53, v1
	v_sub_f32_e32 v1, v47, v45
	v_add_f32_e32 v1, v44, v1
	v_add_f32_e32 v44, v46, v48
	v_sub_f32_e32 v47, v45, v44
	v_pk_add_f32 v[50:51], v[44:45], v[46:47] neg_lo:[0,1] neg_hi:[0,1]
	v_mov_b32_e32 v49, v44
	v_pk_add_f32 v[44:45], v[50:51], v[48:49] neg_lo:[0,1] neg_hi:[0,1]
	s_nop 0
	v_add_f32_e32 v1, v1, v45
	v_add_f32_e32 v1, v44, v1
	v_add_f32_e32 v45, v54, v53
	v_add_f32_e32 v1, v47, v1
	v_sub_f32_e32 v29, v45, v54
	v_mul_f32_e32 v1, v52, v1
	v_sub_f32_e32 v29, v53, v29
	v_add_f32_e32 v1, v29, v1
	v_add_f32_e32 v46, v45, v1
	v_cvt_f32_i32_e32 v44, v42
	v_mul_f32_e32 v48, v46, v46
	v_fmamk_f32 v29, v48, 0x3e9b6dac, v147
	v_fmaak_f32 v29, v48, v29, 0x3f2aaada
	v_sub_f32_e32 v42, v46, v45
	v_mul_f32_e32 v45, v46, v48
	v_pk_mul_f32 v[48:49], v[44:45], v[28:29]
	v_ldexp_f32 v47, v46, 1
	v_fma_f32 v46, v44, s4, -v48
	v_fmac_f32_e32 v46, 0xb102e308, v44
	v_pk_add_f32 v[44:45], v[48:49], v[46:47]
	v_sub_f32_e32 v1, v1, v42
	v_sub_f32_e32 v29, v45, v47
	v_ldexp_f32 v1, v1, 1
	v_sub_f32_e32 v29, v49, v29
	v_add_f32_e32 v51, v1, v29
	v_mov_b32_e32 v50, v48
	v_pk_add_f32 v[48:49], v[44:45], v[48:49] neg_lo:[0,1] neg_hi:[0,1]
	v_pk_add_f32 v[52:53], v[44:45], v[50:51]
	v_mov_b32_e32 v47, v44
	v_mov_b32_e32 v49, v53
	v_pk_add_f32 v[54:55], v[46:47], v[48:49] neg_lo:[0,1] neg_hi:[0,1]
	v_pk_add_f32 v[46:47], v[46:47], v[48:49]
	s_mov_b32 s4, 0x7f800000
	v_mov_b32_e32 v42, v47
	v_pk_add_f32 v[48:49], v[42:43], v[44:45] neg_lo:[0,1] neg_hi:[0,1]
	v_mov_b32_e32 v46, v53
	v_mov_b32_e32 v1, v48
	v_pk_add_f32 v[56:57], v[52:53], v[0:1] neg_lo:[0,1] neg_hi:[0,1]
	v_mov_b32_e32 v52, v45
	v_mov_b32_e32 v53, v48
	;; [unrolled: 1-line block ×3, first 2 shown]
	v_pk_add_f32 v[46:47], v[46:47], v[52:53] neg_lo:[0,1] neg_hi:[0,1]
	v_mov_b32_e32 v48, v51
	v_mov_b32_e32 v49, v44
	v_pk_add_f32 v[44:45], v[48:49], v[46:47] neg_lo:[0,1] neg_hi:[0,1]
	v_mov_b32_e32 v56, v54
	v_pk_add_f32 v[46:47], v[56:57], v[44:45]
	v_cmp_eq_f32_e32 vcc, s4, v58
	v_mov_b32_e32 v48, v47
	v_pk_add_f32 v[48:49], v[46:47], v[48:49]
	s_mov_b32 s4, 0x33800000
	v_pk_add_f32 v[50:51], v[42:43], v[48:49]
	v_mov_b32_e32 v45, v48
	v_mov_b32_e32 v47, v50
	v_pk_add_f32 v[52:53], v[46:47], v[54:55] neg_lo:[0,1] neg_hi:[0,1]
	v_cmp_gt_f32_e64 s[60:61], s4, v58
	v_sub_f32_e32 v1, v46, v52
	v_pk_add_f32 v[44:45], v[44:45], v[52:53] neg_lo:[0,1] neg_hi:[0,1]
	v_sub_f32_e32 v1, v54, v1
	v_add_f32_e32 v1, v44, v1
	v_add_f32_e32 v1, v1, v45
	;; [unrolled: 1-line block ×3, first 2 shown]
	s_or_b64 vcc, s[60:61], vcc
	v_cndmask_b32_e32 v153, v1, v58, vcc
.LBB152_81:                             ;   in Loop: Header=BB152_13 Depth=1
	s_or_b64 exec, exec, s[6:7]
	v_add_f32_e32 v154, s62, v43
	s_mov_b32 s4, 0x41a00000
	v_readlane_b32 s6, v166, 17
	v_cmp_ge_f32_e32 vcc, s4, v154
	v_readlane_b32 s7, v166, 18
	s_and_b64 s[8:9], s[6:7], vcc
	s_and_saveexec_b64 s[6:7], s[8:9]
	s_cbranch_execz .LBB152_83
; %bb.82:                               ;   in Loop: Header=BB152_13 Depth=1
	v_mul_f32_e32 v1, 0x3fb8aa3b, v154
	v_rndne_f32_e32 v29, v1
	s_mov_b32 s4, 0x3fb8aa3b
	v_sub_f32_e32 v42, v1, v29
	v_fma_f32 v1, v154, s4, -v1
	v_fmac_f32_e32 v1, 0x32a5705f, v154
	v_add_f32_e32 v1, v42, v1
	v_cvt_i32_f32_e32 v29, v29
	v_exp_f32_e32 v1, v1
	s_mov_b32 s4, 0xc2ce8ed0
	v_cmp_ngt_f32_e32 vcc, s4, v154
	s_mov_b32 s4, 0x42b17218
	v_ldexp_f32 v1, v1, v29
	v_cndmask_b32_e32 v1, 0, v1, vcc
	v_cmp_nlt_f32_e32 vcc, s4, v154
	s_mov_b32 s4, 0x3f2aaaab
	s_nop 0
	v_cndmask_b32_e32 v58, v148, v1, vcc
	v_add_f32_e32 v1, 1.0, v58
	v_add_f32_e32 v29, -1.0, v1
	v_sub_f32_e32 v42, v29, v1
	v_add_f32_e32 v42, 1.0, v42
	v_sub_f32_e32 v29, v58, v29
	v_add_f32_e32 v29, v29, v42
	v_frexp_mant_f32_e32 v44, v1
	v_cvt_f64_f32_e32 v[42:43], v1
	v_frexp_exp_i32_f64_e32 v42, v[42:43]
	v_cmp_gt_f32_e32 vcc, s4, v44
	s_mov_b32 s4, 0x3f317218
	s_nop 0
	v_subbrev_co_u32_e32 v50, vcc, 0, v42, vcc
	v_sub_u32_e32 v42, 0, v50
	v_ldexp_f32 v1, v1, v42
	v_ldexp_f32 v29, v29, v42
	v_add_f32_e32 v42, -1.0, v1
	v_add_f32_e32 v43, 1.0, v42
	v_sub_f32_e32 v43, v1, v43
	v_add_f32_e32 v44, v29, v43
	v_add_f32_e32 v43, 1.0, v1
	v_add_f32_e32 v45, -1.0, v43
	v_sub_f32_e32 v1, v1, v45
	v_add_f32_e32 v1, v29, v1
	v_add_f32_e32 v29, v43, v1
	v_rcp_f32_e32 v51, v29
	v_sub_f32_e32 v43, v43, v29
	v_add_f32_e32 v1, v1, v43
	v_add_f32_e32 v43, v42, v44
	v_sub_f32_e32 v42, v42, v43
	v_mul_f32_e32 v53, v43, v51
	v_add_f32_e32 v52, v44, v42
	v_mul_f32_e32 v44, v29, v53
	v_fma_f32 v46, v53, v29, -v44
	v_fmac_f32_e32 v46, v53, v1
	v_add_f32_e32 v42, v44, v46
	v_sub_f32_e32 v45, v43, v42
	v_pk_add_f32 v[48:49], v[42:43], v[44:45] neg_lo:[0,1] neg_hi:[0,1]
	v_mov_b32_e32 v47, v42
	v_pk_add_f32 v[42:43], v[48:49], v[46:47] neg_lo:[0,1] neg_hi:[0,1]
	s_nop 0
	v_add_f32_e32 v43, v52, v43
	v_add_f32_e32 v42, v42, v43
	;; [unrolled: 1-line block ×3, first 2 shown]
	v_mul_f32_e32 v52, v51, v43
	v_mul_f32_e32 v44, v29, v52
	v_fma_f32 v46, v52, v29, -v44
	v_fmac_f32_e32 v46, v52, v1
	v_sub_f32_e32 v1, v45, v43
	v_add_f32_e32 v1, v42, v1
	v_add_f32_e32 v42, v44, v46
	v_sub_f32_e32 v45, v43, v42
	v_pk_add_f32 v[48:49], v[42:43], v[44:45] neg_lo:[0,1] neg_hi:[0,1]
	v_mov_b32_e32 v47, v42
	v_pk_add_f32 v[42:43], v[48:49], v[46:47] neg_lo:[0,1] neg_hi:[0,1]
	s_nop 0
	v_add_f32_e32 v1, v1, v43
	v_add_f32_e32 v1, v42, v1
	;; [unrolled: 1-line block ×4, first 2 shown]
	v_sub_f32_e32 v29, v43, v53
	v_mul_f32_e32 v1, v51, v1
	v_sub_f32_e32 v29, v52, v29
	v_add_f32_e32 v1, v29, v1
	v_add_f32_e32 v44, v43, v1
	v_cvt_f32_i32_e32 v42, v50
	v_mul_f32_e32 v46, v44, v44
	v_fmamk_f32 v29, v46, 0x3e9b6dac, v147
	v_sub_f32_e32 v43, v44, v43
	v_fmaak_f32 v29, v46, v29, 0x3f2aaada
	v_sub_f32_e32 v1, v1, v43
	v_mul_f32_e32 v43, v44, v46
	v_pk_mul_f32 v[46:47], v[42:43], v[28:29]
	v_ldexp_f32 v45, v44, 1
	v_fma_f32 v44, v42, s4, -v46
	v_fmac_f32_e32 v44, 0xb102e308, v42
	v_pk_add_f32 v[42:43], v[46:47], v[44:45]
	v_ldexp_f32 v1, v1, 1
	v_sub_f32_e32 v29, v43, v45
	v_sub_f32_e32 v29, v47, v29
	v_add_f32_e32 v49, v1, v29
	v_mov_b32_e32 v48, v46
	v_pk_add_f32 v[46:47], v[42:43], v[46:47] neg_lo:[0,1] neg_hi:[0,1]
	v_pk_add_f32 v[50:51], v[42:43], v[48:49]
	v_mov_b32_e32 v45, v42
	v_mov_b32_e32 v47, v51
	v_pk_add_f32 v[52:53], v[44:45], v[46:47] neg_lo:[0,1] neg_hi:[0,1]
	v_pk_add_f32 v[44:45], v[44:45], v[46:47]
	v_mov_b32_e32 v48, v49
	v_mov_b32_e32 v46, v45
	v_pk_add_f32 v[54:55], v[46:47], v[42:43] neg_lo:[0,1] neg_hi:[0,1]
	v_mov_b32_e32 v44, v51
	v_mov_b32_e32 v1, v54
	v_pk_add_f32 v[56:57], v[50:51], v[0:1] neg_lo:[0,1] neg_hi:[0,1]
	v_mov_b32_e32 v50, v43
	v_mov_b32_e32 v51, v54
	;; [unrolled: 1-line block ×3, first 2 shown]
	v_pk_add_f32 v[44:45], v[44:45], v[50:51] neg_lo:[0,1] neg_hi:[0,1]
	v_mov_b32_e32 v49, v42
	v_pk_add_f32 v[42:43], v[48:49], v[44:45] neg_lo:[0,1] neg_hi:[0,1]
	v_mov_b32_e32 v56, v52
	v_pk_add_f32 v[44:45], v[56:57], v[42:43]
	s_mov_b32 s4, 0x7f800000
	v_mov_b32_e32 v48, v45
	v_pk_add_f32 v[48:49], v[44:45], v[48:49]
	v_cmp_eq_f32_e32 vcc, s4, v58
	v_pk_add_f32 v[46:47], v[46:47], v[48:49]
	v_mov_b32_e32 v43, v48
	v_mov_b32_e32 v45, v46
	v_pk_add_f32 v[50:51], v[44:45], v[52:53] neg_lo:[0,1] neg_hi:[0,1]
	s_mov_b32 s4, 0x33800000
	v_sub_f32_e32 v1, v44, v50
	v_pk_add_f32 v[42:43], v[42:43], v[50:51] neg_lo:[0,1] neg_hi:[0,1]
	v_sub_f32_e32 v1, v52, v1
	v_add_f32_e32 v1, v42, v1
	v_add_f32_e32 v1, v1, v43
	v_cmp_gt_f32_e64 s[60:61], s4, v58
	v_add_f32_e32 v1, v46, v1
	s_or_b64 vcc, s[60:61], vcc
	v_cndmask_b32_e32 v154, v1, v58, vcc
.LBB152_83:                             ;   in Loop: Header=BB152_13 Depth=1
	s_or_b64 exec, exec, s[6:7]
	s_waitcnt lgkmcnt(5)
	v_add_f32_e32 v155, s62, v40
	s_mov_b32 s4, 0x41a00000
	v_readlane_b32 s6, v166, 17
	v_cmp_ge_f32_e32 vcc, s4, v155
	v_readlane_b32 s7, v166, 18
	s_and_b64 s[8:9], s[6:7], vcc
	s_and_saveexec_b64 s[6:7], s[8:9]
	s_cbranch_execz .LBB152_85
; %bb.84:                               ;   in Loop: Header=BB152_13 Depth=1
	v_mul_f32_e32 v1, 0x3fb8aa3b, v155
	v_rndne_f32_e32 v29, v1
	s_mov_b32 s4, 0x3fb8aa3b
	v_sub_f32_e32 v40, v1, v29
	v_fma_f32 v1, v155, s4, -v1
	v_fmac_f32_e32 v1, 0x32a5705f, v155
	v_add_f32_e32 v1, v40, v1
	v_cvt_i32_f32_e32 v29, v29
	v_exp_f32_e32 v1, v1
	s_mov_b32 s4, 0xc2ce8ed0
	v_cmp_ngt_f32_e32 vcc, s4, v155
	s_mov_b32 s4, 0x42b17218
	v_ldexp_f32 v1, v1, v29
	v_cndmask_b32_e32 v1, 0, v1, vcc
	v_cmp_nlt_f32_e32 vcc, s4, v155
	s_mov_b32 s4, 0x3f2aaaab
	s_nop 0
	v_cndmask_b32_e32 v56, v148, v1, vcc
	v_add_f32_e32 v1, 1.0, v56
	v_add_f32_e32 v29, -1.0, v1
	v_sub_f32_e32 v40, v29, v1
	v_add_f32_e32 v40, 1.0, v40
	v_sub_f32_e32 v29, v56, v29
	v_add_f32_e32 v29, v29, v40
	v_frexp_mant_f32_e32 v40, v1
	v_cvt_f64_f32_e32 v[42:43], v1
	v_frexp_exp_i32_f64_e32 v42, v[42:43]
	v_cmp_gt_f32_e32 vcc, s4, v40
	s_mov_b32 s4, 0x3f317218
	s_nop 0
	v_subbrev_co_u32_e32 v40, vcc, 0, v42, vcc
	v_sub_u32_e32 v42, 0, v40
	v_ldexp_f32 v1, v1, v42
	v_ldexp_f32 v29, v29, v42
	v_add_f32_e32 v42, -1.0, v1
	v_add_f32_e32 v43, 1.0, v42
	v_sub_f32_e32 v43, v1, v43
	v_add_f32_e32 v44, v29, v43
	v_add_f32_e32 v43, 1.0, v1
	v_add_f32_e32 v45, -1.0, v43
	v_sub_f32_e32 v1, v1, v45
	v_add_f32_e32 v1, v29, v1
	v_add_f32_e32 v29, v43, v1
	v_rcp_f32_e32 v50, v29
	v_sub_f32_e32 v43, v43, v29
	v_add_f32_e32 v1, v1, v43
	v_add_f32_e32 v43, v42, v44
	v_sub_f32_e32 v42, v42, v43
	v_mul_f32_e32 v52, v43, v50
	v_add_f32_e32 v51, v44, v42
	v_mul_f32_e32 v44, v29, v52
	v_fma_f32 v46, v52, v29, -v44
	v_fmac_f32_e32 v46, v52, v1
	v_add_f32_e32 v42, v44, v46
	v_sub_f32_e32 v45, v43, v42
	v_pk_add_f32 v[48:49], v[42:43], v[44:45] neg_lo:[0,1] neg_hi:[0,1]
	v_mov_b32_e32 v47, v42
	v_pk_add_f32 v[42:43], v[48:49], v[46:47] neg_lo:[0,1] neg_hi:[0,1]
	s_nop 0
	v_add_f32_e32 v43, v51, v43
	v_add_f32_e32 v42, v42, v43
	;; [unrolled: 1-line block ×3, first 2 shown]
	v_mul_f32_e32 v51, v50, v43
	v_mul_f32_e32 v44, v29, v51
	v_fma_f32 v46, v51, v29, -v44
	v_fmac_f32_e32 v46, v51, v1
	v_sub_f32_e32 v1, v45, v43
	v_add_f32_e32 v1, v42, v1
	v_add_f32_e32 v42, v44, v46
	v_sub_f32_e32 v45, v43, v42
	v_pk_add_f32 v[48:49], v[42:43], v[44:45] neg_lo:[0,1] neg_hi:[0,1]
	v_mov_b32_e32 v47, v42
	v_pk_add_f32 v[42:43], v[48:49], v[46:47] neg_lo:[0,1] neg_hi:[0,1]
	s_nop 0
	v_add_f32_e32 v1, v1, v43
	v_add_f32_e32 v1, v42, v1
	;; [unrolled: 1-line block ×4, first 2 shown]
	v_sub_f32_e32 v29, v43, v52
	v_mul_f32_e32 v1, v50, v1
	v_sub_f32_e32 v29, v51, v29
	v_add_f32_e32 v1, v29, v1
	v_add_f32_e32 v44, v43, v1
	v_cvt_f32_i32_e32 v42, v40
	v_mul_f32_e32 v46, v44, v44
	v_fmamk_f32 v29, v46, 0x3e9b6dac, v147
	v_fmaak_f32 v29, v46, v29, 0x3f2aaada
	v_sub_f32_e32 v40, v44, v43
	v_mul_f32_e32 v43, v44, v46
	v_pk_mul_f32 v[46:47], v[42:43], v[28:29]
	v_ldexp_f32 v45, v44, 1
	v_fma_f32 v44, v42, s4, -v46
	v_fmac_f32_e32 v44, 0xb102e308, v42
	v_pk_add_f32 v[42:43], v[46:47], v[44:45]
	v_sub_f32_e32 v1, v1, v40
	v_sub_f32_e32 v29, v43, v45
	v_ldexp_f32 v1, v1, 1
	v_sub_f32_e32 v29, v47, v29
	v_add_f32_e32 v49, v1, v29
	v_mov_b32_e32 v48, v46
	v_pk_add_f32 v[46:47], v[42:43], v[46:47] neg_lo:[0,1] neg_hi:[0,1]
	v_pk_add_f32 v[50:51], v[42:43], v[48:49]
	v_mov_b32_e32 v45, v42
	v_mov_b32_e32 v47, v51
	v_pk_add_f32 v[52:53], v[44:45], v[46:47] neg_lo:[0,1] neg_hi:[0,1]
	v_pk_add_f32 v[44:45], v[44:45], v[46:47]
	s_mov_b32 s4, 0x7f800000
	v_mov_b32_e32 v40, v45
	v_pk_add_f32 v[46:47], v[40:41], v[42:43] neg_lo:[0,1] neg_hi:[0,1]
	v_mov_b32_e32 v44, v51
	v_mov_b32_e32 v1, v46
	v_pk_add_f32 v[54:55], v[50:51], v[0:1] neg_lo:[0,1] neg_hi:[0,1]
	v_mov_b32_e32 v50, v43
	v_mov_b32_e32 v51, v46
	;; [unrolled: 1-line block ×3, first 2 shown]
	v_pk_add_f32 v[44:45], v[44:45], v[50:51] neg_lo:[0,1] neg_hi:[0,1]
	v_mov_b32_e32 v46, v49
	v_mov_b32_e32 v47, v42
	v_pk_add_f32 v[42:43], v[46:47], v[44:45] neg_lo:[0,1] neg_hi:[0,1]
	v_mov_b32_e32 v54, v52
	v_pk_add_f32 v[44:45], v[54:55], v[42:43]
	v_cmp_eq_f32_e32 vcc, s4, v56
	v_mov_b32_e32 v46, v45
	v_pk_add_f32 v[46:47], v[44:45], v[46:47]
	s_mov_b32 s4, 0x33800000
	v_pk_add_f32 v[48:49], v[40:41], v[46:47]
	v_mov_b32_e32 v43, v46
	v_mov_b32_e32 v45, v48
	v_pk_add_f32 v[50:51], v[44:45], v[52:53] neg_lo:[0,1] neg_hi:[0,1]
	v_cmp_gt_f32_e64 s[60:61], s4, v56
	v_sub_f32_e32 v1, v44, v50
	v_pk_add_f32 v[42:43], v[42:43], v[50:51] neg_lo:[0,1] neg_hi:[0,1]
	v_sub_f32_e32 v1, v52, v1
	v_add_f32_e32 v1, v42, v1
	v_add_f32_e32 v1, v1, v43
	;; [unrolled: 1-line block ×3, first 2 shown]
	s_or_b64 vcc, s[60:61], vcc
	v_cndmask_b32_e32 v155, v1, v56, vcc
.LBB152_85:                             ;   in Loop: Header=BB152_13 Depth=1
	s_or_b64 exec, exec, s[6:7]
	v_add_f32_e32 v156, s62, v41
	s_mov_b32 s4, 0x41a00000
	v_readlane_b32 s6, v166, 17
	v_cmp_ge_f32_e32 vcc, s4, v156
	v_readlane_b32 s7, v166, 18
	s_and_b64 s[8:9], s[6:7], vcc
	s_and_saveexec_b64 s[6:7], s[8:9]
	s_cbranch_execz .LBB152_87
; %bb.86:                               ;   in Loop: Header=BB152_13 Depth=1
	v_mul_f32_e32 v1, 0x3fb8aa3b, v156
	v_rndne_f32_e32 v29, v1
	s_mov_b32 s4, 0x3fb8aa3b
	v_sub_f32_e32 v40, v1, v29
	v_fma_f32 v1, v156, s4, -v1
	v_fmac_f32_e32 v1, 0x32a5705f, v156
	v_add_f32_e32 v1, v40, v1
	v_cvt_i32_f32_e32 v29, v29
	v_exp_f32_e32 v1, v1
	s_mov_b32 s4, 0xc2ce8ed0
	v_cmp_ngt_f32_e32 vcc, s4, v156
	s_mov_b32 s4, 0x42b17218
	v_ldexp_f32 v1, v1, v29
	v_cndmask_b32_e32 v1, 0, v1, vcc
	v_cmp_nlt_f32_e32 vcc, s4, v156
	s_mov_b32 s4, 0x3f2aaaab
	s_nop 0
	v_cndmask_b32_e32 v56, v148, v1, vcc
	v_add_f32_e32 v1, 1.0, v56
	v_add_f32_e32 v29, -1.0, v1
	v_sub_f32_e32 v40, v29, v1
	v_add_f32_e32 v40, 1.0, v40
	v_sub_f32_e32 v29, v56, v29
	v_add_f32_e32 v29, v29, v40
	v_frexp_mant_f32_e32 v42, v1
	v_cvt_f64_f32_e32 v[40:41], v1
	v_frexp_exp_i32_f64_e32 v40, v[40:41]
	v_cmp_gt_f32_e32 vcc, s4, v42
	s_mov_b32 s4, 0x3f317218
	s_nop 0
	v_subbrev_co_u32_e32 v48, vcc, 0, v40, vcc
	v_sub_u32_e32 v40, 0, v48
	v_ldexp_f32 v1, v1, v40
	v_ldexp_f32 v29, v29, v40
	v_add_f32_e32 v40, -1.0, v1
	v_add_f32_e32 v41, 1.0, v40
	v_sub_f32_e32 v41, v1, v41
	v_add_f32_e32 v42, v29, v41
	v_add_f32_e32 v41, 1.0, v1
	v_add_f32_e32 v43, -1.0, v41
	v_sub_f32_e32 v1, v1, v43
	v_add_f32_e32 v1, v29, v1
	v_add_f32_e32 v29, v41, v1
	v_rcp_f32_e32 v49, v29
	v_sub_f32_e32 v41, v41, v29
	v_add_f32_e32 v1, v1, v41
	v_add_f32_e32 v41, v40, v42
	v_sub_f32_e32 v40, v40, v41
	v_mul_f32_e32 v51, v41, v49
	v_add_f32_e32 v50, v42, v40
	v_mul_f32_e32 v42, v29, v51
	v_fma_f32 v44, v51, v29, -v42
	v_fmac_f32_e32 v44, v51, v1
	v_add_f32_e32 v40, v42, v44
	v_sub_f32_e32 v43, v41, v40
	v_pk_add_f32 v[46:47], v[40:41], v[42:43] neg_lo:[0,1] neg_hi:[0,1]
	v_mov_b32_e32 v45, v40
	v_pk_add_f32 v[40:41], v[46:47], v[44:45] neg_lo:[0,1] neg_hi:[0,1]
	s_nop 0
	v_add_f32_e32 v41, v50, v41
	v_add_f32_e32 v40, v40, v41
	;; [unrolled: 1-line block ×3, first 2 shown]
	v_mul_f32_e32 v50, v49, v41
	v_mul_f32_e32 v42, v29, v50
	v_fma_f32 v44, v50, v29, -v42
	v_fmac_f32_e32 v44, v50, v1
	v_sub_f32_e32 v1, v43, v41
	v_add_f32_e32 v1, v40, v1
	v_add_f32_e32 v40, v42, v44
	v_sub_f32_e32 v43, v41, v40
	v_pk_add_f32 v[46:47], v[40:41], v[42:43] neg_lo:[0,1] neg_hi:[0,1]
	v_mov_b32_e32 v45, v40
	v_pk_add_f32 v[40:41], v[46:47], v[44:45] neg_lo:[0,1] neg_hi:[0,1]
	s_nop 0
	v_add_f32_e32 v1, v1, v41
	v_add_f32_e32 v1, v40, v1
	;; [unrolled: 1-line block ×4, first 2 shown]
	v_sub_f32_e32 v29, v41, v51
	v_mul_f32_e32 v1, v49, v1
	v_sub_f32_e32 v29, v50, v29
	v_add_f32_e32 v1, v29, v1
	v_add_f32_e32 v42, v41, v1
	v_cvt_f32_i32_e32 v40, v48
	v_mul_f32_e32 v44, v42, v42
	v_fmamk_f32 v29, v44, 0x3e9b6dac, v147
	v_sub_f32_e32 v41, v42, v41
	v_fmaak_f32 v29, v44, v29, 0x3f2aaada
	v_sub_f32_e32 v1, v1, v41
	v_mul_f32_e32 v41, v42, v44
	v_pk_mul_f32 v[44:45], v[40:41], v[28:29]
	v_ldexp_f32 v43, v42, 1
	v_fma_f32 v42, v40, s4, -v44
	v_fmac_f32_e32 v42, 0xb102e308, v40
	v_pk_add_f32 v[40:41], v[44:45], v[42:43]
	v_ldexp_f32 v1, v1, 1
	v_sub_f32_e32 v29, v41, v43
	v_sub_f32_e32 v29, v45, v29
	v_add_f32_e32 v47, v1, v29
	v_mov_b32_e32 v46, v44
	v_pk_add_f32 v[44:45], v[40:41], v[44:45] neg_lo:[0,1] neg_hi:[0,1]
	v_pk_add_f32 v[48:49], v[40:41], v[46:47]
	v_mov_b32_e32 v43, v40
	v_mov_b32_e32 v45, v49
	v_pk_add_f32 v[50:51], v[42:43], v[44:45] neg_lo:[0,1] neg_hi:[0,1]
	v_pk_add_f32 v[42:43], v[42:43], v[44:45]
	v_mov_b32_e32 v46, v47
	v_mov_b32_e32 v44, v43
	v_pk_add_f32 v[52:53], v[44:45], v[40:41] neg_lo:[0,1] neg_hi:[0,1]
	v_mov_b32_e32 v42, v49
	v_mov_b32_e32 v1, v52
	v_pk_add_f32 v[54:55], v[48:49], v[0:1] neg_lo:[0,1] neg_hi:[0,1]
	v_mov_b32_e32 v48, v41
	v_mov_b32_e32 v49, v52
	;; [unrolled: 1-line block ×3, first 2 shown]
	v_pk_add_f32 v[42:43], v[42:43], v[48:49] neg_lo:[0,1] neg_hi:[0,1]
	v_mov_b32_e32 v47, v40
	v_pk_add_f32 v[40:41], v[46:47], v[42:43] neg_lo:[0,1] neg_hi:[0,1]
	v_mov_b32_e32 v54, v50
	v_pk_add_f32 v[42:43], v[54:55], v[40:41]
	s_mov_b32 s4, 0x7f800000
	v_mov_b32_e32 v46, v43
	v_pk_add_f32 v[46:47], v[42:43], v[46:47]
	v_cmp_eq_f32_e32 vcc, s4, v56
	v_pk_add_f32 v[44:45], v[44:45], v[46:47]
	v_mov_b32_e32 v41, v46
	v_mov_b32_e32 v43, v44
	v_pk_add_f32 v[48:49], v[42:43], v[50:51] neg_lo:[0,1] neg_hi:[0,1]
	s_mov_b32 s4, 0x33800000
	v_sub_f32_e32 v1, v42, v48
	v_pk_add_f32 v[40:41], v[40:41], v[48:49] neg_lo:[0,1] neg_hi:[0,1]
	v_sub_f32_e32 v1, v50, v1
	v_add_f32_e32 v1, v40, v1
	v_add_f32_e32 v1, v1, v41
	v_cmp_gt_f32_e64 s[60:61], s4, v56
	v_add_f32_e32 v1, v44, v1
	s_or_b64 vcc, s[60:61], vcc
	v_cndmask_b32_e32 v156, v1, v56, vcc
.LBB152_87:                             ;   in Loop: Header=BB152_13 Depth=1
	s_or_b64 exec, exec, s[6:7]
	s_waitcnt lgkmcnt(4)
	v_add_f32_e32 v157, s62, v38
	s_mov_b32 s4, 0x41a00000
	v_readlane_b32 s6, v166, 17
	v_cmp_ge_f32_e32 vcc, s4, v157
	v_readlane_b32 s7, v166, 18
	s_and_b64 s[8:9], s[6:7], vcc
	s_and_saveexec_b64 s[6:7], s[8:9]
	s_cbranch_execz .LBB152_89
; %bb.88:                               ;   in Loop: Header=BB152_13 Depth=1
	v_mul_f32_e32 v1, 0x3fb8aa3b, v157
	v_rndne_f32_e32 v29, v1
	s_mov_b32 s4, 0x3fb8aa3b
	v_sub_f32_e32 v38, v1, v29
	v_fma_f32 v1, v157, s4, -v1
	v_fmac_f32_e32 v1, 0x32a5705f, v157
	v_add_f32_e32 v1, v38, v1
	v_cvt_i32_f32_e32 v29, v29
	v_exp_f32_e32 v1, v1
	s_mov_b32 s4, 0xc2ce8ed0
	v_cmp_ngt_f32_e32 vcc, s4, v157
	s_mov_b32 s4, 0x42b17218
	v_ldexp_f32 v1, v1, v29
	v_cndmask_b32_e32 v1, 0, v1, vcc
	v_cmp_nlt_f32_e32 vcc, s4, v157
	s_mov_b32 s4, 0x3f2aaaab
	s_nop 0
	v_cndmask_b32_e32 v54, v148, v1, vcc
	v_add_f32_e32 v1, 1.0, v54
	v_add_f32_e32 v29, -1.0, v1
	v_sub_f32_e32 v38, v29, v1
	v_add_f32_e32 v38, 1.0, v38
	v_sub_f32_e32 v29, v54, v29
	v_add_f32_e32 v29, v29, v38
	v_frexp_mant_f32_e32 v38, v1
	v_cvt_f64_f32_e32 v[40:41], v1
	v_frexp_exp_i32_f64_e32 v40, v[40:41]
	v_cmp_gt_f32_e32 vcc, s4, v38
	s_mov_b32 s4, 0x3f317218
	s_nop 0
	v_subbrev_co_u32_e32 v38, vcc, 0, v40, vcc
	v_sub_u32_e32 v40, 0, v38
	v_ldexp_f32 v1, v1, v40
	v_ldexp_f32 v29, v29, v40
	v_add_f32_e32 v40, -1.0, v1
	v_add_f32_e32 v41, 1.0, v40
	v_sub_f32_e32 v41, v1, v41
	v_add_f32_e32 v42, v29, v41
	v_add_f32_e32 v41, 1.0, v1
	v_add_f32_e32 v43, -1.0, v41
	v_sub_f32_e32 v1, v1, v43
	v_add_f32_e32 v1, v29, v1
	v_add_f32_e32 v29, v41, v1
	v_rcp_f32_e32 v48, v29
	v_sub_f32_e32 v41, v41, v29
	v_add_f32_e32 v1, v1, v41
	v_add_f32_e32 v41, v40, v42
	v_sub_f32_e32 v40, v40, v41
	v_mul_f32_e32 v50, v41, v48
	v_add_f32_e32 v49, v42, v40
	v_mul_f32_e32 v42, v29, v50
	v_fma_f32 v44, v50, v29, -v42
	v_fmac_f32_e32 v44, v50, v1
	v_add_f32_e32 v40, v42, v44
	v_sub_f32_e32 v43, v41, v40
	v_pk_add_f32 v[46:47], v[40:41], v[42:43] neg_lo:[0,1] neg_hi:[0,1]
	v_mov_b32_e32 v45, v40
	v_pk_add_f32 v[40:41], v[46:47], v[44:45] neg_lo:[0,1] neg_hi:[0,1]
	s_nop 0
	v_add_f32_e32 v41, v49, v41
	v_add_f32_e32 v40, v40, v41
	;; [unrolled: 1-line block ×3, first 2 shown]
	v_mul_f32_e32 v49, v48, v41
	v_mul_f32_e32 v42, v29, v49
	v_fma_f32 v44, v49, v29, -v42
	v_fmac_f32_e32 v44, v49, v1
	v_sub_f32_e32 v1, v43, v41
	v_add_f32_e32 v1, v40, v1
	v_add_f32_e32 v40, v42, v44
	v_sub_f32_e32 v43, v41, v40
	v_pk_add_f32 v[46:47], v[40:41], v[42:43] neg_lo:[0,1] neg_hi:[0,1]
	v_mov_b32_e32 v45, v40
	v_pk_add_f32 v[40:41], v[46:47], v[44:45] neg_lo:[0,1] neg_hi:[0,1]
	s_nop 0
	v_add_f32_e32 v1, v1, v41
	v_add_f32_e32 v1, v40, v1
	;; [unrolled: 1-line block ×4, first 2 shown]
	v_sub_f32_e32 v29, v41, v50
	v_mul_f32_e32 v1, v48, v1
	v_sub_f32_e32 v29, v49, v29
	v_add_f32_e32 v1, v29, v1
	v_add_f32_e32 v42, v41, v1
	v_cvt_f32_i32_e32 v40, v38
	v_mul_f32_e32 v44, v42, v42
	v_fmamk_f32 v29, v44, 0x3e9b6dac, v147
	v_fmaak_f32 v29, v44, v29, 0x3f2aaada
	v_sub_f32_e32 v38, v42, v41
	v_mul_f32_e32 v41, v42, v44
	v_pk_mul_f32 v[44:45], v[40:41], v[28:29]
	v_ldexp_f32 v43, v42, 1
	v_fma_f32 v42, v40, s4, -v44
	v_fmac_f32_e32 v42, 0xb102e308, v40
	v_pk_add_f32 v[40:41], v[44:45], v[42:43]
	v_sub_f32_e32 v1, v1, v38
	v_sub_f32_e32 v29, v41, v43
	v_ldexp_f32 v1, v1, 1
	v_sub_f32_e32 v29, v45, v29
	v_add_f32_e32 v47, v1, v29
	v_mov_b32_e32 v46, v44
	v_pk_add_f32 v[44:45], v[40:41], v[44:45] neg_lo:[0,1] neg_hi:[0,1]
	v_pk_add_f32 v[48:49], v[40:41], v[46:47]
	v_mov_b32_e32 v43, v40
	v_mov_b32_e32 v45, v49
	v_pk_add_f32 v[50:51], v[42:43], v[44:45] neg_lo:[0,1] neg_hi:[0,1]
	v_pk_add_f32 v[42:43], v[42:43], v[44:45]
	s_mov_b32 s4, 0x7f800000
	v_mov_b32_e32 v38, v43
	v_pk_add_f32 v[44:45], v[38:39], v[40:41] neg_lo:[0,1] neg_hi:[0,1]
	v_mov_b32_e32 v42, v49
	v_mov_b32_e32 v1, v44
	v_pk_add_f32 v[52:53], v[48:49], v[0:1] neg_lo:[0,1] neg_hi:[0,1]
	v_mov_b32_e32 v48, v41
	v_mov_b32_e32 v49, v44
	;; [unrolled: 1-line block ×3, first 2 shown]
	v_pk_add_f32 v[42:43], v[42:43], v[48:49] neg_lo:[0,1] neg_hi:[0,1]
	v_mov_b32_e32 v44, v47
	v_mov_b32_e32 v45, v40
	v_pk_add_f32 v[40:41], v[44:45], v[42:43] neg_lo:[0,1] neg_hi:[0,1]
	v_mov_b32_e32 v52, v50
	v_pk_add_f32 v[42:43], v[52:53], v[40:41]
	v_cmp_eq_f32_e32 vcc, s4, v54
	v_mov_b32_e32 v44, v43
	v_pk_add_f32 v[44:45], v[42:43], v[44:45]
	s_mov_b32 s4, 0x33800000
	v_pk_add_f32 v[46:47], v[38:39], v[44:45]
	v_mov_b32_e32 v41, v44
	v_mov_b32_e32 v43, v46
	v_pk_add_f32 v[48:49], v[42:43], v[50:51] neg_lo:[0,1] neg_hi:[0,1]
	v_cmp_gt_f32_e64 s[60:61], s4, v54
	v_sub_f32_e32 v1, v42, v48
	v_pk_add_f32 v[40:41], v[40:41], v[48:49] neg_lo:[0,1] neg_hi:[0,1]
	v_sub_f32_e32 v1, v50, v1
	v_add_f32_e32 v1, v40, v1
	v_add_f32_e32 v1, v1, v41
	;; [unrolled: 1-line block ×3, first 2 shown]
	s_or_b64 vcc, s[60:61], vcc
	v_cndmask_b32_e32 v157, v1, v54, vcc
.LBB152_89:                             ;   in Loop: Header=BB152_13 Depth=1
	s_or_b64 exec, exec, s[6:7]
	v_add_f32_e32 v158, s62, v39
	s_mov_b32 s4, 0x41a00000
	v_readlane_b32 s6, v166, 17
	v_cmp_ge_f32_e32 vcc, s4, v158
	v_readlane_b32 s7, v166, 18
	s_and_b64 s[8:9], s[6:7], vcc
	s_and_saveexec_b64 s[6:7], s[8:9]
	s_cbranch_execz .LBB152_91
; %bb.90:                               ;   in Loop: Header=BB152_13 Depth=1
	v_mul_f32_e32 v1, 0x3fb8aa3b, v158
	v_rndne_f32_e32 v29, v1
	s_mov_b32 s4, 0x3fb8aa3b
	v_sub_f32_e32 v38, v1, v29
	v_fma_f32 v1, v158, s4, -v1
	v_fmac_f32_e32 v1, 0x32a5705f, v158
	v_add_f32_e32 v1, v38, v1
	v_cvt_i32_f32_e32 v29, v29
	v_exp_f32_e32 v1, v1
	s_mov_b32 s4, 0xc2ce8ed0
	v_cmp_ngt_f32_e32 vcc, s4, v158
	s_mov_b32 s4, 0x42b17218
	v_ldexp_f32 v1, v1, v29
	v_cndmask_b32_e32 v1, 0, v1, vcc
	v_cmp_nlt_f32_e32 vcc, s4, v158
	s_mov_b32 s4, 0x3f2aaaab
	s_nop 0
	v_cndmask_b32_e32 v54, v148, v1, vcc
	v_add_f32_e32 v1, 1.0, v54
	v_add_f32_e32 v29, -1.0, v1
	v_sub_f32_e32 v38, v29, v1
	v_add_f32_e32 v38, 1.0, v38
	v_sub_f32_e32 v29, v54, v29
	v_add_f32_e32 v29, v29, v38
	v_frexp_mant_f32_e32 v40, v1
	v_cvt_f64_f32_e32 v[38:39], v1
	v_frexp_exp_i32_f64_e32 v38, v[38:39]
	v_cmp_gt_f32_e32 vcc, s4, v40
	s_mov_b32 s4, 0x3f317218
	s_nop 0
	v_subbrev_co_u32_e32 v46, vcc, 0, v38, vcc
	v_sub_u32_e32 v38, 0, v46
	v_ldexp_f32 v1, v1, v38
	v_ldexp_f32 v29, v29, v38
	v_add_f32_e32 v38, -1.0, v1
	v_add_f32_e32 v39, 1.0, v38
	v_sub_f32_e32 v39, v1, v39
	v_add_f32_e32 v40, v29, v39
	v_add_f32_e32 v39, 1.0, v1
	v_add_f32_e32 v41, -1.0, v39
	v_sub_f32_e32 v1, v1, v41
	v_add_f32_e32 v1, v29, v1
	v_add_f32_e32 v29, v39, v1
	v_rcp_f32_e32 v47, v29
	v_sub_f32_e32 v39, v39, v29
	v_add_f32_e32 v1, v1, v39
	v_add_f32_e32 v39, v38, v40
	v_sub_f32_e32 v38, v38, v39
	v_mul_f32_e32 v49, v39, v47
	v_add_f32_e32 v48, v40, v38
	v_mul_f32_e32 v40, v29, v49
	v_fma_f32 v42, v49, v29, -v40
	v_fmac_f32_e32 v42, v49, v1
	v_add_f32_e32 v38, v40, v42
	v_sub_f32_e32 v41, v39, v38
	v_pk_add_f32 v[44:45], v[38:39], v[40:41] neg_lo:[0,1] neg_hi:[0,1]
	v_mov_b32_e32 v43, v38
	v_pk_add_f32 v[38:39], v[44:45], v[42:43] neg_lo:[0,1] neg_hi:[0,1]
	s_nop 0
	v_add_f32_e32 v39, v48, v39
	v_add_f32_e32 v38, v38, v39
	;; [unrolled: 1-line block ×3, first 2 shown]
	v_mul_f32_e32 v48, v47, v39
	v_mul_f32_e32 v40, v29, v48
	v_fma_f32 v42, v48, v29, -v40
	v_fmac_f32_e32 v42, v48, v1
	v_sub_f32_e32 v1, v41, v39
	v_add_f32_e32 v1, v38, v1
	v_add_f32_e32 v38, v40, v42
	v_sub_f32_e32 v41, v39, v38
	v_pk_add_f32 v[44:45], v[38:39], v[40:41] neg_lo:[0,1] neg_hi:[0,1]
	v_mov_b32_e32 v43, v38
	v_pk_add_f32 v[38:39], v[44:45], v[42:43] neg_lo:[0,1] neg_hi:[0,1]
	s_nop 0
	v_add_f32_e32 v1, v1, v39
	v_add_f32_e32 v1, v38, v1
	v_add_f32_e32 v39, v49, v48
	v_add_f32_e32 v1, v41, v1
	v_sub_f32_e32 v29, v39, v49
	v_mul_f32_e32 v1, v47, v1
	v_sub_f32_e32 v29, v48, v29
	v_add_f32_e32 v1, v29, v1
	v_add_f32_e32 v40, v39, v1
	v_cvt_f32_i32_e32 v38, v46
	v_mul_f32_e32 v42, v40, v40
	v_fmamk_f32 v29, v42, 0x3e9b6dac, v147
	v_sub_f32_e32 v39, v40, v39
	v_fmaak_f32 v29, v42, v29, 0x3f2aaada
	v_sub_f32_e32 v1, v1, v39
	v_mul_f32_e32 v39, v40, v42
	v_pk_mul_f32 v[42:43], v[38:39], v[28:29]
	v_ldexp_f32 v41, v40, 1
	v_fma_f32 v40, v38, s4, -v42
	v_fmac_f32_e32 v40, 0xb102e308, v38
	v_pk_add_f32 v[38:39], v[42:43], v[40:41]
	v_ldexp_f32 v1, v1, 1
	v_sub_f32_e32 v29, v39, v41
	v_sub_f32_e32 v29, v43, v29
	v_add_f32_e32 v45, v1, v29
	v_mov_b32_e32 v44, v42
	v_pk_add_f32 v[42:43], v[38:39], v[42:43] neg_lo:[0,1] neg_hi:[0,1]
	v_pk_add_f32 v[46:47], v[38:39], v[44:45]
	v_mov_b32_e32 v41, v38
	v_mov_b32_e32 v43, v47
	v_pk_add_f32 v[48:49], v[40:41], v[42:43] neg_lo:[0,1] neg_hi:[0,1]
	v_pk_add_f32 v[40:41], v[40:41], v[42:43]
	v_mov_b32_e32 v44, v45
	v_mov_b32_e32 v42, v41
	v_pk_add_f32 v[50:51], v[42:43], v[38:39] neg_lo:[0,1] neg_hi:[0,1]
	v_mov_b32_e32 v40, v47
	v_mov_b32_e32 v1, v50
	v_pk_add_f32 v[52:53], v[46:47], v[0:1] neg_lo:[0,1] neg_hi:[0,1]
	v_mov_b32_e32 v46, v39
	v_mov_b32_e32 v47, v50
	v_mov_b32_e32 v49, v41
	v_pk_add_f32 v[40:41], v[40:41], v[46:47] neg_lo:[0,1] neg_hi:[0,1]
	v_mov_b32_e32 v45, v38
	v_pk_add_f32 v[38:39], v[44:45], v[40:41] neg_lo:[0,1] neg_hi:[0,1]
	v_mov_b32_e32 v52, v48
	v_pk_add_f32 v[40:41], v[52:53], v[38:39]
	s_mov_b32 s4, 0x7f800000
	v_mov_b32_e32 v44, v41
	v_pk_add_f32 v[44:45], v[40:41], v[44:45]
	v_cmp_eq_f32_e32 vcc, s4, v54
	v_pk_add_f32 v[42:43], v[42:43], v[44:45]
	v_mov_b32_e32 v39, v44
	v_mov_b32_e32 v41, v42
	v_pk_add_f32 v[46:47], v[40:41], v[48:49] neg_lo:[0,1] neg_hi:[0,1]
	s_mov_b32 s4, 0x33800000
	v_sub_f32_e32 v1, v40, v46
	v_pk_add_f32 v[38:39], v[38:39], v[46:47] neg_lo:[0,1] neg_hi:[0,1]
	v_sub_f32_e32 v1, v48, v1
	v_add_f32_e32 v1, v38, v1
	v_add_f32_e32 v1, v1, v39
	v_cmp_gt_f32_e64 s[60:61], s4, v54
	v_add_f32_e32 v1, v42, v1
	s_or_b64 vcc, s[60:61], vcc
	v_cndmask_b32_e32 v158, v1, v54, vcc
.LBB152_91:                             ;   in Loop: Header=BB152_13 Depth=1
	s_or_b64 exec, exec, s[6:7]
	s_waitcnt lgkmcnt(3)
	v_add_f32_e32 v159, s62, v36
	s_mov_b32 s4, 0x41a00000
	v_readlane_b32 s6, v166, 17
	v_cmp_ge_f32_e32 vcc, s4, v159
	v_readlane_b32 s7, v166, 18
	s_and_b64 s[8:9], s[6:7], vcc
	s_and_saveexec_b64 s[6:7], s[8:9]
	s_cbranch_execz .LBB152_93
; %bb.92:                               ;   in Loop: Header=BB152_13 Depth=1
	v_mul_f32_e32 v1, 0x3fb8aa3b, v159
	v_rndne_f32_e32 v29, v1
	s_mov_b32 s4, 0x3fb8aa3b
	v_sub_f32_e32 v36, v1, v29
	v_fma_f32 v1, v159, s4, -v1
	v_fmac_f32_e32 v1, 0x32a5705f, v159
	v_add_f32_e32 v1, v36, v1
	v_cvt_i32_f32_e32 v29, v29
	v_exp_f32_e32 v1, v1
	s_mov_b32 s4, 0xc2ce8ed0
	v_cmp_ngt_f32_e32 vcc, s4, v159
	s_mov_b32 s4, 0x42b17218
	v_ldexp_f32 v1, v1, v29
	v_cndmask_b32_e32 v1, 0, v1, vcc
	v_cmp_nlt_f32_e32 vcc, s4, v159
	s_mov_b32 s4, 0x3f2aaaab
	s_nop 0
	v_cndmask_b32_e32 v52, v148, v1, vcc
	v_add_f32_e32 v1, 1.0, v52
	v_add_f32_e32 v29, -1.0, v1
	v_sub_f32_e32 v36, v29, v1
	v_add_f32_e32 v36, 1.0, v36
	v_sub_f32_e32 v29, v52, v29
	v_add_f32_e32 v29, v29, v36
	v_frexp_mant_f32_e32 v36, v1
	v_cvt_f64_f32_e32 v[38:39], v1
	v_frexp_exp_i32_f64_e32 v38, v[38:39]
	v_cmp_gt_f32_e32 vcc, s4, v36
	s_mov_b32 s4, 0x3f317218
	s_nop 0
	v_subbrev_co_u32_e32 v36, vcc, 0, v38, vcc
	v_sub_u32_e32 v38, 0, v36
	v_ldexp_f32 v1, v1, v38
	v_ldexp_f32 v29, v29, v38
	v_add_f32_e32 v38, -1.0, v1
	v_add_f32_e32 v39, 1.0, v38
	v_sub_f32_e32 v39, v1, v39
	v_add_f32_e32 v40, v29, v39
	v_add_f32_e32 v39, 1.0, v1
	v_add_f32_e32 v41, -1.0, v39
	v_sub_f32_e32 v1, v1, v41
	v_add_f32_e32 v1, v29, v1
	v_add_f32_e32 v29, v39, v1
	v_rcp_f32_e32 v46, v29
	v_sub_f32_e32 v39, v39, v29
	v_add_f32_e32 v1, v1, v39
	v_add_f32_e32 v39, v38, v40
	v_sub_f32_e32 v38, v38, v39
	v_mul_f32_e32 v48, v39, v46
	v_add_f32_e32 v47, v40, v38
	v_mul_f32_e32 v40, v29, v48
	v_fma_f32 v42, v48, v29, -v40
	v_fmac_f32_e32 v42, v48, v1
	v_add_f32_e32 v38, v40, v42
	v_sub_f32_e32 v41, v39, v38
	v_pk_add_f32 v[44:45], v[38:39], v[40:41] neg_lo:[0,1] neg_hi:[0,1]
	v_mov_b32_e32 v43, v38
	v_pk_add_f32 v[38:39], v[44:45], v[42:43] neg_lo:[0,1] neg_hi:[0,1]
	s_nop 0
	v_add_f32_e32 v39, v47, v39
	v_add_f32_e32 v38, v38, v39
	;; [unrolled: 1-line block ×3, first 2 shown]
	v_mul_f32_e32 v47, v46, v39
	v_mul_f32_e32 v40, v29, v47
	v_fma_f32 v42, v47, v29, -v40
	v_fmac_f32_e32 v42, v47, v1
	v_sub_f32_e32 v1, v41, v39
	v_add_f32_e32 v1, v38, v1
	v_add_f32_e32 v38, v40, v42
	v_sub_f32_e32 v41, v39, v38
	v_pk_add_f32 v[44:45], v[38:39], v[40:41] neg_lo:[0,1] neg_hi:[0,1]
	v_mov_b32_e32 v43, v38
	v_pk_add_f32 v[38:39], v[44:45], v[42:43] neg_lo:[0,1] neg_hi:[0,1]
	s_nop 0
	v_add_f32_e32 v1, v1, v39
	v_add_f32_e32 v1, v38, v1
	;; [unrolled: 1-line block ×4, first 2 shown]
	v_sub_f32_e32 v29, v39, v48
	v_mul_f32_e32 v1, v46, v1
	v_sub_f32_e32 v29, v47, v29
	v_add_f32_e32 v1, v29, v1
	v_add_f32_e32 v40, v39, v1
	v_cvt_f32_i32_e32 v38, v36
	v_mul_f32_e32 v42, v40, v40
	v_fmamk_f32 v29, v42, 0x3e9b6dac, v147
	v_fmaak_f32 v29, v42, v29, 0x3f2aaada
	v_sub_f32_e32 v36, v40, v39
	v_mul_f32_e32 v39, v40, v42
	v_pk_mul_f32 v[42:43], v[38:39], v[28:29]
	v_ldexp_f32 v41, v40, 1
	v_fma_f32 v40, v38, s4, -v42
	v_fmac_f32_e32 v40, 0xb102e308, v38
	v_pk_add_f32 v[38:39], v[42:43], v[40:41]
	v_sub_f32_e32 v1, v1, v36
	v_sub_f32_e32 v29, v39, v41
	v_ldexp_f32 v1, v1, 1
	v_sub_f32_e32 v29, v43, v29
	v_add_f32_e32 v45, v1, v29
	v_mov_b32_e32 v44, v42
	v_pk_add_f32 v[42:43], v[38:39], v[42:43] neg_lo:[0,1] neg_hi:[0,1]
	v_pk_add_f32 v[46:47], v[38:39], v[44:45]
	v_mov_b32_e32 v41, v38
	v_mov_b32_e32 v43, v47
	v_pk_add_f32 v[48:49], v[40:41], v[42:43] neg_lo:[0,1] neg_hi:[0,1]
	v_pk_add_f32 v[40:41], v[40:41], v[42:43]
	s_mov_b32 s4, 0x7f800000
	v_mov_b32_e32 v36, v41
	v_pk_add_f32 v[42:43], v[36:37], v[38:39] neg_lo:[0,1] neg_hi:[0,1]
	v_mov_b32_e32 v40, v47
	v_mov_b32_e32 v1, v42
	v_pk_add_f32 v[50:51], v[46:47], v[0:1] neg_lo:[0,1] neg_hi:[0,1]
	v_mov_b32_e32 v46, v39
	v_mov_b32_e32 v47, v42
	;; [unrolled: 1-line block ×3, first 2 shown]
	v_pk_add_f32 v[40:41], v[40:41], v[46:47] neg_lo:[0,1] neg_hi:[0,1]
	v_mov_b32_e32 v42, v45
	v_mov_b32_e32 v43, v38
	v_pk_add_f32 v[38:39], v[42:43], v[40:41] neg_lo:[0,1] neg_hi:[0,1]
	v_mov_b32_e32 v50, v48
	v_pk_add_f32 v[40:41], v[50:51], v[38:39]
	v_cmp_eq_f32_e32 vcc, s4, v52
	v_mov_b32_e32 v42, v41
	v_pk_add_f32 v[42:43], v[40:41], v[42:43]
	s_mov_b32 s4, 0x33800000
	v_pk_add_f32 v[44:45], v[36:37], v[42:43]
	v_mov_b32_e32 v39, v42
	v_mov_b32_e32 v41, v44
	v_pk_add_f32 v[46:47], v[40:41], v[48:49] neg_lo:[0,1] neg_hi:[0,1]
	v_cmp_gt_f32_e64 s[60:61], s4, v52
	v_sub_f32_e32 v1, v40, v46
	v_pk_add_f32 v[38:39], v[38:39], v[46:47] neg_lo:[0,1] neg_hi:[0,1]
	v_sub_f32_e32 v1, v48, v1
	v_add_f32_e32 v1, v38, v1
	v_add_f32_e32 v1, v1, v39
	;; [unrolled: 1-line block ×3, first 2 shown]
	s_or_b64 vcc, s[60:61], vcc
	v_cndmask_b32_e32 v159, v1, v52, vcc
.LBB152_93:                             ;   in Loop: Header=BB152_13 Depth=1
	s_or_b64 exec, exec, s[6:7]
	v_add_f32_e32 v160, s62, v37
	s_mov_b32 s4, 0x41a00000
	v_readlane_b32 s6, v166, 17
	v_cmp_ge_f32_e32 vcc, s4, v160
	v_readlane_b32 s7, v166, 18
	s_and_b64 s[8:9], s[6:7], vcc
	s_and_saveexec_b64 s[6:7], s[8:9]
	s_cbranch_execz .LBB152_95
; %bb.94:                               ;   in Loop: Header=BB152_13 Depth=1
	v_mul_f32_e32 v1, 0x3fb8aa3b, v160
	v_rndne_f32_e32 v29, v1
	s_mov_b32 s4, 0x3fb8aa3b
	v_sub_f32_e32 v36, v1, v29
	v_fma_f32 v1, v160, s4, -v1
	v_fmac_f32_e32 v1, 0x32a5705f, v160
	v_add_f32_e32 v1, v36, v1
	v_cvt_i32_f32_e32 v29, v29
	v_exp_f32_e32 v1, v1
	s_mov_b32 s4, 0xc2ce8ed0
	v_cmp_ngt_f32_e32 vcc, s4, v160
	s_mov_b32 s4, 0x42b17218
	v_ldexp_f32 v1, v1, v29
	v_cndmask_b32_e32 v1, 0, v1, vcc
	v_cmp_nlt_f32_e32 vcc, s4, v160
	s_mov_b32 s4, 0x3f2aaaab
	s_nop 0
	v_cndmask_b32_e32 v52, v148, v1, vcc
	v_add_f32_e32 v1, 1.0, v52
	v_add_f32_e32 v29, -1.0, v1
	v_sub_f32_e32 v36, v29, v1
	v_add_f32_e32 v36, 1.0, v36
	v_sub_f32_e32 v29, v52, v29
	v_add_f32_e32 v29, v29, v36
	v_frexp_mant_f32_e32 v38, v1
	v_cvt_f64_f32_e32 v[36:37], v1
	v_frexp_exp_i32_f64_e32 v36, v[36:37]
	v_cmp_gt_f32_e32 vcc, s4, v38
	s_mov_b32 s4, 0x3f317218
	s_nop 0
	v_subbrev_co_u32_e32 v44, vcc, 0, v36, vcc
	v_sub_u32_e32 v36, 0, v44
	v_ldexp_f32 v1, v1, v36
	v_ldexp_f32 v29, v29, v36
	v_add_f32_e32 v36, -1.0, v1
	v_add_f32_e32 v37, 1.0, v36
	v_sub_f32_e32 v37, v1, v37
	v_add_f32_e32 v38, v29, v37
	v_add_f32_e32 v37, 1.0, v1
	v_add_f32_e32 v39, -1.0, v37
	v_sub_f32_e32 v1, v1, v39
	v_add_f32_e32 v1, v29, v1
	v_add_f32_e32 v29, v37, v1
	v_rcp_f32_e32 v45, v29
	v_sub_f32_e32 v37, v37, v29
	v_add_f32_e32 v1, v1, v37
	v_add_f32_e32 v37, v36, v38
	v_sub_f32_e32 v36, v36, v37
	v_mul_f32_e32 v47, v37, v45
	v_add_f32_e32 v46, v38, v36
	v_mul_f32_e32 v38, v29, v47
	v_fma_f32 v40, v47, v29, -v38
	v_fmac_f32_e32 v40, v47, v1
	v_add_f32_e32 v36, v38, v40
	v_sub_f32_e32 v39, v37, v36
	v_pk_add_f32 v[42:43], v[36:37], v[38:39] neg_lo:[0,1] neg_hi:[0,1]
	v_mov_b32_e32 v41, v36
	v_pk_add_f32 v[36:37], v[42:43], v[40:41] neg_lo:[0,1] neg_hi:[0,1]
	s_nop 0
	v_add_f32_e32 v37, v46, v37
	v_add_f32_e32 v36, v36, v37
	;; [unrolled: 1-line block ×3, first 2 shown]
	v_mul_f32_e32 v46, v45, v37
	v_mul_f32_e32 v38, v29, v46
	v_fma_f32 v40, v46, v29, -v38
	v_fmac_f32_e32 v40, v46, v1
	v_sub_f32_e32 v1, v39, v37
	v_add_f32_e32 v1, v36, v1
	v_add_f32_e32 v36, v38, v40
	v_sub_f32_e32 v39, v37, v36
	v_pk_add_f32 v[42:43], v[36:37], v[38:39] neg_lo:[0,1] neg_hi:[0,1]
	v_mov_b32_e32 v41, v36
	v_pk_add_f32 v[36:37], v[42:43], v[40:41] neg_lo:[0,1] neg_hi:[0,1]
	s_nop 0
	v_add_f32_e32 v1, v1, v37
	v_add_f32_e32 v1, v36, v1
	;; [unrolled: 1-line block ×4, first 2 shown]
	v_sub_f32_e32 v29, v37, v47
	v_mul_f32_e32 v1, v45, v1
	v_sub_f32_e32 v29, v46, v29
	v_add_f32_e32 v1, v29, v1
	v_add_f32_e32 v38, v37, v1
	v_cvt_f32_i32_e32 v36, v44
	v_mul_f32_e32 v40, v38, v38
	v_fmamk_f32 v29, v40, 0x3e9b6dac, v147
	v_sub_f32_e32 v37, v38, v37
	v_fmaak_f32 v29, v40, v29, 0x3f2aaada
	v_sub_f32_e32 v1, v1, v37
	v_mul_f32_e32 v37, v38, v40
	v_pk_mul_f32 v[40:41], v[36:37], v[28:29]
	v_ldexp_f32 v39, v38, 1
	v_fma_f32 v38, v36, s4, -v40
	v_fmac_f32_e32 v38, 0xb102e308, v36
	v_pk_add_f32 v[36:37], v[40:41], v[38:39]
	v_ldexp_f32 v1, v1, 1
	v_sub_f32_e32 v29, v37, v39
	v_sub_f32_e32 v29, v41, v29
	v_add_f32_e32 v43, v1, v29
	v_mov_b32_e32 v42, v40
	v_pk_add_f32 v[40:41], v[36:37], v[40:41] neg_lo:[0,1] neg_hi:[0,1]
	v_pk_add_f32 v[44:45], v[36:37], v[42:43]
	v_mov_b32_e32 v39, v36
	v_mov_b32_e32 v41, v45
	v_pk_add_f32 v[46:47], v[38:39], v[40:41] neg_lo:[0,1] neg_hi:[0,1]
	v_pk_add_f32 v[38:39], v[38:39], v[40:41]
	v_mov_b32_e32 v42, v43
	v_mov_b32_e32 v40, v39
	v_pk_add_f32 v[48:49], v[40:41], v[36:37] neg_lo:[0,1] neg_hi:[0,1]
	v_mov_b32_e32 v38, v45
	v_mov_b32_e32 v1, v48
	v_pk_add_f32 v[50:51], v[44:45], v[0:1] neg_lo:[0,1] neg_hi:[0,1]
	v_mov_b32_e32 v44, v37
	v_mov_b32_e32 v45, v48
	;; [unrolled: 1-line block ×3, first 2 shown]
	v_pk_add_f32 v[38:39], v[38:39], v[44:45] neg_lo:[0,1] neg_hi:[0,1]
	v_mov_b32_e32 v43, v36
	v_pk_add_f32 v[36:37], v[42:43], v[38:39] neg_lo:[0,1] neg_hi:[0,1]
	v_mov_b32_e32 v50, v46
	v_pk_add_f32 v[38:39], v[50:51], v[36:37]
	s_mov_b32 s4, 0x7f800000
	v_mov_b32_e32 v42, v39
	v_pk_add_f32 v[42:43], v[38:39], v[42:43]
	v_cmp_eq_f32_e32 vcc, s4, v52
	v_pk_add_f32 v[40:41], v[40:41], v[42:43]
	v_mov_b32_e32 v37, v42
	v_mov_b32_e32 v39, v40
	v_pk_add_f32 v[44:45], v[38:39], v[46:47] neg_lo:[0,1] neg_hi:[0,1]
	s_mov_b32 s4, 0x33800000
	v_sub_f32_e32 v1, v38, v44
	v_pk_add_f32 v[36:37], v[36:37], v[44:45] neg_lo:[0,1] neg_hi:[0,1]
	v_sub_f32_e32 v1, v46, v1
	v_add_f32_e32 v1, v36, v1
	v_add_f32_e32 v1, v1, v37
	v_cmp_gt_f32_e64 s[60:61], s4, v52
	v_add_f32_e32 v1, v40, v1
	s_or_b64 vcc, s[60:61], vcc
	v_cndmask_b32_e32 v160, v1, v52, vcc
.LBB152_95:                             ;   in Loop: Header=BB152_13 Depth=1
	s_or_b64 exec, exec, s[6:7]
	s_waitcnt lgkmcnt(2)
	v_add_f32_e32 v161, s62, v34
	s_mov_b32 s4, 0x41a00000
	v_readlane_b32 s6, v166, 17
	v_cmp_ge_f32_e32 vcc, s4, v161
	v_readlane_b32 s7, v166, 18
	s_and_b64 s[8:9], s[6:7], vcc
	s_and_saveexec_b64 s[6:7], s[8:9]
	s_cbranch_execz .LBB152_97
; %bb.96:                               ;   in Loop: Header=BB152_13 Depth=1
	v_mul_f32_e32 v1, 0x3fb8aa3b, v161
	v_rndne_f32_e32 v29, v1
	s_mov_b32 s4, 0x3fb8aa3b
	v_sub_f32_e32 v34, v1, v29
	v_fma_f32 v1, v161, s4, -v1
	v_fmac_f32_e32 v1, 0x32a5705f, v161
	v_add_f32_e32 v1, v34, v1
	v_cvt_i32_f32_e32 v29, v29
	v_exp_f32_e32 v1, v1
	s_mov_b32 s4, 0xc2ce8ed0
	v_cmp_ngt_f32_e32 vcc, s4, v161
	s_mov_b32 s4, 0x42b17218
	v_ldexp_f32 v1, v1, v29
	v_cndmask_b32_e32 v1, 0, v1, vcc
	v_cmp_nlt_f32_e32 vcc, s4, v161
	s_mov_b32 s4, 0x3f2aaaab
	s_nop 0
	v_cndmask_b32_e32 v50, v148, v1, vcc
	v_add_f32_e32 v1, 1.0, v50
	v_add_f32_e32 v29, -1.0, v1
	v_sub_f32_e32 v34, v29, v1
	v_add_f32_e32 v34, 1.0, v34
	v_sub_f32_e32 v29, v50, v29
	v_add_f32_e32 v29, v29, v34
	v_frexp_mant_f32_e32 v34, v1
	v_cvt_f64_f32_e32 v[36:37], v1
	v_frexp_exp_i32_f64_e32 v36, v[36:37]
	v_cmp_gt_f32_e32 vcc, s4, v34
	s_mov_b32 s4, 0x3f317218
	s_nop 0
	v_subbrev_co_u32_e32 v34, vcc, 0, v36, vcc
	v_sub_u32_e32 v36, 0, v34
	v_ldexp_f32 v1, v1, v36
	v_ldexp_f32 v29, v29, v36
	v_add_f32_e32 v36, -1.0, v1
	v_add_f32_e32 v37, 1.0, v36
	v_sub_f32_e32 v37, v1, v37
	v_add_f32_e32 v38, v29, v37
	v_add_f32_e32 v37, 1.0, v1
	v_add_f32_e32 v39, -1.0, v37
	v_sub_f32_e32 v1, v1, v39
	v_add_f32_e32 v1, v29, v1
	v_add_f32_e32 v29, v37, v1
	v_rcp_f32_e32 v44, v29
	v_sub_f32_e32 v37, v37, v29
	v_add_f32_e32 v1, v1, v37
	v_add_f32_e32 v37, v36, v38
	v_sub_f32_e32 v36, v36, v37
	v_mul_f32_e32 v46, v37, v44
	v_add_f32_e32 v45, v38, v36
	v_mul_f32_e32 v38, v29, v46
	v_fma_f32 v40, v46, v29, -v38
	v_fmac_f32_e32 v40, v46, v1
	v_add_f32_e32 v36, v38, v40
	v_sub_f32_e32 v39, v37, v36
	v_pk_add_f32 v[42:43], v[36:37], v[38:39] neg_lo:[0,1] neg_hi:[0,1]
	v_mov_b32_e32 v41, v36
	v_pk_add_f32 v[36:37], v[42:43], v[40:41] neg_lo:[0,1] neg_hi:[0,1]
	s_nop 0
	v_add_f32_e32 v37, v45, v37
	v_add_f32_e32 v36, v36, v37
	;; [unrolled: 1-line block ×3, first 2 shown]
	v_mul_f32_e32 v45, v44, v37
	v_mul_f32_e32 v38, v29, v45
	v_fma_f32 v40, v45, v29, -v38
	v_fmac_f32_e32 v40, v45, v1
	v_sub_f32_e32 v1, v39, v37
	v_add_f32_e32 v1, v36, v1
	v_add_f32_e32 v36, v38, v40
	v_sub_f32_e32 v39, v37, v36
	v_pk_add_f32 v[42:43], v[36:37], v[38:39] neg_lo:[0,1] neg_hi:[0,1]
	v_mov_b32_e32 v41, v36
	v_pk_add_f32 v[36:37], v[42:43], v[40:41] neg_lo:[0,1] neg_hi:[0,1]
	s_nop 0
	v_add_f32_e32 v1, v1, v37
	v_add_f32_e32 v1, v36, v1
	;; [unrolled: 1-line block ×4, first 2 shown]
	v_sub_f32_e32 v29, v37, v46
	v_mul_f32_e32 v1, v44, v1
	v_sub_f32_e32 v29, v45, v29
	v_add_f32_e32 v1, v29, v1
	v_add_f32_e32 v38, v37, v1
	v_cvt_f32_i32_e32 v36, v34
	v_mul_f32_e32 v40, v38, v38
	v_fmamk_f32 v29, v40, 0x3e9b6dac, v147
	v_fmaak_f32 v29, v40, v29, 0x3f2aaada
	v_sub_f32_e32 v34, v38, v37
	v_mul_f32_e32 v37, v38, v40
	v_pk_mul_f32 v[40:41], v[36:37], v[28:29]
	v_ldexp_f32 v39, v38, 1
	v_fma_f32 v38, v36, s4, -v40
	v_fmac_f32_e32 v38, 0xb102e308, v36
	v_pk_add_f32 v[36:37], v[40:41], v[38:39]
	v_sub_f32_e32 v1, v1, v34
	v_sub_f32_e32 v29, v37, v39
	v_ldexp_f32 v1, v1, 1
	v_sub_f32_e32 v29, v41, v29
	v_add_f32_e32 v43, v1, v29
	v_mov_b32_e32 v42, v40
	v_pk_add_f32 v[40:41], v[36:37], v[40:41] neg_lo:[0,1] neg_hi:[0,1]
	v_pk_add_f32 v[44:45], v[36:37], v[42:43]
	v_mov_b32_e32 v39, v36
	v_mov_b32_e32 v41, v45
	v_pk_add_f32 v[46:47], v[38:39], v[40:41] neg_lo:[0,1] neg_hi:[0,1]
	v_pk_add_f32 v[38:39], v[38:39], v[40:41]
	s_mov_b32 s4, 0x7f800000
	v_mov_b32_e32 v34, v39
	v_pk_add_f32 v[40:41], v[34:35], v[36:37] neg_lo:[0,1] neg_hi:[0,1]
	v_mov_b32_e32 v38, v45
	v_mov_b32_e32 v1, v40
	v_pk_add_f32 v[48:49], v[44:45], v[0:1] neg_lo:[0,1] neg_hi:[0,1]
	v_mov_b32_e32 v44, v37
	v_mov_b32_e32 v45, v40
	;; [unrolled: 1-line block ×3, first 2 shown]
	v_pk_add_f32 v[38:39], v[38:39], v[44:45] neg_lo:[0,1] neg_hi:[0,1]
	v_mov_b32_e32 v40, v43
	v_mov_b32_e32 v41, v36
	v_pk_add_f32 v[36:37], v[40:41], v[38:39] neg_lo:[0,1] neg_hi:[0,1]
	v_mov_b32_e32 v48, v46
	v_pk_add_f32 v[38:39], v[48:49], v[36:37]
	v_cmp_eq_f32_e32 vcc, s4, v50
	v_mov_b32_e32 v40, v39
	v_pk_add_f32 v[40:41], v[38:39], v[40:41]
	s_mov_b32 s4, 0x33800000
	v_pk_add_f32 v[42:43], v[34:35], v[40:41]
	v_mov_b32_e32 v37, v40
	v_mov_b32_e32 v39, v42
	v_pk_add_f32 v[44:45], v[38:39], v[46:47] neg_lo:[0,1] neg_hi:[0,1]
	v_cmp_gt_f32_e64 s[60:61], s4, v50
	v_sub_f32_e32 v1, v38, v44
	v_pk_add_f32 v[36:37], v[36:37], v[44:45] neg_lo:[0,1] neg_hi:[0,1]
	v_sub_f32_e32 v1, v46, v1
	v_add_f32_e32 v1, v36, v1
	v_add_f32_e32 v1, v1, v37
	;; [unrolled: 1-line block ×3, first 2 shown]
	s_or_b64 vcc, s[60:61], vcc
	v_cndmask_b32_e32 v161, v1, v50, vcc
.LBB152_97:                             ;   in Loop: Header=BB152_13 Depth=1
	s_or_b64 exec, exec, s[6:7]
	v_add_f32_e32 v162, s62, v35
	s_mov_b32 s4, 0x41a00000
	v_readlane_b32 s6, v166, 17
	v_cmp_ge_f32_e32 vcc, s4, v162
	v_readlane_b32 s7, v166, 18
	s_and_b64 s[8:9], s[6:7], vcc
	s_and_saveexec_b64 s[6:7], s[8:9]
	s_cbranch_execz .LBB152_99
; %bb.98:                               ;   in Loop: Header=BB152_13 Depth=1
	v_mul_f32_e32 v1, 0x3fb8aa3b, v162
	v_rndne_f32_e32 v29, v1
	s_mov_b32 s4, 0x3fb8aa3b
	v_sub_f32_e32 v34, v1, v29
	v_fma_f32 v1, v162, s4, -v1
	v_fmac_f32_e32 v1, 0x32a5705f, v162
	v_add_f32_e32 v1, v34, v1
	v_cvt_i32_f32_e32 v29, v29
	v_exp_f32_e32 v1, v1
	s_mov_b32 s4, 0xc2ce8ed0
	v_cmp_ngt_f32_e32 vcc, s4, v162
	s_mov_b32 s4, 0x42b17218
	v_ldexp_f32 v1, v1, v29
	v_cndmask_b32_e32 v1, 0, v1, vcc
	v_cmp_nlt_f32_e32 vcc, s4, v162
	s_mov_b32 s4, 0x3f2aaaab
	s_nop 0
	v_cndmask_b32_e32 v50, v148, v1, vcc
	v_add_f32_e32 v1, 1.0, v50
	v_add_f32_e32 v29, -1.0, v1
	v_sub_f32_e32 v34, v29, v1
	v_add_f32_e32 v34, 1.0, v34
	v_sub_f32_e32 v29, v50, v29
	v_add_f32_e32 v29, v29, v34
	v_frexp_mant_f32_e32 v36, v1
	v_cvt_f64_f32_e32 v[34:35], v1
	v_frexp_exp_i32_f64_e32 v34, v[34:35]
	v_cmp_gt_f32_e32 vcc, s4, v36
	s_mov_b32 s4, 0x3f317218
	s_nop 0
	v_subbrev_co_u32_e32 v42, vcc, 0, v34, vcc
	v_sub_u32_e32 v34, 0, v42
	v_ldexp_f32 v1, v1, v34
	v_ldexp_f32 v29, v29, v34
	v_add_f32_e32 v34, -1.0, v1
	v_add_f32_e32 v35, 1.0, v34
	v_sub_f32_e32 v35, v1, v35
	v_add_f32_e32 v36, v29, v35
	v_add_f32_e32 v35, 1.0, v1
	v_add_f32_e32 v37, -1.0, v35
	v_sub_f32_e32 v1, v1, v37
	v_add_f32_e32 v1, v29, v1
	v_add_f32_e32 v29, v35, v1
	v_rcp_f32_e32 v43, v29
	v_sub_f32_e32 v35, v35, v29
	v_add_f32_e32 v1, v1, v35
	v_add_f32_e32 v35, v34, v36
	v_sub_f32_e32 v34, v34, v35
	v_mul_f32_e32 v45, v35, v43
	v_add_f32_e32 v44, v36, v34
	v_mul_f32_e32 v36, v29, v45
	v_fma_f32 v38, v45, v29, -v36
	v_fmac_f32_e32 v38, v45, v1
	v_add_f32_e32 v34, v36, v38
	v_sub_f32_e32 v37, v35, v34
	v_pk_add_f32 v[40:41], v[34:35], v[36:37] neg_lo:[0,1] neg_hi:[0,1]
	v_mov_b32_e32 v39, v34
	v_pk_add_f32 v[34:35], v[40:41], v[38:39] neg_lo:[0,1] neg_hi:[0,1]
	s_nop 0
	v_add_f32_e32 v35, v44, v35
	v_add_f32_e32 v34, v34, v35
	;; [unrolled: 1-line block ×3, first 2 shown]
	v_mul_f32_e32 v44, v43, v35
	v_mul_f32_e32 v36, v29, v44
	v_fma_f32 v38, v44, v29, -v36
	v_fmac_f32_e32 v38, v44, v1
	v_sub_f32_e32 v1, v37, v35
	v_add_f32_e32 v1, v34, v1
	v_add_f32_e32 v34, v36, v38
	v_sub_f32_e32 v37, v35, v34
	v_pk_add_f32 v[40:41], v[34:35], v[36:37] neg_lo:[0,1] neg_hi:[0,1]
	v_mov_b32_e32 v39, v34
	v_pk_add_f32 v[34:35], v[40:41], v[38:39] neg_lo:[0,1] neg_hi:[0,1]
	s_nop 0
	v_add_f32_e32 v1, v1, v35
	v_add_f32_e32 v1, v34, v1
	;; [unrolled: 1-line block ×4, first 2 shown]
	v_sub_f32_e32 v29, v35, v45
	v_mul_f32_e32 v1, v43, v1
	v_sub_f32_e32 v29, v44, v29
	v_add_f32_e32 v1, v29, v1
	v_add_f32_e32 v36, v35, v1
	v_cvt_f32_i32_e32 v34, v42
	v_mul_f32_e32 v38, v36, v36
	v_fmamk_f32 v29, v38, 0x3e9b6dac, v147
	v_sub_f32_e32 v35, v36, v35
	v_fmaak_f32 v29, v38, v29, 0x3f2aaada
	v_sub_f32_e32 v1, v1, v35
	v_mul_f32_e32 v35, v36, v38
	v_pk_mul_f32 v[38:39], v[34:35], v[28:29]
	v_ldexp_f32 v37, v36, 1
	v_fma_f32 v36, v34, s4, -v38
	v_fmac_f32_e32 v36, 0xb102e308, v34
	v_pk_add_f32 v[34:35], v[38:39], v[36:37]
	v_ldexp_f32 v1, v1, 1
	v_sub_f32_e32 v29, v35, v37
	v_sub_f32_e32 v29, v39, v29
	v_add_f32_e32 v41, v1, v29
	v_mov_b32_e32 v40, v38
	v_pk_add_f32 v[38:39], v[34:35], v[38:39] neg_lo:[0,1] neg_hi:[0,1]
	v_pk_add_f32 v[42:43], v[34:35], v[40:41]
	v_mov_b32_e32 v37, v34
	v_mov_b32_e32 v39, v43
	v_pk_add_f32 v[44:45], v[36:37], v[38:39] neg_lo:[0,1] neg_hi:[0,1]
	v_pk_add_f32 v[36:37], v[36:37], v[38:39]
	v_mov_b32_e32 v40, v41
	v_mov_b32_e32 v38, v37
	v_pk_add_f32 v[46:47], v[38:39], v[34:35] neg_lo:[0,1] neg_hi:[0,1]
	v_mov_b32_e32 v36, v43
	v_mov_b32_e32 v1, v46
	v_pk_add_f32 v[48:49], v[42:43], v[0:1] neg_lo:[0,1] neg_hi:[0,1]
	v_mov_b32_e32 v42, v35
	v_mov_b32_e32 v43, v46
	;; [unrolled: 1-line block ×3, first 2 shown]
	v_pk_add_f32 v[36:37], v[36:37], v[42:43] neg_lo:[0,1] neg_hi:[0,1]
	v_mov_b32_e32 v41, v34
	v_pk_add_f32 v[34:35], v[40:41], v[36:37] neg_lo:[0,1] neg_hi:[0,1]
	v_mov_b32_e32 v48, v44
	v_pk_add_f32 v[36:37], v[48:49], v[34:35]
	s_mov_b32 s4, 0x7f800000
	v_mov_b32_e32 v40, v37
	v_pk_add_f32 v[40:41], v[36:37], v[40:41]
	v_cmp_eq_f32_e32 vcc, s4, v50
	v_pk_add_f32 v[38:39], v[38:39], v[40:41]
	v_mov_b32_e32 v35, v40
	v_mov_b32_e32 v37, v38
	v_pk_add_f32 v[42:43], v[36:37], v[44:45] neg_lo:[0,1] neg_hi:[0,1]
	s_mov_b32 s4, 0x33800000
	v_sub_f32_e32 v1, v36, v42
	v_pk_add_f32 v[34:35], v[34:35], v[42:43] neg_lo:[0,1] neg_hi:[0,1]
	v_sub_f32_e32 v1, v44, v1
	v_add_f32_e32 v1, v34, v1
	v_add_f32_e32 v1, v1, v35
	v_cmp_gt_f32_e64 s[60:61], s4, v50
	v_add_f32_e32 v1, v38, v1
	s_or_b64 vcc, s[60:61], vcc
	v_cndmask_b32_e32 v162, v1, v50, vcc
.LBB152_99:                             ;   in Loop: Header=BB152_13 Depth=1
	s_or_b64 exec, exec, s[6:7]
	s_waitcnt lgkmcnt(1)
	v_add_f32_e32 v163, s62, v32
	s_mov_b32 s4, 0x41a00000
	v_readlane_b32 s6, v166, 17
	v_cmp_ge_f32_e32 vcc, s4, v163
	v_readlane_b32 s7, v166, 18
	s_and_b64 s[8:9], s[6:7], vcc
	s_and_saveexec_b64 s[6:7], s[8:9]
	s_cbranch_execz .LBB152_101
; %bb.100:                              ;   in Loop: Header=BB152_13 Depth=1
	v_mul_f32_e32 v1, 0x3fb8aa3b, v163
	v_rndne_f32_e32 v29, v1
	s_mov_b32 s4, 0x3fb8aa3b
	v_sub_f32_e32 v32, v1, v29
	v_fma_f32 v1, v163, s4, -v1
	v_fmac_f32_e32 v1, 0x32a5705f, v163
	v_add_f32_e32 v1, v32, v1
	v_cvt_i32_f32_e32 v29, v29
	v_exp_f32_e32 v1, v1
	s_mov_b32 s4, 0xc2ce8ed0
	v_cmp_ngt_f32_e32 vcc, s4, v163
	s_mov_b32 s4, 0x42b17218
	v_ldexp_f32 v1, v1, v29
	v_cndmask_b32_e32 v1, 0, v1, vcc
	v_cmp_nlt_f32_e32 vcc, s4, v163
	s_mov_b32 s4, 0x3f2aaaab
	s_nop 0
	v_cndmask_b32_e32 v48, v148, v1, vcc
	v_add_f32_e32 v1, 1.0, v48
	v_add_f32_e32 v29, -1.0, v1
	v_sub_f32_e32 v32, v29, v1
	v_add_f32_e32 v32, 1.0, v32
	v_sub_f32_e32 v29, v48, v29
	v_add_f32_e32 v29, v29, v32
	v_frexp_mant_f32_e32 v32, v1
	v_cvt_f64_f32_e32 v[34:35], v1
	v_frexp_exp_i32_f64_e32 v34, v[34:35]
	v_cmp_gt_f32_e32 vcc, s4, v32
	s_mov_b32 s4, 0x3f317218
	s_nop 0
	v_subbrev_co_u32_e32 v32, vcc, 0, v34, vcc
	v_sub_u32_e32 v34, 0, v32
	v_ldexp_f32 v1, v1, v34
	v_ldexp_f32 v29, v29, v34
	v_add_f32_e32 v34, -1.0, v1
	v_add_f32_e32 v35, 1.0, v34
	v_sub_f32_e32 v35, v1, v35
	v_add_f32_e32 v36, v29, v35
	v_add_f32_e32 v35, 1.0, v1
	v_add_f32_e32 v37, -1.0, v35
	v_sub_f32_e32 v1, v1, v37
	v_add_f32_e32 v1, v29, v1
	v_add_f32_e32 v29, v35, v1
	v_rcp_f32_e32 v42, v29
	v_sub_f32_e32 v35, v35, v29
	v_add_f32_e32 v1, v1, v35
	v_add_f32_e32 v35, v34, v36
	v_sub_f32_e32 v34, v34, v35
	v_mul_f32_e32 v44, v35, v42
	v_add_f32_e32 v43, v36, v34
	v_mul_f32_e32 v36, v29, v44
	v_fma_f32 v38, v44, v29, -v36
	v_fmac_f32_e32 v38, v44, v1
	v_add_f32_e32 v34, v36, v38
	v_sub_f32_e32 v37, v35, v34
	v_pk_add_f32 v[40:41], v[34:35], v[36:37] neg_lo:[0,1] neg_hi:[0,1]
	v_mov_b32_e32 v39, v34
	v_pk_add_f32 v[34:35], v[40:41], v[38:39] neg_lo:[0,1] neg_hi:[0,1]
	s_nop 0
	v_add_f32_e32 v35, v43, v35
	v_add_f32_e32 v34, v34, v35
	;; [unrolled: 1-line block ×3, first 2 shown]
	v_mul_f32_e32 v43, v42, v35
	v_mul_f32_e32 v36, v29, v43
	v_fma_f32 v38, v43, v29, -v36
	v_fmac_f32_e32 v38, v43, v1
	v_sub_f32_e32 v1, v37, v35
	v_add_f32_e32 v1, v34, v1
	v_add_f32_e32 v34, v36, v38
	v_sub_f32_e32 v37, v35, v34
	v_pk_add_f32 v[40:41], v[34:35], v[36:37] neg_lo:[0,1] neg_hi:[0,1]
	v_mov_b32_e32 v39, v34
	v_pk_add_f32 v[34:35], v[40:41], v[38:39] neg_lo:[0,1] neg_hi:[0,1]
	s_nop 0
	v_add_f32_e32 v1, v1, v35
	v_add_f32_e32 v1, v34, v1
	;; [unrolled: 1-line block ×4, first 2 shown]
	v_sub_f32_e32 v29, v35, v44
	v_mul_f32_e32 v1, v42, v1
	v_sub_f32_e32 v29, v43, v29
	v_add_f32_e32 v1, v29, v1
	v_add_f32_e32 v36, v35, v1
	v_cvt_f32_i32_e32 v34, v32
	v_mul_f32_e32 v38, v36, v36
	v_fmamk_f32 v29, v38, 0x3e9b6dac, v147
	v_fmaak_f32 v29, v38, v29, 0x3f2aaada
	v_sub_f32_e32 v32, v36, v35
	v_mul_f32_e32 v35, v36, v38
	v_pk_mul_f32 v[38:39], v[34:35], v[28:29]
	v_ldexp_f32 v37, v36, 1
	v_fma_f32 v36, v34, s4, -v38
	v_fmac_f32_e32 v36, 0xb102e308, v34
	v_pk_add_f32 v[34:35], v[38:39], v[36:37]
	v_sub_f32_e32 v1, v1, v32
	v_sub_f32_e32 v29, v35, v37
	v_ldexp_f32 v1, v1, 1
	v_sub_f32_e32 v29, v39, v29
	v_add_f32_e32 v41, v1, v29
	v_mov_b32_e32 v40, v38
	v_pk_add_f32 v[38:39], v[34:35], v[38:39] neg_lo:[0,1] neg_hi:[0,1]
	v_pk_add_f32 v[42:43], v[34:35], v[40:41]
	v_mov_b32_e32 v37, v34
	v_mov_b32_e32 v39, v43
	v_pk_add_f32 v[44:45], v[36:37], v[38:39] neg_lo:[0,1] neg_hi:[0,1]
	v_pk_add_f32 v[36:37], v[36:37], v[38:39]
	s_mov_b32 s4, 0x7f800000
	v_mov_b32_e32 v32, v37
	v_pk_add_f32 v[38:39], v[32:33], v[34:35] neg_lo:[0,1] neg_hi:[0,1]
	v_mov_b32_e32 v36, v43
	v_mov_b32_e32 v1, v38
	v_pk_add_f32 v[46:47], v[42:43], v[0:1] neg_lo:[0,1] neg_hi:[0,1]
	v_mov_b32_e32 v42, v35
	v_mov_b32_e32 v43, v38
	;; [unrolled: 1-line block ×3, first 2 shown]
	v_pk_add_f32 v[36:37], v[36:37], v[42:43] neg_lo:[0,1] neg_hi:[0,1]
	v_mov_b32_e32 v38, v41
	v_mov_b32_e32 v39, v34
	v_pk_add_f32 v[34:35], v[38:39], v[36:37] neg_lo:[0,1] neg_hi:[0,1]
	v_mov_b32_e32 v46, v44
	v_pk_add_f32 v[36:37], v[46:47], v[34:35]
	v_cmp_eq_f32_e32 vcc, s4, v48
	v_mov_b32_e32 v38, v37
	v_pk_add_f32 v[38:39], v[36:37], v[38:39]
	s_mov_b32 s4, 0x33800000
	v_pk_add_f32 v[40:41], v[32:33], v[38:39]
	v_mov_b32_e32 v35, v38
	v_mov_b32_e32 v37, v40
	v_pk_add_f32 v[42:43], v[36:37], v[44:45] neg_lo:[0,1] neg_hi:[0,1]
	v_cmp_gt_f32_e64 s[60:61], s4, v48
	v_sub_f32_e32 v1, v36, v42
	v_pk_add_f32 v[34:35], v[34:35], v[42:43] neg_lo:[0,1] neg_hi:[0,1]
	v_sub_f32_e32 v1, v44, v1
	v_add_f32_e32 v1, v34, v1
	v_add_f32_e32 v1, v1, v35
	;; [unrolled: 1-line block ×3, first 2 shown]
	s_or_b64 vcc, s[60:61], vcc
	v_cndmask_b32_e32 v163, v1, v48, vcc
.LBB152_101:                            ;   in Loop: Header=BB152_13 Depth=1
	s_or_b64 exec, exec, s[6:7]
	v_add_f32_e32 v164, s62, v33
	s_mov_b32 s4, 0x41a00000
	v_readlane_b32 s6, v166, 17
	v_cmp_ge_f32_e32 vcc, s4, v164
	v_readlane_b32 s7, v166, 18
	s_and_b64 s[8:9], s[6:7], vcc
	s_and_saveexec_b64 s[6:7], s[8:9]
	s_cbranch_execz .LBB152_103
; %bb.102:                              ;   in Loop: Header=BB152_13 Depth=1
	v_mul_f32_e32 v1, 0x3fb8aa3b, v164
	v_rndne_f32_e32 v29, v1
	s_mov_b32 s4, 0x3fb8aa3b
	v_sub_f32_e32 v32, v1, v29
	v_fma_f32 v1, v164, s4, -v1
	v_fmac_f32_e32 v1, 0x32a5705f, v164
	v_add_f32_e32 v1, v32, v1
	v_cvt_i32_f32_e32 v29, v29
	v_exp_f32_e32 v1, v1
	s_mov_b32 s4, 0xc2ce8ed0
	v_cmp_ngt_f32_e32 vcc, s4, v164
	s_mov_b32 s4, 0x42b17218
	v_ldexp_f32 v1, v1, v29
	v_cndmask_b32_e32 v1, 0, v1, vcc
	v_cmp_nlt_f32_e32 vcc, s4, v164
	s_mov_b32 s4, 0x3f2aaaab
	s_nop 0
	v_cndmask_b32_e32 v48, v148, v1, vcc
	v_add_f32_e32 v1, 1.0, v48
	v_add_f32_e32 v29, -1.0, v1
	v_sub_f32_e32 v32, v29, v1
	v_add_f32_e32 v32, 1.0, v32
	v_sub_f32_e32 v29, v48, v29
	v_add_f32_e32 v29, v29, v32
	v_frexp_mant_f32_e32 v34, v1
	v_cvt_f64_f32_e32 v[32:33], v1
	v_frexp_exp_i32_f64_e32 v32, v[32:33]
	v_cmp_gt_f32_e32 vcc, s4, v34
	s_mov_b32 s4, 0x3f317218
	s_nop 0
	v_subbrev_co_u32_e32 v40, vcc, 0, v32, vcc
	v_sub_u32_e32 v32, 0, v40
	v_ldexp_f32 v1, v1, v32
	v_ldexp_f32 v29, v29, v32
	v_add_f32_e32 v32, -1.0, v1
	v_add_f32_e32 v33, 1.0, v32
	v_sub_f32_e32 v33, v1, v33
	v_add_f32_e32 v34, v29, v33
	v_add_f32_e32 v33, 1.0, v1
	v_add_f32_e32 v35, -1.0, v33
	v_sub_f32_e32 v1, v1, v35
	v_add_f32_e32 v1, v29, v1
	v_add_f32_e32 v29, v33, v1
	v_rcp_f32_e32 v41, v29
	v_sub_f32_e32 v33, v33, v29
	v_add_f32_e32 v1, v1, v33
	v_add_f32_e32 v33, v32, v34
	v_sub_f32_e32 v32, v32, v33
	v_mul_f32_e32 v43, v33, v41
	v_add_f32_e32 v42, v34, v32
	v_mul_f32_e32 v34, v29, v43
	v_fma_f32 v36, v43, v29, -v34
	v_fmac_f32_e32 v36, v43, v1
	v_add_f32_e32 v32, v34, v36
	v_sub_f32_e32 v35, v33, v32
	v_pk_add_f32 v[38:39], v[32:33], v[34:35] neg_lo:[0,1] neg_hi:[0,1]
	v_mov_b32_e32 v37, v32
	v_pk_add_f32 v[32:33], v[38:39], v[36:37] neg_lo:[0,1] neg_hi:[0,1]
	s_nop 0
	v_add_f32_e32 v33, v42, v33
	v_add_f32_e32 v32, v32, v33
	;; [unrolled: 1-line block ×3, first 2 shown]
	v_mul_f32_e32 v42, v41, v33
	v_mul_f32_e32 v34, v29, v42
	v_fma_f32 v36, v42, v29, -v34
	v_fmac_f32_e32 v36, v42, v1
	v_sub_f32_e32 v1, v35, v33
	v_add_f32_e32 v1, v32, v1
	v_add_f32_e32 v32, v34, v36
	v_sub_f32_e32 v35, v33, v32
	v_pk_add_f32 v[38:39], v[32:33], v[34:35] neg_lo:[0,1] neg_hi:[0,1]
	v_mov_b32_e32 v37, v32
	v_pk_add_f32 v[32:33], v[38:39], v[36:37] neg_lo:[0,1] neg_hi:[0,1]
	s_nop 0
	v_add_f32_e32 v1, v1, v33
	v_add_f32_e32 v1, v32, v1
	;; [unrolled: 1-line block ×4, first 2 shown]
	v_sub_f32_e32 v29, v33, v43
	v_mul_f32_e32 v1, v41, v1
	v_sub_f32_e32 v29, v42, v29
	v_add_f32_e32 v1, v29, v1
	v_add_f32_e32 v34, v33, v1
	v_cvt_f32_i32_e32 v32, v40
	v_mul_f32_e32 v36, v34, v34
	v_fmamk_f32 v29, v36, 0x3e9b6dac, v147
	v_sub_f32_e32 v33, v34, v33
	v_fmaak_f32 v29, v36, v29, 0x3f2aaada
	v_sub_f32_e32 v1, v1, v33
	v_mul_f32_e32 v33, v34, v36
	v_pk_mul_f32 v[36:37], v[32:33], v[28:29]
	v_ldexp_f32 v35, v34, 1
	v_fma_f32 v34, v32, s4, -v36
	v_fmac_f32_e32 v34, 0xb102e308, v32
	v_pk_add_f32 v[32:33], v[36:37], v[34:35]
	v_ldexp_f32 v1, v1, 1
	v_sub_f32_e32 v29, v33, v35
	v_sub_f32_e32 v29, v37, v29
	v_add_f32_e32 v39, v1, v29
	v_mov_b32_e32 v38, v36
	v_pk_add_f32 v[36:37], v[32:33], v[36:37] neg_lo:[0,1] neg_hi:[0,1]
	v_pk_add_f32 v[40:41], v[32:33], v[38:39]
	v_mov_b32_e32 v35, v32
	v_mov_b32_e32 v37, v41
	v_pk_add_f32 v[42:43], v[34:35], v[36:37] neg_lo:[0,1] neg_hi:[0,1]
	v_pk_add_f32 v[34:35], v[34:35], v[36:37]
	v_mov_b32_e32 v38, v39
	v_mov_b32_e32 v36, v35
	v_pk_add_f32 v[44:45], v[36:37], v[32:33] neg_lo:[0,1] neg_hi:[0,1]
	v_mov_b32_e32 v34, v41
	v_mov_b32_e32 v1, v44
	v_pk_add_f32 v[46:47], v[40:41], v[0:1] neg_lo:[0,1] neg_hi:[0,1]
	v_mov_b32_e32 v40, v33
	v_mov_b32_e32 v41, v44
	v_mov_b32_e32 v43, v35
	v_pk_add_f32 v[34:35], v[34:35], v[40:41] neg_lo:[0,1] neg_hi:[0,1]
	v_mov_b32_e32 v39, v32
	v_pk_add_f32 v[32:33], v[38:39], v[34:35] neg_lo:[0,1] neg_hi:[0,1]
	v_mov_b32_e32 v46, v42
	v_pk_add_f32 v[34:35], v[46:47], v[32:33]
	s_mov_b32 s4, 0x7f800000
	v_mov_b32_e32 v38, v35
	v_pk_add_f32 v[38:39], v[34:35], v[38:39]
	v_cmp_eq_f32_e32 vcc, s4, v48
	v_pk_add_f32 v[36:37], v[36:37], v[38:39]
	v_mov_b32_e32 v33, v38
	v_mov_b32_e32 v35, v36
	v_pk_add_f32 v[40:41], v[34:35], v[42:43] neg_lo:[0,1] neg_hi:[0,1]
	s_mov_b32 s4, 0x33800000
	v_sub_f32_e32 v1, v34, v40
	v_pk_add_f32 v[32:33], v[32:33], v[40:41] neg_lo:[0,1] neg_hi:[0,1]
	v_sub_f32_e32 v1, v42, v1
	v_add_f32_e32 v1, v32, v1
	v_add_f32_e32 v1, v1, v33
	v_cmp_gt_f32_e64 s[60:61], s4, v48
	v_add_f32_e32 v1, v36, v1
	s_or_b64 vcc, s[60:61], vcc
	v_cndmask_b32_e32 v164, v1, v48, vcc
.LBB152_103:                            ;   in Loop: Header=BB152_13 Depth=1
	s_or_b64 exec, exec, s[6:7]
	s_waitcnt lgkmcnt(0)
	v_add_f32_e32 v46, s62, v30
	s_mov_b32 s4, 0x41a00000
	v_readlane_b32 s6, v166, 17
	v_cmp_ge_f32_e32 vcc, s4, v46
	v_readlane_b32 s7, v166, 18
	s_and_b64 s[8:9], s[6:7], vcc
	s_and_saveexec_b64 s[6:7], s[8:9]
	s_cbranch_execz .LBB152_105
; %bb.104:                              ;   in Loop: Header=BB152_13 Depth=1
	v_mul_f32_e32 v1, 0x3fb8aa3b, v46
	v_rndne_f32_e32 v29, v1
	s_mov_b32 s4, 0x3fb8aa3b
	v_sub_f32_e32 v30, v1, v29
	v_fma_f32 v1, v46, s4, -v1
	v_fmac_f32_e32 v1, 0x32a5705f, v46
	v_add_f32_e32 v1, v30, v1
	v_cvt_i32_f32_e32 v29, v29
	v_exp_f32_e32 v1, v1
	s_mov_b32 s4, 0xc2ce8ed0
	v_cmp_ngt_f32_e32 vcc, s4, v46
	s_mov_b32 s4, 0x42b17218
	v_ldexp_f32 v1, v1, v29
	v_cndmask_b32_e32 v1, 0, v1, vcc
	v_cmp_nlt_f32_e32 vcc, s4, v46
	s_mov_b32 s4, 0x3f2aaaab
	s_nop 0
	v_cndmask_b32_e32 v46, v148, v1, vcc
	v_add_f32_e32 v1, 1.0, v46
	v_add_f32_e32 v29, -1.0, v1
	v_sub_f32_e32 v30, v29, v1
	v_add_f32_e32 v30, 1.0, v30
	v_sub_f32_e32 v29, v46, v29
	v_add_f32_e32 v29, v29, v30
	v_frexp_mant_f32_e32 v30, v1
	v_cvt_f64_f32_e32 v[32:33], v1
	v_frexp_exp_i32_f64_e32 v32, v[32:33]
	v_cmp_gt_f32_e32 vcc, s4, v30
	s_mov_b32 s4, 0x3f317218
	s_nop 0
	v_subbrev_co_u32_e32 v30, vcc, 0, v32, vcc
	v_sub_u32_e32 v32, 0, v30
	v_ldexp_f32 v1, v1, v32
	v_ldexp_f32 v29, v29, v32
	v_add_f32_e32 v32, -1.0, v1
	v_add_f32_e32 v33, 1.0, v32
	v_sub_f32_e32 v33, v1, v33
	v_add_f32_e32 v34, v29, v33
	v_add_f32_e32 v33, 1.0, v1
	v_add_f32_e32 v35, -1.0, v33
	v_sub_f32_e32 v1, v1, v35
	v_add_f32_e32 v1, v29, v1
	v_add_f32_e32 v29, v33, v1
	v_rcp_f32_e32 v40, v29
	v_sub_f32_e32 v33, v33, v29
	v_add_f32_e32 v1, v1, v33
	v_add_f32_e32 v33, v32, v34
	v_sub_f32_e32 v32, v32, v33
	v_mul_f32_e32 v42, v33, v40
	v_add_f32_e32 v41, v34, v32
	v_mul_f32_e32 v34, v29, v42
	v_fma_f32 v36, v42, v29, -v34
	v_fmac_f32_e32 v36, v42, v1
	v_add_f32_e32 v32, v34, v36
	v_sub_f32_e32 v35, v33, v32
	v_pk_add_f32 v[38:39], v[32:33], v[34:35] neg_lo:[0,1] neg_hi:[0,1]
	v_mov_b32_e32 v37, v32
	v_pk_add_f32 v[32:33], v[38:39], v[36:37] neg_lo:[0,1] neg_hi:[0,1]
	s_nop 0
	v_add_f32_e32 v33, v41, v33
	v_add_f32_e32 v32, v32, v33
	;; [unrolled: 1-line block ×3, first 2 shown]
	v_mul_f32_e32 v41, v40, v33
	v_mul_f32_e32 v34, v29, v41
	v_fma_f32 v36, v41, v29, -v34
	v_fmac_f32_e32 v36, v41, v1
	v_sub_f32_e32 v1, v35, v33
	v_add_f32_e32 v1, v32, v1
	v_add_f32_e32 v32, v34, v36
	v_sub_f32_e32 v35, v33, v32
	v_pk_add_f32 v[38:39], v[32:33], v[34:35] neg_lo:[0,1] neg_hi:[0,1]
	v_mov_b32_e32 v37, v32
	v_pk_add_f32 v[32:33], v[38:39], v[36:37] neg_lo:[0,1] neg_hi:[0,1]
	s_nop 0
	v_add_f32_e32 v1, v1, v33
	v_add_f32_e32 v1, v32, v1
	;; [unrolled: 1-line block ×4, first 2 shown]
	v_sub_f32_e32 v29, v33, v42
	v_mul_f32_e32 v1, v40, v1
	v_sub_f32_e32 v29, v41, v29
	v_add_f32_e32 v1, v29, v1
	v_add_f32_e32 v34, v33, v1
	v_cvt_f32_i32_e32 v32, v30
	v_mul_f32_e32 v36, v34, v34
	v_fmamk_f32 v29, v36, 0x3e9b6dac, v147
	v_fmaak_f32 v29, v36, v29, 0x3f2aaada
	v_sub_f32_e32 v30, v34, v33
	v_mul_f32_e32 v33, v34, v36
	v_pk_mul_f32 v[36:37], v[32:33], v[28:29]
	v_ldexp_f32 v35, v34, 1
	v_fma_f32 v34, v32, s4, -v36
	v_fmac_f32_e32 v34, 0xb102e308, v32
	v_pk_add_f32 v[32:33], v[36:37], v[34:35]
	v_sub_f32_e32 v1, v1, v30
	v_sub_f32_e32 v29, v33, v35
	v_ldexp_f32 v1, v1, 1
	v_sub_f32_e32 v29, v37, v29
	v_add_f32_e32 v39, v1, v29
	v_mov_b32_e32 v38, v36
	v_pk_add_f32 v[36:37], v[32:33], v[36:37] neg_lo:[0,1] neg_hi:[0,1]
	v_pk_add_f32 v[40:41], v[32:33], v[38:39]
	v_mov_b32_e32 v35, v32
	v_mov_b32_e32 v37, v41
	v_pk_add_f32 v[42:43], v[34:35], v[36:37] neg_lo:[0,1] neg_hi:[0,1]
	v_pk_add_f32 v[34:35], v[34:35], v[36:37]
	s_mov_b32 s4, 0x7f800000
	v_mov_b32_e32 v30, v35
	v_pk_add_f32 v[36:37], v[30:31], v[32:33] neg_lo:[0,1] neg_hi:[0,1]
	v_mov_b32_e32 v34, v41
	v_mov_b32_e32 v1, v36
	v_pk_add_f32 v[44:45], v[40:41], v[0:1] neg_lo:[0,1] neg_hi:[0,1]
	v_mov_b32_e32 v40, v33
	v_mov_b32_e32 v41, v36
	;; [unrolled: 1-line block ×3, first 2 shown]
	v_pk_add_f32 v[34:35], v[34:35], v[40:41] neg_lo:[0,1] neg_hi:[0,1]
	v_mov_b32_e32 v36, v39
	v_mov_b32_e32 v37, v32
	v_pk_add_f32 v[32:33], v[36:37], v[34:35] neg_lo:[0,1] neg_hi:[0,1]
	v_mov_b32_e32 v44, v42
	v_pk_add_f32 v[34:35], v[44:45], v[32:33]
	v_cmp_eq_f32_e32 vcc, s4, v46
	v_mov_b32_e32 v36, v35
	v_pk_add_f32 v[36:37], v[34:35], v[36:37]
	s_mov_b32 s4, 0x33800000
	v_pk_add_f32 v[38:39], v[30:31], v[36:37]
	v_mov_b32_e32 v33, v36
	v_mov_b32_e32 v35, v38
	v_pk_add_f32 v[40:41], v[34:35], v[42:43] neg_lo:[0,1] neg_hi:[0,1]
	v_cmp_gt_f32_e64 s[60:61], s4, v46
	v_sub_f32_e32 v1, v34, v40
	v_pk_add_f32 v[32:33], v[32:33], v[40:41] neg_lo:[0,1] neg_hi:[0,1]
	v_sub_f32_e32 v1, v42, v1
	v_add_f32_e32 v1, v32, v1
	v_add_f32_e32 v1, v1, v33
	;; [unrolled: 1-line block ×3, first 2 shown]
	s_or_b64 vcc, s[60:61], vcc
	v_cndmask_b32_e32 v46, v1, v46, vcc
.LBB152_105:                            ;   in Loop: Header=BB152_13 Depth=1
	s_or_b64 exec, exec, s[6:7]
	v_add_f32_e32 v47, s62, v31
	s_mov_b32 s4, 0x41a00000
	v_readlane_b32 s6, v166, 17
	v_cmp_ge_f32_e32 vcc, s4, v47
	v_readlane_b32 s7, v166, 18
	s_and_b64 s[8:9], s[6:7], vcc
	s_and_saveexec_b64 s[6:7], s[8:9]
	s_cbranch_execz .LBB152_107
; %bb.106:                              ;   in Loop: Header=BB152_13 Depth=1
	v_mul_f32_e32 v1, 0x3fb8aa3b, v47
	v_rndne_f32_e32 v29, v1
	s_mov_b32 s4, 0x3fb8aa3b
	v_sub_f32_e32 v30, v1, v29
	v_fma_f32 v1, v47, s4, -v1
	v_fmac_f32_e32 v1, 0x32a5705f, v47
	v_add_f32_e32 v1, v30, v1
	v_cvt_i32_f32_e32 v29, v29
	v_exp_f32_e32 v1, v1
	s_mov_b32 s4, 0xc2ce8ed0
	v_cmp_ngt_f32_e32 vcc, s4, v47
	s_mov_b32 s4, 0x42b17218
	v_ldexp_f32 v1, v1, v29
	v_cndmask_b32_e32 v1, 0, v1, vcc
	v_cmp_nlt_f32_e32 vcc, s4, v47
	s_mov_b32 s4, 0x3f2aaaab
	s_nop 0
	v_cndmask_b32_e32 v47, v148, v1, vcc
	v_add_f32_e32 v1, 1.0, v47
	v_add_f32_e32 v29, -1.0, v1
	v_sub_f32_e32 v30, v29, v1
	v_add_f32_e32 v30, 1.0, v30
	v_sub_f32_e32 v29, v47, v29
	v_add_f32_e32 v29, v29, v30
	v_frexp_mant_f32_e32 v32, v1
	v_cvt_f64_f32_e32 v[30:31], v1
	v_frexp_exp_i32_f64_e32 v30, v[30:31]
	v_cmp_gt_f32_e32 vcc, s4, v32
	s_mov_b32 s4, 0x3f317218
	s_nop 0
	v_subbrev_co_u32_e32 v38, vcc, 0, v30, vcc
	v_sub_u32_e32 v30, 0, v38
	v_ldexp_f32 v1, v1, v30
	v_ldexp_f32 v29, v29, v30
	v_add_f32_e32 v30, -1.0, v1
	v_add_f32_e32 v31, 1.0, v30
	v_sub_f32_e32 v31, v1, v31
	v_add_f32_e32 v32, v29, v31
	v_add_f32_e32 v31, 1.0, v1
	v_add_f32_e32 v33, -1.0, v31
	v_sub_f32_e32 v1, v1, v33
	v_add_f32_e32 v1, v29, v1
	v_add_f32_e32 v29, v31, v1
	v_rcp_f32_e32 v39, v29
	v_sub_f32_e32 v31, v31, v29
	v_add_f32_e32 v1, v1, v31
	v_add_f32_e32 v31, v30, v32
	v_sub_f32_e32 v30, v30, v31
	v_mul_f32_e32 v41, v31, v39
	v_add_f32_e32 v40, v32, v30
	v_mul_f32_e32 v32, v29, v41
	v_fma_f32 v34, v41, v29, -v32
	v_fmac_f32_e32 v34, v41, v1
	v_add_f32_e32 v30, v32, v34
	v_sub_f32_e32 v33, v31, v30
	v_pk_add_f32 v[36:37], v[30:31], v[32:33] neg_lo:[0,1] neg_hi:[0,1]
	v_mov_b32_e32 v35, v30
	v_pk_add_f32 v[30:31], v[36:37], v[34:35] neg_lo:[0,1] neg_hi:[0,1]
	s_nop 0
	v_add_f32_e32 v31, v40, v31
	v_add_f32_e32 v30, v30, v31
	;; [unrolled: 1-line block ×3, first 2 shown]
	v_mul_f32_e32 v40, v39, v31
	v_mul_f32_e32 v32, v29, v40
	v_fma_f32 v34, v40, v29, -v32
	v_fmac_f32_e32 v34, v40, v1
	v_sub_f32_e32 v1, v33, v31
	v_add_f32_e32 v1, v30, v1
	v_add_f32_e32 v30, v32, v34
	v_sub_f32_e32 v33, v31, v30
	v_pk_add_f32 v[36:37], v[30:31], v[32:33] neg_lo:[0,1] neg_hi:[0,1]
	v_mov_b32_e32 v35, v30
	v_pk_add_f32 v[30:31], v[36:37], v[34:35] neg_lo:[0,1] neg_hi:[0,1]
	s_nop 0
	v_add_f32_e32 v1, v1, v31
	v_add_f32_e32 v1, v30, v1
	;; [unrolled: 1-line block ×4, first 2 shown]
	v_sub_f32_e32 v29, v31, v41
	v_mul_f32_e32 v1, v39, v1
	v_sub_f32_e32 v29, v40, v29
	v_add_f32_e32 v1, v29, v1
	v_add_f32_e32 v32, v31, v1
	v_cvt_f32_i32_e32 v30, v38
	v_mul_f32_e32 v34, v32, v32
	v_fmamk_f32 v29, v34, 0x3e9b6dac, v147
	v_sub_f32_e32 v31, v32, v31
	v_fmaak_f32 v29, v34, v29, 0x3f2aaada
	v_sub_f32_e32 v1, v1, v31
	v_mul_f32_e32 v31, v32, v34
	v_pk_mul_f32 v[34:35], v[30:31], v[28:29]
	v_ldexp_f32 v33, v32, 1
	v_fma_f32 v32, v30, s4, -v34
	v_fmac_f32_e32 v32, 0xb102e308, v30
	v_pk_add_f32 v[30:31], v[34:35], v[32:33]
	v_ldexp_f32 v1, v1, 1
	v_sub_f32_e32 v29, v31, v33
	v_sub_f32_e32 v29, v35, v29
	v_add_f32_e32 v37, v1, v29
	v_mov_b32_e32 v36, v34
	v_pk_add_f32 v[34:35], v[30:31], v[34:35] neg_lo:[0,1] neg_hi:[0,1]
	v_pk_add_f32 v[38:39], v[30:31], v[36:37]
	v_mov_b32_e32 v33, v30
	v_mov_b32_e32 v35, v39
	v_pk_add_f32 v[40:41], v[32:33], v[34:35] neg_lo:[0,1] neg_hi:[0,1]
	v_pk_add_f32 v[32:33], v[32:33], v[34:35]
	v_mov_b32_e32 v36, v37
	v_mov_b32_e32 v34, v33
	v_pk_add_f32 v[42:43], v[34:35], v[30:31] neg_lo:[0,1] neg_hi:[0,1]
	v_mov_b32_e32 v32, v39
	v_mov_b32_e32 v1, v42
	v_pk_add_f32 v[44:45], v[38:39], v[0:1] neg_lo:[0,1] neg_hi:[0,1]
	v_mov_b32_e32 v38, v31
	v_mov_b32_e32 v39, v42
	;; [unrolled: 1-line block ×3, first 2 shown]
	v_pk_add_f32 v[32:33], v[32:33], v[38:39] neg_lo:[0,1] neg_hi:[0,1]
	v_mov_b32_e32 v37, v30
	v_pk_add_f32 v[30:31], v[36:37], v[32:33] neg_lo:[0,1] neg_hi:[0,1]
	v_mov_b32_e32 v44, v40
	v_pk_add_f32 v[32:33], v[44:45], v[30:31]
	s_mov_b32 s4, 0x7f800000
	v_mov_b32_e32 v36, v33
	v_pk_add_f32 v[36:37], v[32:33], v[36:37]
	v_cmp_eq_f32_e32 vcc, s4, v47
	v_pk_add_f32 v[34:35], v[34:35], v[36:37]
	v_mov_b32_e32 v31, v36
	v_mov_b32_e32 v33, v34
	v_pk_add_f32 v[38:39], v[32:33], v[40:41] neg_lo:[0,1] neg_hi:[0,1]
	s_mov_b32 s4, 0x33800000
	v_sub_f32_e32 v1, v32, v38
	v_pk_add_f32 v[30:31], v[30:31], v[38:39] neg_lo:[0,1] neg_hi:[0,1]
	v_sub_f32_e32 v1, v40, v1
	v_add_f32_e32 v1, v30, v1
	v_add_f32_e32 v1, v1, v31
	v_cmp_gt_f32_e64 s[60:61], s4, v47
	v_add_f32_e32 v1, v34, v1
	s_or_b64 vcc, s[60:61], vcc
	v_cndmask_b32_e32 v47, v1, v47, vcc
.LBB152_107:                            ;   in Loop: Header=BB152_13 Depth=1
	s_or_b64 exec, exec, s[6:7]
	v_readlane_b32 s6, v166, 20
	v_readlane_b32 s4, v166, 2
	;; [unrolled: 1-line block ×3, first 2 shown]
	s_and_b64 vcc, exec, s[6:7]
	v_mul_f32_e32 v30, s4, v18
	v_mul_f32_e32 v33, s4, v17
	;; [unrolled: 1-line block ×16, first 2 shown]
	s_barrier
	s_cbranch_vccz .LBB152_204
; %bb.108:                              ;   in Loop: Header=BB152_13 Depth=1
	v_writelane_b32 v166, s64, 60
	s_cmp_lg_u32 s24, 0
	s_cselect_b64 s[6:7], -1, 0
	v_writelane_b32 v166, s65, 61
	v_writelane_b32 v166, s66, 62
	v_lshl_add_u64 v[48:49], s[64:65], 0, v[2:3]
	v_cmp_gt_u32_e32 vcc, s10, v21
	v_writelane_b32 v166, s67, 63
	v_lshl_add_u64 v[50:51], s[66:67], 0, v[2:3]
	v_readlane_b32 s8, v166, 24
	v_readlane_b32 s12, v166, 46
	s_cmp_eq_u32 s24, s8
	v_readlane_b32 s13, v166, 47
	v_or_b32_e32 v2, 1, v21
	s_cselect_b64 s[8:9], -1, 0
	s_or_b64 s[60:61], s[12:13], vcc
	v_cmp_gt_u32_e32 vcc, s10, v2
	v_or_b32_e32 v2, 2, v21
	s_or_b64 s[62:63], s[12:13], vcc
	v_cmp_gt_u32_e32 vcc, s10, v2
	v_or_b32_e32 v2, 3, v21
	;; [unrolled: 3-line block ×14, first 2 shown]
	v_mov_b32_e32 v1, v3
	s_mov_b32 s4, 0
                                        ; implicit-def: $vgpr167 : SGPR spill to VGPR lane
	v_cmp_gt_u32_e64 s[88:89], s10, v2
	v_mul_f32_e32 v29, v19, v47
	v_lshl_add_u64 v[48:49], v[48:49], 0, v[0:1]
	v_lshl_add_u64 v[50:51], v[50:51], 0, v[0:1]
	v_mul_f32_e32 v1, v18, v46
	v_mul_f32_e32 v165, v17, v164
	;; [unrolled: 1-line block ×15, first 2 shown]
	v_writelane_b32 v167, s24, 0
	s_or_b64 s[88:89], s[12:13], s[88:89]
	s_or_b64 s[90:91], s[12:13], vcc
	s_mov_b32 s10, s4
	s_mov_b32 s12, s4
	;; [unrolled: 1-line block ×3, first 2 shown]
	v_readlane_b32 s92, v166, 19
	v_readlane_b32 s93, v166, 54
	s_branch .LBB152_110
.LBB152_109:                            ;   in Loop: Header=BB152_110 Depth=2
	s_or_b64 exec, exec, s[16:17]
	v_cndmask_b32_e64 v2, v2, v79, s[94:95]
	v_cndmask_b32_e64 v54, v60, v78, s[94:95]
	v_mul_f32_e32 v54, v54, v145
	v_fma_f32 v2, v2, v145, v52
	v_cndmask_b32_e64 v52, v2, v52, s[22:23]
	v_cndmask_b32_e64 v2, v54, v145, s[22:23]
	s_waitcnt lgkmcnt(0)
	v_fmac_f32_e32 v52, v73, v2
	v_fmac_f32_e32 v53, v52, v146
	;; [unrolled: 1-line block ×12, first 2 shown]
	v_readlane_b32 s24, v166, 25
	v_fmac_f32_e32 v64, v69, v72
	v_readlane_b32 s25, v166, 26
	v_readlane_b32 s26, v166, 27
	;; [unrolled: 1-line block ×7, first 2 shown]
	v_fmac_f32_e32 v65, v64, v70
	s_add_i32 s12, s12, s24
	v_readlane_b32 s24, v166, 7
	v_fmac_f32_e32 v71, v65, v74
	v_readlane_b32 s11, v166, 33
	v_readlane_b32 s25, v166, 8
	;; [unrolled: 1-line block ×3, first 2 shown]
	v_fmac_f32_e32 v61, v71, v75
	v_mov_b32_e32 v60, v71
	s_add_i32 s93, s93, 8
	s_add_i32 s92, s92, -1
	s_add_i32 s14, s14, s11
	s_add_i32 s10, s10, s28
	;; [unrolled: 1-line block ×3, first 2 shown]
	v_pk_fma_f32 v[44:45], v[18:19], v[52:53], v[44:45]
	v_pk_fma_f32 v[42:43], v[16:17], v[56:57], v[42:43]
	;; [unrolled: 1-line block ×7, first 2 shown]
	s_cmp_eq_u32 s92, 0
	v_pk_fma_f32 v[30:31], v[4:5], v[60:61], v[30:31]
	v_readlane_b32 s26, v166, 9
	v_readlane_b32 s27, v166, 10
	;; [unrolled: 1-line block ×5, first 2 shown]
	s_mov_b32 s13, s25
	s_mov_b32 s16, s28
	s_cbranch_scc1 .LBB152_203
.LBB152_110:                            ;   Parent Loop BB152_13 Depth=1
                                        ; =>  This Inner Loop Header: Depth=2
	s_lshl_b64 s[16:17], s[4:5], 2
	v_readlane_b32 s11, v166, 5
	s_add_u32 s16, s11, s16
	v_readlane_b32 s11, v166, 6
	s_addc_u32 s17, s11, s17
	global_load_dword v2, v3, s[16:17]
	s_mov_b32 s11, s5
	v_lshl_add_u64 v[4:5], s[10:11], 2, v[48:49]
	v_mov_b32_e32 v6, 0
	v_mov_b32_e32 v7, 0
	s_and_saveexec_b64 s[16:17], s[96:97]
	s_cbranch_execz .LBB152_112
; %bb.111:                              ;   in Loop: Header=BB152_110 Depth=2
	global_load_dword v7, v[4:5], off
.LBB152_112:                            ;   in Loop: Header=BB152_110 Depth=2
	s_or_b64 exec, exec, s[16:17]
	s_and_saveexec_b64 s[16:17], s[98:99]
	s_cbranch_execz .LBB152_114
; %bb.113:                              ;   in Loop: Header=BB152_110 Depth=2
	global_load_dword v6, v[4:5], off offset:256
.LBB152_114:                            ;   in Loop: Header=BB152_110 Depth=2
	s_or_b64 exec, exec, s[16:17]
	v_mov_b32_e32 v8, 0
	v_mov_b32_e32 v9, 0
	s_and_saveexec_b64 s[16:17], s[2:3]
	s_cbranch_execz .LBB152_116
; %bb.115:                              ;   in Loop: Header=BB152_110 Depth=2
	global_load_dword v9, v[4:5], off offset:512
.LBB152_116:                            ;   in Loop: Header=BB152_110 Depth=2
	s_or_b64 exec, exec, s[16:17]
	s_and_saveexec_b64 s[16:17], s[34:35]
	s_cbranch_execz .LBB152_118
; %bb.117:                              ;   in Loop: Header=BB152_110 Depth=2
	global_load_dword v8, v[4:5], off offset:768
.LBB152_118:                            ;   in Loop: Header=BB152_110 Depth=2
	s_or_b64 exec, exec, s[16:17]
	v_mov_b32_e32 v10, 0
	v_mov_b32_e32 v11, 0
	s_and_saveexec_b64 s[16:17], s[36:37]
	s_cbranch_execz .LBB152_120
; %bb.119:                              ;   in Loop: Header=BB152_110 Depth=2
	global_load_dword v11, v[4:5], off offset:1024
.LBB152_120:                            ;   in Loop: Header=BB152_110 Depth=2
	;; [unrolled: 14-line block ×7, first 2 shown]
	s_or_b64 exec, exec, s[16:17]
	s_and_saveexec_b64 s[16:17], s[58:59]
	s_cbranch_execz .LBB152_142
; %bb.141:                              ;   in Loop: Header=BB152_110 Depth=2
	global_load_dword v52, v[4:5], off offset:3840
.LBB152_142:                            ;   in Loop: Header=BB152_110 Depth=2
	s_or_b64 exec, exec, s[16:17]
	s_waitcnt vmcnt(0)
	ds_write_b32 v95, v7
	ds_write_b32 v97, v6 offset:256
	ds_write_b32 v99, v9 offset:512
	;; [unrolled: 1-line block ×15, first 2 shown]
	; wave barrier
	ds_read2_b32 v[52:53], v127 offset1:1
	ds_read2_b32 v[56:57], v127 offset0:2 offset1:3
	ds_read2_b32 v[58:59], v127 offset0:4 offset1:5
	;; [unrolled: 1-line block ×7, first 2 shown]
	s_mov_b32 s13, s5
	v_lshl_add_u64 v[4:5], s[12:13], 2, v[50:51]
	v_mov_b32_e32 v6, 0
	v_mov_b32_e32 v7, 0
	s_and_saveexec_b64 s[16:17], s[96:97]
	s_cbranch_execz .LBB152_144
; %bb.143:                              ;   in Loop: Header=BB152_110 Depth=2
	global_load_dword v7, v[4:5], off
.LBB152_144:                            ;   in Loop: Header=BB152_110 Depth=2
	s_or_b64 exec, exec, s[16:17]
	s_and_saveexec_b64 s[16:17], s[98:99]
	s_cbranch_execz .LBB152_146
; %bb.145:                              ;   in Loop: Header=BB152_110 Depth=2
	global_load_dword v6, v[4:5], off offset:256
.LBB152_146:                            ;   in Loop: Header=BB152_110 Depth=2
	s_or_b64 exec, exec, s[16:17]
	v_mov_b32_e32 v8, 0
	v_mov_b32_e32 v9, 0
	s_and_saveexec_b64 s[16:17], s[2:3]
	s_cbranch_execz .LBB152_148
; %bb.147:                              ;   in Loop: Header=BB152_110 Depth=2
	global_load_dword v9, v[4:5], off offset:512
.LBB152_148:                            ;   in Loop: Header=BB152_110 Depth=2
	s_or_b64 exec, exec, s[16:17]
	s_and_saveexec_b64 s[16:17], s[34:35]
	s_cbranch_execz .LBB152_150
; %bb.149:                              ;   in Loop: Header=BB152_110 Depth=2
	global_load_dword v8, v[4:5], off offset:768
.LBB152_150:                            ;   in Loop: Header=BB152_110 Depth=2
	s_or_b64 exec, exec, s[16:17]
	v_mov_b32_e32 v10, 0
	v_mov_b32_e32 v11, 0
	s_and_saveexec_b64 s[16:17], s[36:37]
	s_cbranch_execz .LBB152_152
; %bb.151:                              ;   in Loop: Header=BB152_110 Depth=2
	global_load_dword v11, v[4:5], off offset:1024
.LBB152_152:                            ;   in Loop: Header=BB152_110 Depth=2
	;; [unrolled: 14-line block ×7, first 2 shown]
	s_or_b64 exec, exec, s[16:17]
	s_and_saveexec_b64 s[16:17], s[58:59]
	s_cbranch_execz .LBB152_174
; %bb.173:                              ;   in Loop: Header=BB152_110 Depth=2
	global_load_dword v54, v[4:5], off offset:3840
.LBB152_174:                            ;   in Loop: Header=BB152_110 Depth=2
	s_or_b64 exec, exec, s[16:17]
	v_add_u32_e32 v4, 0x2100, v127
	s_waitcnt vmcnt(0)
	ds_write_b32 v95, v7 offset:8448
	ds_write_b32 v98, v6 offset:256
	;; [unrolled: 1-line block ×16, first 2 shown]
	; wave barrier
	ds_read2_b32 v[16:17], v128 offset0:2 offset1:3
	ds_read2_b32 v[14:15], v128 offset0:4 offset1:5
	;; [unrolled: 1-line block ×6, first 2 shown]
	ds_read2_b32 v[18:19], v4 offset1:1
	ds_read2_b32 v[4:5], v128 offset0:14 offset1:15
	s_andn2_b64 vcc, exec, s[6:7]
	s_cbranch_vccnz .LBB152_176
; %bb.175:                              ;   in Loop: Header=BB152_110 Depth=2
	v_mov_b32_e32 v54, s93
	ds_read_b64 v[54:55], v54
	s_cbranch_execz .LBB152_177
	s_branch .LBB152_180
.LBB152_176:                            ;   in Loop: Header=BB152_110 Depth=2
                                        ; implicit-def: $vgpr55
.LBB152_177:                            ;   in Loop: Header=BB152_110 Depth=2
	v_readlane_b32 s16, v166, 0
	v_readlane_b32 s17, v166, 1
	s_andn2_b64 vcc, exec, s[16:17]
	s_waitcnt lgkmcnt(0)
	v_mov_b32_e32 v55, 0
	s_cbranch_vccnz .LBB152_179
; %bb.178:                              ;   in Loop: Header=BB152_110 Depth=2
	s_mov_b32 s15, s5
	s_lshl_b64 s[16:17], s[14:15], 2
	v_readlane_b32 s11, v166, 15
	s_add_u32 s16, s11, s16
	v_readlane_b32 s11, v166, 16
	s_addc_u32 s17, s11, s17
	global_load_dword v55, v3, s[16:17]
.LBB152_179:                            ;   in Loop: Header=BB152_110 Depth=2
	v_mov_b32_e32 v54, 1.0
.LBB152_180:                            ;   in Loop: Header=BB152_110 Depth=2
	v_mul_f32_e32 v2, 0x3fb8aa3b, v2
	v_mul_f32_e32 v70, v2, v151
	v_cmp_gt_f32_e32 vcc, s33, v70
	v_pk_mul_f32 v[74:75], v[2:3], v[46:47] op_sel_hi:[0,1]
	s_waitcnt lgkmcnt(14)
	v_mul_f32_e32 v52, v52, v144
	v_cndmask_b32_e32 v70, 0, v149, vcc
	v_fmac_f32_e32 v70, v2, v151
	v_exp_f32_e32 v70, v70
	v_cndmask_b32_e32 v71, 1.0, v150, vcc
	v_mul_f32_e32 v53, v53, v143
	v_cndmask_b32_e64 v52, 0, v52, s[60:61]
	v_mul_f32_e32 v70, v70, v71
	v_cndmask_b32_e64 v145, 1.0, v70, s[60:61]
	v_mul_f32_e32 v70, v2, v152
	v_cmp_gt_f32_e32 vcc, s33, v70
	v_cndmask_b32_e64 v53, 0, v53, s[62:63]
	v_mul_f32_e32 v56, v56, v142
	v_cndmask_b32_e32 v70, 0, v149, vcc
	v_fmac_f32_e32 v70, v2, v152
	v_exp_f32_e32 v70, v70
	v_cndmask_b32_e32 v71, 1.0, v150, vcc
	v_cndmask_b32_e64 v56, 0, v56, s[64:65]
	v_mul_f32_e32 v57, v57, v141
	v_mul_f32_e32 v70, v70, v71
	v_cndmask_b32_e64 v146, 1.0, v70, s[62:63]
	v_mul_f32_e32 v70, v2, v153
	v_cmp_gt_f32_e32 vcc, s33, v70
	v_cndmask_b32_e64 v57, 0, v57, s[66:67]
	v_mul_f32_e32 v58, v58, v140
	v_cndmask_b32_e32 v70, 0, v149, vcc
	v_fmac_f32_e32 v70, v2, v153
	v_exp_f32_e32 v70, v70
	v_cndmask_b32_e32 v71, 1.0, v150, vcc
	v_cndmask_b32_e64 v58, 0, v58, s[68:69]
	v_mul_f32_e32 v59, v59, v139
	v_mul_f32_e32 v70, v70, v71
	v_cndmask_b32_e64 v81, 1.0, v70, s[64:65]
	v_mul_f32_e32 v70, v2, v154
	v_cmp_gt_f32_e32 vcc, s33, v70
	v_cndmask_b32_e64 v59, 0, v59, s[70:71]
	v_mul_f32_e32 v62, v62, v138
	v_cndmask_b32_e32 v70, 0, v149, vcc
	v_fmac_f32_e32 v70, v2, v154
	v_exp_f32_e32 v70, v70
	v_cndmask_b32_e32 v71, 1.0, v150, vcc
	v_cndmask_b32_e64 v62, 0, v62, s[72:73]
	v_mul_f32_e32 v63, v63, v137
	v_mul_f32_e32 v70, v70, v71
	v_cndmask_b32_e64 v82, 1.0, v70, s[66:67]
	v_mul_f32_e32 v70, v2, v155
	v_cmp_gt_f32_e32 vcc, s33, v70
	v_cndmask_b32_e64 v63, 0, v63, s[74:75]
	v_mul_f32_e32 v66, v66, v136
	v_cndmask_b32_e32 v70, 0, v149, vcc
	v_fmac_f32_e32 v70, v2, v155
	v_exp_f32_e32 v70, v70
	v_cndmask_b32_e32 v71, 1.0, v150, vcc
	v_cndmask_b32_e64 v66, 0, v66, s[76:77]
	v_mul_f32_e32 v67, v67, v135
	v_mul_f32_e32 v70, v70, v71
	v_cndmask_b32_e64 v83, 1.0, v70, s[68:69]
	v_mul_f32_e32 v70, v2, v156
	v_cmp_gt_f32_e32 vcc, s33, v70
	v_cndmask_b32_e64 v67, 0, v67, s[78:79]
	v_mul_f32_e32 v68, v68, v134
	v_cndmask_b32_e32 v70, 0, v149, vcc
	v_fmac_f32_e32 v70, v2, v156
	v_exp_f32_e32 v70, v70
	v_cndmask_b32_e32 v71, 1.0, v150, vcc
	v_cndmask_b32_e64 v68, 0, v68, s[80:81]
	v_mul_f32_e32 v69, v69, v133
	v_mul_f32_e32 v70, v70, v71
	v_cndmask_b32_e64 v84, 1.0, v70, s[70:71]
	v_mul_f32_e32 v70, v2, v157
	v_cmp_gt_f32_e32 vcc, s33, v70
	v_cndmask_b32_e64 v69, 0, v69, s[82:83]
	v_mul_f32_e32 v64, v64, v132
	v_cndmask_b32_e32 v70, 0, v149, vcc
	v_fmac_f32_e32 v70, v2, v157
	v_exp_f32_e32 v70, v70
	v_cndmask_b32_e32 v71, 1.0, v150, vcc
	v_cndmask_b32_e64 v64, 0, v64, s[84:85]
	v_mul_f32_e32 v65, v65, v165
	v_mul_f32_e32 v70, v70, v71
	v_cndmask_b32_e64 v85, 1.0, v70, s[72:73]
	v_mul_f32_e32 v70, v2, v158
	v_cmp_gt_f32_e32 vcc, s33, v70
	v_cndmask_b32_e64 v65, 0, v65, s[86:87]
	v_mul_f32_e32 v61, v61, v29
	v_cndmask_b32_e32 v70, 0, v149, vcc
	v_fmac_f32_e32 v70, v2, v158
	v_exp_f32_e32 v70, v70
	v_cndmask_b32_e32 v71, 1.0, v150, vcc
	v_cndmask_b32_e64 v61, 0, v61, s[88:89]
	v_mul_f32_e32 v70, v70, v71
	v_cndmask_b32_e64 v86, 1.0, v70, s[74:75]
	v_mul_f32_e32 v70, v2, v159
	v_cmp_gt_f32_e32 vcc, s33, v70
	s_nop 1
	v_cndmask_b32_e32 v70, 0, v149, vcc
	v_fmac_f32_e32 v70, v2, v159
	v_exp_f32_e32 v70, v70
	v_cndmask_b32_e32 v71, 1.0, v150, vcc
	v_mul_f32_e32 v70, v70, v71
	v_cndmask_b32_e64 v87, 1.0, v70, s[76:77]
	v_mul_f32_e32 v70, v2, v160
	v_cmp_gt_f32_e32 vcc, s33, v70
	s_nop 1
	v_cndmask_b32_e32 v70, 0, v149, vcc
	v_fmac_f32_e32 v70, v2, v160
	v_exp_f32_e32 v70, v70
	v_cndmask_b32_e32 v71, 1.0, v150, vcc
	v_mul_f32_e32 v70, v70, v71
	;; [unrolled: 9-line block ×6, first 2 shown]
	v_cmp_gt_f32_e32 vcc, s33, v74
	v_mul_f32_e32 v70, v70, v71
	v_cndmask_b32_e64 v71, 0, v2, s[90:91]
	v_cndmask_b32_e32 v2, 0, v149, vcc
	v_add_f32_e32 v2, v74, v2
	v_exp_f32_e32 v2, v2
	v_cndmask_b32_e32 v60, 1.0, v150, vcc
	v_cmp_gt_f32_e32 vcc, s33, v75
	v_cndmask_b32_e64 v70, 1.0, v70, s[86:87]
	v_mul_f32_e32 v2, v2, v60
	v_cndmask_b32_e32 v60, 0, v149, vcc
	v_add_f32_e32 v60, v75, v60
	v_exp_f32_e32 v60, v60
	v_cndmask_b32_e32 v73, 1.0, v150, vcc
	v_cndmask_b32_e64 v74, 1.0, v2, s[90:91]
	v_mul_f32_e32 v2, v146, v145
	v_mul_f32_e32 v60, v60, v73
	v_cndmask_b32_e64 v75, 1.0, v60, s[88:89]
	v_fma_f32 v60, v146, v52, v53
	v_mul_f32_e32 v2, v2, v81
	v_fma_f32 v60, v60, v81, v56
	v_mul_f32_e32 v2, v2, v82
	;; [unrolled: 2-line block ×10, first 2 shown]
	v_fma_f32 v2, v60, v90, v69
	v_fma_f32 v2, v2, v72, v64
	;; [unrolled: 1-line block ×3, first 2 shown]
	v_mov_b32_e32 v73, v74
	v_pk_mul_f32 v[92:93], v[76:77], v[72:73]
	v_pk_fma_f32 v[76:77], v[76:77], v[72:73], v[70:71]
	v_pk_mul_f32 v[92:93], v[92:93], v[70:71]
	v_mov_b32_e32 v78, v75
	v_mov_b32_e32 v93, v77
	;; [unrolled: 1-line block ×3, first 2 shown]
	v_pk_mul_f32 v[76:77], v[92:93], v[74:75]
	v_mov_b32_e32 v60, v75
	v_pk_mul_f32 v[78:79], v[76:77], v[78:79]
	v_pk_fma_f32 v[76:77], v[92:93], v[74:75], v[60:61]
	s_nop 0
	v_mov_b32_dpp v2, v78 row_shr:1 row_mask:0xf bank_mask:0xf
	v_mov_b32_dpp v60, v77 row_shr:1 row_mask:0xf bank_mask:0xf
	v_mul_f32_e32 v73, v78, v2
	v_fma_f32 v60, v78, v60, v77
	v_cndmask_b32_e64 v76, v73, v78, s[0:1]
	v_cndmask_b32_e64 v79, v60, v77, s[0:1]
	;; [unrolled: 1-line block ×4, first 2 shown]
	v_mov_b32_dpp v73, v79 row_shr:2 row_mask:0xf bank_mask:0xf
	v_mov_b32_dpp v60, v78 row_shr:2 row_mask:0xf bank_mask:0xf
	s_mov_b64 s[16:17], exec
	v_readlane_b32 s18, v166, 34
	v_readlane_b32 s19, v166, 35
	s_and_b64 s[18:19], s[16:17], s[18:19]
	s_mov_b64 exec, s[18:19]
; %bb.181:                              ;   in Loop: Header=BB152_110 Depth=2
	v_fmac_f32_e32 v79, v78, v73
	v_mul_f32_e32 v78, v78, v60
	v_mov_b32_e32 v76, v78
	v_mov_b32_e32 v2, v79
; %bb.182:                              ;   in Loop: Header=BB152_110 Depth=2
	s_or_b64 exec, exec, s[16:17]
	v_mov_b32_dpp v60, v78 row_shr:4 row_mask:0xf bank_mask:0xf
	v_mov_b32_dpp v73, v79 row_shr:4 row_mask:0xf bank_mask:0xf
	s_mov_b64 s[16:17], exec
	v_readlane_b32 s18, v166, 36
	v_readlane_b32 s19, v166, 37
	s_and_b64 s[18:19], s[16:17], s[18:19]
	s_mov_b64 exec, s[18:19]
; %bb.183:                              ;   in Loop: Header=BB152_110 Depth=2
	v_fmac_f32_e32 v79, v78, v73
	v_mul_f32_e32 v78, v78, v60
	v_mov_b32_e32 v76, v78
	v_mov_b32_e32 v2, v79
; %bb.184:                              ;   in Loop: Header=BB152_110 Depth=2
	s_or_b64 exec, exec, s[16:17]
	;; [unrolled: 14-line block ×3, first 2 shown]
	v_mov_b32_dpp v60, v78 row_bcast:15 row_mask:0xf bank_mask:0xf
	v_mov_b32_dpp v73, v79 row_bcast:15 row_mask:0xf bank_mask:0xf
	s_mov_b64 s[16:17], exec
	v_readlane_b32 s18, v166, 40
	v_readlane_b32 s19, v166, 41
	s_and_b64 s[18:19], s[16:17], s[18:19]
	s_mov_b64 exec, s[18:19]
; %bb.187:                              ;   in Loop: Header=BB152_110 Depth=2
	v_fmac_f32_e32 v79, v78, v73
	v_mul_f32_e32 v78, v78, v60
	v_mov_b32_e32 v76, v78
	v_mov_b32_e32 v2, v79
; %bb.188:                              ;   in Loop: Header=BB152_110 Depth=2
	s_or_b64 exec, exec, s[16:17]
	v_mov_b32_dpp v73, v78 row_bcast:31 row_mask:0xf bank_mask:0xf
	v_mov_b32_dpp v60, v79 row_bcast:31 row_mask:0xf bank_mask:0xf
	s_mov_b64 s[16:17], exec
	v_readlane_b32 s18, v166, 48
	v_readlane_b32 s19, v166, 49
	s_and_b64 s[18:19], s[16:17], s[18:19]
	s_mov_b64 exec, s[18:19]
; %bb.189:                              ;   in Loop: Header=BB152_110 Depth=2
	v_fmac_f32_e32 v79, v78, v60
	v_mul_f32_e32 v76, v78, v73
	v_mov_b32_e32 v77, v79
	v_mov_b32_e32 v2, v79
	v_mov_b64_e32 v[78:79], v[76:77]
; %bb.190:                              ;   in Loop: Header=BB152_110 Depth=2
	s_or_b64 exec, exec, s[16:17]
	s_mov_b64 s[16:17], exec
	v_readlane_b32 s18, v166, 42
	v_readlane_b32 s19, v166, 43
	s_and_b64 s[18:19], s[16:17], s[18:19]
	s_mov_b64 exec, s[18:19]
	s_cbranch_execz .LBB152_192
; %bb.191:                              ;   in Loop: Header=BB152_110 Depth=2
	ds_write_b64 v129, v[78:79] offset:16896
.LBB152_192:                            ;   in Loop: Header=BB152_110 Depth=2
	s_or_b64 exec, exec, s[16:17]
	s_waitcnt lgkmcnt(0)
	s_barrier
	s_mov_b64 s[16:17], exec
	v_readlane_b32 s18, v166, 50
	v_readlane_b32 s19, v166, 51
	s_and_b64 s[18:19], s[16:17], s[18:19]
	s_mov_b64 exec, s[18:19]
	s_cbranch_execz .LBB152_194
; %bb.193:                              ;   in Loop: Header=BB152_110 Depth=2
	ds_read_b64 v[78:79], v130 offset:16896
	v_readlane_b32 s18, v166, 44
	v_readlane_b32 s19, v166, 45
	s_waitcnt lgkmcnt(0)
	v_mov_b32_dpp v60, v78 row_shr:1 row_mask:0xf bank_mask:0xf
	v_mov_b32_dpp v73, v79 row_shr:1 row_mask:0xf bank_mask:0xf
	v_fma_f32 v73, v78, v73, v79
	v_mul_f32_e32 v60, v78, v60
	v_cndmask_b32_e64 v78, v60, v78, s[18:19]
	v_cndmask_b32_e64 v79, v73, v79, s[18:19]
	ds_write_b64 v130, v[78:79] offset:16896
.LBB152_194:                            ;   in Loop: Header=BB152_110 Depth=2
	s_or_b64 exec, exec, s[16:17]
	s_waitcnt lgkmcnt(0)
	s_barrier
	s_waitcnt lgkmcnt(0)
                                        ; implicit-def: $vgpr78
	s_and_saveexec_b64 s[16:17], s[20:21]
	s_cbranch_execz .LBB152_196
; %bb.195:                              ;   in Loop: Header=BB152_110 Depth=2
	ds_read_b64 v[78:79], v129 offset:16888
	s_waitcnt lgkmcnt(0)
	v_mul_f32_e32 v60, v76, v78
	v_fmac_f32_e32 v2, v76, v79
	v_mov_b32_e32 v76, v60
.LBB152_196:                            ;   in Loop: Header=BB152_110 Depth=2
	s_or_b64 exec, exec, s[16:17]
	ds_bpermute_b32 v60, v131, v76
	ds_bpermute_b32 v2, v131, v2
	s_waitcnt vmcnt(0)
	v_mov_b32_e32 v77, v55
	s_mov_b64 s[16:17], exec
	v_readlane_b32 s18, v166, 52
	v_readlane_b32 s19, v166, 53
	s_and_b64 s[18:19], s[16:17], s[18:19]
	s_mov_b64 exec, s[18:19]
	s_cbranch_execz .LBB152_200
; %bb.197:                              ;   in Loop: Header=BB152_110 Depth=2
	ds_read_b64 v[76:77], v3 offset:16904
	s_and_saveexec_b64 s[18:19], s[22:23]
	s_cbranch_execz .LBB152_199
; %bb.198:                              ;   in Loop: Header=BB152_110 Depth=2
	ds_write_b64 v3, v[54:55] offset:16904
.LBB152_199:                            ;   in Loop: Header=BB152_110 Depth=2
	s_or_b64 exec, exec, s[18:19]
	s_waitcnt lgkmcnt(0)
	v_fmac_f32_e32 v77, v55, v76
	v_mul_f32_e32 v54, v54, v76
	v_mov_b32_e32 v55, v77
.LBB152_200:                            ;   in Loop: Header=BB152_110 Depth=2
	s_or_b64 exec, exec, s[16:17]
	s_waitcnt lgkmcnt(0)
	s_barrier
	ds_read_b32 v73, v3 offset:16908
	s_and_saveexec_b64 s[16:17], s[22:23]
	s_cbranch_execz .LBB152_109
; %bb.201:                              ;   in Loop: Header=BB152_110 Depth=2
	v_mov_b32_e32 v76, s93
	s_andn2_b64 vcc, exec, s[8:9]
	ds_write_b64 v76, v[54:55]
	s_cbranch_vccnz .LBB152_109
; %bb.202:                              ;   in Loop: Header=BB152_110 Depth=2
	s_mov_b32 s15, s5
	s_lshl_b64 s[18:19], s[14:15], 2
	v_readlane_b32 s11, v166, 15
	s_add_u32 s18, s11, s18
	v_readlane_b32 s11, v166, 16
	s_addc_u32 s19, s11, s19
	global_store_dword v3, v77, s[18:19]
	s_branch .LBB152_109
.LBB152_203:                            ;   in Loop: Header=BB152_13 Depth=1
	v_readlane_b32 s64, v166, 60
	v_readlane_b32 s66, v166, 62
	;; [unrolled: 1-line block ×6, first 2 shown]
.LBB152_204:                            ;   in Loop: Header=BB152_13 Depth=1
	s_barrier
	ds_write2_b32 v127, v44, v45 offset1:1
	ds_write2_b32 v127, v42, v43 offset0:2 offset1:3
	ds_write2_b32 v127, v40, v41 offset0:4 offset1:5
	;; [unrolled: 1-line block ×7, first 2 shown]
	; wave barrier
	ds_read_b32 v18, v97 offset:256
	ds_read_b32 v17, v99 offset:512
	ds_read_b32 v16, v101 offset:768
	ds_read_b32 v15, v103 offset:1024
	ds_read_b32 v14, v105 offset:1280
	ds_read_b32 v13, v107 offset:1536
	ds_read_b32 v12, v109 offset:1792
	ds_read_b32 v11, v111 offset:2048
	ds_read_b32 v10, v113 offset:2304
	ds_read_b32 v9, v115 offset:2560
	ds_read_b32 v8, v117 offset:2816
	ds_read_b32 v7, v119 offset:3072
	ds_read_b32 v6, v121 offset:3328
	ds_read_b32 v2, v123 offset:3584
	ds_read_b32 v1, v125 offset:3840
	v_readlane_b32 s6, v166, 56
	v_readlane_b32 s7, v166, 57
	s_mov_b32 s7, s5
	s_mov_b64 s[26:27], s[6:7]
	v_lshl_add_u64 v[4:5], s[6:7], 2, v[22:23]
	s_and_saveexec_b64 s[6:7], s[96:97]
	s_cbranch_execnz .LBB152_256
; %bb.205:                              ;   in Loop: Header=BB152_13 Depth=1
	s_or_b64 exec, exec, s[6:7]
	s_and_saveexec_b64 s[6:7], s[98:99]
	s_cbranch_execnz .LBB152_257
.LBB152_206:                            ;   in Loop: Header=BB152_13 Depth=1
	s_or_b64 exec, exec, s[6:7]
	s_and_saveexec_b64 s[6:7], s[2:3]
	s_cbranch_execnz .LBB152_258
.LBB152_207:                            ;   in Loop: Header=BB152_13 Depth=1
	s_or_b64 exec, exec, s[6:7]
	s_and_saveexec_b64 s[6:7], s[34:35]
	s_cbranch_execnz .LBB152_259
.LBB152_208:                            ;   in Loop: Header=BB152_13 Depth=1
	s_or_b64 exec, exec, s[6:7]
	s_and_saveexec_b64 s[6:7], s[36:37]
	s_cbranch_execnz .LBB152_260
.LBB152_209:                            ;   in Loop: Header=BB152_13 Depth=1
	s_or_b64 exec, exec, s[6:7]
	s_and_saveexec_b64 s[6:7], s[38:39]
	s_cbranch_execnz .LBB152_261
.LBB152_210:                            ;   in Loop: Header=BB152_13 Depth=1
	s_or_b64 exec, exec, s[6:7]
	s_and_saveexec_b64 s[6:7], s[40:41]
	s_cbranch_execnz .LBB152_262
.LBB152_211:                            ;   in Loop: Header=BB152_13 Depth=1
	s_or_b64 exec, exec, s[6:7]
	s_and_saveexec_b64 s[6:7], s[42:43]
	s_cbranch_execnz .LBB152_263
.LBB152_212:                            ;   in Loop: Header=BB152_13 Depth=1
	s_or_b64 exec, exec, s[6:7]
	s_and_saveexec_b64 s[6:7], s[44:45]
	s_cbranch_execnz .LBB152_264
.LBB152_213:                            ;   in Loop: Header=BB152_13 Depth=1
	s_or_b64 exec, exec, s[6:7]
	s_and_saveexec_b64 s[6:7], s[46:47]
	s_cbranch_execnz .LBB152_265
.LBB152_214:                            ;   in Loop: Header=BB152_13 Depth=1
	s_or_b64 exec, exec, s[6:7]
	s_and_saveexec_b64 s[6:7], s[48:49]
	s_cbranch_execnz .LBB152_266
.LBB152_215:                            ;   in Loop: Header=BB152_13 Depth=1
	s_or_b64 exec, exec, s[6:7]
	s_and_saveexec_b64 s[6:7], s[50:51]
	s_cbranch_execnz .LBB152_267
.LBB152_216:                            ;   in Loop: Header=BB152_13 Depth=1
	s_or_b64 exec, exec, s[6:7]
	s_and_saveexec_b64 s[6:7], s[52:53]
	s_cbranch_execnz .LBB152_268
.LBB152_217:                            ;   in Loop: Header=BB152_13 Depth=1
	s_or_b64 exec, exec, s[6:7]
	s_and_saveexec_b64 s[6:7], s[54:55]
	s_cbranch_execnz .LBB152_269
.LBB152_218:                            ;   in Loop: Header=BB152_13 Depth=1
	s_or_b64 exec, exec, s[6:7]
	s_and_saveexec_b64 s[6:7], s[56:57]
	s_cbranch_execnz .LBB152_270
.LBB152_219:                            ;   in Loop: Header=BB152_13 Depth=1
	s_or_b64 exec, exec, s[6:7]
	s_and_saveexec_b64 s[6:7], s[58:59]
	s_cbranch_execz .LBB152_221
.LBB152_220:                            ;   in Loop: Header=BB152_13 Depth=1
	s_waitcnt lgkmcnt(0)
	global_store_dword v[4:5], v1, off offset:3840
.LBB152_221:                            ;   in Loop: Header=BB152_13 Depth=1
	s_or_b64 exec, exec, s[6:7]
	s_mov_b32 s4, s5
	s_mov_b32 s6, s5
	s_mov_b32 s7, s5
	s_mov_b32 s8, s5
	s_mov_b32 s9, s5
	s_mov_b32 s10, s5
	s_mov_b32 s11, s5
	s_mov_b32 s12, s5
	s_mov_b32 s13, s5
	s_mov_b32 s14, s5
	s_mov_b32 s15, s5
	s_mov_b32 s16, s5
	s_mov_b32 s17, s5
	s_mov_b32 s18, s5
	s_mov_b32 s19, s5
	s_waitcnt lgkmcnt(2)
	v_mov_b64_e32 v[4:5], s[4:5]
	v_lshl_add_u64 v[46:47], s[26:27], 2, v[24:25]
	v_mov_b64_e32 v[6:7], s[6:7]
	v_mov_b64_e32 v[8:9], s[8:9]
	;; [unrolled: 1-line block ×7, first 2 shown]
	s_waitcnt lgkmcnt(0)
	v_mov_b32_e32 v1, 0
	s_barrier
	s_and_saveexec_b64 s[6:7], s[96:97]
	s_cbranch_execnz .LBB152_271
; %bb.222:                              ;   in Loop: Header=BB152_13 Depth=1
	s_or_b64 exec, exec, s[6:7]
	s_and_saveexec_b64 s[6:7], s[98:99]
	s_cbranch_execnz .LBB152_272
.LBB152_223:                            ;   in Loop: Header=BB152_13 Depth=1
	s_or_b64 exec, exec, s[6:7]
	s_and_saveexec_b64 s[6:7], s[2:3]
	s_cbranch_execnz .LBB152_273
.LBB152_224:                            ;   in Loop: Header=BB152_13 Depth=1
	s_or_b64 exec, exec, s[6:7]
	s_and_saveexec_b64 s[6:7], s[34:35]
	s_cbranch_execnz .LBB152_274
.LBB152_225:                            ;   in Loop: Header=BB152_13 Depth=1
	s_or_b64 exec, exec, s[6:7]
	s_and_saveexec_b64 s[6:7], s[36:37]
	s_cbranch_execnz .LBB152_275
.LBB152_226:                            ;   in Loop: Header=BB152_13 Depth=1
	s_or_b64 exec, exec, s[6:7]
	s_and_saveexec_b64 s[6:7], s[38:39]
	s_cbranch_execnz .LBB152_276
.LBB152_227:                            ;   in Loop: Header=BB152_13 Depth=1
	s_or_b64 exec, exec, s[6:7]
	s_and_saveexec_b64 s[6:7], s[40:41]
	s_cbranch_execnz .LBB152_277
.LBB152_228:                            ;   in Loop: Header=BB152_13 Depth=1
	s_or_b64 exec, exec, s[6:7]
	s_and_saveexec_b64 s[6:7], s[42:43]
	s_cbranch_execnz .LBB152_278
.LBB152_229:                            ;   in Loop: Header=BB152_13 Depth=1
	s_or_b64 exec, exec, s[6:7]
	s_and_saveexec_b64 s[6:7], s[44:45]
	s_cbranch_execnz .LBB152_279
.LBB152_230:                            ;   in Loop: Header=BB152_13 Depth=1
	s_or_b64 exec, exec, s[6:7]
	s_and_saveexec_b64 s[6:7], s[46:47]
	s_cbranch_execnz .LBB152_280
.LBB152_231:                            ;   in Loop: Header=BB152_13 Depth=1
	s_or_b64 exec, exec, s[6:7]
	s_and_saveexec_b64 s[6:7], s[48:49]
	s_cbranch_execnz .LBB152_281
.LBB152_232:                            ;   in Loop: Header=BB152_13 Depth=1
	s_or_b64 exec, exec, s[6:7]
	s_and_saveexec_b64 s[6:7], s[50:51]
	s_cbranch_execnz .LBB152_282
.LBB152_233:                            ;   in Loop: Header=BB152_13 Depth=1
	s_or_b64 exec, exec, s[6:7]
	s_and_saveexec_b64 s[6:7], s[52:53]
	s_cbranch_execnz .LBB152_283
.LBB152_234:                            ;   in Loop: Header=BB152_13 Depth=1
	s_or_b64 exec, exec, s[6:7]
	s_and_saveexec_b64 s[6:7], s[54:55]
	s_cbranch_execnz .LBB152_284
.LBB152_235:                            ;   in Loop: Header=BB152_13 Depth=1
	s_or_b64 exec, exec, s[6:7]
	s_and_saveexec_b64 s[6:7], s[56:57]
	s_cbranch_execnz .LBB152_285
.LBB152_236:                            ;   in Loop: Header=BB152_13 Depth=1
	s_or_b64 exec, exec, s[6:7]
	s_and_saveexec_b64 s[6:7], s[58:59]
	s_cbranch_execz .LBB152_238
.LBB152_237:                            ;   in Loop: Header=BB152_13 Depth=1
	global_load_dword v19, v[46:47], off offset:3840
.LBB152_238:                            ;   in Loop: Header=BB152_13 Depth=1
	s_or_b64 exec, exec, s[6:7]
	s_waitcnt vmcnt(0)
	ds_write_b32 v95, v1
	ds_write_b32 v97, v5 offset:256
	ds_write_b32 v99, v6 offset:512
	;; [unrolled: 1-line block ×15, first 2 shown]
	; wave barrier
	ds_read2_b32 v[4:5], v127 offset1:1
	s_mov_b32 s4, 0xbfb8aa3b
	s_mov_b32 s8, 0x42ce8ed0
	;; [unrolled: 1-line block ×3, first 2 shown]
	s_waitcnt lgkmcnt(0)
	v_mul_f32_e32 v1, 0xbfb8aa3b, v5
	v_rndne_f32_e32 v2, v1
	v_sub_f32_e32 v6, v1, v2
	v_fma_f32 v1, v5, s4, -v1
	v_fmac_f32_e32 v1, 0xb2a5705f, v5
	v_add_f32_e32 v1, v6, v1
	v_exp_f32_e32 v1, v1
	v_cvt_i32_f32_e32 v2, v2
	v_cmp_nlt_f32_e32 vcc, s8, v5
	v_ldexp_f32 v1, v1, v2
	s_nop 0
	v_cndmask_b32_e32 v1, 0, v1, vcc
	v_cmp_ngt_f32_e32 vcc, s9, v5
	s_nop 1
	v_cndmask_b32_e32 v7, v148, v1, vcc
	v_mul_f32_e32 v1, 0xbfb8aa3b, v4
	v_rndne_f32_e32 v2, v1
	v_sub_f32_e32 v6, v1, v2
	v_fma_f32 v1, v4, s4, -v1
	v_fmac_f32_e32 v1, 0xb2a5705f, v4
	v_add_f32_e32 v1, v6, v1
	v_exp_f32_e32 v1, v1
	v_cvt_i32_f32_e32 v2, v2
	v_cmp_nlt_f32_e32 vcc, s8, v4
	v_ldexp_f32 v1, v1, v2
	s_nop 0
	v_cndmask_b32_e32 v1, 0, v1, vcc
	v_cmp_ngt_f32_e32 vcc, s9, v4
	s_nop 1
	v_cndmask_b32_e32 v6, v148, v1, vcc
	v_pk_add_f32 v[6:7], v[6:7], 1.0 op_sel_hi:[1,0]
	s_nop 0
	v_div_scale_f32 v1, s[6:7], v7, v7, v5
	v_rcp_f32_e32 v2, v1
	s_nop 0
	v_fma_f32 v8, -v1, v2, 1.0
	v_fmac_f32_e32 v2, v8, v2
	v_div_scale_f32 v8, vcc, v5, v7, v5
	v_mul_f32_e32 v9, v8, v2
	v_fma_f32 v10, -v1, v9, v8
	v_fmac_f32_e32 v9, v10, v2
	v_fma_f32 v1, -v1, v9, v8
	v_div_fmas_f32 v1, v1, v2, v9
	v_div_fixup_f32 v5, v1, v7, v5
	v_div_scale_f32 v1, s[6:7], v6, v6, v4
	v_rcp_f32_e32 v2, v1
	s_nop 0
	v_fma_f32 v7, -v1, v2, 1.0
	v_fmac_f32_e32 v2, v7, v2
	v_div_scale_f32 v7, vcc, v4, v6, v4
	v_mul_f32_e32 v8, v7, v2
	v_fma_f32 v9, -v1, v8, v7
	v_fmac_f32_e32 v8, v9, v2
	v_fma_f32 v1, -v1, v8, v7
	v_div_fmas_f32 v1, v1, v2, v8
	v_div_fixup_f32 v4, v1, v6, v4
	ds_read2_b32 v[6:7], v127 offset0:2 offset1:3
	v_pk_mul_f32 v[4:5], v[4:5], v[44:45]
	s_waitcnt lgkmcnt(0)
	v_mul_f32_e32 v1, 0xbfb8aa3b, v7
	v_rndne_f32_e32 v2, v1
	v_sub_f32_e32 v8, v1, v2
	v_fma_f32 v1, v7, s4, -v1
	v_fmac_f32_e32 v1, 0xb2a5705f, v7
	v_add_f32_e32 v1, v8, v1
	v_exp_f32_e32 v1, v1
	v_cvt_i32_f32_e32 v2, v2
	v_cmp_nlt_f32_e32 vcc, s8, v7
	v_ldexp_f32 v1, v1, v2
	s_nop 0
	v_cndmask_b32_e32 v1, 0, v1, vcc
	v_cmp_ngt_f32_e32 vcc, s9, v7
	s_nop 1
	v_cndmask_b32_e32 v9, v148, v1, vcc
	v_mul_f32_e32 v1, 0xbfb8aa3b, v6
	v_rndne_f32_e32 v2, v1
	v_sub_f32_e32 v8, v1, v2
	v_fma_f32 v1, v6, s4, -v1
	v_fmac_f32_e32 v1, 0xb2a5705f, v6
	v_add_f32_e32 v1, v8, v1
	v_exp_f32_e32 v1, v1
	v_cvt_i32_f32_e32 v2, v2
	v_cmp_nlt_f32_e32 vcc, s8, v6
	v_ldexp_f32 v1, v1, v2
	s_nop 0
	v_cndmask_b32_e32 v1, 0, v1, vcc
	v_cmp_ngt_f32_e32 vcc, s9, v6
	s_nop 1
	v_cndmask_b32_e32 v8, v148, v1, vcc
	v_pk_add_f32 v[8:9], v[8:9], 1.0 op_sel_hi:[1,0]
	s_nop 0
	v_div_scale_f32 v1, s[6:7], v9, v9, v7
	v_rcp_f32_e32 v2, v1
	s_nop 0
	v_fma_f32 v10, -v1, v2, 1.0
	v_fmac_f32_e32 v2, v10, v2
	v_div_scale_f32 v10, vcc, v7, v9, v7
	v_mul_f32_e32 v11, v10, v2
	v_fma_f32 v12, -v1, v11, v10
	v_fmac_f32_e32 v11, v12, v2
	v_fma_f32 v1, -v1, v11, v10
	v_div_fmas_f32 v1, v1, v2, v11
	v_div_fixup_f32 v7, v1, v9, v7
	v_div_scale_f32 v1, s[6:7], v8, v8, v6
	v_rcp_f32_e32 v2, v1
	s_nop 0
	v_fma_f32 v9, -v1, v2, 1.0
	v_fmac_f32_e32 v2, v9, v2
	v_div_scale_f32 v9, vcc, v6, v8, v6
	v_mul_f32_e32 v10, v9, v2
	v_fma_f32 v11, -v1, v10, v9
	v_fmac_f32_e32 v10, v11, v2
	v_fma_f32 v1, -v1, v10, v9
	v_div_fmas_f32 v1, v1, v2, v10
	v_div_fixup_f32 v6, v1, v8, v6
	ds_read2_b32 v[8:9], v127 offset0:4 offset1:5
	v_pk_mul_f32 v[6:7], v[6:7], v[42:43]
	;; [unrolled: 59-line block ×7, first 2 shown]
	s_waitcnt lgkmcnt(0)
	s_barrier
	v_mul_f32_e32 v1, 0xbfb8aa3b, v19
	v_rndne_f32_e32 v2, v1
	v_sub_f32_e32 v29, v1, v2
	v_fma_f32 v1, v19, s4, -v1
	v_fmac_f32_e32 v1, 0xb2a5705f, v19
	v_add_f32_e32 v1, v29, v1
	v_exp_f32_e32 v1, v1
	v_cvt_i32_f32_e32 v2, v2
	v_cmp_nlt_f32_e32 vcc, s8, v19
	v_ldexp_f32 v1, v1, v2
	s_nop 0
	v_cndmask_b32_e32 v1, 0, v1, vcc
	v_cmp_ngt_f32_e32 vcc, s9, v19
	s_nop 1
	v_cndmask_b32_e32 v33, v148, v1, vcc
	v_mul_f32_e32 v1, 0xbfb8aa3b, v18
	v_rndne_f32_e32 v2, v1
	v_sub_f32_e32 v29, v1, v2
	v_fma_f32 v1, v18, s4, -v1
	v_fmac_f32_e32 v1, 0xb2a5705f, v18
	v_add_f32_e32 v1, v29, v1
	v_exp_f32_e32 v1, v1
	v_cvt_i32_f32_e32 v2, v2
	v_cmp_nlt_f32_e32 vcc, s8, v18
	v_ldexp_f32 v1, v1, v2
	s_nop 0
	v_cndmask_b32_e32 v1, 0, v1, vcc
	v_cmp_ngt_f32_e32 vcc, s9, v18
	s_nop 1
	v_cndmask_b32_e32 v32, v148, v1, vcc
	v_pk_add_f32 v[32:33], v[32:33], 1.0 op_sel_hi:[1,0]
	s_nop 0
	v_div_scale_f32 v1, s[6:7], v33, v33, v19
	v_rcp_f32_e32 v2, v1
	s_nop 0
	v_fma_f32 v29, -v1, v2, 1.0
	v_fmac_f32_e32 v2, v29, v2
	v_div_scale_f32 v29, vcc, v19, v33, v19
	v_mul_f32_e32 v34, v29, v2
	v_fma_f32 v35, -v1, v34, v29
	v_fmac_f32_e32 v34, v35, v2
	v_fma_f32 v1, -v1, v34, v29
	v_div_fmas_f32 v1, v1, v2, v34
	v_div_fixup_f32 v19, v1, v33, v19
	v_div_scale_f32 v1, s[6:7], v32, v32, v18
	v_rcp_f32_e32 v2, v1
	s_nop 0
	v_fma_f32 v29, -v1, v2, 1.0
	v_fmac_f32_e32 v2, v29, v2
	v_div_scale_f32 v29, vcc, v18, v32, v18
	v_mul_f32_e32 v33, v29, v2
	v_fma_f32 v34, -v1, v33, v29
	v_fmac_f32_e32 v33, v34, v2
	v_fma_f32 v1, -v1, v33, v29
	v_div_fmas_f32 v1, v1, v2, v33
	v_div_fixup_f32 v18, v1, v32, v18
	v_pk_mul_f32 v[18:19], v[18:19], v[30:31]
	ds_write2_b32 v127, v4, v5 offset1:1
	ds_write2_b32 v127, v6, v7 offset0:2 offset1:3
	ds_write2_b32 v127, v8, v9 offset0:4 offset1:5
	ds_write2_b32 v127, v10, v11 offset0:6 offset1:7
	ds_write2_b32 v127, v12, v13 offset0:8 offset1:9
	ds_write2_b32 v127, v14, v15 offset0:10 offset1:11
	ds_write2_b32 v127, v16, v17 offset0:12 offset1:13
	ds_write2_b32 v127, v18, v19 offset0:14 offset1:15
	; wave barrier
	ds_read_b32 v18, v97 offset:256
	ds_read_b32 v17, v99 offset:512
	;; [unrolled: 1-line block ×15, first 2 shown]
	v_lshl_add_u64 v[4:5], s[26:27], 2, v[26:27]
	s_and_saveexec_b64 s[6:7], s[96:97]
	s_cbranch_execnz .LBB152_286
; %bb.239:                              ;   in Loop: Header=BB152_13 Depth=1
	s_or_b64 exec, exec, s[6:7]
	s_and_saveexec_b64 s[6:7], s[98:99]
	s_cbranch_execnz .LBB152_287
.LBB152_240:                            ;   in Loop: Header=BB152_13 Depth=1
	s_or_b64 exec, exec, s[6:7]
	s_and_saveexec_b64 s[6:7], s[2:3]
	s_cbranch_execnz .LBB152_288
.LBB152_241:                            ;   in Loop: Header=BB152_13 Depth=1
	s_or_b64 exec, exec, s[6:7]
	s_and_saveexec_b64 s[6:7], s[34:35]
	s_cbranch_execnz .LBB152_289
.LBB152_242:                            ;   in Loop: Header=BB152_13 Depth=1
	s_or_b64 exec, exec, s[6:7]
	s_and_saveexec_b64 s[6:7], s[36:37]
	s_cbranch_execnz .LBB152_290
.LBB152_243:                            ;   in Loop: Header=BB152_13 Depth=1
	s_or_b64 exec, exec, s[6:7]
	s_and_saveexec_b64 s[6:7], s[38:39]
	s_cbranch_execnz .LBB152_291
.LBB152_244:                            ;   in Loop: Header=BB152_13 Depth=1
	s_or_b64 exec, exec, s[6:7]
	s_and_saveexec_b64 s[6:7], s[40:41]
	s_cbranch_execnz .LBB152_292
.LBB152_245:                            ;   in Loop: Header=BB152_13 Depth=1
	s_or_b64 exec, exec, s[6:7]
	s_and_saveexec_b64 s[6:7], s[42:43]
	s_cbranch_execnz .LBB152_293
.LBB152_246:                            ;   in Loop: Header=BB152_13 Depth=1
	s_or_b64 exec, exec, s[6:7]
	s_and_saveexec_b64 s[6:7], s[44:45]
	s_cbranch_execnz .LBB152_294
.LBB152_247:                            ;   in Loop: Header=BB152_13 Depth=1
	s_or_b64 exec, exec, s[6:7]
	s_and_saveexec_b64 s[6:7], s[46:47]
	s_cbranch_execnz .LBB152_295
.LBB152_248:                            ;   in Loop: Header=BB152_13 Depth=1
	s_or_b64 exec, exec, s[6:7]
	s_and_saveexec_b64 s[6:7], s[48:49]
	s_cbranch_execnz .LBB152_296
.LBB152_249:                            ;   in Loop: Header=BB152_13 Depth=1
	s_or_b64 exec, exec, s[6:7]
	s_and_saveexec_b64 s[6:7], s[50:51]
	s_cbranch_execnz .LBB152_297
.LBB152_250:                            ;   in Loop: Header=BB152_13 Depth=1
	s_or_b64 exec, exec, s[6:7]
	s_and_saveexec_b64 s[6:7], s[52:53]
	s_cbranch_execnz .LBB152_298
.LBB152_251:                            ;   in Loop: Header=BB152_13 Depth=1
	s_or_b64 exec, exec, s[6:7]
	s_and_saveexec_b64 s[6:7], s[54:55]
	s_cbranch_execnz .LBB152_299
.LBB152_252:                            ;   in Loop: Header=BB152_13 Depth=1
	s_or_b64 exec, exec, s[6:7]
	s_and_saveexec_b64 s[6:7], s[56:57]
	s_cbranch_execnz .LBB152_300
.LBB152_253:                            ;   in Loop: Header=BB152_13 Depth=1
	s_or_b64 exec, exec, s[6:7]
	s_and_saveexec_b64 s[6:7], s[58:59]
	s_cbranch_execz .LBB152_12
	s_branch .LBB152_301
.LBB152_254:                            ;   in Loop: Header=BB152_13 Depth=1
	global_load_dword v44, v[30:31], off offset:3328
	s_or_b64 exec, exec, s[6:7]
	s_and_saveexec_b64 s[6:7], s[56:57]
	s_cbranch_execz .LBB152_73
.LBB152_255:                            ;   in Loop: Header=BB152_13 Depth=1
	global_load_dword v43, v[30:31], off offset:3584
	s_or_b64 exec, exec, s[6:7]
	v_mov_b32_e32 v45, 0
	s_and_saveexec_b64 s[6:7], s[58:59]
	s_cbranch_execnz .LBB152_74
	s_branch .LBB152_75
.LBB152_256:                            ;   in Loop: Header=BB152_13 Depth=1
	ds_read_b32 v19, v95
	s_waitcnt lgkmcnt(0)
	global_store_dword v[4:5], v19, off
	s_or_b64 exec, exec, s[6:7]
	s_and_saveexec_b64 s[6:7], s[98:99]
	s_cbranch_execz .LBB152_206
.LBB152_257:                            ;   in Loop: Header=BB152_13 Depth=1
	s_waitcnt lgkmcnt(14)
	global_store_dword v[4:5], v18, off offset:256
	s_or_b64 exec, exec, s[6:7]
	s_and_saveexec_b64 s[6:7], s[2:3]
	s_cbranch_execz .LBB152_207
.LBB152_258:                            ;   in Loop: Header=BB152_13 Depth=1
	s_waitcnt lgkmcnt(13)
	global_store_dword v[4:5], v17, off offset:512
	s_or_b64 exec, exec, s[6:7]
	s_and_saveexec_b64 s[6:7], s[34:35]
	s_cbranch_execz .LBB152_208
.LBB152_259:                            ;   in Loop: Header=BB152_13 Depth=1
	s_waitcnt lgkmcnt(12)
	global_store_dword v[4:5], v16, off offset:768
	s_or_b64 exec, exec, s[6:7]
	s_and_saveexec_b64 s[6:7], s[36:37]
	s_cbranch_execz .LBB152_209
.LBB152_260:                            ;   in Loop: Header=BB152_13 Depth=1
	s_waitcnt lgkmcnt(11)
	global_store_dword v[4:5], v15, off offset:1024
	s_or_b64 exec, exec, s[6:7]
	s_and_saveexec_b64 s[6:7], s[38:39]
	s_cbranch_execz .LBB152_210
.LBB152_261:                            ;   in Loop: Header=BB152_13 Depth=1
	s_waitcnt lgkmcnt(10)
	global_store_dword v[4:5], v14, off offset:1280
	s_or_b64 exec, exec, s[6:7]
	s_and_saveexec_b64 s[6:7], s[40:41]
	s_cbranch_execz .LBB152_211
.LBB152_262:                            ;   in Loop: Header=BB152_13 Depth=1
	s_waitcnt lgkmcnt(9)
	global_store_dword v[4:5], v13, off offset:1536
	s_or_b64 exec, exec, s[6:7]
	s_and_saveexec_b64 s[6:7], s[42:43]
	s_cbranch_execz .LBB152_212
.LBB152_263:                            ;   in Loop: Header=BB152_13 Depth=1
	s_waitcnt lgkmcnt(8)
	global_store_dword v[4:5], v12, off offset:1792
	s_or_b64 exec, exec, s[6:7]
	s_and_saveexec_b64 s[6:7], s[44:45]
	s_cbranch_execz .LBB152_213
.LBB152_264:                            ;   in Loop: Header=BB152_13 Depth=1
	s_waitcnt lgkmcnt(7)
	global_store_dword v[4:5], v11, off offset:2048
	s_or_b64 exec, exec, s[6:7]
	s_and_saveexec_b64 s[6:7], s[46:47]
	s_cbranch_execz .LBB152_214
.LBB152_265:                            ;   in Loop: Header=BB152_13 Depth=1
	s_waitcnt lgkmcnt(6)
	global_store_dword v[4:5], v10, off offset:2304
	s_or_b64 exec, exec, s[6:7]
	s_and_saveexec_b64 s[6:7], s[48:49]
	s_cbranch_execz .LBB152_215
.LBB152_266:                            ;   in Loop: Header=BB152_13 Depth=1
	s_waitcnt lgkmcnt(5)
	global_store_dword v[4:5], v9, off offset:2560
	s_or_b64 exec, exec, s[6:7]
	s_and_saveexec_b64 s[6:7], s[50:51]
	s_cbranch_execz .LBB152_216
.LBB152_267:                            ;   in Loop: Header=BB152_13 Depth=1
	s_waitcnt lgkmcnt(4)
	global_store_dword v[4:5], v8, off offset:2816
	s_or_b64 exec, exec, s[6:7]
	s_and_saveexec_b64 s[6:7], s[52:53]
	s_cbranch_execz .LBB152_217
.LBB152_268:                            ;   in Loop: Header=BB152_13 Depth=1
	s_waitcnt lgkmcnt(3)
	global_store_dword v[4:5], v7, off offset:3072
	s_or_b64 exec, exec, s[6:7]
	s_and_saveexec_b64 s[6:7], s[54:55]
	s_cbranch_execz .LBB152_218
.LBB152_269:                            ;   in Loop: Header=BB152_13 Depth=1
	s_waitcnt lgkmcnt(2)
	global_store_dword v[4:5], v6, off offset:3328
	s_or_b64 exec, exec, s[6:7]
	s_and_saveexec_b64 s[6:7], s[56:57]
	s_cbranch_execz .LBB152_219
.LBB152_270:                            ;   in Loop: Header=BB152_13 Depth=1
	s_waitcnt lgkmcnt(1)
	global_store_dword v[4:5], v2, off offset:3584
	s_or_b64 exec, exec, s[6:7]
	s_and_saveexec_b64 s[6:7], s[58:59]
	s_cbranch_execnz .LBB152_220
	s_branch .LBB152_221
.LBB152_271:                            ;   in Loop: Header=BB152_13 Depth=1
	global_load_dword v1, v[46:47], off
	v_mov_b32_e32 v4, v3
	v_mov_b32_e32 v5, v3
	;; [unrolled: 1-line block ×14, first 2 shown]
	v_mov_b64_e32 v[18:19], v[16:17]
	v_mov_b64_e32 v[16:17], v[14:15]
	;; [unrolled: 1-line block ×8, first 2 shown]
	s_or_b64 exec, exec, s[6:7]
	s_and_saveexec_b64 s[6:7], s[98:99]
	s_cbranch_execz .LBB152_223
.LBB152_272:                            ;   in Loop: Header=BB152_13 Depth=1
	global_load_dword v5, v[46:47], off offset:256
	s_or_b64 exec, exec, s[6:7]
	s_and_saveexec_b64 s[6:7], s[2:3]
	s_cbranch_execz .LBB152_224
.LBB152_273:                            ;   in Loop: Header=BB152_13 Depth=1
	global_load_dword v6, v[46:47], off offset:512
	s_or_b64 exec, exec, s[6:7]
	s_and_saveexec_b64 s[6:7], s[34:35]
	s_cbranch_execz .LBB152_225
.LBB152_274:                            ;   in Loop: Header=BB152_13 Depth=1
	global_load_dword v7, v[46:47], off offset:768
	s_or_b64 exec, exec, s[6:7]
	s_and_saveexec_b64 s[6:7], s[36:37]
	s_cbranch_execz .LBB152_226
.LBB152_275:                            ;   in Loop: Header=BB152_13 Depth=1
	global_load_dword v8, v[46:47], off offset:1024
	s_or_b64 exec, exec, s[6:7]
	s_and_saveexec_b64 s[6:7], s[38:39]
	s_cbranch_execz .LBB152_227
.LBB152_276:                            ;   in Loop: Header=BB152_13 Depth=1
	global_load_dword v9, v[46:47], off offset:1280
	s_or_b64 exec, exec, s[6:7]
	s_and_saveexec_b64 s[6:7], s[40:41]
	s_cbranch_execz .LBB152_228
.LBB152_277:                            ;   in Loop: Header=BB152_13 Depth=1
	global_load_dword v10, v[46:47], off offset:1536
	s_or_b64 exec, exec, s[6:7]
	s_and_saveexec_b64 s[6:7], s[42:43]
	s_cbranch_execz .LBB152_229
.LBB152_278:                            ;   in Loop: Header=BB152_13 Depth=1
	global_load_dword v11, v[46:47], off offset:1792
	s_or_b64 exec, exec, s[6:7]
	s_and_saveexec_b64 s[6:7], s[44:45]
	s_cbranch_execz .LBB152_230
.LBB152_279:                            ;   in Loop: Header=BB152_13 Depth=1
	global_load_dword v12, v[46:47], off offset:2048
	s_or_b64 exec, exec, s[6:7]
	s_and_saveexec_b64 s[6:7], s[46:47]
	s_cbranch_execz .LBB152_231
.LBB152_280:                            ;   in Loop: Header=BB152_13 Depth=1
	global_load_dword v13, v[46:47], off offset:2304
	s_or_b64 exec, exec, s[6:7]
	s_and_saveexec_b64 s[6:7], s[48:49]
	s_cbranch_execz .LBB152_232
.LBB152_281:                            ;   in Loop: Header=BB152_13 Depth=1
	global_load_dword v14, v[46:47], off offset:2560
	s_or_b64 exec, exec, s[6:7]
	s_and_saveexec_b64 s[6:7], s[50:51]
	s_cbranch_execz .LBB152_233
.LBB152_282:                            ;   in Loop: Header=BB152_13 Depth=1
	global_load_dword v15, v[46:47], off offset:2816
	s_or_b64 exec, exec, s[6:7]
	s_and_saveexec_b64 s[6:7], s[52:53]
	s_cbranch_execz .LBB152_234
.LBB152_283:                            ;   in Loop: Header=BB152_13 Depth=1
	global_load_dword v16, v[46:47], off offset:3072
	s_or_b64 exec, exec, s[6:7]
	s_and_saveexec_b64 s[6:7], s[54:55]
	s_cbranch_execz .LBB152_235
.LBB152_284:                            ;   in Loop: Header=BB152_13 Depth=1
	global_load_dword v17, v[46:47], off offset:3328
	s_or_b64 exec, exec, s[6:7]
	s_and_saveexec_b64 s[6:7], s[56:57]
	s_cbranch_execz .LBB152_236
.LBB152_285:                            ;   in Loop: Header=BB152_13 Depth=1
	global_load_dword v18, v[46:47], off offset:3584
	s_or_b64 exec, exec, s[6:7]
	s_and_saveexec_b64 s[6:7], s[58:59]
	s_cbranch_execnz .LBB152_237
	s_branch .LBB152_238
.LBB152_286:                            ;   in Loop: Header=BB152_13 Depth=1
	ds_read_b32 v19, v95
	s_waitcnt lgkmcnt(0)
	global_store_dword v[4:5], v19, off
	s_or_b64 exec, exec, s[6:7]
	s_and_saveexec_b64 s[6:7], s[98:99]
	s_cbranch_execz .LBB152_240
.LBB152_287:                            ;   in Loop: Header=BB152_13 Depth=1
	s_waitcnt lgkmcnt(14)
	global_store_dword v[4:5], v18, off offset:256
	s_or_b64 exec, exec, s[6:7]
	s_and_saveexec_b64 s[6:7], s[2:3]
	s_cbranch_execz .LBB152_241
.LBB152_288:                            ;   in Loop: Header=BB152_13 Depth=1
	s_waitcnt lgkmcnt(13)
	global_store_dword v[4:5], v17, off offset:512
	s_or_b64 exec, exec, s[6:7]
	s_and_saveexec_b64 s[6:7], s[34:35]
	s_cbranch_execz .LBB152_242
.LBB152_289:                            ;   in Loop: Header=BB152_13 Depth=1
	s_waitcnt lgkmcnt(12)
	global_store_dword v[4:5], v16, off offset:768
	s_or_b64 exec, exec, s[6:7]
	s_and_saveexec_b64 s[6:7], s[36:37]
	s_cbranch_execz .LBB152_243
.LBB152_290:                            ;   in Loop: Header=BB152_13 Depth=1
	s_waitcnt lgkmcnt(11)
	global_store_dword v[4:5], v15, off offset:1024
	s_or_b64 exec, exec, s[6:7]
	s_and_saveexec_b64 s[6:7], s[38:39]
	s_cbranch_execz .LBB152_244
.LBB152_291:                            ;   in Loop: Header=BB152_13 Depth=1
	s_waitcnt lgkmcnt(10)
	global_store_dword v[4:5], v14, off offset:1280
	s_or_b64 exec, exec, s[6:7]
	s_and_saveexec_b64 s[6:7], s[40:41]
	s_cbranch_execz .LBB152_245
.LBB152_292:                            ;   in Loop: Header=BB152_13 Depth=1
	s_waitcnt lgkmcnt(9)
	global_store_dword v[4:5], v13, off offset:1536
	s_or_b64 exec, exec, s[6:7]
	s_and_saveexec_b64 s[6:7], s[42:43]
	s_cbranch_execz .LBB152_246
.LBB152_293:                            ;   in Loop: Header=BB152_13 Depth=1
	s_waitcnt lgkmcnt(8)
	global_store_dword v[4:5], v12, off offset:1792
	s_or_b64 exec, exec, s[6:7]
	s_and_saveexec_b64 s[6:7], s[44:45]
	s_cbranch_execz .LBB152_247
.LBB152_294:                            ;   in Loop: Header=BB152_13 Depth=1
	s_waitcnt lgkmcnt(7)
	global_store_dword v[4:5], v11, off offset:2048
	s_or_b64 exec, exec, s[6:7]
	s_and_saveexec_b64 s[6:7], s[46:47]
	s_cbranch_execz .LBB152_248
.LBB152_295:                            ;   in Loop: Header=BB152_13 Depth=1
	s_waitcnt lgkmcnt(6)
	global_store_dword v[4:5], v10, off offset:2304
	s_or_b64 exec, exec, s[6:7]
	s_and_saveexec_b64 s[6:7], s[48:49]
	s_cbranch_execz .LBB152_249
.LBB152_296:                            ;   in Loop: Header=BB152_13 Depth=1
	s_waitcnt lgkmcnt(5)
	global_store_dword v[4:5], v9, off offset:2560
	s_or_b64 exec, exec, s[6:7]
	s_and_saveexec_b64 s[6:7], s[50:51]
	s_cbranch_execz .LBB152_250
.LBB152_297:                            ;   in Loop: Header=BB152_13 Depth=1
	s_waitcnt lgkmcnt(4)
	global_store_dword v[4:5], v8, off offset:2816
	s_or_b64 exec, exec, s[6:7]
	s_and_saveexec_b64 s[6:7], s[52:53]
	s_cbranch_execz .LBB152_251
.LBB152_298:                            ;   in Loop: Header=BB152_13 Depth=1
	s_waitcnt lgkmcnt(3)
	global_store_dword v[4:5], v7, off offset:3072
	s_or_b64 exec, exec, s[6:7]
	s_and_saveexec_b64 s[6:7], s[54:55]
	s_cbranch_execz .LBB152_252
.LBB152_299:                            ;   in Loop: Header=BB152_13 Depth=1
	s_waitcnt lgkmcnt(2)
	global_store_dword v[4:5], v6, off offset:3328
	s_or_b64 exec, exec, s[6:7]
	s_and_saveexec_b64 s[6:7], s[56:57]
	s_cbranch_execz .LBB152_253
.LBB152_300:                            ;   in Loop: Header=BB152_13 Depth=1
	s_waitcnt lgkmcnt(1)
	global_store_dword v[4:5], v2, off offset:3584
	s_or_b64 exec, exec, s[6:7]
	s_and_saveexec_b64 s[6:7], s[58:59]
	s_cbranch_execz .LBB152_12
.LBB152_301:                            ;   in Loop: Header=BB152_13 Depth=1
	s_waitcnt lgkmcnt(0)
	global_store_dword v[4:5], v1, off offset:3840
	s_branch .LBB152_12
.LBB152_302:
	s_endpgm
	.section	.rodata,"a",@progbits
	.p2align	6, 0x0
	.amdhsa_kernel _Z25selective_scan_fwd_kernelI32Selective_Scan_fwd_kernel_traitsILi128ELi16ELi1ELb1ELb1ELb1ELb1ELb1EfffEEv13SSMParamsBase
		.amdhsa_group_segment_fixed_size 0
		.amdhsa_private_segment_fixed_size 0
		.amdhsa_kernarg_size 248
		.amdhsa_user_sgpr_count 2
		.amdhsa_user_sgpr_dispatch_ptr 0
		.amdhsa_user_sgpr_queue_ptr 0
		.amdhsa_user_sgpr_kernarg_segment_ptr 1
		.amdhsa_user_sgpr_dispatch_id 0
		.amdhsa_user_sgpr_kernarg_preload_length 0
		.amdhsa_user_sgpr_kernarg_preload_offset 0
		.amdhsa_user_sgpr_private_segment_size 0
		.amdhsa_uses_dynamic_stack 0
		.amdhsa_enable_private_segment 0
		.amdhsa_system_sgpr_workgroup_id_x 1
		.amdhsa_system_sgpr_workgroup_id_y 1
		.amdhsa_system_sgpr_workgroup_id_z 0
		.amdhsa_system_sgpr_workgroup_info 0
		.amdhsa_system_vgpr_workitem_id 0
		.amdhsa_next_free_vgpr 168
		.amdhsa_next_free_sgpr 100
		.amdhsa_accum_offset 168
		.amdhsa_reserve_vcc 1
		.amdhsa_float_round_mode_32 0
		.amdhsa_float_round_mode_16_64 0
		.amdhsa_float_denorm_mode_32 3
		.amdhsa_float_denorm_mode_16_64 3
		.amdhsa_dx10_clamp 1
		.amdhsa_ieee_mode 1
		.amdhsa_fp16_overflow 0
		.amdhsa_tg_split 0
		.amdhsa_exception_fp_ieee_invalid_op 0
		.amdhsa_exception_fp_denorm_src 0
		.amdhsa_exception_fp_ieee_div_zero 0
		.amdhsa_exception_fp_ieee_overflow 0
		.amdhsa_exception_fp_ieee_underflow 0
		.amdhsa_exception_fp_ieee_inexact 0
		.amdhsa_exception_int_div_zero 0
	.end_amdhsa_kernel
	.section	.text._Z25selective_scan_fwd_kernelI32Selective_Scan_fwd_kernel_traitsILi128ELi16ELi1ELb1ELb1ELb1ELb1ELb1EfffEEv13SSMParamsBase,"axG",@progbits,_Z25selective_scan_fwd_kernelI32Selective_Scan_fwd_kernel_traitsILi128ELi16ELi1ELb1ELb1ELb1ELb1ELb1EfffEEv13SSMParamsBase,comdat
.Lfunc_end152:
	.size	_Z25selective_scan_fwd_kernelI32Selective_Scan_fwd_kernel_traitsILi128ELi16ELi1ELb1ELb1ELb1ELb1ELb1EfffEEv13SSMParamsBase, .Lfunc_end152-_Z25selective_scan_fwd_kernelI32Selective_Scan_fwd_kernel_traitsILi128ELi16ELi1ELb1ELb1ELb1ELb1ELb1EfffEEv13SSMParamsBase
                                        ; -- End function
	.section	.AMDGPU.csdata,"",@progbits
; Kernel info:
; codeLenInByte = 25156
; NumSgprs: 106
; NumVgprs: 168
; NumAgprs: 0
; TotalNumVgprs: 168
; ScratchSize: 0
; MemoryBound: 0
; FloatMode: 240
; IeeeMode: 1
; LDSByteSize: 0 bytes/workgroup (compile time only)
; SGPRBlocks: 13
; VGPRBlocks: 20
; NumSGPRsForWavesPerEU: 106
; NumVGPRsForWavesPerEU: 168
; AccumOffset: 168
; Occupancy: 3
; WaveLimiterHint : 1
; COMPUTE_PGM_RSRC2:SCRATCH_EN: 0
; COMPUTE_PGM_RSRC2:USER_SGPR: 2
; COMPUTE_PGM_RSRC2:TRAP_HANDLER: 0
; COMPUTE_PGM_RSRC2:TGID_X_EN: 1
; COMPUTE_PGM_RSRC2:TGID_Y_EN: 1
; COMPUTE_PGM_RSRC2:TGID_Z_EN: 0
; COMPUTE_PGM_RSRC2:TIDIG_COMP_CNT: 0
; COMPUTE_PGM_RSRC3_GFX90A:ACCUM_OFFSET: 41
; COMPUTE_PGM_RSRC3_GFX90A:TG_SPLIT: 0
	.section	.text._Z25selective_scan_fwd_kernelI32Selective_Scan_fwd_kernel_traitsILi128ELi16ELi1ELb1ELb1ELb1ELb1ELb0EfffEEv13SSMParamsBase,"axG",@progbits,_Z25selective_scan_fwd_kernelI32Selective_Scan_fwd_kernel_traitsILi128ELi16ELi1ELb1ELb1ELb1ELb1ELb0EfffEEv13SSMParamsBase,comdat
	.protected	_Z25selective_scan_fwd_kernelI32Selective_Scan_fwd_kernel_traitsILi128ELi16ELi1ELb1ELb1ELb1ELb1ELb0EfffEEv13SSMParamsBase ; -- Begin function _Z25selective_scan_fwd_kernelI32Selective_Scan_fwd_kernel_traitsILi128ELi16ELi1ELb1ELb1ELb1ELb1ELb0EfffEEv13SSMParamsBase
	.globl	_Z25selective_scan_fwd_kernelI32Selective_Scan_fwd_kernel_traitsILi128ELi16ELi1ELb1ELb1ELb1ELb1ELb0EfffEEv13SSMParamsBase
	.p2align	8
	.type	_Z25selective_scan_fwd_kernelI32Selective_Scan_fwd_kernel_traitsILi128ELi16ELi1ELb1ELb1ELb1ELb1ELb0EfffEEv13SSMParamsBase,@function
_Z25selective_scan_fwd_kernelI32Selective_Scan_fwd_kernel_traitsILi128ELi16ELi1ELb1ELb1ELb1ELb1ELb0EfffEEv13SSMParamsBase: ; @_Z25selective_scan_fwd_kernelI32Selective_Scan_fwd_kernel_traitsILi128ELi16ELi1ELb1ELb1ELb1ELb1ELb0EfffEEv13SSMParamsBase
; %bb.0:
	s_load_dword s9, s[0:1], 0x18
	s_load_dwordx4 s[4:7], s[0:1], 0xe8
	s_mov_b32 s28, s3
                                        ; implicit-def: $vgpr167 : SGPR spill to VGPR lane
	s_waitcnt lgkmcnt(0)
	s_abs_i32 s8, s9
	v_cvt_f32_u32_e32 v1, s8
	s_cmp_eq_u64 s[6:7], 0
	v_rcp_iflag_f32_e32 v1, v1
	s_nop 0
	v_mul_f32_e32 v1, 0x4f7ffffe, v1
	v_cvt_u32_f32_e32 v1, v1
	s_nop 0
	v_readfirstlane_b32 s12, v1
	s_cbranch_scc1 .LBB153_2
; %bb.1:
	s_ashr_i32 s3, s2, 31
	s_add_u32 s6, s6, s2
	s_addc_u32 s7, s7, s3
	v_mov_b32_e32 v1, 0
	global_load_ubyte v1, v1, s[6:7]
	s_waitcnt vmcnt(0)
	v_and_b32_e32 v1, 1, v1
	v_cmp_eq_u32_e64 s[6:7], 1, v1
	s_branch .LBB153_3
.LBB153_2:
	s_mov_b64 s[6:7], 0
.LBB153_3:
	s_nop 0
	v_writelane_b32 v167, s6, 0
	s_cmp_eq_u64 s[4:5], 0
	s_nop 0
	v_writelane_b32 v167, s7, 1
	s_load_dwordx2 s[6:7], s[0:1], 0x20
	s_cbranch_scc1 .LBB153_5
; %bb.4:
	s_ashr_i32 s3, s2, 31
	s_lshl_b64 s[10:11], s[2:3], 2
	s_add_u32 s4, s4, s10
	s_addc_u32 s5, s5, s11
	s_load_dword s30, s[4:5], 0x0
	s_waitcnt lgkmcnt(0)
	s_ashr_i32 s31, s30, 31
	s_cmp_eq_u64 s[6:7], s[30:31]
	s_cbranch_scc0 .LBB153_6
	s_branch .LBB153_102
.LBB153_5:
	s_mov_b32 s30, s2
	s_ashr_i32 s31, s30, 31
	s_waitcnt lgkmcnt(0)
	s_cmp_eq_u64 s[6:7], s[30:31]
	s_cbranch_scc1 .LBB153_102
.LBB153_6:
	s_load_dwordx16 s[36:51], s[0:1], 0x88
	s_load_dwordx2 s[68:69], s[0:1], 0x8
	s_mov_b32 s33, 0
	s_mov_b32 s4, 0
	s_waitcnt lgkmcnt(0)
	s_cmp_eq_u64 s[42:43], 0
	s_cbranch_scc1 .LBB153_8
; %bb.7:
	s_ashr_i32 s29, s28, 31
	s_lshl_b64 s[4:5], s[28:29], 2
	s_add_u32 s4, s42, s4
	s_addc_u32 s5, s43, s5
	s_load_dword s4, s[4:5], 0x0
.LBB153_8:
	s_cmp_eq_u64 s[48:49], 0
	s_cbranch_scc1 .LBB153_10
; %bb.9:
	s_ashr_i32 s29, s28, 31
	s_lshl_b64 s[6:7], s[28:29], 2
	s_add_u32 s6, s48, s6
	s_addc_u32 s7, s49, s7
	s_load_dword s33, s[6:7], 0x0
.LBB153_10:
	s_cmp_lt_i32 s68, 1
	s_cbranch_scc1 .LBB153_102
; %bb.11:
	s_sub_i32 s3, 0, s8
	s_mul_i32 s3, s3, s12
	s_mul_hi_u32 s3, s12, s3
	s_abs_i32 s6, s28
	s_add_i32 s12, s12, s3
	s_load_dwordx8 s[72:79], s[0:1], 0x2c
	s_load_dwordx2 s[14:15], s[0:1], 0x7c
	s_load_dwordx4 s[20:23], s[0:1], 0x6c
	s_load_dwordx8 s[80:87], s[0:1], 0x4c
	s_load_dwordx2 s[10:11], s[0:1], 0xd8
	s_load_dwordx4 s[24:27], s[0:1], 0xc8
	s_load_dword s5, s[0:1], 0x84
	s_mul_hi_u32 s3, s6, s12
	s_load_dword s12, s[0:1], 0x28
	s_ashr_i32 s0, s28, 31
	s_ashr_i32 s1, s9, 31
	s_xor_b32 s0, s0, s1
	s_mul_i32 s1, s3, s8
	s_sub_i32 s1, s6, s1
	s_add_i32 s6, s3, 1
	s_sub_i32 s7, s1, s8
	s_cmp_ge_u32 s1, s8
	s_cselect_b32 s3, s6, s3
	s_cselect_b32 s1, s7, s1
	s_add_i32 s6, s3, 1
	s_cmp_ge_u32 s1, s8
	s_cselect_b32 s1, s6, s3
	s_xor_b32 s1, s1, s0
	s_waitcnt lgkmcnt(0)
	s_mul_i32 s94, s82, s2
	s_mov_b32 s95, 0
	s_sub_i32 s3, s1, s0
	s_lshl_b64 s[0:1], s[94:95], 2
	s_add_u32 s6, s44, s0
	s_mul_i32 s94, s83, s28
	s_addc_u32 s7, s45, s1
	s_lshl_b64 s[0:1], s[94:95], 2
	s_add_u32 s82, s6, s0
	s_mul_i32 s94, s84, s2
	s_addc_u32 s83, s7, s1
	;; [unrolled: 4-line block ×10, first 2 shown]
	s_lshl_b64 s[0:1], s[94:95], 2
	s_add_u32 s7, s3, s0
	s_addc_u32 s77, s8, s1
	s_add_i32 s0, s68, 0x7ff
	s_lshr_b32 s9, s0, 11
	s_bitcmp1_b32 s12, 0
	s_cselect_b64 s[92:93], -1, 0
	s_cmp_gt_i32 s69, 0
	s_cselect_b64 s[0:1], -1, 0
	v_writelane_b32 v167, s0, 2
	v_mbcnt_lo_u32_b32 v1, -1, 0
	v_mbcnt_hi_u32_b32 v2, -1, v1
	v_writelane_b32 v167, s1, 3
	v_lshlrev_b32_e32 v1, 2, v0
	v_writelane_b32 v167, s9, 4
	s_add_i32 s0, s9, -1
	s_mul_i32 s94, s20, s2
	v_and_b32_e32 v4, 0x100, v1
	s_add_i32 s8, 0, 0x2100
	s_and_b32 s12, s68, 0x7ff
	v_writelane_b32 v167, s0, 5
	s_lshl_b64 s[0:1], s[94:95], 2
	v_or_b32_e32 v1, v2, v4
	s_movk_i32 s3, 0x200
	s_add_u32 s9, s50, s0
	s_addc_u32 s13, s51, s1
	v_cmp_gt_u32_e64 s[0:1], s3, v1
	v_add_u32_e32 v3, 64, v1
	v_or_b32_e32 v5, 0x80, v1
	v_writelane_b32 v167, s0, 6
	v_add_u32_e32 v6, 0xc0, v1
	v_lshrrev_b32_e32 v7, 5, v1
	v_writelane_b32 v167, s1, 7
	v_cmp_gt_u32_e64 s[0:1], s3, v3
	v_lshrrev_b32_e32 v3, 5, v3
	v_add_u32_e32 v7, v7, v1
	v_writelane_b32 v167, s0, 8
	v_add_lshl_u32 v3, v3, v1, 4
	v_lshl_add_u32 v126, v7, 4, 0
	v_writelane_b32 v167, s1, 9
	v_cmp_gt_u32_e64 s[0:1], s3, v5
	v_lshrrev_b32_e32 v5, 5, v5
	v_add_lshl_u32 v5, v5, v1, 4
	v_writelane_b32 v167, s0, 10
	s_mul_i32 s94, s21, s28
	v_add_u32_e32 v131, s8, v3
	v_writelane_b32 v167, s1, 11
	v_cmp_gt_u32_e64 s[0:1], s3, v6
	v_lshrrev_b32_e32 v6, 5, v6
	v_add_lshl_u32 v1, v6, v1, 4
	v_and_b32_e32 v6, 64, v0
	v_writelane_b32 v167, s0, 12
	v_add_u32_e32 v7, v2, v6
	v_lshlrev_b32_e32 v8, 2, v7
	v_writelane_b32 v167, s1, 13
	v_bfe_u32 v7, v7, 3, 27
	s_lshl_b64 s[0:1], s[94:95], 2
	v_add_lshl_u32 v7, v7, v8, 4
	s_add_u32 s0, s9, s0
	s_mul_i32 s94, s86, s2
	v_add_u32_e32 v132, s8, v5
	v_add_u32_e32 v133, s8, v1
	;; [unrolled: 1-line block ×3, first 2 shown]
	s_addc_u32 s1, s13, s1
	s_lshl_b64 s[8:9], s[94:95], 2
	s_add_u32 s3, s26, s8
	s_mul_i32 s94, s87, s28
	s_addc_u32 s13, s27, s9
	s_lshl_b64 s[8:9], s[94:95], 2
	s_add_u32 s30, s3, s8
	s_mul_i32 s94, s22, s2
	;; [unrolled: 4-line block ×3, first 2 shown]
	s_addc_u32 s9, s11, s3
	s_lshl_b64 s[2:3], s[94:95], 2
	s_add_u32 s2, s8, s2
	s_addc_u32 s3, s9, s3
	s_cmp_eq_u32 s12, 0
	s_cselect_b64 s[8:9], -1, 0
	v_add_u32_e32 v129, 0, v1
	v_writelane_b32 v167, s8, 14
	v_and_b32_e32 v1, 15, v2
	v_cmp_lt_u32_e64 s[10:11], 1, v1
	v_writelane_b32 v167, s9, 15
	v_cmp_eq_u32_e64 s[8:9], 0, v1
	v_cmp_lt_u32_e64 s[12:13], 3, v1
	v_cmp_lt_u32_e64 s[14:15], 7, v1
	v_and_b32_e32 v1, 16, v2
	v_cmp_ne_u32_e64 s[16:17], 0, v1
	v_or_b32_e32 v1, 63, v6
	v_cmp_eq_u32_e64 s[20:21], v1, v0
	v_lshrrev_b32_e32 v1, 3, v0
	v_and_b32_e32 v1, 8, v1
	v_add_u32_e32 v136, 0, v1
	v_and_b32_e32 v1, 1, v2
	v_add_u32_e32 v127, 0, v3
	v_cmp_eq_u32_e64 s[24:25], 0, v1
	v_add_u32_e32 v1, -1, v2
	v_and_b32_e32 v3, 64, v2
	v_cmp_lt_i32_e32 vcc, v1, v3
	v_mov_b32_e32 v97, 0
	v_lshlrev_b32_e32 v96, 4, v2
	v_cndmask_b32_e32 v1, v1, v2, vcc
	v_add_u32_e32 v128, 0, v5
	v_add_u32_e32 v130, 0, v7
	v_lshlrev_b32_e32 v5, 4, v0
	v_cmp_lt_u32_e64 s[18:19], 31, v2
	v_cmp_gt_u32_e64 s[22:23], 2, v0
	v_lshl_add_u32 v137, v0, 3, 0
	v_cmp_gt_u32_e64 s[26:27], 64, v0
	v_lshl_add_u64 v[6:7], s[0:1], 0, v[96:97]
	v_cmp_lt_u32_e64 s[28:29], 63, v0
	v_lshlrev_b32_e32 v138, 2, v1
	v_lshl_add_u64 v[8:9], s[30:31], 0, v[96:97]
	v_cmp_eq_u32_e64 s[30:31], 0, v0
	v_lshl_add_u64 v[0:1], s[2:3], 0, v[96:97]
	v_cmp_eq_u32_e64 s[34:35], 0, v2
	v_lshlrev_b32_e32 v96, 4, v2
                                        ; implicit-def: $vgpr2_vgpr3
	scratch_store_dwordx4 off, v[2:5], off  ; 16-byte Folded Spill
	v_lshlrev_b32_e32 v10, 4, v4
	v_mov_b32_e32 v11, v97
	v_or_b32_e32 v2, 7, v5
	scratch_store_dword off, v2, off offset:100 ; 4-byte Folded Spill
	v_or_b32_e32 v2, 8, v5
	scratch_store_dword off, v2, off offset:104 ; 4-byte Folded Spill
	v_or_b32_e32 v2, 9, v5
	v_lshl_add_u64 v[0:1], v[0:1], 0, v[10:11]
	scratch_store_dword off, v2, off offset:108 ; 4-byte Folded Spill
	v_or_b32_e32 v2, 10, v5
	scratch_store_dwordx2 off, v[0:1], off offset:64 ; 8-byte Folded Spill
	v_or_b32_e32 v0, 1, v5
	scratch_store_dword off, v2, off offset:112 ; 4-byte Folded Spill
                                        ; implicit-def: $vgpr2
	scratch_store_dword off, v0, off offset:76 ; 4-byte Folded Spill
	v_or_b32_e32 v0, 2, v5
	v_or_b32_e32 v2, 11, v5
	scratch_store_dword off, v0, off offset:80 ; 4-byte Folded Spill
	v_or_b32_e32 v0, 3, v5
	scratch_store_dword off, v2, off offset:116 ; 4-byte Folded Spill
	v_or_b32_e32 v2, 12, v5
	s_add_i32 s0, 0, 0x4210
	scratch_store_dword off, v0, off offset:84 ; 4-byte Folded Spill
	v_or_b32_e32 v0, 4, v5
	scratch_store_dword off, v2, off offset:120 ; 4-byte Folded Spill
	v_or_b32_e32 v2, 13, v5
	v_writelane_b32 v167, s0, 16
	v_lshl_add_u64 v[6:7], v[6:7], 0, v[10:11]
	scratch_store_dword off, v0, off offset:88 ; 4-byte Folded Spill
	v_or_b32_e32 v0, 5, v5
	scratch_store_dword off, v2, off offset:124 ; 4-byte Folded Spill
	v_or_b32_e32 v2, 14, v5
	v_writelane_b32 v167, s68, 17
	scratch_store_dwordx2 off, v[6:7], off offset:48 ; 8-byte Folded Spill
	v_lshl_add_u64 v[6:7], v[8:9], 0, v[10:11]
	scratch_store_dword off, v0, off offset:92 ; 4-byte Folded Spill
	v_or_b32_e32 v0, 6, v5
	v_lshlrev_b32_e32 v104, 4, v4
	s_mov_b32 s38, 0x41a00000
	s_mov_b32 s39, 0x3fb8aa3b
	;; [unrolled: 1-line block ×8, first 2 shown]
	scratch_store_dword off, v2, off offset:128 ; 4-byte Folded Spill
	s_mov_b32 s81, 0xc2fc0000
	v_or_b32_e32 v2, 15, v5
	v_mov_b32_e32 v75, 0x3ecc95a3
	v_mov_b32_e32 v155, 0x7f800000
	;; [unrolled: 1-line block ×3, first 2 shown]
	s_mov_b32 s47, 0
	v_mov_b32_e32 v157, 0x1f800000
	v_mov_b32_e32 v106, 0x3f317218
	v_writelane_b32 v167, s69, 18
	scratch_store_dwordx2 off, v[6:7], off offset:56 ; 8-byte Folded Spill
	scratch_store_dword off, v0, off offset:96 ; 4-byte Folded Spill
                                        ; implicit-def: $vgpr8_vgpr9
                                        ; implicit-def: $vgpr0_vgpr1
                                        ; implicit-def: $vgpr44_vgpr45
                                        ; implicit-def: $vgpr40_vgpr41
                                        ; implicit-def: $vgpr20_vgpr21
                                        ; implicit-def: $vgpr82_vgpr83
                                        ; implicit-def: $vgpr78_vgpr79
	scratch_store_dword off, v5, off offset:72 ; 4-byte Folded Spill
	scratch_store_dword off, v2, off offset:132 ; 4-byte Folded Spill
                                        ; implicit-def: $vgpr36_vgpr37
                                        ; implicit-def: $vgpr32_vgpr33
                                        ; implicit-def: $vgpr28_vgpr29
                                        ; implicit-def: $vgpr24_vgpr25
	s_branch .LBB153_13
.LBB153_12:                             ;   in Loop: Header=BB153_13 Depth=1
	s_or_b64 exec, exec, s[2:3]
	s_waitcnt vmcnt(0)
	ds_write_b128 v126, v[8:11]
	ds_write_b128 v127, v[0:3] offset:1024
	v_add_u32_e32 v0, 0x800, v128
	ds_write2_b64 v0, v[44:45], v[46:47] offset1:1
	ds_write_b128 v129, v[40:43] offset:3072
	; wave barrier
	ds_read_b128 v[8:11], v130
	ds_read_b128 v[0:3], v130 offset:16
	s_mov_b32 s36, 0xbfb8aa3b
	s_mov_b32 s37, 0x42ce8ed0
	;; [unrolled: 1-line block ×3, first 2 shown]
	s_waitcnt lgkmcnt(1)
	v_mul_f32_e32 v4, 0xbfb8aa3b, v9
	v_rndne_f32_e32 v5, v4
	v_sub_f32_e32 v6, v4, v5
	v_fma_f32 v4, v9, s36, -v4
	v_fmac_f32_e32 v4, 0xb2a5705f, v9
	v_add_f32_e32 v4, v6, v4
	v_exp_f32_e32 v4, v4
	v_cvt_i32_f32_e32 v5, v5
	v_cmp_nlt_f32_e32 vcc, s37, v9
	ds_read_b128 v[44:47], v130 offset:32
	ds_read_b128 v[40:43], v130 offset:48
	s_waitcnt lgkmcnt(0)
	v_ldexp_f32 v4, v4, v5
	v_mul_f32_e32 v5, 0xbfb8aa3b, v8
	v_rndne_f32_e32 v6, v5
	v_sub_f32_e32 v7, v5, v6
	v_fma_f32 v5, v8, s36, -v5
	v_fmac_f32_e32 v5, 0xb2a5705f, v8
	v_add_f32_e32 v5, v7, v5
	v_exp_f32_e32 v7, v5
	v_cvt_i32_f32_e32 v6, v6
	v_cndmask_b32_e32 v4, 0, v4, vcc
	v_cmp_ngt_f32_e32 vcc, s46, v9
	s_barrier
	s_nop 0
	v_cndmask_b32_e32 v5, v155, v4, vcc
	v_ldexp_f32 v4, v7, v6
	v_cmp_nlt_f32_e32 vcc, s37, v8
	s_add_u32 s84, s84, 0x2000
	s_addc_u32 s85, s85, 0
	v_cndmask_b32_e32 v4, 0, v4, vcc
	v_cmp_ngt_f32_e32 vcc, s46, v8
	s_add_u32 s82, s82, 0x2000
	s_addc_u32 s83, s83, 0
	v_cndmask_b32_e32 v4, v155, v4, vcc
	v_pk_add_f32 v[4:5], v[4:5], 1.0 op_sel_hi:[1,0]
	s_add_u32 s74, s74, 0x2000
	v_div_scale_f32 v6, s[2:3], v5, v5, v9
	v_rcp_f32_e32 v7, v6
	s_addc_u32 s75, s75, 0
	s_add_u32 s78, s78, 0x2000
	s_addc_u32 s79, s79, 0
	v_fma_f32 v12, -v6, v7, 1.0
	v_fmac_f32_e32 v7, v12, v7
	v_div_scale_f32 v12, vcc, v9, v5, v9
	v_mul_f32_e32 v13, v12, v7
	v_fma_f32 v14, -v6, v13, v12
	v_fmac_f32_e32 v13, v14, v7
	v_fma_f32 v6, -v6, v13, v12
	v_div_scale_f32 v12, s[2:3], v4, v4, v8
	v_rcp_f32_e32 v14, v12
	v_div_fmas_f32 v6, v6, v7, v13
	v_mul_f32_e32 v7, 0xbfb8aa3b, v11
	v_rndne_f32_e32 v15, v7
	v_sub_f32_e32 v16, v7, v15
	v_fma_f32 v7, v11, s36, -v7
	v_fmac_f32_e32 v7, 0xb2a5705f, v11
	v_div_fixup_f32 v5, v6, v5, v9
	v_fma_f32 v6, -v12, v14, 1.0
	v_add_f32_e32 v7, v16, v7
	v_fmac_f32_e32 v14, v6, v14
	v_div_scale_f32 v6, vcc, v8, v4, v8
	v_exp_f32_e32 v7, v7
	v_cvt_i32_f32_e32 v15, v15
	v_mul_f32_e32 v13, v6, v14
	v_fma_f32 v16, -v12, v13, v6
	v_fmac_f32_e32 v13, v16, v14
	v_fma_f32 v12, -v12, v13, v6
	v_ldexp_f32 v6, v7, v15
	v_mul_f32_e32 v7, 0xbfb8aa3b, v10
	v_rndne_f32_e32 v15, v7
	v_sub_f32_e32 v16, v7, v15
	v_fma_f32 v7, v10, s36, -v7
	v_fmac_f32_e32 v7, 0xb2a5705f, v10
	v_add_f32_e32 v7, v16, v7
	v_exp_f32_e32 v16, v7
	v_cvt_i32_f32_e32 v15, v15
	v_cmp_nlt_f32_e64 s[2:3], s37, v11
	v_div_fmas_f32 v12, v12, v14, v13
	v_div_fixup_f32 v4, v12, v4, v8
	v_cndmask_b32_e64 v6, 0, v6, s[2:3]
	v_cmp_ngt_f32_e64 s[2:3], s46, v11
	v_pk_mul_f32 v[60:61], v[60:61], v[4:5]
	v_mul_f32_e32 v13, 0xbfb8aa3b, v1
	v_cndmask_b32_e64 v7, v155, v6, s[2:3]
	v_ldexp_f32 v6, v16, v15
	v_cmp_nlt_f32_e64 s[2:3], s37, v10
	s_add_i32 s47, s47, 1
	s_nop 0
	v_cndmask_b32_e64 v6, 0, v6, s[2:3]
	v_cmp_ngt_f32_e64 s[2:3], s46, v10
	s_nop 1
	v_cndmask_b32_e64 v6, v155, v6, s[2:3]
	v_pk_add_f32 v[6:7], v[6:7], 1.0 op_sel_hi:[1,0]
	s_nop 0
	v_div_scale_f32 v15, s[2:3], v7, v7, v11
	v_rcp_f32_e32 v16, v15
	s_nop 0
	v_fma_f32 v4, -v15, v16, 1.0
	v_fmac_f32_e32 v16, v4, v16
	v_div_scale_f32 v4, vcc, v11, v7, v11
	v_mul_f32_e32 v5, v4, v16
	v_fma_f32 v12, -v15, v5, v4
	v_fmac_f32_e32 v5, v12, v16
	v_div_scale_f32 v12, s[2:3], v6, v6, v10
	v_rcp_f32_e32 v14, v12
	v_fma_f32 v4, -v15, v5, v4
	v_rndne_f32_e32 v15, v13
	v_div_fmas_f32 v4, v4, v16, v5
	v_sub_f32_e32 v16, v13, v15
	v_fma_f32 v13, v1, s36, -v13
	v_fmac_f32_e32 v13, 0xb2a5705f, v1
	v_div_fixup_f32 v5, v4, v7, v11
	v_fma_f32 v4, -v12, v14, 1.0
	v_add_f32_e32 v13, v16, v13
	v_fmac_f32_e32 v14, v4, v14
	v_div_scale_f32 v4, vcc, v10, v6, v10
	v_exp_f32_e32 v13, v13
	v_cvt_i32_f32_e32 v15, v15
	v_mul_f32_e32 v7, v4, v14
	v_fma_f32 v16, -v12, v7, v4
	v_fmac_f32_e32 v7, v16, v14
	v_fma_f32 v4, -v12, v7, v4
	v_ldexp_f32 v12, v13, v15
	v_mul_f32_e32 v13, 0xbfb8aa3b, v0
	v_rndne_f32_e32 v15, v13
	v_sub_f32_e32 v16, v13, v15
	v_fma_f32 v13, v0, s36, -v13
	v_fmac_f32_e32 v13, 0xb2a5705f, v0
	v_add_f32_e32 v13, v16, v13
	v_exp_f32_e32 v16, v13
	v_cvt_i32_f32_e32 v15, v15
	v_cmp_nlt_f32_e64 s[2:3], s37, v1
	v_div_fmas_f32 v4, v4, v14, v7
	v_div_fixup_f32 v4, v4, v6, v10
	v_cndmask_b32_e64 v12, 0, v12, s[2:3]
	v_cmp_ngt_f32_e64 s[2:3], s46, v1
	v_pk_mul_f32 v[62:63], v[62:63], v[4:5]
	v_mul_f32_e32 v7, 0xbfb8aa3b, v3
	v_cndmask_b32_e64 v13, v155, v12, s[2:3]
	v_ldexp_f32 v12, v16, v15
	v_cmp_nlt_f32_e64 s[2:3], s37, v0
	s_nop 1
	v_cndmask_b32_e64 v12, 0, v12, s[2:3]
	v_cmp_ngt_f32_e64 s[2:3], s46, v0
	s_nop 1
	v_cndmask_b32_e64 v12, v155, v12, s[2:3]
	v_pk_add_f32 v[12:13], v[12:13], 1.0 op_sel_hi:[1,0]
	s_nop 0
	v_div_scale_f32 v15, s[2:3], v13, v13, v1
	v_rcp_f32_e32 v16, v15
	s_nop 0
	v_fma_f32 v4, -v15, v16, 1.0
	v_fmac_f32_e32 v16, v4, v16
	v_div_scale_f32 v4, vcc, v1, v13, v1
	v_mul_f32_e32 v5, v4, v16
	v_fma_f32 v6, -v15, v5, v4
	v_fmac_f32_e32 v5, v6, v16
	v_div_scale_f32 v6, s[2:3], v12, v12, v0
	v_rcp_f32_e32 v14, v6
	v_fma_f32 v4, -v15, v5, v4
	v_rndne_f32_e32 v15, v7
	v_div_fmas_f32 v4, v4, v16, v5
	v_sub_f32_e32 v16, v7, v15
	v_fma_f32 v7, v3, s36, -v7
	v_fmac_f32_e32 v7, 0xb2a5705f, v3
	v_div_fixup_f32 v5, v4, v13, v1
	v_fma_f32 v4, -v6, v14, 1.0
	v_add_f32_e32 v7, v16, v7
	v_fmac_f32_e32 v14, v4, v14
	v_div_scale_f32 v4, vcc, v0, v12, v0
	v_exp_f32_e32 v7, v7
	v_cvt_i32_f32_e32 v15, v15
	v_mul_f32_e32 v13, v4, v14
	v_fma_f32 v16, -v6, v13, v4
	v_fmac_f32_e32 v13, v16, v14
	v_fma_f32 v4, -v6, v13, v4
	v_ldexp_f32 v6, v7, v15
	v_mul_f32_e32 v7, 0xbfb8aa3b, v2
	v_rndne_f32_e32 v15, v7
	v_sub_f32_e32 v16, v7, v15
	v_fma_f32 v7, v2, s36, -v7
	v_fmac_f32_e32 v7, 0xb2a5705f, v2
	v_add_f32_e32 v7, v16, v7
	v_exp_f32_e32 v16, v7
	v_cvt_i32_f32_e32 v15, v15
	v_cmp_nlt_f32_e64 s[2:3], s37, v3
	v_div_fmas_f32 v4, v4, v14, v13
	v_div_fixup_f32 v4, v4, v12, v0
	v_cndmask_b32_e64 v6, 0, v6, s[2:3]
	v_cmp_ngt_f32_e64 s[2:3], s46, v3
	v_pk_mul_f32 v[56:57], v[56:57], v[4:5]
	v_mul_f32_e32 v13, 0xbfb8aa3b, v45
	v_cndmask_b32_e64 v7, v155, v6, s[2:3]
	v_ldexp_f32 v6, v16, v15
	v_cmp_nlt_f32_e64 s[2:3], s37, v2
	s_nop 1
	v_cndmask_b32_e64 v6, 0, v6, s[2:3]
	v_cmp_ngt_f32_e64 s[2:3], s46, v2
	s_nop 1
	v_cndmask_b32_e64 v6, v155, v6, s[2:3]
	v_pk_add_f32 v[6:7], v[6:7], 1.0 op_sel_hi:[1,0]
	s_nop 0
	v_div_scale_f32 v15, s[2:3], v7, v7, v3
	v_rcp_f32_e32 v16, v15
	s_nop 0
	v_fma_f32 v4, -v15, v16, 1.0
	v_fmac_f32_e32 v16, v4, v16
	v_div_scale_f32 v4, vcc, v3, v7, v3
	v_mul_f32_e32 v5, v4, v16
	v_fma_f32 v12, -v15, v5, v4
	v_fmac_f32_e32 v5, v12, v16
	v_div_scale_f32 v12, s[2:3], v6, v6, v2
	v_rcp_f32_e32 v14, v12
	v_fma_f32 v4, -v15, v5, v4
	v_rndne_f32_e32 v15, v13
	v_div_fmas_f32 v4, v4, v16, v5
	v_sub_f32_e32 v16, v13, v15
	v_fma_f32 v13, v45, s36, -v13
	v_fmac_f32_e32 v13, 0xb2a5705f, v45
	v_div_fixup_f32 v5, v4, v7, v3
	v_fma_f32 v4, -v12, v14, 1.0
	v_add_f32_e32 v13, v16, v13
	v_fmac_f32_e32 v14, v4, v14
	v_div_scale_f32 v4, vcc, v2, v6, v2
	v_exp_f32_e32 v13, v13
	v_cvt_i32_f32_e32 v15, v15
	v_mul_f32_e32 v7, v4, v14
	v_fma_f32 v16, -v12, v7, v4
	v_fmac_f32_e32 v7, v16, v14
	v_fma_f32 v4, -v12, v7, v4
	v_ldexp_f32 v12, v13, v15
	v_mul_f32_e32 v13, 0xbfb8aa3b, v44
	v_rndne_f32_e32 v15, v13
	v_sub_f32_e32 v16, v13, v15
	v_fma_f32 v13, v44, s36, -v13
	v_fmac_f32_e32 v13, 0xb2a5705f, v44
	v_add_f32_e32 v13, v16, v13
	v_exp_f32_e32 v16, v13
	v_cvt_i32_f32_e32 v15, v15
	v_cmp_nlt_f32_e64 s[2:3], s37, v45
	v_div_fmas_f32 v4, v4, v14, v7
	v_div_fixup_f32 v4, v4, v6, v2
	v_cndmask_b32_e64 v12, 0, v12, s[2:3]
	v_cmp_ngt_f32_e64 s[2:3], s46, v45
	v_pk_mul_f32 v[58:59], v[58:59], v[4:5]
	v_mul_f32_e32 v7, 0xbfb8aa3b, v47
	v_cndmask_b32_e64 v13, v155, v12, s[2:3]
	v_ldexp_f32 v12, v16, v15
	v_cmp_nlt_f32_e64 s[2:3], s37, v44
	s_nop 1
	v_cndmask_b32_e64 v12, 0, v12, s[2:3]
	v_cmp_ngt_f32_e64 s[2:3], s46, v44
	s_nop 1
	v_cndmask_b32_e64 v12, v155, v12, s[2:3]
	v_pk_add_f32 v[12:13], v[12:13], 1.0 op_sel_hi:[1,0]
	s_nop 0
	v_div_scale_f32 v15, s[2:3], v13, v13, v45
	v_rcp_f32_e32 v16, v15
	s_nop 0
	v_fma_f32 v4, -v15, v16, 1.0
	v_fmac_f32_e32 v16, v4, v16
	v_div_scale_f32 v4, vcc, v45, v13, v45
	v_mul_f32_e32 v5, v4, v16
	v_fma_f32 v6, -v15, v5, v4
	v_fmac_f32_e32 v5, v6, v16
	v_div_scale_f32 v6, s[2:3], v12, v12, v44
	v_rcp_f32_e32 v14, v6
	v_fma_f32 v4, -v15, v5, v4
	v_rndne_f32_e32 v15, v7
	v_div_fmas_f32 v4, v4, v16, v5
	v_sub_f32_e32 v16, v7, v15
	v_fma_f32 v7, v47, s36, -v7
	v_fmac_f32_e32 v7, 0xb2a5705f, v47
	v_div_fixup_f32 v5, v4, v13, v45
	v_fma_f32 v4, -v6, v14, 1.0
	v_add_f32_e32 v7, v16, v7
	v_fmac_f32_e32 v14, v4, v14
	v_div_scale_f32 v4, vcc, v44, v12, v44
	v_exp_f32_e32 v7, v7
	v_cvt_i32_f32_e32 v15, v15
	v_mul_f32_e32 v13, v4, v14
	v_fma_f32 v16, -v6, v13, v4
	v_fmac_f32_e32 v13, v16, v14
	v_fma_f32 v4, -v6, v13, v4
	v_ldexp_f32 v6, v7, v15
	v_mul_f32_e32 v7, 0xbfb8aa3b, v46
	v_rndne_f32_e32 v15, v7
	v_sub_f32_e32 v16, v7, v15
	v_fma_f32 v7, v46, s36, -v7
	v_fmac_f32_e32 v7, 0xb2a5705f, v46
	v_add_f32_e32 v7, v16, v7
	v_exp_f32_e32 v16, v7
	v_cvt_i32_f32_e32 v15, v15
	v_cmp_nlt_f32_e64 s[2:3], s37, v47
	v_div_fmas_f32 v4, v4, v14, v13
	v_div_fixup_f32 v4, v4, v12, v44
	v_cndmask_b32_e64 v6, 0, v6, s[2:3]
	v_cmp_ngt_f32_e64 s[2:3], s46, v47
	v_pk_mul_f32 v[52:53], v[52:53], v[4:5]
	v_mul_f32_e32 v13, 0xbfb8aa3b, v41
	v_cndmask_b32_e64 v7, v155, v6, s[2:3]
	v_ldexp_f32 v6, v16, v15
	v_cmp_nlt_f32_e64 s[2:3], s37, v46
	s_nop 1
	v_cndmask_b32_e64 v6, 0, v6, s[2:3]
	v_cmp_ngt_f32_e64 s[2:3], s46, v46
	s_nop 1
	v_cndmask_b32_e64 v6, v155, v6, s[2:3]
	v_pk_add_f32 v[6:7], v[6:7], 1.0 op_sel_hi:[1,0]
	s_nop 0
	v_div_scale_f32 v15, s[2:3], v7, v7, v47
	v_rcp_f32_e32 v16, v15
	s_nop 0
	v_fma_f32 v4, -v15, v16, 1.0
	v_fmac_f32_e32 v16, v4, v16
	v_div_scale_f32 v4, vcc, v47, v7, v47
	v_mul_f32_e32 v5, v4, v16
	v_fma_f32 v12, -v15, v5, v4
	v_fmac_f32_e32 v5, v12, v16
	v_div_scale_f32 v12, s[2:3], v6, v6, v46
	v_rcp_f32_e32 v14, v12
	v_fma_f32 v4, -v15, v5, v4
	v_rndne_f32_e32 v15, v13
	v_div_fmas_f32 v4, v4, v16, v5
	v_sub_f32_e32 v16, v13, v15
	v_fma_f32 v13, v41, s36, -v13
	v_fmac_f32_e32 v13, 0xb2a5705f, v41
	v_div_fixup_f32 v5, v4, v7, v47
	v_fma_f32 v4, -v12, v14, 1.0
	v_add_f32_e32 v13, v16, v13
	v_fmac_f32_e32 v14, v4, v14
	v_div_scale_f32 v4, vcc, v46, v6, v46
	v_exp_f32_e32 v13, v13
	v_cvt_i32_f32_e32 v15, v15
	v_mul_f32_e32 v7, v4, v14
	v_fma_f32 v16, -v12, v7, v4
	v_fmac_f32_e32 v7, v16, v14
	v_fma_f32 v4, -v12, v7, v4
	v_ldexp_f32 v12, v13, v15
	v_mul_f32_e32 v13, 0xbfb8aa3b, v40
	v_rndne_f32_e32 v15, v13
	v_sub_f32_e32 v16, v13, v15
	v_fma_f32 v13, v40, s36, -v13
	v_fmac_f32_e32 v13, 0xb2a5705f, v40
	v_add_f32_e32 v13, v16, v13
	v_exp_f32_e32 v16, v13
	v_cvt_i32_f32_e32 v15, v15
	v_cmp_nlt_f32_e64 s[2:3], s37, v41
	v_div_fmas_f32 v4, v4, v14, v7
	v_div_fixup_f32 v4, v4, v6, v46
	v_cndmask_b32_e64 v12, 0, v12, s[2:3]
	v_cmp_ngt_f32_e64 s[2:3], s46, v41
	v_pk_mul_f32 v[54:55], v[54:55], v[4:5]
	v_mul_f32_e32 v7, 0xbfb8aa3b, v43
	v_cndmask_b32_e64 v13, v155, v12, s[2:3]
	v_ldexp_f32 v12, v16, v15
	v_cmp_nlt_f32_e64 s[2:3], s37, v40
	s_nop 1
	v_cndmask_b32_e64 v12, 0, v12, s[2:3]
	v_cmp_ngt_f32_e64 s[2:3], s46, v40
	s_nop 1
	v_cndmask_b32_e64 v12, v155, v12, s[2:3]
	v_pk_add_f32 v[12:13], v[12:13], 1.0 op_sel_hi:[1,0]
	s_nop 0
	v_div_scale_f32 v15, s[2:3], v13, v13, v41
	v_rcp_f32_e32 v16, v15
	s_nop 0
	v_fma_f32 v4, -v15, v16, 1.0
	v_fmac_f32_e32 v16, v4, v16
	v_div_scale_f32 v4, vcc, v41, v13, v41
	v_mul_f32_e32 v5, v4, v16
	v_fma_f32 v6, -v15, v5, v4
	v_fmac_f32_e32 v5, v6, v16
	v_div_scale_f32 v6, s[2:3], v12, v12, v40
	v_rcp_f32_e32 v14, v6
	v_fma_f32 v4, -v15, v5, v4
	v_rndne_f32_e32 v15, v7
	v_div_fmas_f32 v4, v4, v16, v5
	v_sub_f32_e32 v16, v7, v15
	v_fma_f32 v7, v43, s36, -v7
	v_fmac_f32_e32 v7, 0xb2a5705f, v43
	v_div_fixup_f32 v5, v4, v13, v41
	v_fma_f32 v4, -v6, v14, 1.0
	v_add_f32_e32 v7, v16, v7
	v_fmac_f32_e32 v14, v4, v14
	v_div_scale_f32 v4, vcc, v40, v12, v40
	v_exp_f32_e32 v7, v7
	v_cvt_i32_f32_e32 v15, v15
	v_mul_f32_e32 v13, v4, v14
	v_fma_f32 v16, -v6, v13, v4
	v_fmac_f32_e32 v13, v16, v14
	v_fma_f32 v4, -v6, v13, v4
	v_ldexp_f32 v6, v7, v15
	v_mul_f32_e32 v7, 0xbfb8aa3b, v42
	v_rndne_f32_e32 v15, v7
	v_sub_f32_e32 v16, v7, v15
	v_fma_f32 v7, v42, s36, -v7
	v_fmac_f32_e32 v7, 0xb2a5705f, v42
	v_add_f32_e32 v7, v16, v7
	v_exp_f32_e32 v16, v7
	v_cvt_i32_f32_e32 v15, v15
	v_cmp_nlt_f32_e64 s[2:3], s37, v43
	v_div_fmas_f32 v4, v4, v14, v13
	v_div_fixup_f32 v4, v4, v12, v40
	v_cndmask_b32_e64 v6, 0, v6, s[2:3]
	v_cmp_ngt_f32_e64 s[2:3], s46, v43
	v_pk_mul_f32 v[4:5], v[48:49], v[4:5]
	s_nop 0
	v_cndmask_b32_e64 v7, v155, v6, s[2:3]
	v_ldexp_f32 v6, v16, v15
	v_cmp_nlt_f32_e64 s[2:3], s37, v42
	s_nop 1
	v_cndmask_b32_e64 v6, 0, v6, s[2:3]
	v_cmp_ngt_f32_e64 s[2:3], s46, v42
	s_nop 1
	v_cndmask_b32_e64 v6, v155, v6, s[2:3]
	v_pk_add_f32 v[6:7], v[6:7], 1.0 op_sel_hi:[1,0]
	s_nop 0
	v_div_scale_f32 v15, s[2:3], v7, v7, v43
	v_rcp_f32_e32 v16, v15
	s_nop 0
	v_fma_f32 v12, -v15, v16, 1.0
	v_fmac_f32_e32 v16, v12, v16
	v_div_scale_f32 v12, vcc, v43, v7, v43
	v_mul_f32_e32 v13, v12, v16
	v_fma_f32 v14, -v15, v13, v12
	v_fmac_f32_e32 v13, v14, v16
	v_div_scale_f32 v14, s[2:3], v6, v6, v42
	v_fma_f32 v12, -v15, v13, v12
	v_rcp_f32_e32 v15, v14
	v_div_fmas_f32 v12, v12, v16, v13
	v_div_fixup_f32 v7, v12, v7, v43
	v_fma_f32 v12, -v14, v15, 1.0
	v_fmac_f32_e32 v15, v12, v15
	v_div_scale_f32 v12, vcc, v42, v6, v42
	v_mul_f32_e32 v13, v12, v15
	v_fma_f32 v16, -v14, v13, v12
	v_fmac_f32_e32 v13, v16, v15
	v_fma_f32 v12, -v14, v13, v12
	v_div_fmas_f32 v12, v12, v15, v13
	v_div_fixup_f32 v6, v12, v6, v42
	v_pk_mul_f32 v[6:7], v[50:51], v[6:7]
	ds_write_b128 v130, v[60:63]
	ds_write_b128 v130, v[56:59] offset:16
	ds_write_b128 v130, v[52:55] offset:32
	;; [unrolled: 1-line block ×3, first 2 shown]
	; wave barrier
	scratch_load_dwordx2 v[12:13], off, off offset:64 ; 8-byte Folded Reload
	ds_read_b128 v[4:7], v126
	ds_read_b128 v[48:51], v128 offset:2048
	s_waitcnt vmcnt(0)
	v_lshl_add_u64 v[56:57], s[0:1], 2, v[12:13]
	ds_read_b128 v[12:15], v127 offset:1024
	s_waitcnt lgkmcnt(2)
	v_mov_b32_e32 v52, v5
	v_mov_b32_e32 v53, v6
	;; [unrolled: 1-line block ×6, first 2 shown]
	global_store_dwordx4 v[56:57], v[4:7], off
	s_waitcnt lgkmcnt(0)
	global_store_dwordx4 v[56:57], v[12:15], off offset:1024
	ds_read_b128 v[4:7], v129 offset:3072
	v_readlane_b32 s0, v167, 4
	s_cmp_eq_u32 s47, s0
	global_store_dwordx4 v[56:57], v[48:51], off offset:2048
	s_waitcnt lgkmcnt(0)
	global_store_dwordx4 v[56:57], v[4:7], off offset:3072
	s_cbranch_scc1 .LBB153_102
.LBB153_13:                             ; =>This Loop Header: Depth=1
                                        ;     Child Loop BB153_64 Depth 2
	s_nop 0
	v_lshl_add_u64 v[4:5], s[82:83], 0, v[96:97]
	v_mov_b32_e32 v105, v97
	v_lshl_add_u64 v[48:49], v[4:5], 0, v[104:105]
	s_barrier
	s_mov_b64 s[0:1], exec
	v_readlane_b32 s2, v167, 6
	v_readlane_b32 s3, v167, 7
	s_and_b64 s[2:3], s[0:1], s[2:3]
	s_mov_b64 exec, s[2:3]
	s_cbranch_execz .LBB153_15
; %bb.14:                               ;   in Loop: Header=BB153_13 Depth=1
	global_load_dwordx4 v[36:39], v[48:49], off
.LBB153_15:                             ;   in Loop: Header=BB153_13 Depth=1
	s_or_b64 exec, exec, s[0:1]
	s_mov_b64 s[0:1], exec
	v_readlane_b32 s2, v167, 8
	v_readlane_b32 s3, v167, 9
	s_and_b64 s[2:3], s[0:1], s[2:3]
	s_mov_b64 exec, s[2:3]
	s_cbranch_execz .LBB153_17
; %bb.16:                               ;   in Loop: Header=BB153_13 Depth=1
	global_load_dwordx4 v[32:35], v[48:49], off offset:1024
.LBB153_17:                             ;   in Loop: Header=BB153_13 Depth=1
	s_or_b64 exec, exec, s[0:1]
	s_mov_b64 s[0:1], exec
	v_readlane_b32 s2, v167, 10
	v_readlane_b32 s3, v167, 11
	s_and_b64 s[2:3], s[0:1], s[2:3]
	s_mov_b64 exec, s[2:3]
	s_cbranch_execz .LBB153_19
; %bb.18:                               ;   in Loop: Header=BB153_13 Depth=1
	global_load_dwordx4 v[28:31], v[48:49], off offset:2048
.LBB153_19:                             ;   in Loop: Header=BB153_13 Depth=1
	;; [unrolled: 10-line block ×3, first 2 shown]
	s_or_b64 exec, exec, s[0:1]
	s_waitcnt vmcnt(0)
	ds_write_b128 v126, v[36:39]
	ds_write_b128 v127, v[32:35] offset:1024
	ds_write_b128 v128, v[28:31] offset:2048
	;; [unrolled: 1-line block ×3, first 2 shown]
	; wave barrier
	ds_read_b128 v[36:39], v130
	ds_read_b128 v[32:35], v130 offset:16
	ds_read_b128 v[28:31], v130 offset:32
	;; [unrolled: 1-line block ×3, first 2 shown]
	v_lshl_add_u64 v[4:5], s[84:85], 0, v[96:97]
	v_mov_b32_e32 v105, v97
	v_lshl_add_u64 v[48:49], v[4:5], 0, v[104:105]
	s_waitcnt lgkmcnt(0)
	s_barrier
	s_mov_b64 s[0:1], exec
	v_readlane_b32 s2, v167, 6
	v_readlane_b32 s3, v167, 7
	s_and_b64 s[2:3], s[0:1], s[2:3]
	s_mov_b64 exec, s[2:3]
	s_cbranch_execz .LBB153_23
; %bb.22:                               ;   in Loop: Header=BB153_13 Depth=1
	global_load_dwordx4 v[4:7], v[48:49], off
	s_waitcnt vmcnt(0)
	scratch_store_dwordx4 off, v[4:7], off  ; 16-byte Folded Spill
.LBB153_23:                             ;   in Loop: Header=BB153_13 Depth=1
	s_or_b64 exec, exec, s[0:1]
	s_mov_b64 s[0:1], exec
	v_readlane_b32 s2, v167, 8
	v_readlane_b32 s3, v167, 9
	s_and_b64 s[2:3], s[0:1], s[2:3]
	s_mov_b64 exec, s[2:3]
	s_cbranch_execz .LBB153_25
; %bb.24:                               ;   in Loop: Header=BB153_13 Depth=1
	global_load_dwordx4 v[20:23], v[48:49], off offset:1024
.LBB153_25:                             ;   in Loop: Header=BB153_13 Depth=1
	s_or_b64 exec, exec, s[0:1]
	s_mov_b64 s[0:1], exec
	v_readlane_b32 s2, v167, 10
	v_readlane_b32 s3, v167, 11
	s_and_b64 s[2:3], s[0:1], s[2:3]
	s_mov_b64 exec, s[2:3]
	s_cbranch_execz .LBB153_27
; %bb.26:                               ;   in Loop: Header=BB153_13 Depth=1
	global_load_dwordx4 v[82:85], v[48:49], off offset:2048
.LBB153_27:                             ;   in Loop: Header=BB153_13 Depth=1
	;; [unrolled: 10-line block ×3, first 2 shown]
	s_or_b64 exec, exec, s[0:1]
	scratch_load_dwordx4 v[4:7], off, off   ; 16-byte Folded Reload
	s_waitcnt vmcnt(0)
	ds_write_b128 v126, v[4:7]
	ds_write_b128 v127, v[20:23] offset:1024
	ds_write_b128 v128, v[82:85] offset:2048
	;; [unrolled: 1-line block ×3, first 2 shown]
	; wave barrier
	ds_read_b128 v[4:7], v130
	ds_read_b128 v[20:23], v130 offset:16
	ds_read_b128 v[82:85], v130 offset:32
	;; [unrolled: 1-line block ×3, first 2 shown]
	s_waitcnt lgkmcnt(3)
	v_add_f32_e32 v158, s33, v4
	v_cmp_ge_f32_e32 vcc, s38, v158
	s_and_b64 s[2:3], s[92:93], vcc
	scratch_store_dwordx4 off, v[4:7], off  ; 16-byte Folded Spill
	s_and_saveexec_b64 s[0:1], s[2:3]
	s_cbranch_execz .LBB153_31
; %bb.30:                               ;   in Loop: Header=BB153_13 Depth=1
	v_mul_f32_e32 v4, 0x3fb8aa3b, v158
	v_rndne_f32_e32 v5, v4
	v_sub_f32_e32 v6, v4, v5
	v_fma_f32 v4, v158, s39, -v4
	v_fmac_f32_e32 v4, 0x32a5705f, v158
	v_add_f32_e32 v4, v6, v4
	v_cvt_i32_f32_e32 v5, v5
	v_exp_f32_e32 v4, v4
	v_cmp_ngt_f32_e32 vcc, s40, v158
	v_ldexp_f32 v4, v4, v5
	s_nop 0
	v_cndmask_b32_e32 v4, 0, v4, vcc
	v_cmp_nlt_f32_e32 vcc, s41, v158
	s_nop 1
	v_cndmask_b32_e32 v16, v155, v4, vcc
	v_add_f32_e32 v6, 1.0, v16
	v_add_f32_e32 v4, -1.0, v6
	v_sub_f32_e32 v5, v4, v6
	v_add_f32_e32 v5, 1.0, v5
	v_sub_f32_e32 v4, v16, v4
	v_add_f32_e32 v7, v4, v5
	v_frexp_mant_f32_e32 v12, v6
	v_cvt_f64_f32_e32 v[4:5], v6
	v_frexp_exp_i32_f64_e32 v4, v[4:5]
	v_cmp_gt_f32_e32 vcc, s43, v12
	v_cmp_gt_f32_e64 s[2:3], s45, v16
	s_nop 0
	v_subbrev_co_u32_e32 v17, vcc, 0, v4, vcc
	v_sub_u32_e32 v4, 0, v17
	v_ldexp_f32 v5, v6, v4
	v_add_f32_e32 v6, -1.0, v5
	v_add_f32_e32 v12, 1.0, v5
	v_ldexp_f32 v4, v7, v4
	v_add_f32_e32 v7, 1.0, v6
	v_add_f32_e32 v13, -1.0, v12
	v_sub_f32_e32 v7, v5, v7
	v_sub_f32_e32 v5, v5, v13
	v_add_f32_e32 v7, v4, v7
	v_add_f32_e32 v4, v4, v5
	;; [unrolled: 1-line block ×3, first 2 shown]
	v_rcp_f32_e32 v48, v18
	v_sub_f32_e32 v5, v12, v18
	v_add_f32_e32 v19, v4, v5
	v_add_f32_e32 v5, v6, v7
	v_mul_f32_e32 v50, v5, v48
	v_sub_f32_e32 v4, v6, v5
	v_mul_f32_e32 v6, v18, v50
	v_fma_f32 v12, v50, v18, -v6
	v_fmac_f32_e32 v12, v50, v19
	v_add_f32_e32 v49, v7, v4
	v_add_f32_e32 v4, v6, v12
	v_sub_f32_e32 v7, v5, v4
	v_pk_add_f32 v[14:15], v[4:5], v[6:7] neg_lo:[0,1] neg_hi:[0,1]
	v_mov_b32_e32 v13, v4
	v_pk_add_f32 v[4:5], v[14:15], v[12:13] neg_lo:[0,1] neg_hi:[0,1]
	v_cmp_eq_f32_e32 vcc, s42, v16
	v_add_f32_e32 v5, v49, v5
	v_add_f32_e32 v4, v4, v5
	;; [unrolled: 1-line block ×3, first 2 shown]
	v_mul_f32_e32 v49, v48, v5
	v_mul_f32_e32 v6, v18, v49
	v_fma_f32 v12, v49, v18, -v6
	v_fmac_f32_e32 v12, v49, v19
	v_sub_f32_e32 v7, v7, v5
	v_add_f32_e32 v18, v4, v7
	v_add_f32_e32 v4, v6, v12
	v_sub_f32_e32 v7, v5, v4
	v_pk_add_f32 v[14:15], v[4:5], v[6:7] neg_lo:[0,1] neg_hi:[0,1]
	v_mov_b32_e32 v13, v4
	v_pk_add_f32 v[4:5], v[14:15], v[12:13] neg_lo:[0,1] neg_hi:[0,1]
	s_or_b64 vcc, s[2:3], vcc
	v_add_f32_e32 v5, v18, v5
	v_add_f32_e32 v4, v4, v5
	;; [unrolled: 1-line block ×4, first 2 shown]
	v_sub_f32_e32 v6, v5, v50
	v_mul_f32_e32 v4, v48, v4
	v_sub_f32_e32 v6, v49, v6
	v_add_f32_e32 v6, v6, v4
	v_add_f32_e32 v12, v5, v6
	v_mul_f32_e32 v13, v12, v12
	v_fmamk_f32 v4, v13, 0x3e9b6dac, v75
	v_fmaak_f32 v107, v13, v4, 0x3f2aaada
	v_cvt_f32_i32_e32 v4, v17
	v_sub_f32_e32 v5, v12, v5
	v_sub_f32_e32 v5, v6, v5
	v_ldexp_f32 v14, v5, 1
	v_mul_f32_e32 v5, v12, v13
	v_ldexp_f32 v7, v12, 1
	v_pk_mul_f32 v[12:13], v[4:5], v[106:107]
	s_nop 0
	v_fma_f32 v6, v4, s44, -v12
	v_fmac_f32_e32 v6, 0xb102e308, v4
	v_pk_add_f32 v[4:5], v[12:13], v[6:7]
	s_nop 0
	v_sub_f32_e32 v7, v5, v7
	v_sub_f32_e32 v7, v13, v7
	v_add_f32_e32 v15, v14, v7
	v_mov_b32_e32 v14, v12
	v_pk_add_f32 v[12:13], v[4:5], v[12:13] neg_lo:[0,1] neg_hi:[0,1]
	v_pk_add_f32 v[48:49], v[4:5], v[14:15]
	v_mov_b32_e32 v7, v4
	v_mov_b32_e32 v13, v49
	v_pk_add_f32 v[50:51], v[6:7], v[12:13] neg_lo:[0,1] neg_hi:[0,1]
	v_pk_add_f32 v[6:7], v[6:7], v[12:13]
	v_mov_b32_e32 v14, v15
	v_mov_b32_e32 v12, v7
	v_pk_add_f32 v[52:53], v[12:13], v[4:5] neg_lo:[0,1] neg_hi:[0,1]
	v_mov_b32_e32 v6, v49
	v_mov_b32_e32 v13, v52
	v_pk_add_f32 v[54:55], v[48:49], v[12:13] neg_lo:[0,1] neg_hi:[0,1]
	v_mov_b32_e32 v48, v5
	v_mov_b32_e32 v49, v52
	;; [unrolled: 1-line block ×3, first 2 shown]
	v_pk_add_f32 v[6:7], v[6:7], v[48:49] neg_lo:[0,1] neg_hi:[0,1]
	v_mov_b32_e32 v15, v4
	v_pk_add_f32 v[4:5], v[14:15], v[6:7] neg_lo:[0,1] neg_hi:[0,1]
	v_mov_b32_e32 v54, v50
	v_pk_add_f32 v[6:7], v[54:55], v[4:5]
	s_nop 0
	v_mov_b32_e32 v14, v7
	v_pk_add_f32 v[14:15], v[6:7], v[14:15]
	s_nop 0
	v_pk_add_f32 v[12:13], v[12:13], v[14:15]
	v_mov_b32_e32 v5, v14
	v_mov_b32_e32 v7, v12
	v_pk_add_f32 v[48:49], v[6:7], v[50:51] neg_lo:[0,1] neg_hi:[0,1]
	s_nop 0
	v_sub_f32_e32 v6, v6, v48
	v_pk_add_f32 v[4:5], v[4:5], v[48:49] neg_lo:[0,1] neg_hi:[0,1]
	v_sub_f32_e32 v6, v50, v6
	v_add_f32_e32 v4, v4, v6
	v_add_f32_e32 v4, v4, v5
	;; [unrolled: 1-line block ×3, first 2 shown]
	v_cndmask_b32_e32 v158, v4, v16, vcc
.LBB153_31:                             ;   in Loop: Header=BB153_13 Depth=1
	s_or_b64 exec, exec, s[0:1]
	scratch_load_dwordx4 v[4:7], off, off   ; 16-byte Folded Reload
	s_waitcnt vmcnt(0)
	v_add_f32_e32 v159, s33, v5
	v_cmp_ge_f32_e32 vcc, s38, v159
	s_and_b64 s[2:3], s[92:93], vcc
	s_and_saveexec_b64 s[0:1], s[2:3]
	s_cbranch_execz .LBB153_33
; %bb.32:                               ;   in Loop: Header=BB153_13 Depth=1
	v_mul_f32_e32 v4, 0x3fb8aa3b, v159
	v_rndne_f32_e32 v5, v4
	v_sub_f32_e32 v6, v4, v5
	v_fma_f32 v4, v159, s39, -v4
	v_fmac_f32_e32 v4, 0x32a5705f, v159
	v_add_f32_e32 v4, v6, v4
	v_cvt_i32_f32_e32 v5, v5
	v_exp_f32_e32 v4, v4
	v_cmp_ngt_f32_e32 vcc, s40, v159
	v_ldexp_f32 v4, v4, v5
	s_nop 0
	v_cndmask_b32_e32 v4, 0, v4, vcc
	v_cmp_nlt_f32_e32 vcc, s41, v159
	s_nop 1
	v_cndmask_b32_e32 v16, v155, v4, vcc
	v_add_f32_e32 v6, 1.0, v16
	v_add_f32_e32 v4, -1.0, v6
	v_sub_f32_e32 v5, v4, v6
	v_add_f32_e32 v5, 1.0, v5
	v_sub_f32_e32 v4, v16, v4
	v_add_f32_e32 v7, v4, v5
	v_frexp_mant_f32_e32 v12, v6
	v_cvt_f64_f32_e32 v[4:5], v6
	v_frexp_exp_i32_f64_e32 v4, v[4:5]
	v_cmp_gt_f32_e32 vcc, s43, v12
	v_cmp_gt_f32_e64 s[2:3], s45, v16
	s_nop 0
	v_subbrev_co_u32_e32 v17, vcc, 0, v4, vcc
	v_sub_u32_e32 v4, 0, v17
	v_ldexp_f32 v5, v6, v4
	v_add_f32_e32 v6, -1.0, v5
	v_add_f32_e32 v12, 1.0, v5
	v_ldexp_f32 v4, v7, v4
	v_add_f32_e32 v7, 1.0, v6
	v_add_f32_e32 v13, -1.0, v12
	v_sub_f32_e32 v7, v5, v7
	v_sub_f32_e32 v5, v5, v13
	v_add_f32_e32 v7, v4, v7
	v_add_f32_e32 v4, v4, v5
	;; [unrolled: 1-line block ×3, first 2 shown]
	v_rcp_f32_e32 v48, v18
	v_sub_f32_e32 v5, v12, v18
	v_add_f32_e32 v19, v4, v5
	v_add_f32_e32 v5, v6, v7
	v_mul_f32_e32 v50, v5, v48
	v_sub_f32_e32 v4, v6, v5
	v_mul_f32_e32 v6, v18, v50
	v_fma_f32 v12, v50, v18, -v6
	v_fmac_f32_e32 v12, v50, v19
	v_add_f32_e32 v49, v7, v4
	v_add_f32_e32 v4, v6, v12
	v_sub_f32_e32 v7, v5, v4
	v_pk_add_f32 v[14:15], v[4:5], v[6:7] neg_lo:[0,1] neg_hi:[0,1]
	v_mov_b32_e32 v13, v4
	v_pk_add_f32 v[4:5], v[14:15], v[12:13] neg_lo:[0,1] neg_hi:[0,1]
	v_cmp_eq_f32_e32 vcc, s42, v16
	v_add_f32_e32 v5, v49, v5
	v_add_f32_e32 v4, v4, v5
	;; [unrolled: 1-line block ×3, first 2 shown]
	v_mul_f32_e32 v49, v48, v5
	v_mul_f32_e32 v6, v18, v49
	v_fma_f32 v12, v49, v18, -v6
	v_fmac_f32_e32 v12, v49, v19
	v_sub_f32_e32 v7, v7, v5
	v_add_f32_e32 v18, v4, v7
	v_add_f32_e32 v4, v6, v12
	v_sub_f32_e32 v7, v5, v4
	v_pk_add_f32 v[14:15], v[4:5], v[6:7] neg_lo:[0,1] neg_hi:[0,1]
	v_mov_b32_e32 v13, v4
	v_pk_add_f32 v[4:5], v[14:15], v[12:13] neg_lo:[0,1] neg_hi:[0,1]
	s_or_b64 vcc, s[2:3], vcc
	v_add_f32_e32 v5, v18, v5
	v_add_f32_e32 v4, v4, v5
	;; [unrolled: 1-line block ×4, first 2 shown]
	v_sub_f32_e32 v6, v5, v50
	v_mul_f32_e32 v4, v48, v4
	v_sub_f32_e32 v6, v49, v6
	v_add_f32_e32 v6, v6, v4
	v_add_f32_e32 v12, v5, v6
	v_mul_f32_e32 v13, v12, v12
	v_fmamk_f32 v4, v13, 0x3e9b6dac, v75
	v_fmaak_f32 v107, v13, v4, 0x3f2aaada
	v_cvt_f32_i32_e32 v4, v17
	v_sub_f32_e32 v5, v12, v5
	v_sub_f32_e32 v5, v6, v5
	v_ldexp_f32 v14, v5, 1
	v_mul_f32_e32 v5, v12, v13
	v_ldexp_f32 v7, v12, 1
	v_pk_mul_f32 v[12:13], v[4:5], v[106:107]
	s_nop 0
	v_fma_f32 v6, v4, s44, -v12
	v_fmac_f32_e32 v6, 0xb102e308, v4
	v_pk_add_f32 v[4:5], v[12:13], v[6:7]
	s_nop 0
	v_sub_f32_e32 v7, v5, v7
	v_sub_f32_e32 v7, v13, v7
	v_add_f32_e32 v15, v14, v7
	v_mov_b32_e32 v14, v12
	v_pk_add_f32 v[12:13], v[4:5], v[12:13] neg_lo:[0,1] neg_hi:[0,1]
	v_pk_add_f32 v[48:49], v[4:5], v[14:15]
	v_mov_b32_e32 v7, v4
	v_mov_b32_e32 v13, v49
	v_pk_add_f32 v[50:51], v[6:7], v[12:13] neg_lo:[0,1] neg_hi:[0,1]
	v_pk_add_f32 v[6:7], v[6:7], v[12:13]
	v_mov_b32_e32 v14, v15
	v_mov_b32_e32 v12, v7
	v_pk_add_f32 v[52:53], v[12:13], v[4:5] neg_lo:[0,1] neg_hi:[0,1]
	v_mov_b32_e32 v6, v49
	v_mov_b32_e32 v13, v52
	v_pk_add_f32 v[54:55], v[48:49], v[12:13] neg_lo:[0,1] neg_hi:[0,1]
	v_mov_b32_e32 v48, v5
	v_mov_b32_e32 v49, v52
	v_mov_b32_e32 v51, v7
	v_pk_add_f32 v[6:7], v[6:7], v[48:49] neg_lo:[0,1] neg_hi:[0,1]
	v_mov_b32_e32 v15, v4
	v_pk_add_f32 v[4:5], v[14:15], v[6:7] neg_lo:[0,1] neg_hi:[0,1]
	v_mov_b32_e32 v54, v50
	v_pk_add_f32 v[6:7], v[54:55], v[4:5]
	s_nop 0
	v_mov_b32_e32 v14, v7
	v_pk_add_f32 v[14:15], v[6:7], v[14:15]
	s_nop 0
	v_pk_add_f32 v[12:13], v[12:13], v[14:15]
	v_mov_b32_e32 v5, v14
	v_mov_b32_e32 v7, v12
	v_pk_add_f32 v[48:49], v[6:7], v[50:51] neg_lo:[0,1] neg_hi:[0,1]
	s_nop 0
	v_sub_f32_e32 v6, v6, v48
	v_pk_add_f32 v[4:5], v[4:5], v[48:49] neg_lo:[0,1] neg_hi:[0,1]
	v_sub_f32_e32 v6, v50, v6
	v_add_f32_e32 v4, v4, v6
	v_add_f32_e32 v4, v4, v5
	;; [unrolled: 1-line block ×3, first 2 shown]
	v_cndmask_b32_e32 v159, v4, v16, vcc
.LBB153_33:                             ;   in Loop: Header=BB153_13 Depth=1
	s_or_b64 exec, exec, s[0:1]
	scratch_load_dwordx4 v[4:7], off, off   ; 16-byte Folded Reload
	s_waitcnt vmcnt(0)
	v_add_f32_e32 v160, s33, v6
	v_cmp_ge_f32_e32 vcc, s38, v160
	s_and_b64 s[2:3], s[92:93], vcc
	s_and_saveexec_b64 s[0:1], s[2:3]
	s_cbranch_execz .LBB153_35
; %bb.34:                               ;   in Loop: Header=BB153_13 Depth=1
	v_mul_f32_e32 v4, 0x3fb8aa3b, v160
	v_rndne_f32_e32 v5, v4
	v_sub_f32_e32 v6, v4, v5
	v_fma_f32 v4, v160, s39, -v4
	v_fmac_f32_e32 v4, 0x32a5705f, v160
	v_add_f32_e32 v4, v6, v4
	v_cvt_i32_f32_e32 v5, v5
	v_exp_f32_e32 v4, v4
	v_cmp_ngt_f32_e32 vcc, s40, v160
	v_ldexp_f32 v4, v4, v5
	s_nop 0
	v_cndmask_b32_e32 v4, 0, v4, vcc
	v_cmp_nlt_f32_e32 vcc, s41, v160
	s_nop 1
	v_cndmask_b32_e32 v16, v155, v4, vcc
	v_add_f32_e32 v6, 1.0, v16
	v_add_f32_e32 v4, -1.0, v6
	v_sub_f32_e32 v5, v4, v6
	v_add_f32_e32 v5, 1.0, v5
	v_sub_f32_e32 v4, v16, v4
	v_add_f32_e32 v7, v4, v5
	v_frexp_mant_f32_e32 v12, v6
	v_cvt_f64_f32_e32 v[4:5], v6
	v_frexp_exp_i32_f64_e32 v4, v[4:5]
	v_cmp_gt_f32_e32 vcc, s43, v12
	v_cmp_gt_f32_e64 s[2:3], s45, v16
	s_nop 0
	v_subbrev_co_u32_e32 v17, vcc, 0, v4, vcc
	v_sub_u32_e32 v4, 0, v17
	v_ldexp_f32 v5, v6, v4
	v_add_f32_e32 v6, -1.0, v5
	v_add_f32_e32 v12, 1.0, v5
	v_ldexp_f32 v4, v7, v4
	v_add_f32_e32 v7, 1.0, v6
	v_add_f32_e32 v13, -1.0, v12
	v_sub_f32_e32 v7, v5, v7
	v_sub_f32_e32 v5, v5, v13
	v_add_f32_e32 v7, v4, v7
	v_add_f32_e32 v4, v4, v5
	;; [unrolled: 1-line block ×3, first 2 shown]
	v_rcp_f32_e32 v48, v18
	v_sub_f32_e32 v5, v12, v18
	v_add_f32_e32 v19, v4, v5
	v_add_f32_e32 v5, v6, v7
	v_mul_f32_e32 v50, v5, v48
	v_sub_f32_e32 v4, v6, v5
	v_mul_f32_e32 v6, v18, v50
	v_fma_f32 v12, v50, v18, -v6
	v_fmac_f32_e32 v12, v50, v19
	v_add_f32_e32 v49, v7, v4
	v_add_f32_e32 v4, v6, v12
	v_sub_f32_e32 v7, v5, v4
	v_pk_add_f32 v[14:15], v[4:5], v[6:7] neg_lo:[0,1] neg_hi:[0,1]
	v_mov_b32_e32 v13, v4
	v_pk_add_f32 v[4:5], v[14:15], v[12:13] neg_lo:[0,1] neg_hi:[0,1]
	v_cmp_eq_f32_e32 vcc, s42, v16
	v_add_f32_e32 v5, v49, v5
	v_add_f32_e32 v4, v4, v5
	;; [unrolled: 1-line block ×3, first 2 shown]
	v_mul_f32_e32 v49, v48, v5
	v_mul_f32_e32 v6, v18, v49
	v_fma_f32 v12, v49, v18, -v6
	v_fmac_f32_e32 v12, v49, v19
	v_sub_f32_e32 v7, v7, v5
	v_add_f32_e32 v18, v4, v7
	v_add_f32_e32 v4, v6, v12
	v_sub_f32_e32 v7, v5, v4
	v_pk_add_f32 v[14:15], v[4:5], v[6:7] neg_lo:[0,1] neg_hi:[0,1]
	v_mov_b32_e32 v13, v4
	v_pk_add_f32 v[4:5], v[14:15], v[12:13] neg_lo:[0,1] neg_hi:[0,1]
	s_or_b64 vcc, s[2:3], vcc
	v_add_f32_e32 v5, v18, v5
	v_add_f32_e32 v4, v4, v5
	;; [unrolled: 1-line block ×4, first 2 shown]
	v_sub_f32_e32 v6, v5, v50
	v_mul_f32_e32 v4, v48, v4
	v_sub_f32_e32 v6, v49, v6
	v_add_f32_e32 v6, v6, v4
	v_add_f32_e32 v12, v5, v6
	v_mul_f32_e32 v13, v12, v12
	v_fmamk_f32 v4, v13, 0x3e9b6dac, v75
	v_fmaak_f32 v107, v13, v4, 0x3f2aaada
	v_cvt_f32_i32_e32 v4, v17
	v_sub_f32_e32 v5, v12, v5
	v_sub_f32_e32 v5, v6, v5
	v_ldexp_f32 v14, v5, 1
	v_mul_f32_e32 v5, v12, v13
	v_ldexp_f32 v7, v12, 1
	v_pk_mul_f32 v[12:13], v[4:5], v[106:107]
	s_nop 0
	v_fma_f32 v6, v4, s44, -v12
	v_fmac_f32_e32 v6, 0xb102e308, v4
	v_pk_add_f32 v[4:5], v[12:13], v[6:7]
	s_nop 0
	v_sub_f32_e32 v7, v5, v7
	v_sub_f32_e32 v7, v13, v7
	v_add_f32_e32 v15, v14, v7
	v_mov_b32_e32 v14, v12
	v_pk_add_f32 v[12:13], v[4:5], v[12:13] neg_lo:[0,1] neg_hi:[0,1]
	v_pk_add_f32 v[48:49], v[4:5], v[14:15]
	v_mov_b32_e32 v7, v4
	v_mov_b32_e32 v13, v49
	v_pk_add_f32 v[50:51], v[6:7], v[12:13] neg_lo:[0,1] neg_hi:[0,1]
	v_pk_add_f32 v[6:7], v[6:7], v[12:13]
	v_mov_b32_e32 v14, v15
	v_mov_b32_e32 v12, v7
	v_pk_add_f32 v[52:53], v[12:13], v[4:5] neg_lo:[0,1] neg_hi:[0,1]
	v_mov_b32_e32 v6, v49
	v_mov_b32_e32 v13, v52
	v_pk_add_f32 v[54:55], v[48:49], v[12:13] neg_lo:[0,1] neg_hi:[0,1]
	v_mov_b32_e32 v48, v5
	v_mov_b32_e32 v49, v52
	;; [unrolled: 1-line block ×3, first 2 shown]
	v_pk_add_f32 v[6:7], v[6:7], v[48:49] neg_lo:[0,1] neg_hi:[0,1]
	v_mov_b32_e32 v15, v4
	v_pk_add_f32 v[4:5], v[14:15], v[6:7] neg_lo:[0,1] neg_hi:[0,1]
	v_mov_b32_e32 v54, v50
	v_pk_add_f32 v[6:7], v[54:55], v[4:5]
	s_nop 0
	v_mov_b32_e32 v14, v7
	v_pk_add_f32 v[14:15], v[6:7], v[14:15]
	s_nop 0
	v_pk_add_f32 v[12:13], v[12:13], v[14:15]
	v_mov_b32_e32 v5, v14
	v_mov_b32_e32 v7, v12
	v_pk_add_f32 v[48:49], v[6:7], v[50:51] neg_lo:[0,1] neg_hi:[0,1]
	s_nop 0
	v_sub_f32_e32 v6, v6, v48
	v_pk_add_f32 v[4:5], v[4:5], v[48:49] neg_lo:[0,1] neg_hi:[0,1]
	v_sub_f32_e32 v6, v50, v6
	v_add_f32_e32 v4, v4, v6
	v_add_f32_e32 v4, v4, v5
	;; [unrolled: 1-line block ×3, first 2 shown]
	v_cndmask_b32_e32 v160, v4, v16, vcc
.LBB153_35:                             ;   in Loop: Header=BB153_13 Depth=1
	s_or_b64 exec, exec, s[0:1]
	scratch_load_dwordx4 v[4:7], off, off   ; 16-byte Folded Reload
	s_waitcnt vmcnt(0)
	v_add_f32_e32 v161, s33, v7
	v_cmp_ge_f32_e32 vcc, s38, v161
	s_and_b64 s[2:3], s[92:93], vcc
	s_and_saveexec_b64 s[0:1], s[2:3]
	s_cbranch_execz .LBB153_37
; %bb.36:                               ;   in Loop: Header=BB153_13 Depth=1
	v_mul_f32_e32 v4, 0x3fb8aa3b, v161
	v_rndne_f32_e32 v5, v4
	v_sub_f32_e32 v6, v4, v5
	v_fma_f32 v4, v161, s39, -v4
	v_fmac_f32_e32 v4, 0x32a5705f, v161
	v_add_f32_e32 v4, v6, v4
	v_cvt_i32_f32_e32 v5, v5
	v_exp_f32_e32 v4, v4
	v_cmp_ngt_f32_e32 vcc, s40, v161
	v_ldexp_f32 v4, v4, v5
	s_nop 0
	v_cndmask_b32_e32 v4, 0, v4, vcc
	v_cmp_nlt_f32_e32 vcc, s41, v161
	s_nop 1
	v_cndmask_b32_e32 v16, v155, v4, vcc
	v_add_f32_e32 v6, 1.0, v16
	v_add_f32_e32 v4, -1.0, v6
	v_sub_f32_e32 v5, v4, v6
	v_add_f32_e32 v5, 1.0, v5
	v_sub_f32_e32 v4, v16, v4
	v_add_f32_e32 v7, v4, v5
	v_frexp_mant_f32_e32 v12, v6
	v_cvt_f64_f32_e32 v[4:5], v6
	v_frexp_exp_i32_f64_e32 v4, v[4:5]
	v_cmp_gt_f32_e32 vcc, s43, v12
	v_cmp_gt_f32_e64 s[2:3], s45, v16
	s_nop 0
	v_subbrev_co_u32_e32 v17, vcc, 0, v4, vcc
	v_sub_u32_e32 v4, 0, v17
	v_ldexp_f32 v5, v6, v4
	v_add_f32_e32 v6, -1.0, v5
	v_add_f32_e32 v12, 1.0, v5
	v_ldexp_f32 v4, v7, v4
	v_add_f32_e32 v7, 1.0, v6
	v_add_f32_e32 v13, -1.0, v12
	v_sub_f32_e32 v7, v5, v7
	v_sub_f32_e32 v5, v5, v13
	v_add_f32_e32 v7, v4, v7
	v_add_f32_e32 v4, v4, v5
	;; [unrolled: 1-line block ×3, first 2 shown]
	v_rcp_f32_e32 v48, v18
	v_sub_f32_e32 v5, v12, v18
	v_add_f32_e32 v19, v4, v5
	v_add_f32_e32 v5, v6, v7
	v_mul_f32_e32 v50, v5, v48
	v_sub_f32_e32 v4, v6, v5
	v_mul_f32_e32 v6, v18, v50
	v_fma_f32 v12, v50, v18, -v6
	v_fmac_f32_e32 v12, v50, v19
	v_add_f32_e32 v49, v7, v4
	v_add_f32_e32 v4, v6, v12
	v_sub_f32_e32 v7, v5, v4
	v_pk_add_f32 v[14:15], v[4:5], v[6:7] neg_lo:[0,1] neg_hi:[0,1]
	v_mov_b32_e32 v13, v4
	v_pk_add_f32 v[4:5], v[14:15], v[12:13] neg_lo:[0,1] neg_hi:[0,1]
	v_cmp_eq_f32_e32 vcc, s42, v16
	v_add_f32_e32 v5, v49, v5
	v_add_f32_e32 v4, v4, v5
	;; [unrolled: 1-line block ×3, first 2 shown]
	v_mul_f32_e32 v49, v48, v5
	v_mul_f32_e32 v6, v18, v49
	v_fma_f32 v12, v49, v18, -v6
	v_fmac_f32_e32 v12, v49, v19
	v_sub_f32_e32 v7, v7, v5
	v_add_f32_e32 v18, v4, v7
	v_add_f32_e32 v4, v6, v12
	v_sub_f32_e32 v7, v5, v4
	v_pk_add_f32 v[14:15], v[4:5], v[6:7] neg_lo:[0,1] neg_hi:[0,1]
	v_mov_b32_e32 v13, v4
	v_pk_add_f32 v[4:5], v[14:15], v[12:13] neg_lo:[0,1] neg_hi:[0,1]
	s_or_b64 vcc, s[2:3], vcc
	v_add_f32_e32 v5, v18, v5
	v_add_f32_e32 v4, v4, v5
	;; [unrolled: 1-line block ×4, first 2 shown]
	v_sub_f32_e32 v6, v5, v50
	v_mul_f32_e32 v4, v48, v4
	v_sub_f32_e32 v6, v49, v6
	v_add_f32_e32 v6, v6, v4
	v_add_f32_e32 v12, v5, v6
	v_mul_f32_e32 v13, v12, v12
	v_fmamk_f32 v4, v13, 0x3e9b6dac, v75
	v_fmaak_f32 v107, v13, v4, 0x3f2aaada
	v_cvt_f32_i32_e32 v4, v17
	v_sub_f32_e32 v5, v12, v5
	v_sub_f32_e32 v5, v6, v5
	v_ldexp_f32 v14, v5, 1
	v_mul_f32_e32 v5, v12, v13
	v_ldexp_f32 v7, v12, 1
	v_pk_mul_f32 v[12:13], v[4:5], v[106:107]
	s_nop 0
	v_fma_f32 v6, v4, s44, -v12
	v_fmac_f32_e32 v6, 0xb102e308, v4
	v_pk_add_f32 v[4:5], v[12:13], v[6:7]
	s_nop 0
	v_sub_f32_e32 v7, v5, v7
	v_sub_f32_e32 v7, v13, v7
	v_add_f32_e32 v15, v14, v7
	v_mov_b32_e32 v14, v12
	v_pk_add_f32 v[12:13], v[4:5], v[12:13] neg_lo:[0,1] neg_hi:[0,1]
	v_pk_add_f32 v[48:49], v[4:5], v[14:15]
	v_mov_b32_e32 v7, v4
	v_mov_b32_e32 v13, v49
	v_pk_add_f32 v[50:51], v[6:7], v[12:13] neg_lo:[0,1] neg_hi:[0,1]
	v_pk_add_f32 v[6:7], v[6:7], v[12:13]
	v_mov_b32_e32 v14, v15
	v_mov_b32_e32 v12, v7
	v_pk_add_f32 v[52:53], v[12:13], v[4:5] neg_lo:[0,1] neg_hi:[0,1]
	v_mov_b32_e32 v6, v49
	v_mov_b32_e32 v13, v52
	v_pk_add_f32 v[54:55], v[48:49], v[12:13] neg_lo:[0,1] neg_hi:[0,1]
	v_mov_b32_e32 v48, v5
	v_mov_b32_e32 v49, v52
	;; [unrolled: 1-line block ×3, first 2 shown]
	v_pk_add_f32 v[6:7], v[6:7], v[48:49] neg_lo:[0,1] neg_hi:[0,1]
	v_mov_b32_e32 v15, v4
	v_pk_add_f32 v[4:5], v[14:15], v[6:7] neg_lo:[0,1] neg_hi:[0,1]
	v_mov_b32_e32 v54, v50
	v_pk_add_f32 v[6:7], v[54:55], v[4:5]
	s_nop 0
	v_mov_b32_e32 v14, v7
	v_pk_add_f32 v[14:15], v[6:7], v[14:15]
	s_nop 0
	v_pk_add_f32 v[12:13], v[12:13], v[14:15]
	v_mov_b32_e32 v5, v14
	v_mov_b32_e32 v7, v12
	v_pk_add_f32 v[48:49], v[6:7], v[50:51] neg_lo:[0,1] neg_hi:[0,1]
	s_nop 0
	v_sub_f32_e32 v6, v6, v48
	v_pk_add_f32 v[4:5], v[4:5], v[48:49] neg_lo:[0,1] neg_hi:[0,1]
	v_sub_f32_e32 v6, v50, v6
	v_add_f32_e32 v4, v4, v6
	v_add_f32_e32 v4, v4, v5
	;; [unrolled: 1-line block ×3, first 2 shown]
	v_cndmask_b32_e32 v161, v4, v16, vcc
.LBB153_37:                             ;   in Loop: Header=BB153_13 Depth=1
	s_or_b64 exec, exec, s[0:1]
	s_waitcnt lgkmcnt(2)
	v_add_f32_e32 v162, s33, v20
	v_cmp_ge_f32_e32 vcc, s38, v162
	s_and_b64 s[2:3], s[92:93], vcc
	s_and_saveexec_b64 s[0:1], s[2:3]
	s_cbranch_execz .LBB153_39
; %bb.38:                               ;   in Loop: Header=BB153_13 Depth=1
	v_mul_f32_e32 v4, 0x3fb8aa3b, v162
	v_rndne_f32_e32 v5, v4
	v_sub_f32_e32 v6, v4, v5
	v_fma_f32 v4, v162, s39, -v4
	v_fmac_f32_e32 v4, 0x32a5705f, v162
	v_add_f32_e32 v4, v6, v4
	v_cvt_i32_f32_e32 v5, v5
	v_exp_f32_e32 v4, v4
	v_cmp_ngt_f32_e32 vcc, s40, v162
	v_ldexp_f32 v4, v4, v5
	s_nop 0
	v_cndmask_b32_e32 v4, 0, v4, vcc
	v_cmp_nlt_f32_e32 vcc, s41, v162
	s_nop 1
	v_cndmask_b32_e32 v16, v155, v4, vcc
	v_add_f32_e32 v6, 1.0, v16
	v_add_f32_e32 v4, -1.0, v6
	v_sub_f32_e32 v5, v4, v6
	v_add_f32_e32 v5, 1.0, v5
	v_sub_f32_e32 v4, v16, v4
	v_add_f32_e32 v7, v4, v5
	v_frexp_mant_f32_e32 v12, v6
	v_cvt_f64_f32_e32 v[4:5], v6
	v_frexp_exp_i32_f64_e32 v4, v[4:5]
	v_cmp_gt_f32_e32 vcc, s43, v12
	v_cmp_gt_f32_e64 s[2:3], s45, v16
	s_nop 0
	v_subbrev_co_u32_e32 v17, vcc, 0, v4, vcc
	v_sub_u32_e32 v4, 0, v17
	v_ldexp_f32 v5, v6, v4
	v_add_f32_e32 v6, -1.0, v5
	v_add_f32_e32 v12, 1.0, v5
	v_ldexp_f32 v4, v7, v4
	v_add_f32_e32 v7, 1.0, v6
	v_add_f32_e32 v13, -1.0, v12
	v_sub_f32_e32 v7, v5, v7
	v_sub_f32_e32 v5, v5, v13
	v_add_f32_e32 v7, v4, v7
	v_add_f32_e32 v4, v4, v5
	;; [unrolled: 1-line block ×3, first 2 shown]
	v_rcp_f32_e32 v48, v18
	v_sub_f32_e32 v5, v12, v18
	v_add_f32_e32 v19, v4, v5
	v_add_f32_e32 v5, v6, v7
	v_mul_f32_e32 v50, v5, v48
	v_sub_f32_e32 v4, v6, v5
	v_mul_f32_e32 v6, v18, v50
	v_fma_f32 v12, v50, v18, -v6
	v_fmac_f32_e32 v12, v50, v19
	v_add_f32_e32 v49, v7, v4
	v_add_f32_e32 v4, v6, v12
	v_sub_f32_e32 v7, v5, v4
	v_pk_add_f32 v[14:15], v[4:5], v[6:7] neg_lo:[0,1] neg_hi:[0,1]
	v_mov_b32_e32 v13, v4
	v_pk_add_f32 v[4:5], v[14:15], v[12:13] neg_lo:[0,1] neg_hi:[0,1]
	v_cmp_eq_f32_e32 vcc, s42, v16
	v_add_f32_e32 v5, v49, v5
	v_add_f32_e32 v4, v4, v5
	;; [unrolled: 1-line block ×3, first 2 shown]
	v_mul_f32_e32 v49, v48, v5
	v_mul_f32_e32 v6, v18, v49
	v_fma_f32 v12, v49, v18, -v6
	v_fmac_f32_e32 v12, v49, v19
	v_sub_f32_e32 v7, v7, v5
	v_add_f32_e32 v18, v4, v7
	v_add_f32_e32 v4, v6, v12
	v_sub_f32_e32 v7, v5, v4
	v_pk_add_f32 v[14:15], v[4:5], v[6:7] neg_lo:[0,1] neg_hi:[0,1]
	v_mov_b32_e32 v13, v4
	v_pk_add_f32 v[4:5], v[14:15], v[12:13] neg_lo:[0,1] neg_hi:[0,1]
	s_or_b64 vcc, s[2:3], vcc
	v_add_f32_e32 v5, v18, v5
	v_add_f32_e32 v4, v4, v5
	;; [unrolled: 1-line block ×4, first 2 shown]
	v_sub_f32_e32 v6, v5, v50
	v_mul_f32_e32 v4, v48, v4
	v_sub_f32_e32 v6, v49, v6
	v_add_f32_e32 v6, v6, v4
	v_add_f32_e32 v12, v5, v6
	v_mul_f32_e32 v13, v12, v12
	v_fmamk_f32 v4, v13, 0x3e9b6dac, v75
	v_fmaak_f32 v107, v13, v4, 0x3f2aaada
	v_cvt_f32_i32_e32 v4, v17
	v_sub_f32_e32 v5, v12, v5
	v_sub_f32_e32 v5, v6, v5
	v_ldexp_f32 v14, v5, 1
	v_mul_f32_e32 v5, v12, v13
	v_ldexp_f32 v7, v12, 1
	v_pk_mul_f32 v[12:13], v[4:5], v[106:107]
	s_nop 0
	v_fma_f32 v6, v4, s44, -v12
	v_fmac_f32_e32 v6, 0xb102e308, v4
	v_pk_add_f32 v[4:5], v[12:13], v[6:7]
	s_nop 0
	v_sub_f32_e32 v7, v5, v7
	v_sub_f32_e32 v7, v13, v7
	v_add_f32_e32 v15, v14, v7
	v_mov_b32_e32 v14, v12
	v_pk_add_f32 v[12:13], v[4:5], v[12:13] neg_lo:[0,1] neg_hi:[0,1]
	v_pk_add_f32 v[48:49], v[4:5], v[14:15]
	v_mov_b32_e32 v7, v4
	v_mov_b32_e32 v13, v49
	v_pk_add_f32 v[50:51], v[6:7], v[12:13] neg_lo:[0,1] neg_hi:[0,1]
	v_pk_add_f32 v[6:7], v[6:7], v[12:13]
	v_mov_b32_e32 v14, v15
	v_mov_b32_e32 v12, v7
	v_pk_add_f32 v[52:53], v[12:13], v[4:5] neg_lo:[0,1] neg_hi:[0,1]
	v_mov_b32_e32 v6, v49
	v_mov_b32_e32 v13, v52
	v_pk_add_f32 v[54:55], v[48:49], v[12:13] neg_lo:[0,1] neg_hi:[0,1]
	v_mov_b32_e32 v48, v5
	v_mov_b32_e32 v49, v52
	;; [unrolled: 1-line block ×3, first 2 shown]
	v_pk_add_f32 v[6:7], v[6:7], v[48:49] neg_lo:[0,1] neg_hi:[0,1]
	v_mov_b32_e32 v15, v4
	v_pk_add_f32 v[4:5], v[14:15], v[6:7] neg_lo:[0,1] neg_hi:[0,1]
	v_mov_b32_e32 v54, v50
	v_pk_add_f32 v[6:7], v[54:55], v[4:5]
	s_nop 0
	v_mov_b32_e32 v14, v7
	v_pk_add_f32 v[14:15], v[6:7], v[14:15]
	s_nop 0
	v_pk_add_f32 v[12:13], v[12:13], v[14:15]
	v_mov_b32_e32 v5, v14
	v_mov_b32_e32 v7, v12
	v_pk_add_f32 v[48:49], v[6:7], v[50:51] neg_lo:[0,1] neg_hi:[0,1]
	s_nop 0
	v_sub_f32_e32 v6, v6, v48
	v_pk_add_f32 v[4:5], v[4:5], v[48:49] neg_lo:[0,1] neg_hi:[0,1]
	v_sub_f32_e32 v6, v50, v6
	v_add_f32_e32 v4, v4, v6
	v_add_f32_e32 v4, v4, v5
	;; [unrolled: 1-line block ×3, first 2 shown]
	v_cndmask_b32_e32 v162, v4, v16, vcc
.LBB153_39:                             ;   in Loop: Header=BB153_13 Depth=1
	s_or_b64 exec, exec, s[0:1]
	v_add_f32_e32 v163, s33, v21
	v_cmp_ge_f32_e32 vcc, s38, v163
	s_and_b64 s[2:3], s[92:93], vcc
	s_and_saveexec_b64 s[0:1], s[2:3]
	s_cbranch_execz .LBB153_41
; %bb.40:                               ;   in Loop: Header=BB153_13 Depth=1
	v_mul_f32_e32 v4, 0x3fb8aa3b, v163
	v_rndne_f32_e32 v5, v4
	v_sub_f32_e32 v6, v4, v5
	v_fma_f32 v4, v163, s39, -v4
	v_fmac_f32_e32 v4, 0x32a5705f, v163
	v_add_f32_e32 v4, v6, v4
	v_cvt_i32_f32_e32 v5, v5
	v_exp_f32_e32 v4, v4
	v_cmp_ngt_f32_e32 vcc, s40, v163
	v_ldexp_f32 v4, v4, v5
	s_nop 0
	v_cndmask_b32_e32 v4, 0, v4, vcc
	v_cmp_nlt_f32_e32 vcc, s41, v163
	s_nop 1
	v_cndmask_b32_e32 v16, v155, v4, vcc
	v_add_f32_e32 v6, 1.0, v16
	v_add_f32_e32 v4, -1.0, v6
	v_sub_f32_e32 v5, v4, v6
	v_add_f32_e32 v5, 1.0, v5
	v_sub_f32_e32 v4, v16, v4
	v_add_f32_e32 v7, v4, v5
	v_frexp_mant_f32_e32 v12, v6
	v_cvt_f64_f32_e32 v[4:5], v6
	v_frexp_exp_i32_f64_e32 v4, v[4:5]
	v_cmp_gt_f32_e32 vcc, s43, v12
	v_cmp_gt_f32_e64 s[2:3], s45, v16
	s_nop 0
	v_subbrev_co_u32_e32 v17, vcc, 0, v4, vcc
	v_sub_u32_e32 v4, 0, v17
	v_ldexp_f32 v5, v6, v4
	v_add_f32_e32 v6, -1.0, v5
	v_add_f32_e32 v12, 1.0, v5
	v_ldexp_f32 v4, v7, v4
	v_add_f32_e32 v7, 1.0, v6
	v_add_f32_e32 v13, -1.0, v12
	v_sub_f32_e32 v7, v5, v7
	v_sub_f32_e32 v5, v5, v13
	v_add_f32_e32 v7, v4, v7
	v_add_f32_e32 v4, v4, v5
	;; [unrolled: 1-line block ×3, first 2 shown]
	v_rcp_f32_e32 v48, v18
	v_sub_f32_e32 v5, v12, v18
	v_add_f32_e32 v19, v4, v5
	v_add_f32_e32 v5, v6, v7
	v_mul_f32_e32 v50, v5, v48
	v_sub_f32_e32 v4, v6, v5
	v_mul_f32_e32 v6, v18, v50
	v_fma_f32 v12, v50, v18, -v6
	v_fmac_f32_e32 v12, v50, v19
	v_add_f32_e32 v49, v7, v4
	v_add_f32_e32 v4, v6, v12
	v_sub_f32_e32 v7, v5, v4
	v_pk_add_f32 v[14:15], v[4:5], v[6:7] neg_lo:[0,1] neg_hi:[0,1]
	v_mov_b32_e32 v13, v4
	v_pk_add_f32 v[4:5], v[14:15], v[12:13] neg_lo:[0,1] neg_hi:[0,1]
	v_cmp_eq_f32_e32 vcc, s42, v16
	v_add_f32_e32 v5, v49, v5
	v_add_f32_e32 v4, v4, v5
	;; [unrolled: 1-line block ×3, first 2 shown]
	v_mul_f32_e32 v49, v48, v5
	v_mul_f32_e32 v6, v18, v49
	v_fma_f32 v12, v49, v18, -v6
	v_fmac_f32_e32 v12, v49, v19
	v_sub_f32_e32 v7, v7, v5
	v_add_f32_e32 v18, v4, v7
	v_add_f32_e32 v4, v6, v12
	v_sub_f32_e32 v7, v5, v4
	v_pk_add_f32 v[14:15], v[4:5], v[6:7] neg_lo:[0,1] neg_hi:[0,1]
	v_mov_b32_e32 v13, v4
	v_pk_add_f32 v[4:5], v[14:15], v[12:13] neg_lo:[0,1] neg_hi:[0,1]
	s_or_b64 vcc, s[2:3], vcc
	v_add_f32_e32 v5, v18, v5
	v_add_f32_e32 v4, v4, v5
	;; [unrolled: 1-line block ×4, first 2 shown]
	v_sub_f32_e32 v6, v5, v50
	v_mul_f32_e32 v4, v48, v4
	v_sub_f32_e32 v6, v49, v6
	v_add_f32_e32 v6, v6, v4
	v_add_f32_e32 v12, v5, v6
	v_mul_f32_e32 v13, v12, v12
	v_fmamk_f32 v4, v13, 0x3e9b6dac, v75
	v_fmaak_f32 v107, v13, v4, 0x3f2aaada
	v_cvt_f32_i32_e32 v4, v17
	v_sub_f32_e32 v5, v12, v5
	v_sub_f32_e32 v5, v6, v5
	v_ldexp_f32 v14, v5, 1
	v_mul_f32_e32 v5, v12, v13
	v_ldexp_f32 v7, v12, 1
	v_pk_mul_f32 v[12:13], v[4:5], v[106:107]
	s_nop 0
	v_fma_f32 v6, v4, s44, -v12
	v_fmac_f32_e32 v6, 0xb102e308, v4
	v_pk_add_f32 v[4:5], v[12:13], v[6:7]
	s_nop 0
	v_sub_f32_e32 v7, v5, v7
	v_sub_f32_e32 v7, v13, v7
	v_add_f32_e32 v15, v14, v7
	v_mov_b32_e32 v14, v12
	v_pk_add_f32 v[12:13], v[4:5], v[12:13] neg_lo:[0,1] neg_hi:[0,1]
	v_pk_add_f32 v[48:49], v[4:5], v[14:15]
	v_mov_b32_e32 v7, v4
	v_mov_b32_e32 v13, v49
	v_pk_add_f32 v[50:51], v[6:7], v[12:13] neg_lo:[0,1] neg_hi:[0,1]
	v_pk_add_f32 v[6:7], v[6:7], v[12:13]
	v_mov_b32_e32 v14, v15
	v_mov_b32_e32 v12, v7
	v_pk_add_f32 v[52:53], v[12:13], v[4:5] neg_lo:[0,1] neg_hi:[0,1]
	v_mov_b32_e32 v6, v49
	v_mov_b32_e32 v13, v52
	v_pk_add_f32 v[54:55], v[48:49], v[12:13] neg_lo:[0,1] neg_hi:[0,1]
	v_mov_b32_e32 v48, v5
	v_mov_b32_e32 v49, v52
	;; [unrolled: 1-line block ×3, first 2 shown]
	v_pk_add_f32 v[6:7], v[6:7], v[48:49] neg_lo:[0,1] neg_hi:[0,1]
	v_mov_b32_e32 v15, v4
	v_pk_add_f32 v[4:5], v[14:15], v[6:7] neg_lo:[0,1] neg_hi:[0,1]
	v_mov_b32_e32 v54, v50
	v_pk_add_f32 v[6:7], v[54:55], v[4:5]
	s_nop 0
	v_mov_b32_e32 v14, v7
	v_pk_add_f32 v[14:15], v[6:7], v[14:15]
	s_nop 0
	v_pk_add_f32 v[12:13], v[12:13], v[14:15]
	v_mov_b32_e32 v5, v14
	v_mov_b32_e32 v7, v12
	v_pk_add_f32 v[48:49], v[6:7], v[50:51] neg_lo:[0,1] neg_hi:[0,1]
	s_nop 0
	v_sub_f32_e32 v6, v6, v48
	v_pk_add_f32 v[4:5], v[4:5], v[48:49] neg_lo:[0,1] neg_hi:[0,1]
	v_sub_f32_e32 v6, v50, v6
	v_add_f32_e32 v4, v4, v6
	v_add_f32_e32 v4, v4, v5
	;; [unrolled: 1-line block ×3, first 2 shown]
	v_cndmask_b32_e32 v163, v4, v16, vcc
.LBB153_41:                             ;   in Loop: Header=BB153_13 Depth=1
	s_or_b64 exec, exec, s[0:1]
	v_add_f32_e32 v164, s33, v22
	v_cmp_ge_f32_e32 vcc, s38, v164
	s_and_b64 s[2:3], s[92:93], vcc
	s_and_saveexec_b64 s[0:1], s[2:3]
	s_cbranch_execz .LBB153_43
; %bb.42:                               ;   in Loop: Header=BB153_13 Depth=1
	v_mul_f32_e32 v4, 0x3fb8aa3b, v164
	v_rndne_f32_e32 v5, v4
	v_sub_f32_e32 v6, v4, v5
	v_fma_f32 v4, v164, s39, -v4
	v_fmac_f32_e32 v4, 0x32a5705f, v164
	v_add_f32_e32 v4, v6, v4
	v_cvt_i32_f32_e32 v5, v5
	v_exp_f32_e32 v4, v4
	v_cmp_ngt_f32_e32 vcc, s40, v164
	v_ldexp_f32 v4, v4, v5
	s_nop 0
	v_cndmask_b32_e32 v4, 0, v4, vcc
	v_cmp_nlt_f32_e32 vcc, s41, v164
	s_nop 1
	v_cndmask_b32_e32 v16, v155, v4, vcc
	v_add_f32_e32 v6, 1.0, v16
	v_add_f32_e32 v4, -1.0, v6
	v_sub_f32_e32 v5, v4, v6
	v_add_f32_e32 v5, 1.0, v5
	v_sub_f32_e32 v4, v16, v4
	v_add_f32_e32 v7, v4, v5
	v_frexp_mant_f32_e32 v12, v6
	v_cvt_f64_f32_e32 v[4:5], v6
	v_frexp_exp_i32_f64_e32 v4, v[4:5]
	v_cmp_gt_f32_e32 vcc, s43, v12
	v_cmp_gt_f32_e64 s[2:3], s45, v16
	s_nop 0
	v_subbrev_co_u32_e32 v17, vcc, 0, v4, vcc
	v_sub_u32_e32 v4, 0, v17
	v_ldexp_f32 v5, v6, v4
	v_add_f32_e32 v6, -1.0, v5
	v_add_f32_e32 v12, 1.0, v5
	v_ldexp_f32 v4, v7, v4
	v_add_f32_e32 v7, 1.0, v6
	v_add_f32_e32 v13, -1.0, v12
	v_sub_f32_e32 v7, v5, v7
	v_sub_f32_e32 v5, v5, v13
	v_add_f32_e32 v7, v4, v7
	v_add_f32_e32 v4, v4, v5
	;; [unrolled: 1-line block ×3, first 2 shown]
	v_rcp_f32_e32 v48, v18
	v_sub_f32_e32 v5, v12, v18
	v_add_f32_e32 v19, v4, v5
	v_add_f32_e32 v5, v6, v7
	v_mul_f32_e32 v50, v5, v48
	v_sub_f32_e32 v4, v6, v5
	v_mul_f32_e32 v6, v18, v50
	v_fma_f32 v12, v50, v18, -v6
	v_fmac_f32_e32 v12, v50, v19
	v_add_f32_e32 v49, v7, v4
	v_add_f32_e32 v4, v6, v12
	v_sub_f32_e32 v7, v5, v4
	v_pk_add_f32 v[14:15], v[4:5], v[6:7] neg_lo:[0,1] neg_hi:[0,1]
	v_mov_b32_e32 v13, v4
	v_pk_add_f32 v[4:5], v[14:15], v[12:13] neg_lo:[0,1] neg_hi:[0,1]
	v_cmp_eq_f32_e32 vcc, s42, v16
	v_add_f32_e32 v5, v49, v5
	v_add_f32_e32 v4, v4, v5
	v_add_f32_e32 v5, v7, v4
	v_mul_f32_e32 v49, v48, v5
	v_mul_f32_e32 v6, v18, v49
	v_fma_f32 v12, v49, v18, -v6
	v_fmac_f32_e32 v12, v49, v19
	v_sub_f32_e32 v7, v7, v5
	v_add_f32_e32 v18, v4, v7
	v_add_f32_e32 v4, v6, v12
	v_sub_f32_e32 v7, v5, v4
	v_pk_add_f32 v[14:15], v[4:5], v[6:7] neg_lo:[0,1] neg_hi:[0,1]
	v_mov_b32_e32 v13, v4
	v_pk_add_f32 v[4:5], v[14:15], v[12:13] neg_lo:[0,1] neg_hi:[0,1]
	s_or_b64 vcc, s[2:3], vcc
	v_add_f32_e32 v5, v18, v5
	v_add_f32_e32 v4, v4, v5
	;; [unrolled: 1-line block ×4, first 2 shown]
	v_sub_f32_e32 v6, v5, v50
	v_mul_f32_e32 v4, v48, v4
	v_sub_f32_e32 v6, v49, v6
	v_add_f32_e32 v6, v6, v4
	v_add_f32_e32 v12, v5, v6
	v_mul_f32_e32 v13, v12, v12
	v_fmamk_f32 v4, v13, 0x3e9b6dac, v75
	v_fmaak_f32 v107, v13, v4, 0x3f2aaada
	v_cvt_f32_i32_e32 v4, v17
	v_sub_f32_e32 v5, v12, v5
	v_sub_f32_e32 v5, v6, v5
	v_ldexp_f32 v14, v5, 1
	v_mul_f32_e32 v5, v12, v13
	v_ldexp_f32 v7, v12, 1
	v_pk_mul_f32 v[12:13], v[4:5], v[106:107]
	s_nop 0
	v_fma_f32 v6, v4, s44, -v12
	v_fmac_f32_e32 v6, 0xb102e308, v4
	v_pk_add_f32 v[4:5], v[12:13], v[6:7]
	s_nop 0
	v_sub_f32_e32 v7, v5, v7
	v_sub_f32_e32 v7, v13, v7
	v_add_f32_e32 v15, v14, v7
	v_mov_b32_e32 v14, v12
	v_pk_add_f32 v[12:13], v[4:5], v[12:13] neg_lo:[0,1] neg_hi:[0,1]
	v_pk_add_f32 v[48:49], v[4:5], v[14:15]
	v_mov_b32_e32 v7, v4
	v_mov_b32_e32 v13, v49
	v_pk_add_f32 v[50:51], v[6:7], v[12:13] neg_lo:[0,1] neg_hi:[0,1]
	v_pk_add_f32 v[6:7], v[6:7], v[12:13]
	v_mov_b32_e32 v14, v15
	v_mov_b32_e32 v12, v7
	v_pk_add_f32 v[52:53], v[12:13], v[4:5] neg_lo:[0,1] neg_hi:[0,1]
	v_mov_b32_e32 v6, v49
	v_mov_b32_e32 v13, v52
	v_pk_add_f32 v[54:55], v[48:49], v[12:13] neg_lo:[0,1] neg_hi:[0,1]
	v_mov_b32_e32 v48, v5
	v_mov_b32_e32 v49, v52
	;; [unrolled: 1-line block ×3, first 2 shown]
	v_pk_add_f32 v[6:7], v[6:7], v[48:49] neg_lo:[0,1] neg_hi:[0,1]
	v_mov_b32_e32 v15, v4
	v_pk_add_f32 v[4:5], v[14:15], v[6:7] neg_lo:[0,1] neg_hi:[0,1]
	v_mov_b32_e32 v54, v50
	v_pk_add_f32 v[6:7], v[54:55], v[4:5]
	s_nop 0
	v_mov_b32_e32 v14, v7
	v_pk_add_f32 v[14:15], v[6:7], v[14:15]
	s_nop 0
	v_pk_add_f32 v[12:13], v[12:13], v[14:15]
	v_mov_b32_e32 v5, v14
	v_mov_b32_e32 v7, v12
	v_pk_add_f32 v[48:49], v[6:7], v[50:51] neg_lo:[0,1] neg_hi:[0,1]
	s_nop 0
	v_sub_f32_e32 v6, v6, v48
	v_pk_add_f32 v[4:5], v[4:5], v[48:49] neg_lo:[0,1] neg_hi:[0,1]
	v_sub_f32_e32 v6, v50, v6
	v_add_f32_e32 v4, v4, v6
	v_add_f32_e32 v4, v4, v5
	;; [unrolled: 1-line block ×3, first 2 shown]
	v_cndmask_b32_e32 v164, v4, v16, vcc
.LBB153_43:                             ;   in Loop: Header=BB153_13 Depth=1
	s_or_b64 exec, exec, s[0:1]
	v_add_f32_e32 v165, s33, v23
	v_cmp_ge_f32_e32 vcc, s38, v165
	s_and_b64 s[2:3], s[92:93], vcc
	s_and_saveexec_b64 s[0:1], s[2:3]
	s_cbranch_execz .LBB153_45
; %bb.44:                               ;   in Loop: Header=BB153_13 Depth=1
	v_mul_f32_e32 v4, 0x3fb8aa3b, v165
	v_rndne_f32_e32 v5, v4
	v_sub_f32_e32 v6, v4, v5
	v_fma_f32 v4, v165, s39, -v4
	v_fmac_f32_e32 v4, 0x32a5705f, v165
	v_add_f32_e32 v4, v6, v4
	v_cvt_i32_f32_e32 v5, v5
	v_exp_f32_e32 v4, v4
	v_cmp_ngt_f32_e32 vcc, s40, v165
	v_ldexp_f32 v4, v4, v5
	s_nop 0
	v_cndmask_b32_e32 v4, 0, v4, vcc
	v_cmp_nlt_f32_e32 vcc, s41, v165
	s_nop 1
	v_cndmask_b32_e32 v16, v155, v4, vcc
	v_add_f32_e32 v6, 1.0, v16
	v_add_f32_e32 v4, -1.0, v6
	v_sub_f32_e32 v5, v4, v6
	v_add_f32_e32 v5, 1.0, v5
	v_sub_f32_e32 v4, v16, v4
	v_add_f32_e32 v7, v4, v5
	v_frexp_mant_f32_e32 v12, v6
	v_cvt_f64_f32_e32 v[4:5], v6
	v_frexp_exp_i32_f64_e32 v4, v[4:5]
	v_cmp_gt_f32_e32 vcc, s43, v12
	v_cmp_gt_f32_e64 s[2:3], s45, v16
	s_nop 0
	v_subbrev_co_u32_e32 v17, vcc, 0, v4, vcc
	v_sub_u32_e32 v4, 0, v17
	v_ldexp_f32 v5, v6, v4
	v_add_f32_e32 v6, -1.0, v5
	v_add_f32_e32 v12, 1.0, v5
	v_ldexp_f32 v4, v7, v4
	v_add_f32_e32 v7, 1.0, v6
	v_add_f32_e32 v13, -1.0, v12
	v_sub_f32_e32 v7, v5, v7
	v_sub_f32_e32 v5, v5, v13
	v_add_f32_e32 v7, v4, v7
	v_add_f32_e32 v4, v4, v5
	;; [unrolled: 1-line block ×3, first 2 shown]
	v_rcp_f32_e32 v48, v18
	v_sub_f32_e32 v5, v12, v18
	v_add_f32_e32 v19, v4, v5
	v_add_f32_e32 v5, v6, v7
	v_mul_f32_e32 v50, v5, v48
	v_sub_f32_e32 v4, v6, v5
	v_mul_f32_e32 v6, v18, v50
	v_fma_f32 v12, v50, v18, -v6
	v_fmac_f32_e32 v12, v50, v19
	v_add_f32_e32 v49, v7, v4
	v_add_f32_e32 v4, v6, v12
	v_sub_f32_e32 v7, v5, v4
	v_pk_add_f32 v[14:15], v[4:5], v[6:7] neg_lo:[0,1] neg_hi:[0,1]
	v_mov_b32_e32 v13, v4
	v_pk_add_f32 v[4:5], v[14:15], v[12:13] neg_lo:[0,1] neg_hi:[0,1]
	v_cmp_eq_f32_e32 vcc, s42, v16
	v_add_f32_e32 v5, v49, v5
	v_add_f32_e32 v4, v4, v5
	;; [unrolled: 1-line block ×3, first 2 shown]
	v_mul_f32_e32 v49, v48, v5
	v_mul_f32_e32 v6, v18, v49
	v_fma_f32 v12, v49, v18, -v6
	v_fmac_f32_e32 v12, v49, v19
	v_sub_f32_e32 v7, v7, v5
	v_add_f32_e32 v18, v4, v7
	v_add_f32_e32 v4, v6, v12
	v_sub_f32_e32 v7, v5, v4
	v_pk_add_f32 v[14:15], v[4:5], v[6:7] neg_lo:[0,1] neg_hi:[0,1]
	v_mov_b32_e32 v13, v4
	v_pk_add_f32 v[4:5], v[14:15], v[12:13] neg_lo:[0,1] neg_hi:[0,1]
	s_or_b64 vcc, s[2:3], vcc
	v_add_f32_e32 v5, v18, v5
	v_add_f32_e32 v4, v4, v5
	;; [unrolled: 1-line block ×4, first 2 shown]
	v_sub_f32_e32 v6, v5, v50
	v_mul_f32_e32 v4, v48, v4
	v_sub_f32_e32 v6, v49, v6
	v_add_f32_e32 v6, v6, v4
	v_add_f32_e32 v12, v5, v6
	v_mul_f32_e32 v13, v12, v12
	v_fmamk_f32 v4, v13, 0x3e9b6dac, v75
	v_fmaak_f32 v107, v13, v4, 0x3f2aaada
	v_cvt_f32_i32_e32 v4, v17
	v_sub_f32_e32 v5, v12, v5
	v_sub_f32_e32 v5, v6, v5
	v_ldexp_f32 v14, v5, 1
	v_mul_f32_e32 v5, v12, v13
	v_ldexp_f32 v7, v12, 1
	v_pk_mul_f32 v[12:13], v[4:5], v[106:107]
	s_nop 0
	v_fma_f32 v6, v4, s44, -v12
	v_fmac_f32_e32 v6, 0xb102e308, v4
	v_pk_add_f32 v[4:5], v[12:13], v[6:7]
	s_nop 0
	v_sub_f32_e32 v7, v5, v7
	v_sub_f32_e32 v7, v13, v7
	v_add_f32_e32 v15, v14, v7
	v_mov_b32_e32 v14, v12
	v_pk_add_f32 v[12:13], v[4:5], v[12:13] neg_lo:[0,1] neg_hi:[0,1]
	v_pk_add_f32 v[48:49], v[4:5], v[14:15]
	v_mov_b32_e32 v7, v4
	v_mov_b32_e32 v13, v49
	v_pk_add_f32 v[50:51], v[6:7], v[12:13] neg_lo:[0,1] neg_hi:[0,1]
	v_pk_add_f32 v[6:7], v[6:7], v[12:13]
	v_mov_b32_e32 v14, v15
	v_mov_b32_e32 v12, v7
	v_pk_add_f32 v[52:53], v[12:13], v[4:5] neg_lo:[0,1] neg_hi:[0,1]
	v_mov_b32_e32 v6, v49
	v_mov_b32_e32 v13, v52
	v_pk_add_f32 v[54:55], v[48:49], v[12:13] neg_lo:[0,1] neg_hi:[0,1]
	v_mov_b32_e32 v48, v5
	v_mov_b32_e32 v49, v52
	;; [unrolled: 1-line block ×3, first 2 shown]
	v_pk_add_f32 v[6:7], v[6:7], v[48:49] neg_lo:[0,1] neg_hi:[0,1]
	v_mov_b32_e32 v15, v4
	v_pk_add_f32 v[4:5], v[14:15], v[6:7] neg_lo:[0,1] neg_hi:[0,1]
	v_mov_b32_e32 v54, v50
	v_pk_add_f32 v[6:7], v[54:55], v[4:5]
	s_nop 0
	v_mov_b32_e32 v14, v7
	v_pk_add_f32 v[14:15], v[6:7], v[14:15]
	s_nop 0
	v_pk_add_f32 v[12:13], v[12:13], v[14:15]
	v_mov_b32_e32 v5, v14
	v_mov_b32_e32 v7, v12
	v_pk_add_f32 v[48:49], v[6:7], v[50:51] neg_lo:[0,1] neg_hi:[0,1]
	s_nop 0
	v_sub_f32_e32 v6, v6, v48
	v_pk_add_f32 v[4:5], v[4:5], v[48:49] neg_lo:[0,1] neg_hi:[0,1]
	v_sub_f32_e32 v6, v50, v6
	v_add_f32_e32 v4, v4, v6
	v_add_f32_e32 v4, v4, v5
	;; [unrolled: 1-line block ×3, first 2 shown]
	v_cndmask_b32_e32 v165, v4, v16, vcc
.LBB153_45:                             ;   in Loop: Header=BB153_13 Depth=1
	s_or_b64 exec, exec, s[0:1]
	s_waitcnt lgkmcnt(1)
	v_add_f32_e32 v166, s33, v82
	v_cmp_ge_f32_e32 vcc, s38, v166
	s_and_b64 s[2:3], s[92:93], vcc
	s_and_saveexec_b64 s[0:1], s[2:3]
	s_cbranch_execz .LBB153_47
; %bb.46:                               ;   in Loop: Header=BB153_13 Depth=1
	v_mul_f32_e32 v4, 0x3fb8aa3b, v166
	v_rndne_f32_e32 v5, v4
	v_sub_f32_e32 v6, v4, v5
	v_fma_f32 v4, v166, s39, -v4
	v_fmac_f32_e32 v4, 0x32a5705f, v166
	v_add_f32_e32 v4, v6, v4
	v_cvt_i32_f32_e32 v5, v5
	v_exp_f32_e32 v4, v4
	v_cmp_ngt_f32_e32 vcc, s40, v166
	v_ldexp_f32 v4, v4, v5
	s_nop 0
	v_cndmask_b32_e32 v4, 0, v4, vcc
	v_cmp_nlt_f32_e32 vcc, s41, v166
	s_nop 1
	v_cndmask_b32_e32 v16, v155, v4, vcc
	v_add_f32_e32 v6, 1.0, v16
	v_add_f32_e32 v4, -1.0, v6
	v_sub_f32_e32 v5, v4, v6
	v_add_f32_e32 v5, 1.0, v5
	v_sub_f32_e32 v4, v16, v4
	v_add_f32_e32 v7, v4, v5
	v_frexp_mant_f32_e32 v12, v6
	v_cvt_f64_f32_e32 v[4:5], v6
	v_frexp_exp_i32_f64_e32 v4, v[4:5]
	v_cmp_gt_f32_e32 vcc, s43, v12
	v_cmp_gt_f32_e64 s[2:3], s45, v16
	s_nop 0
	v_subbrev_co_u32_e32 v17, vcc, 0, v4, vcc
	v_sub_u32_e32 v4, 0, v17
	v_ldexp_f32 v5, v6, v4
	v_add_f32_e32 v6, -1.0, v5
	v_add_f32_e32 v12, 1.0, v5
	v_ldexp_f32 v4, v7, v4
	v_add_f32_e32 v7, 1.0, v6
	v_add_f32_e32 v13, -1.0, v12
	v_sub_f32_e32 v7, v5, v7
	v_sub_f32_e32 v5, v5, v13
	v_add_f32_e32 v7, v4, v7
	v_add_f32_e32 v4, v4, v5
	v_add_f32_e32 v18, v12, v4
	v_rcp_f32_e32 v48, v18
	v_sub_f32_e32 v5, v12, v18
	v_add_f32_e32 v19, v4, v5
	v_add_f32_e32 v5, v6, v7
	v_mul_f32_e32 v50, v5, v48
	v_sub_f32_e32 v4, v6, v5
	v_mul_f32_e32 v6, v18, v50
	v_fma_f32 v12, v50, v18, -v6
	v_fmac_f32_e32 v12, v50, v19
	v_add_f32_e32 v49, v7, v4
	v_add_f32_e32 v4, v6, v12
	v_sub_f32_e32 v7, v5, v4
	v_pk_add_f32 v[14:15], v[4:5], v[6:7] neg_lo:[0,1] neg_hi:[0,1]
	v_mov_b32_e32 v13, v4
	v_pk_add_f32 v[4:5], v[14:15], v[12:13] neg_lo:[0,1] neg_hi:[0,1]
	v_cmp_eq_f32_e32 vcc, s42, v16
	v_add_f32_e32 v5, v49, v5
	v_add_f32_e32 v4, v4, v5
	;; [unrolled: 1-line block ×3, first 2 shown]
	v_mul_f32_e32 v49, v48, v5
	v_mul_f32_e32 v6, v18, v49
	v_fma_f32 v12, v49, v18, -v6
	v_fmac_f32_e32 v12, v49, v19
	v_sub_f32_e32 v7, v7, v5
	v_add_f32_e32 v18, v4, v7
	v_add_f32_e32 v4, v6, v12
	v_sub_f32_e32 v7, v5, v4
	v_pk_add_f32 v[14:15], v[4:5], v[6:7] neg_lo:[0,1] neg_hi:[0,1]
	v_mov_b32_e32 v13, v4
	v_pk_add_f32 v[4:5], v[14:15], v[12:13] neg_lo:[0,1] neg_hi:[0,1]
	s_or_b64 vcc, s[2:3], vcc
	v_add_f32_e32 v5, v18, v5
	v_add_f32_e32 v4, v4, v5
	;; [unrolled: 1-line block ×4, first 2 shown]
	v_sub_f32_e32 v6, v5, v50
	v_mul_f32_e32 v4, v48, v4
	v_sub_f32_e32 v6, v49, v6
	v_add_f32_e32 v6, v6, v4
	v_add_f32_e32 v12, v5, v6
	v_mul_f32_e32 v13, v12, v12
	v_fmamk_f32 v4, v13, 0x3e9b6dac, v75
	v_fmaak_f32 v107, v13, v4, 0x3f2aaada
	v_cvt_f32_i32_e32 v4, v17
	v_sub_f32_e32 v5, v12, v5
	v_sub_f32_e32 v5, v6, v5
	v_ldexp_f32 v14, v5, 1
	v_mul_f32_e32 v5, v12, v13
	v_ldexp_f32 v7, v12, 1
	v_pk_mul_f32 v[12:13], v[4:5], v[106:107]
	s_nop 0
	v_fma_f32 v6, v4, s44, -v12
	v_fmac_f32_e32 v6, 0xb102e308, v4
	v_pk_add_f32 v[4:5], v[12:13], v[6:7]
	s_nop 0
	v_sub_f32_e32 v7, v5, v7
	v_sub_f32_e32 v7, v13, v7
	v_add_f32_e32 v15, v14, v7
	v_mov_b32_e32 v14, v12
	v_pk_add_f32 v[12:13], v[4:5], v[12:13] neg_lo:[0,1] neg_hi:[0,1]
	v_pk_add_f32 v[48:49], v[4:5], v[14:15]
	v_mov_b32_e32 v7, v4
	v_mov_b32_e32 v13, v49
	v_pk_add_f32 v[50:51], v[6:7], v[12:13] neg_lo:[0,1] neg_hi:[0,1]
	v_pk_add_f32 v[6:7], v[6:7], v[12:13]
	v_mov_b32_e32 v14, v15
	v_mov_b32_e32 v12, v7
	v_pk_add_f32 v[52:53], v[12:13], v[4:5] neg_lo:[0,1] neg_hi:[0,1]
	v_mov_b32_e32 v6, v49
	v_mov_b32_e32 v13, v52
	v_pk_add_f32 v[54:55], v[48:49], v[12:13] neg_lo:[0,1] neg_hi:[0,1]
	v_mov_b32_e32 v48, v5
	v_mov_b32_e32 v49, v52
	;; [unrolled: 1-line block ×3, first 2 shown]
	v_pk_add_f32 v[6:7], v[6:7], v[48:49] neg_lo:[0,1] neg_hi:[0,1]
	v_mov_b32_e32 v15, v4
	v_pk_add_f32 v[4:5], v[14:15], v[6:7] neg_lo:[0,1] neg_hi:[0,1]
	v_mov_b32_e32 v54, v50
	v_pk_add_f32 v[6:7], v[54:55], v[4:5]
	s_nop 0
	v_mov_b32_e32 v14, v7
	v_pk_add_f32 v[14:15], v[6:7], v[14:15]
	s_nop 0
	v_pk_add_f32 v[12:13], v[12:13], v[14:15]
	v_mov_b32_e32 v5, v14
	v_mov_b32_e32 v7, v12
	v_pk_add_f32 v[48:49], v[6:7], v[50:51] neg_lo:[0,1] neg_hi:[0,1]
	s_nop 0
	v_sub_f32_e32 v6, v6, v48
	v_pk_add_f32 v[4:5], v[4:5], v[48:49] neg_lo:[0,1] neg_hi:[0,1]
	v_sub_f32_e32 v6, v50, v6
	v_add_f32_e32 v4, v4, v6
	v_add_f32_e32 v4, v4, v5
	;; [unrolled: 1-line block ×3, first 2 shown]
	v_cndmask_b32_e32 v166, v4, v16, vcc
.LBB153_47:                             ;   in Loop: Header=BB153_13 Depth=1
	s_or_b64 exec, exec, s[0:1]
	v_add_f32_e32 v139, s33, v83
	v_cmp_ge_f32_e32 vcc, s38, v139
	s_and_b64 s[2:3], s[92:93], vcc
	s_and_saveexec_b64 s[0:1], s[2:3]
	s_cbranch_execz .LBB153_49
; %bb.48:                               ;   in Loop: Header=BB153_13 Depth=1
	v_mul_f32_e32 v4, 0x3fb8aa3b, v139
	v_rndne_f32_e32 v5, v4
	v_sub_f32_e32 v6, v4, v5
	v_fma_f32 v4, v139, s39, -v4
	v_fmac_f32_e32 v4, 0x32a5705f, v139
	v_add_f32_e32 v4, v6, v4
	v_cvt_i32_f32_e32 v5, v5
	v_exp_f32_e32 v4, v4
	v_cmp_ngt_f32_e32 vcc, s40, v139
	v_ldexp_f32 v4, v4, v5
	s_nop 0
	v_cndmask_b32_e32 v4, 0, v4, vcc
	v_cmp_nlt_f32_e32 vcc, s41, v139
	s_nop 1
	v_cndmask_b32_e32 v16, v155, v4, vcc
	v_add_f32_e32 v6, 1.0, v16
	v_add_f32_e32 v4, -1.0, v6
	v_sub_f32_e32 v5, v4, v6
	v_add_f32_e32 v5, 1.0, v5
	v_sub_f32_e32 v4, v16, v4
	v_add_f32_e32 v7, v4, v5
	v_frexp_mant_f32_e32 v12, v6
	v_cvt_f64_f32_e32 v[4:5], v6
	v_frexp_exp_i32_f64_e32 v4, v[4:5]
	v_cmp_gt_f32_e32 vcc, s43, v12
	v_cmp_gt_f32_e64 s[2:3], s45, v16
	s_nop 0
	v_subbrev_co_u32_e32 v17, vcc, 0, v4, vcc
	v_sub_u32_e32 v4, 0, v17
	v_ldexp_f32 v5, v6, v4
	v_add_f32_e32 v6, -1.0, v5
	v_add_f32_e32 v12, 1.0, v5
	v_ldexp_f32 v4, v7, v4
	v_add_f32_e32 v7, 1.0, v6
	v_add_f32_e32 v13, -1.0, v12
	v_sub_f32_e32 v7, v5, v7
	v_sub_f32_e32 v5, v5, v13
	v_add_f32_e32 v7, v4, v7
	v_add_f32_e32 v4, v4, v5
	v_add_f32_e32 v18, v12, v4
	v_rcp_f32_e32 v48, v18
	v_sub_f32_e32 v5, v12, v18
	v_add_f32_e32 v19, v4, v5
	v_add_f32_e32 v5, v6, v7
	v_mul_f32_e32 v50, v5, v48
	v_sub_f32_e32 v4, v6, v5
	v_mul_f32_e32 v6, v18, v50
	v_fma_f32 v12, v50, v18, -v6
	v_fmac_f32_e32 v12, v50, v19
	v_add_f32_e32 v49, v7, v4
	v_add_f32_e32 v4, v6, v12
	v_sub_f32_e32 v7, v5, v4
	v_pk_add_f32 v[14:15], v[4:5], v[6:7] neg_lo:[0,1] neg_hi:[0,1]
	v_mov_b32_e32 v13, v4
	v_pk_add_f32 v[4:5], v[14:15], v[12:13] neg_lo:[0,1] neg_hi:[0,1]
	v_cmp_eq_f32_e32 vcc, s42, v16
	v_add_f32_e32 v5, v49, v5
	v_add_f32_e32 v4, v4, v5
	;; [unrolled: 1-line block ×3, first 2 shown]
	v_mul_f32_e32 v49, v48, v5
	v_mul_f32_e32 v6, v18, v49
	v_fma_f32 v12, v49, v18, -v6
	v_fmac_f32_e32 v12, v49, v19
	v_sub_f32_e32 v7, v7, v5
	v_add_f32_e32 v18, v4, v7
	v_add_f32_e32 v4, v6, v12
	v_sub_f32_e32 v7, v5, v4
	v_pk_add_f32 v[14:15], v[4:5], v[6:7] neg_lo:[0,1] neg_hi:[0,1]
	v_mov_b32_e32 v13, v4
	v_pk_add_f32 v[4:5], v[14:15], v[12:13] neg_lo:[0,1] neg_hi:[0,1]
	s_or_b64 vcc, s[2:3], vcc
	v_add_f32_e32 v5, v18, v5
	v_add_f32_e32 v4, v4, v5
	;; [unrolled: 1-line block ×4, first 2 shown]
	v_sub_f32_e32 v6, v5, v50
	v_mul_f32_e32 v4, v48, v4
	v_sub_f32_e32 v6, v49, v6
	v_add_f32_e32 v6, v6, v4
	v_add_f32_e32 v12, v5, v6
	v_mul_f32_e32 v13, v12, v12
	v_fmamk_f32 v4, v13, 0x3e9b6dac, v75
	v_fmaak_f32 v107, v13, v4, 0x3f2aaada
	v_cvt_f32_i32_e32 v4, v17
	v_sub_f32_e32 v5, v12, v5
	v_sub_f32_e32 v5, v6, v5
	v_ldexp_f32 v14, v5, 1
	v_mul_f32_e32 v5, v12, v13
	v_ldexp_f32 v7, v12, 1
	v_pk_mul_f32 v[12:13], v[4:5], v[106:107]
	s_nop 0
	v_fma_f32 v6, v4, s44, -v12
	v_fmac_f32_e32 v6, 0xb102e308, v4
	v_pk_add_f32 v[4:5], v[12:13], v[6:7]
	s_nop 0
	v_sub_f32_e32 v7, v5, v7
	v_sub_f32_e32 v7, v13, v7
	v_add_f32_e32 v15, v14, v7
	v_mov_b32_e32 v14, v12
	v_pk_add_f32 v[12:13], v[4:5], v[12:13] neg_lo:[0,1] neg_hi:[0,1]
	v_pk_add_f32 v[48:49], v[4:5], v[14:15]
	v_mov_b32_e32 v7, v4
	v_mov_b32_e32 v13, v49
	v_pk_add_f32 v[50:51], v[6:7], v[12:13] neg_lo:[0,1] neg_hi:[0,1]
	v_pk_add_f32 v[6:7], v[6:7], v[12:13]
	v_mov_b32_e32 v14, v15
	v_mov_b32_e32 v12, v7
	v_pk_add_f32 v[52:53], v[12:13], v[4:5] neg_lo:[0,1] neg_hi:[0,1]
	v_mov_b32_e32 v6, v49
	v_mov_b32_e32 v13, v52
	v_pk_add_f32 v[54:55], v[48:49], v[12:13] neg_lo:[0,1] neg_hi:[0,1]
	v_mov_b32_e32 v48, v5
	v_mov_b32_e32 v49, v52
	;; [unrolled: 1-line block ×3, first 2 shown]
	v_pk_add_f32 v[6:7], v[6:7], v[48:49] neg_lo:[0,1] neg_hi:[0,1]
	v_mov_b32_e32 v15, v4
	v_pk_add_f32 v[4:5], v[14:15], v[6:7] neg_lo:[0,1] neg_hi:[0,1]
	v_mov_b32_e32 v54, v50
	v_pk_add_f32 v[6:7], v[54:55], v[4:5]
	s_nop 0
	v_mov_b32_e32 v14, v7
	v_pk_add_f32 v[14:15], v[6:7], v[14:15]
	s_nop 0
	v_pk_add_f32 v[12:13], v[12:13], v[14:15]
	v_mov_b32_e32 v5, v14
	v_mov_b32_e32 v7, v12
	v_pk_add_f32 v[48:49], v[6:7], v[50:51] neg_lo:[0,1] neg_hi:[0,1]
	s_nop 0
	v_sub_f32_e32 v6, v6, v48
	v_pk_add_f32 v[4:5], v[4:5], v[48:49] neg_lo:[0,1] neg_hi:[0,1]
	v_sub_f32_e32 v6, v50, v6
	v_add_f32_e32 v4, v4, v6
	v_add_f32_e32 v4, v4, v5
	;; [unrolled: 1-line block ×3, first 2 shown]
	v_cndmask_b32_e32 v139, v4, v16, vcc
.LBB153_49:                             ;   in Loop: Header=BB153_13 Depth=1
	s_or_b64 exec, exec, s[0:1]
	v_add_f32_e32 v140, s33, v84
	v_cmp_ge_f32_e32 vcc, s38, v140
	s_and_b64 s[2:3], s[92:93], vcc
	s_and_saveexec_b64 s[0:1], s[2:3]
	s_cbranch_execz .LBB153_51
; %bb.50:                               ;   in Loop: Header=BB153_13 Depth=1
	v_mul_f32_e32 v4, 0x3fb8aa3b, v140
	v_rndne_f32_e32 v5, v4
	v_sub_f32_e32 v6, v4, v5
	v_fma_f32 v4, v140, s39, -v4
	v_fmac_f32_e32 v4, 0x32a5705f, v140
	v_add_f32_e32 v4, v6, v4
	v_cvt_i32_f32_e32 v5, v5
	v_exp_f32_e32 v4, v4
	v_cmp_ngt_f32_e32 vcc, s40, v140
	v_ldexp_f32 v4, v4, v5
	s_nop 0
	v_cndmask_b32_e32 v4, 0, v4, vcc
	v_cmp_nlt_f32_e32 vcc, s41, v140
	s_nop 1
	v_cndmask_b32_e32 v16, v155, v4, vcc
	v_add_f32_e32 v6, 1.0, v16
	v_add_f32_e32 v4, -1.0, v6
	v_sub_f32_e32 v5, v4, v6
	v_add_f32_e32 v5, 1.0, v5
	v_sub_f32_e32 v4, v16, v4
	v_add_f32_e32 v7, v4, v5
	v_frexp_mant_f32_e32 v12, v6
	v_cvt_f64_f32_e32 v[4:5], v6
	v_frexp_exp_i32_f64_e32 v4, v[4:5]
	v_cmp_gt_f32_e32 vcc, s43, v12
	v_cmp_gt_f32_e64 s[2:3], s45, v16
	s_nop 0
	v_subbrev_co_u32_e32 v17, vcc, 0, v4, vcc
	v_sub_u32_e32 v4, 0, v17
	v_ldexp_f32 v5, v6, v4
	v_add_f32_e32 v6, -1.0, v5
	v_add_f32_e32 v12, 1.0, v5
	v_ldexp_f32 v4, v7, v4
	v_add_f32_e32 v7, 1.0, v6
	v_add_f32_e32 v13, -1.0, v12
	v_sub_f32_e32 v7, v5, v7
	v_sub_f32_e32 v5, v5, v13
	v_add_f32_e32 v7, v4, v7
	v_add_f32_e32 v4, v4, v5
	v_add_f32_e32 v18, v12, v4
	v_rcp_f32_e32 v48, v18
	v_sub_f32_e32 v5, v12, v18
	v_add_f32_e32 v19, v4, v5
	v_add_f32_e32 v5, v6, v7
	v_mul_f32_e32 v50, v5, v48
	v_sub_f32_e32 v4, v6, v5
	v_mul_f32_e32 v6, v18, v50
	v_fma_f32 v12, v50, v18, -v6
	v_fmac_f32_e32 v12, v50, v19
	v_add_f32_e32 v49, v7, v4
	v_add_f32_e32 v4, v6, v12
	v_sub_f32_e32 v7, v5, v4
	v_pk_add_f32 v[14:15], v[4:5], v[6:7] neg_lo:[0,1] neg_hi:[0,1]
	v_mov_b32_e32 v13, v4
	v_pk_add_f32 v[4:5], v[14:15], v[12:13] neg_lo:[0,1] neg_hi:[0,1]
	v_cmp_eq_f32_e32 vcc, s42, v16
	v_add_f32_e32 v5, v49, v5
	v_add_f32_e32 v4, v4, v5
	;; [unrolled: 1-line block ×3, first 2 shown]
	v_mul_f32_e32 v49, v48, v5
	v_mul_f32_e32 v6, v18, v49
	v_fma_f32 v12, v49, v18, -v6
	v_fmac_f32_e32 v12, v49, v19
	v_sub_f32_e32 v7, v7, v5
	v_add_f32_e32 v18, v4, v7
	v_add_f32_e32 v4, v6, v12
	v_sub_f32_e32 v7, v5, v4
	v_pk_add_f32 v[14:15], v[4:5], v[6:7] neg_lo:[0,1] neg_hi:[0,1]
	v_mov_b32_e32 v13, v4
	v_pk_add_f32 v[4:5], v[14:15], v[12:13] neg_lo:[0,1] neg_hi:[0,1]
	s_or_b64 vcc, s[2:3], vcc
	v_add_f32_e32 v5, v18, v5
	v_add_f32_e32 v4, v4, v5
	;; [unrolled: 1-line block ×4, first 2 shown]
	v_sub_f32_e32 v6, v5, v50
	v_mul_f32_e32 v4, v48, v4
	v_sub_f32_e32 v6, v49, v6
	v_add_f32_e32 v6, v6, v4
	v_add_f32_e32 v12, v5, v6
	v_mul_f32_e32 v13, v12, v12
	v_fmamk_f32 v4, v13, 0x3e9b6dac, v75
	v_fmaak_f32 v107, v13, v4, 0x3f2aaada
	v_cvt_f32_i32_e32 v4, v17
	v_sub_f32_e32 v5, v12, v5
	v_sub_f32_e32 v5, v6, v5
	v_ldexp_f32 v14, v5, 1
	v_mul_f32_e32 v5, v12, v13
	v_ldexp_f32 v7, v12, 1
	v_pk_mul_f32 v[12:13], v[4:5], v[106:107]
	s_nop 0
	v_fma_f32 v6, v4, s44, -v12
	v_fmac_f32_e32 v6, 0xb102e308, v4
	v_pk_add_f32 v[4:5], v[12:13], v[6:7]
	s_nop 0
	v_sub_f32_e32 v7, v5, v7
	v_sub_f32_e32 v7, v13, v7
	v_add_f32_e32 v15, v14, v7
	v_mov_b32_e32 v14, v12
	v_pk_add_f32 v[12:13], v[4:5], v[12:13] neg_lo:[0,1] neg_hi:[0,1]
	v_pk_add_f32 v[48:49], v[4:5], v[14:15]
	v_mov_b32_e32 v7, v4
	v_mov_b32_e32 v13, v49
	v_pk_add_f32 v[50:51], v[6:7], v[12:13] neg_lo:[0,1] neg_hi:[0,1]
	v_pk_add_f32 v[6:7], v[6:7], v[12:13]
	v_mov_b32_e32 v14, v15
	v_mov_b32_e32 v12, v7
	v_pk_add_f32 v[52:53], v[12:13], v[4:5] neg_lo:[0,1] neg_hi:[0,1]
	v_mov_b32_e32 v6, v49
	v_mov_b32_e32 v13, v52
	v_pk_add_f32 v[54:55], v[48:49], v[12:13] neg_lo:[0,1] neg_hi:[0,1]
	v_mov_b32_e32 v48, v5
	v_mov_b32_e32 v49, v52
	;; [unrolled: 1-line block ×3, first 2 shown]
	v_pk_add_f32 v[6:7], v[6:7], v[48:49] neg_lo:[0,1] neg_hi:[0,1]
	v_mov_b32_e32 v15, v4
	v_pk_add_f32 v[4:5], v[14:15], v[6:7] neg_lo:[0,1] neg_hi:[0,1]
	v_mov_b32_e32 v54, v50
	v_pk_add_f32 v[6:7], v[54:55], v[4:5]
	s_nop 0
	v_mov_b32_e32 v14, v7
	v_pk_add_f32 v[14:15], v[6:7], v[14:15]
	s_nop 0
	v_pk_add_f32 v[12:13], v[12:13], v[14:15]
	v_mov_b32_e32 v5, v14
	v_mov_b32_e32 v7, v12
	v_pk_add_f32 v[48:49], v[6:7], v[50:51] neg_lo:[0,1] neg_hi:[0,1]
	s_nop 0
	v_sub_f32_e32 v6, v6, v48
	v_pk_add_f32 v[4:5], v[4:5], v[48:49] neg_lo:[0,1] neg_hi:[0,1]
	v_sub_f32_e32 v6, v50, v6
	v_add_f32_e32 v4, v4, v6
	v_add_f32_e32 v4, v4, v5
	;; [unrolled: 1-line block ×3, first 2 shown]
	v_cndmask_b32_e32 v140, v4, v16, vcc
.LBB153_51:                             ;   in Loop: Header=BB153_13 Depth=1
	s_or_b64 exec, exec, s[0:1]
	v_add_f32_e32 v141, s33, v85
	v_cmp_ge_f32_e32 vcc, s38, v141
	s_and_b64 s[2:3], s[92:93], vcc
	s_and_saveexec_b64 s[0:1], s[2:3]
	s_cbranch_execz .LBB153_53
; %bb.52:                               ;   in Loop: Header=BB153_13 Depth=1
	v_mul_f32_e32 v4, 0x3fb8aa3b, v141
	v_rndne_f32_e32 v5, v4
	v_sub_f32_e32 v6, v4, v5
	v_fma_f32 v4, v141, s39, -v4
	v_fmac_f32_e32 v4, 0x32a5705f, v141
	v_add_f32_e32 v4, v6, v4
	v_cvt_i32_f32_e32 v5, v5
	v_exp_f32_e32 v4, v4
	v_cmp_ngt_f32_e32 vcc, s40, v141
	v_ldexp_f32 v4, v4, v5
	s_nop 0
	v_cndmask_b32_e32 v4, 0, v4, vcc
	v_cmp_nlt_f32_e32 vcc, s41, v141
	s_nop 1
	v_cndmask_b32_e32 v16, v155, v4, vcc
	v_add_f32_e32 v6, 1.0, v16
	v_add_f32_e32 v4, -1.0, v6
	v_sub_f32_e32 v5, v4, v6
	v_add_f32_e32 v5, 1.0, v5
	v_sub_f32_e32 v4, v16, v4
	v_add_f32_e32 v7, v4, v5
	v_frexp_mant_f32_e32 v12, v6
	v_cvt_f64_f32_e32 v[4:5], v6
	v_frexp_exp_i32_f64_e32 v4, v[4:5]
	v_cmp_gt_f32_e32 vcc, s43, v12
	v_cmp_gt_f32_e64 s[2:3], s45, v16
	s_nop 0
	v_subbrev_co_u32_e32 v17, vcc, 0, v4, vcc
	v_sub_u32_e32 v4, 0, v17
	v_ldexp_f32 v5, v6, v4
	v_add_f32_e32 v6, -1.0, v5
	v_add_f32_e32 v12, 1.0, v5
	v_ldexp_f32 v4, v7, v4
	v_add_f32_e32 v7, 1.0, v6
	v_add_f32_e32 v13, -1.0, v12
	v_sub_f32_e32 v7, v5, v7
	v_sub_f32_e32 v5, v5, v13
	v_add_f32_e32 v7, v4, v7
	v_add_f32_e32 v4, v4, v5
	;; [unrolled: 1-line block ×3, first 2 shown]
	v_rcp_f32_e32 v48, v18
	v_sub_f32_e32 v5, v12, v18
	v_add_f32_e32 v19, v4, v5
	v_add_f32_e32 v5, v6, v7
	v_mul_f32_e32 v50, v5, v48
	v_sub_f32_e32 v4, v6, v5
	v_mul_f32_e32 v6, v18, v50
	v_fma_f32 v12, v50, v18, -v6
	v_fmac_f32_e32 v12, v50, v19
	v_add_f32_e32 v49, v7, v4
	v_add_f32_e32 v4, v6, v12
	v_sub_f32_e32 v7, v5, v4
	v_pk_add_f32 v[14:15], v[4:5], v[6:7] neg_lo:[0,1] neg_hi:[0,1]
	v_mov_b32_e32 v13, v4
	v_pk_add_f32 v[4:5], v[14:15], v[12:13] neg_lo:[0,1] neg_hi:[0,1]
	v_cmp_eq_f32_e32 vcc, s42, v16
	v_add_f32_e32 v5, v49, v5
	v_add_f32_e32 v4, v4, v5
	;; [unrolled: 1-line block ×3, first 2 shown]
	v_mul_f32_e32 v49, v48, v5
	v_mul_f32_e32 v6, v18, v49
	v_fma_f32 v12, v49, v18, -v6
	v_fmac_f32_e32 v12, v49, v19
	v_sub_f32_e32 v7, v7, v5
	v_add_f32_e32 v18, v4, v7
	v_add_f32_e32 v4, v6, v12
	v_sub_f32_e32 v7, v5, v4
	v_pk_add_f32 v[14:15], v[4:5], v[6:7] neg_lo:[0,1] neg_hi:[0,1]
	v_mov_b32_e32 v13, v4
	v_pk_add_f32 v[4:5], v[14:15], v[12:13] neg_lo:[0,1] neg_hi:[0,1]
	s_or_b64 vcc, s[2:3], vcc
	v_add_f32_e32 v5, v18, v5
	v_add_f32_e32 v4, v4, v5
	;; [unrolled: 1-line block ×4, first 2 shown]
	v_sub_f32_e32 v6, v5, v50
	v_mul_f32_e32 v4, v48, v4
	v_sub_f32_e32 v6, v49, v6
	v_add_f32_e32 v6, v6, v4
	v_add_f32_e32 v12, v5, v6
	v_mul_f32_e32 v13, v12, v12
	v_fmamk_f32 v4, v13, 0x3e9b6dac, v75
	v_fmaak_f32 v107, v13, v4, 0x3f2aaada
	v_cvt_f32_i32_e32 v4, v17
	v_sub_f32_e32 v5, v12, v5
	v_sub_f32_e32 v5, v6, v5
	v_ldexp_f32 v14, v5, 1
	v_mul_f32_e32 v5, v12, v13
	v_ldexp_f32 v7, v12, 1
	v_pk_mul_f32 v[12:13], v[4:5], v[106:107]
	s_nop 0
	v_fma_f32 v6, v4, s44, -v12
	v_fmac_f32_e32 v6, 0xb102e308, v4
	v_pk_add_f32 v[4:5], v[12:13], v[6:7]
	s_nop 0
	v_sub_f32_e32 v7, v5, v7
	v_sub_f32_e32 v7, v13, v7
	v_add_f32_e32 v15, v14, v7
	v_mov_b32_e32 v14, v12
	v_pk_add_f32 v[12:13], v[4:5], v[12:13] neg_lo:[0,1] neg_hi:[0,1]
	v_pk_add_f32 v[48:49], v[4:5], v[14:15]
	v_mov_b32_e32 v7, v4
	v_mov_b32_e32 v13, v49
	v_pk_add_f32 v[50:51], v[6:7], v[12:13] neg_lo:[0,1] neg_hi:[0,1]
	v_pk_add_f32 v[6:7], v[6:7], v[12:13]
	v_mov_b32_e32 v14, v15
	v_mov_b32_e32 v12, v7
	v_pk_add_f32 v[52:53], v[12:13], v[4:5] neg_lo:[0,1] neg_hi:[0,1]
	v_mov_b32_e32 v6, v49
	v_mov_b32_e32 v13, v52
	v_pk_add_f32 v[54:55], v[48:49], v[12:13] neg_lo:[0,1] neg_hi:[0,1]
	v_mov_b32_e32 v48, v5
	v_mov_b32_e32 v49, v52
	;; [unrolled: 1-line block ×3, first 2 shown]
	v_pk_add_f32 v[6:7], v[6:7], v[48:49] neg_lo:[0,1] neg_hi:[0,1]
	v_mov_b32_e32 v15, v4
	v_pk_add_f32 v[4:5], v[14:15], v[6:7] neg_lo:[0,1] neg_hi:[0,1]
	v_mov_b32_e32 v54, v50
	v_pk_add_f32 v[6:7], v[54:55], v[4:5]
	s_nop 0
	v_mov_b32_e32 v14, v7
	v_pk_add_f32 v[14:15], v[6:7], v[14:15]
	s_nop 0
	v_pk_add_f32 v[12:13], v[12:13], v[14:15]
	v_mov_b32_e32 v5, v14
	v_mov_b32_e32 v7, v12
	v_pk_add_f32 v[48:49], v[6:7], v[50:51] neg_lo:[0,1] neg_hi:[0,1]
	s_nop 0
	v_sub_f32_e32 v6, v6, v48
	v_pk_add_f32 v[4:5], v[4:5], v[48:49] neg_lo:[0,1] neg_hi:[0,1]
	v_sub_f32_e32 v6, v50, v6
	v_add_f32_e32 v4, v4, v6
	v_add_f32_e32 v4, v4, v5
	;; [unrolled: 1-line block ×3, first 2 shown]
	v_cndmask_b32_e32 v141, v4, v16, vcc
.LBB153_53:                             ;   in Loop: Header=BB153_13 Depth=1
	s_or_b64 exec, exec, s[0:1]
	s_waitcnt lgkmcnt(0)
	v_add_f32_e32 v142, s33, v78
	v_cmp_ge_f32_e32 vcc, s38, v142
	s_and_b64 s[2:3], s[92:93], vcc
	s_and_saveexec_b64 s[0:1], s[2:3]
	s_cbranch_execz .LBB153_55
; %bb.54:                               ;   in Loop: Header=BB153_13 Depth=1
	v_mul_f32_e32 v4, 0x3fb8aa3b, v142
	v_rndne_f32_e32 v5, v4
	v_sub_f32_e32 v6, v4, v5
	v_fma_f32 v4, v142, s39, -v4
	v_fmac_f32_e32 v4, 0x32a5705f, v142
	v_add_f32_e32 v4, v6, v4
	v_cvt_i32_f32_e32 v5, v5
	v_exp_f32_e32 v4, v4
	v_cmp_ngt_f32_e32 vcc, s40, v142
	v_ldexp_f32 v4, v4, v5
	s_nop 0
	v_cndmask_b32_e32 v4, 0, v4, vcc
	v_cmp_nlt_f32_e32 vcc, s41, v142
	s_nop 1
	v_cndmask_b32_e32 v16, v155, v4, vcc
	v_add_f32_e32 v6, 1.0, v16
	v_add_f32_e32 v4, -1.0, v6
	v_sub_f32_e32 v5, v4, v6
	v_add_f32_e32 v5, 1.0, v5
	v_sub_f32_e32 v4, v16, v4
	v_add_f32_e32 v7, v4, v5
	v_frexp_mant_f32_e32 v12, v6
	v_cvt_f64_f32_e32 v[4:5], v6
	v_frexp_exp_i32_f64_e32 v4, v[4:5]
	v_cmp_gt_f32_e32 vcc, s43, v12
	v_cmp_gt_f32_e64 s[2:3], s45, v16
	s_nop 0
	v_subbrev_co_u32_e32 v17, vcc, 0, v4, vcc
	v_sub_u32_e32 v4, 0, v17
	v_ldexp_f32 v5, v6, v4
	v_add_f32_e32 v6, -1.0, v5
	v_add_f32_e32 v12, 1.0, v5
	v_ldexp_f32 v4, v7, v4
	v_add_f32_e32 v7, 1.0, v6
	v_add_f32_e32 v13, -1.0, v12
	v_sub_f32_e32 v7, v5, v7
	v_sub_f32_e32 v5, v5, v13
	v_add_f32_e32 v7, v4, v7
	v_add_f32_e32 v4, v4, v5
	;; [unrolled: 1-line block ×3, first 2 shown]
	v_rcp_f32_e32 v48, v18
	v_sub_f32_e32 v5, v12, v18
	v_add_f32_e32 v19, v4, v5
	v_add_f32_e32 v5, v6, v7
	v_mul_f32_e32 v50, v5, v48
	v_sub_f32_e32 v4, v6, v5
	v_mul_f32_e32 v6, v18, v50
	v_fma_f32 v12, v50, v18, -v6
	v_fmac_f32_e32 v12, v50, v19
	v_add_f32_e32 v49, v7, v4
	v_add_f32_e32 v4, v6, v12
	v_sub_f32_e32 v7, v5, v4
	v_pk_add_f32 v[14:15], v[4:5], v[6:7] neg_lo:[0,1] neg_hi:[0,1]
	v_mov_b32_e32 v13, v4
	v_pk_add_f32 v[4:5], v[14:15], v[12:13] neg_lo:[0,1] neg_hi:[0,1]
	v_cmp_eq_f32_e32 vcc, s42, v16
	v_add_f32_e32 v5, v49, v5
	v_add_f32_e32 v4, v4, v5
	v_add_f32_e32 v5, v7, v4
	v_mul_f32_e32 v49, v48, v5
	v_mul_f32_e32 v6, v18, v49
	v_fma_f32 v12, v49, v18, -v6
	v_fmac_f32_e32 v12, v49, v19
	v_sub_f32_e32 v7, v7, v5
	v_add_f32_e32 v18, v4, v7
	v_add_f32_e32 v4, v6, v12
	v_sub_f32_e32 v7, v5, v4
	v_pk_add_f32 v[14:15], v[4:5], v[6:7] neg_lo:[0,1] neg_hi:[0,1]
	v_mov_b32_e32 v13, v4
	v_pk_add_f32 v[4:5], v[14:15], v[12:13] neg_lo:[0,1] neg_hi:[0,1]
	s_or_b64 vcc, s[2:3], vcc
	v_add_f32_e32 v5, v18, v5
	v_add_f32_e32 v4, v4, v5
	;; [unrolled: 1-line block ×4, first 2 shown]
	v_sub_f32_e32 v6, v5, v50
	v_mul_f32_e32 v4, v48, v4
	v_sub_f32_e32 v6, v49, v6
	v_add_f32_e32 v6, v6, v4
	v_add_f32_e32 v12, v5, v6
	v_mul_f32_e32 v13, v12, v12
	v_fmamk_f32 v4, v13, 0x3e9b6dac, v75
	v_fmaak_f32 v107, v13, v4, 0x3f2aaada
	v_cvt_f32_i32_e32 v4, v17
	v_sub_f32_e32 v5, v12, v5
	v_sub_f32_e32 v5, v6, v5
	v_ldexp_f32 v14, v5, 1
	v_mul_f32_e32 v5, v12, v13
	v_ldexp_f32 v7, v12, 1
	v_pk_mul_f32 v[12:13], v[4:5], v[106:107]
	s_nop 0
	v_fma_f32 v6, v4, s44, -v12
	v_fmac_f32_e32 v6, 0xb102e308, v4
	v_pk_add_f32 v[4:5], v[12:13], v[6:7]
	s_nop 0
	v_sub_f32_e32 v7, v5, v7
	v_sub_f32_e32 v7, v13, v7
	v_add_f32_e32 v15, v14, v7
	v_mov_b32_e32 v14, v12
	v_pk_add_f32 v[12:13], v[4:5], v[12:13] neg_lo:[0,1] neg_hi:[0,1]
	v_pk_add_f32 v[48:49], v[4:5], v[14:15]
	v_mov_b32_e32 v7, v4
	v_mov_b32_e32 v13, v49
	v_pk_add_f32 v[50:51], v[6:7], v[12:13] neg_lo:[0,1] neg_hi:[0,1]
	v_pk_add_f32 v[6:7], v[6:7], v[12:13]
	v_mov_b32_e32 v14, v15
	v_mov_b32_e32 v12, v7
	v_pk_add_f32 v[52:53], v[12:13], v[4:5] neg_lo:[0,1] neg_hi:[0,1]
	v_mov_b32_e32 v6, v49
	v_mov_b32_e32 v13, v52
	v_pk_add_f32 v[54:55], v[48:49], v[12:13] neg_lo:[0,1] neg_hi:[0,1]
	v_mov_b32_e32 v48, v5
	v_mov_b32_e32 v49, v52
	;; [unrolled: 1-line block ×3, first 2 shown]
	v_pk_add_f32 v[6:7], v[6:7], v[48:49] neg_lo:[0,1] neg_hi:[0,1]
	v_mov_b32_e32 v15, v4
	v_pk_add_f32 v[4:5], v[14:15], v[6:7] neg_lo:[0,1] neg_hi:[0,1]
	v_mov_b32_e32 v54, v50
	v_pk_add_f32 v[6:7], v[54:55], v[4:5]
	s_nop 0
	v_mov_b32_e32 v14, v7
	v_pk_add_f32 v[14:15], v[6:7], v[14:15]
	s_nop 0
	v_pk_add_f32 v[12:13], v[12:13], v[14:15]
	v_mov_b32_e32 v5, v14
	v_mov_b32_e32 v7, v12
	v_pk_add_f32 v[48:49], v[6:7], v[50:51] neg_lo:[0,1] neg_hi:[0,1]
	s_nop 0
	v_sub_f32_e32 v6, v6, v48
	v_pk_add_f32 v[4:5], v[4:5], v[48:49] neg_lo:[0,1] neg_hi:[0,1]
	v_sub_f32_e32 v6, v50, v6
	v_add_f32_e32 v4, v4, v6
	v_add_f32_e32 v4, v4, v5
	;; [unrolled: 1-line block ×3, first 2 shown]
	v_cndmask_b32_e32 v142, v4, v16, vcc
.LBB153_55:                             ;   in Loop: Header=BB153_13 Depth=1
	s_or_b64 exec, exec, s[0:1]
	v_add_f32_e32 v143, s33, v79
	v_cmp_ge_f32_e32 vcc, s38, v143
	s_and_b64 s[2:3], s[92:93], vcc
	s_and_saveexec_b64 s[0:1], s[2:3]
	s_cbranch_execz .LBB153_57
; %bb.56:                               ;   in Loop: Header=BB153_13 Depth=1
	v_mul_f32_e32 v4, 0x3fb8aa3b, v143
	v_rndne_f32_e32 v5, v4
	v_sub_f32_e32 v6, v4, v5
	v_fma_f32 v4, v143, s39, -v4
	v_fmac_f32_e32 v4, 0x32a5705f, v143
	v_add_f32_e32 v4, v6, v4
	v_cvt_i32_f32_e32 v5, v5
	v_exp_f32_e32 v4, v4
	v_cmp_ngt_f32_e32 vcc, s40, v143
	v_ldexp_f32 v4, v4, v5
	s_nop 0
	v_cndmask_b32_e32 v4, 0, v4, vcc
	v_cmp_nlt_f32_e32 vcc, s41, v143
	s_nop 1
	v_cndmask_b32_e32 v16, v155, v4, vcc
	v_add_f32_e32 v6, 1.0, v16
	v_add_f32_e32 v4, -1.0, v6
	v_sub_f32_e32 v5, v4, v6
	v_add_f32_e32 v5, 1.0, v5
	v_sub_f32_e32 v4, v16, v4
	v_add_f32_e32 v7, v4, v5
	v_frexp_mant_f32_e32 v12, v6
	v_cvt_f64_f32_e32 v[4:5], v6
	v_frexp_exp_i32_f64_e32 v4, v[4:5]
	v_cmp_gt_f32_e32 vcc, s43, v12
	v_cmp_gt_f32_e64 s[2:3], s45, v16
	s_nop 0
	v_subbrev_co_u32_e32 v17, vcc, 0, v4, vcc
	v_sub_u32_e32 v4, 0, v17
	v_ldexp_f32 v5, v6, v4
	v_add_f32_e32 v6, -1.0, v5
	v_add_f32_e32 v12, 1.0, v5
	v_ldexp_f32 v4, v7, v4
	v_add_f32_e32 v7, 1.0, v6
	v_add_f32_e32 v13, -1.0, v12
	v_sub_f32_e32 v7, v5, v7
	v_sub_f32_e32 v5, v5, v13
	v_add_f32_e32 v7, v4, v7
	v_add_f32_e32 v4, v4, v5
	;; [unrolled: 1-line block ×3, first 2 shown]
	v_rcp_f32_e32 v48, v18
	v_sub_f32_e32 v5, v12, v18
	v_add_f32_e32 v19, v4, v5
	v_add_f32_e32 v5, v6, v7
	v_mul_f32_e32 v50, v5, v48
	v_sub_f32_e32 v4, v6, v5
	v_mul_f32_e32 v6, v18, v50
	v_fma_f32 v12, v50, v18, -v6
	v_fmac_f32_e32 v12, v50, v19
	v_add_f32_e32 v49, v7, v4
	v_add_f32_e32 v4, v6, v12
	v_sub_f32_e32 v7, v5, v4
	v_pk_add_f32 v[14:15], v[4:5], v[6:7] neg_lo:[0,1] neg_hi:[0,1]
	v_mov_b32_e32 v13, v4
	v_pk_add_f32 v[4:5], v[14:15], v[12:13] neg_lo:[0,1] neg_hi:[0,1]
	v_cmp_eq_f32_e32 vcc, s42, v16
	v_add_f32_e32 v5, v49, v5
	v_add_f32_e32 v4, v4, v5
	v_add_f32_e32 v5, v7, v4
	v_mul_f32_e32 v49, v48, v5
	v_mul_f32_e32 v6, v18, v49
	v_fma_f32 v12, v49, v18, -v6
	v_fmac_f32_e32 v12, v49, v19
	v_sub_f32_e32 v7, v7, v5
	v_add_f32_e32 v18, v4, v7
	v_add_f32_e32 v4, v6, v12
	v_sub_f32_e32 v7, v5, v4
	v_pk_add_f32 v[14:15], v[4:5], v[6:7] neg_lo:[0,1] neg_hi:[0,1]
	v_mov_b32_e32 v13, v4
	v_pk_add_f32 v[4:5], v[14:15], v[12:13] neg_lo:[0,1] neg_hi:[0,1]
	s_or_b64 vcc, s[2:3], vcc
	v_add_f32_e32 v5, v18, v5
	v_add_f32_e32 v4, v4, v5
	;; [unrolled: 1-line block ×4, first 2 shown]
	v_sub_f32_e32 v6, v5, v50
	v_mul_f32_e32 v4, v48, v4
	v_sub_f32_e32 v6, v49, v6
	v_add_f32_e32 v6, v6, v4
	v_add_f32_e32 v12, v5, v6
	v_mul_f32_e32 v13, v12, v12
	v_fmamk_f32 v4, v13, 0x3e9b6dac, v75
	v_fmaak_f32 v107, v13, v4, 0x3f2aaada
	v_cvt_f32_i32_e32 v4, v17
	v_sub_f32_e32 v5, v12, v5
	v_sub_f32_e32 v5, v6, v5
	v_ldexp_f32 v14, v5, 1
	v_mul_f32_e32 v5, v12, v13
	v_ldexp_f32 v7, v12, 1
	v_pk_mul_f32 v[12:13], v[4:5], v[106:107]
	s_nop 0
	v_fma_f32 v6, v4, s44, -v12
	v_fmac_f32_e32 v6, 0xb102e308, v4
	v_pk_add_f32 v[4:5], v[12:13], v[6:7]
	s_nop 0
	v_sub_f32_e32 v7, v5, v7
	v_sub_f32_e32 v7, v13, v7
	v_add_f32_e32 v15, v14, v7
	v_mov_b32_e32 v14, v12
	v_pk_add_f32 v[12:13], v[4:5], v[12:13] neg_lo:[0,1] neg_hi:[0,1]
	v_pk_add_f32 v[48:49], v[4:5], v[14:15]
	v_mov_b32_e32 v7, v4
	v_mov_b32_e32 v13, v49
	v_pk_add_f32 v[50:51], v[6:7], v[12:13] neg_lo:[0,1] neg_hi:[0,1]
	v_pk_add_f32 v[6:7], v[6:7], v[12:13]
	v_mov_b32_e32 v14, v15
	v_mov_b32_e32 v12, v7
	v_pk_add_f32 v[52:53], v[12:13], v[4:5] neg_lo:[0,1] neg_hi:[0,1]
	v_mov_b32_e32 v6, v49
	v_mov_b32_e32 v13, v52
	v_pk_add_f32 v[54:55], v[48:49], v[12:13] neg_lo:[0,1] neg_hi:[0,1]
	v_mov_b32_e32 v48, v5
	v_mov_b32_e32 v49, v52
	;; [unrolled: 1-line block ×3, first 2 shown]
	v_pk_add_f32 v[6:7], v[6:7], v[48:49] neg_lo:[0,1] neg_hi:[0,1]
	v_mov_b32_e32 v15, v4
	v_pk_add_f32 v[4:5], v[14:15], v[6:7] neg_lo:[0,1] neg_hi:[0,1]
	v_mov_b32_e32 v54, v50
	v_pk_add_f32 v[6:7], v[54:55], v[4:5]
	s_nop 0
	v_mov_b32_e32 v14, v7
	v_pk_add_f32 v[14:15], v[6:7], v[14:15]
	s_nop 0
	v_pk_add_f32 v[12:13], v[12:13], v[14:15]
	v_mov_b32_e32 v5, v14
	v_mov_b32_e32 v7, v12
	v_pk_add_f32 v[48:49], v[6:7], v[50:51] neg_lo:[0,1] neg_hi:[0,1]
	s_nop 0
	v_sub_f32_e32 v6, v6, v48
	v_pk_add_f32 v[4:5], v[4:5], v[48:49] neg_lo:[0,1] neg_hi:[0,1]
	v_sub_f32_e32 v6, v50, v6
	v_add_f32_e32 v4, v4, v6
	v_add_f32_e32 v4, v4, v5
	;; [unrolled: 1-line block ×3, first 2 shown]
	v_cndmask_b32_e32 v143, v4, v16, vcc
.LBB153_57:                             ;   in Loop: Header=BB153_13 Depth=1
	s_or_b64 exec, exec, s[0:1]
	v_add_f32_e32 v108, s33, v80
	v_cmp_ge_f32_e32 vcc, s38, v108
	s_and_b64 s[2:3], s[92:93], vcc
	s_and_saveexec_b64 s[0:1], s[2:3]
	s_cbranch_execz .LBB153_59
; %bb.58:                               ;   in Loop: Header=BB153_13 Depth=1
	v_mul_f32_e32 v4, 0x3fb8aa3b, v108
	v_rndne_f32_e32 v5, v4
	v_sub_f32_e32 v6, v4, v5
	v_fma_f32 v4, v108, s39, -v4
	v_fmac_f32_e32 v4, 0x32a5705f, v108
	v_add_f32_e32 v4, v6, v4
	v_cvt_i32_f32_e32 v5, v5
	v_exp_f32_e32 v4, v4
	v_cmp_ngt_f32_e32 vcc, s40, v108
	v_ldexp_f32 v4, v4, v5
	s_nop 0
	v_cndmask_b32_e32 v4, 0, v4, vcc
	v_cmp_nlt_f32_e32 vcc, s41, v108
	s_nop 1
	v_cndmask_b32_e32 v16, v155, v4, vcc
	v_add_f32_e32 v6, 1.0, v16
	v_add_f32_e32 v4, -1.0, v6
	v_sub_f32_e32 v5, v4, v6
	v_add_f32_e32 v5, 1.0, v5
	v_sub_f32_e32 v4, v16, v4
	v_add_f32_e32 v7, v4, v5
	v_frexp_mant_f32_e32 v12, v6
	v_cvt_f64_f32_e32 v[4:5], v6
	v_frexp_exp_i32_f64_e32 v4, v[4:5]
	v_cmp_gt_f32_e32 vcc, s43, v12
	v_cmp_gt_f32_e64 s[2:3], s45, v16
	s_nop 0
	v_subbrev_co_u32_e32 v17, vcc, 0, v4, vcc
	v_sub_u32_e32 v4, 0, v17
	v_ldexp_f32 v5, v6, v4
	v_add_f32_e32 v6, -1.0, v5
	v_add_f32_e32 v12, 1.0, v5
	v_ldexp_f32 v4, v7, v4
	v_add_f32_e32 v7, 1.0, v6
	v_add_f32_e32 v13, -1.0, v12
	v_sub_f32_e32 v7, v5, v7
	v_sub_f32_e32 v5, v5, v13
	v_add_f32_e32 v7, v4, v7
	v_add_f32_e32 v4, v4, v5
	;; [unrolled: 1-line block ×3, first 2 shown]
	v_rcp_f32_e32 v48, v18
	v_sub_f32_e32 v5, v12, v18
	v_add_f32_e32 v19, v4, v5
	v_add_f32_e32 v5, v6, v7
	v_mul_f32_e32 v50, v5, v48
	v_sub_f32_e32 v4, v6, v5
	v_mul_f32_e32 v6, v18, v50
	v_fma_f32 v12, v50, v18, -v6
	v_fmac_f32_e32 v12, v50, v19
	v_add_f32_e32 v49, v7, v4
	v_add_f32_e32 v4, v6, v12
	v_sub_f32_e32 v7, v5, v4
	v_pk_add_f32 v[14:15], v[4:5], v[6:7] neg_lo:[0,1] neg_hi:[0,1]
	v_mov_b32_e32 v13, v4
	v_pk_add_f32 v[4:5], v[14:15], v[12:13] neg_lo:[0,1] neg_hi:[0,1]
	v_cmp_eq_f32_e32 vcc, s42, v16
	v_add_f32_e32 v5, v49, v5
	v_add_f32_e32 v4, v4, v5
	;; [unrolled: 1-line block ×3, first 2 shown]
	v_mul_f32_e32 v49, v48, v5
	v_mul_f32_e32 v6, v18, v49
	v_fma_f32 v12, v49, v18, -v6
	v_fmac_f32_e32 v12, v49, v19
	v_sub_f32_e32 v7, v7, v5
	v_add_f32_e32 v18, v4, v7
	v_add_f32_e32 v4, v6, v12
	v_sub_f32_e32 v7, v5, v4
	v_pk_add_f32 v[14:15], v[4:5], v[6:7] neg_lo:[0,1] neg_hi:[0,1]
	v_mov_b32_e32 v13, v4
	v_pk_add_f32 v[4:5], v[14:15], v[12:13] neg_lo:[0,1] neg_hi:[0,1]
	s_or_b64 vcc, s[2:3], vcc
	v_add_f32_e32 v5, v18, v5
	v_add_f32_e32 v4, v4, v5
	;; [unrolled: 1-line block ×4, first 2 shown]
	v_sub_f32_e32 v6, v5, v50
	v_mul_f32_e32 v4, v48, v4
	v_sub_f32_e32 v6, v49, v6
	v_add_f32_e32 v6, v6, v4
	v_add_f32_e32 v12, v5, v6
	v_mul_f32_e32 v13, v12, v12
	v_fmamk_f32 v4, v13, 0x3e9b6dac, v75
	v_fmaak_f32 v107, v13, v4, 0x3f2aaada
	v_cvt_f32_i32_e32 v4, v17
	v_sub_f32_e32 v5, v12, v5
	v_sub_f32_e32 v5, v6, v5
	v_ldexp_f32 v14, v5, 1
	v_mul_f32_e32 v5, v12, v13
	v_ldexp_f32 v7, v12, 1
	v_pk_mul_f32 v[12:13], v[4:5], v[106:107]
	s_nop 0
	v_fma_f32 v6, v4, s44, -v12
	v_fmac_f32_e32 v6, 0xb102e308, v4
	v_pk_add_f32 v[4:5], v[12:13], v[6:7]
	s_nop 0
	v_sub_f32_e32 v7, v5, v7
	v_sub_f32_e32 v7, v13, v7
	v_add_f32_e32 v15, v14, v7
	v_mov_b32_e32 v14, v12
	v_pk_add_f32 v[12:13], v[4:5], v[12:13] neg_lo:[0,1] neg_hi:[0,1]
	v_pk_add_f32 v[48:49], v[4:5], v[14:15]
	v_mov_b32_e32 v7, v4
	v_mov_b32_e32 v13, v49
	v_pk_add_f32 v[50:51], v[6:7], v[12:13] neg_lo:[0,1] neg_hi:[0,1]
	v_pk_add_f32 v[6:7], v[6:7], v[12:13]
	v_mov_b32_e32 v14, v15
	v_mov_b32_e32 v12, v7
	v_pk_add_f32 v[52:53], v[12:13], v[4:5] neg_lo:[0,1] neg_hi:[0,1]
	v_mov_b32_e32 v6, v49
	v_mov_b32_e32 v13, v52
	v_pk_add_f32 v[54:55], v[48:49], v[12:13] neg_lo:[0,1] neg_hi:[0,1]
	v_mov_b32_e32 v48, v5
	v_mov_b32_e32 v49, v52
	;; [unrolled: 1-line block ×3, first 2 shown]
	v_pk_add_f32 v[6:7], v[6:7], v[48:49] neg_lo:[0,1] neg_hi:[0,1]
	v_mov_b32_e32 v15, v4
	v_pk_add_f32 v[4:5], v[14:15], v[6:7] neg_lo:[0,1] neg_hi:[0,1]
	v_mov_b32_e32 v54, v50
	v_pk_add_f32 v[6:7], v[54:55], v[4:5]
	s_nop 0
	v_mov_b32_e32 v14, v7
	v_pk_add_f32 v[14:15], v[6:7], v[14:15]
	s_nop 0
	v_pk_add_f32 v[12:13], v[12:13], v[14:15]
	v_mov_b32_e32 v5, v14
	v_mov_b32_e32 v7, v12
	v_pk_add_f32 v[48:49], v[6:7], v[50:51] neg_lo:[0,1] neg_hi:[0,1]
	s_nop 0
	v_sub_f32_e32 v6, v6, v48
	v_pk_add_f32 v[4:5], v[4:5], v[48:49] neg_lo:[0,1] neg_hi:[0,1]
	v_sub_f32_e32 v6, v50, v6
	v_add_f32_e32 v4, v4, v6
	v_add_f32_e32 v4, v4, v5
	;; [unrolled: 1-line block ×3, first 2 shown]
	v_cndmask_b32_e32 v108, v4, v16, vcc
.LBB153_59:                             ;   in Loop: Header=BB153_13 Depth=1
	s_or_b64 exec, exec, s[0:1]
	v_add_f32_e32 v109, s33, v81
	v_cmp_ge_f32_e32 vcc, s38, v109
	s_and_b64 s[2:3], s[92:93], vcc
	s_and_saveexec_b64 s[0:1], s[2:3]
	s_cbranch_execz .LBB153_61
; %bb.60:                               ;   in Loop: Header=BB153_13 Depth=1
	v_mul_f32_e32 v4, 0x3fb8aa3b, v109
	v_rndne_f32_e32 v5, v4
	v_sub_f32_e32 v6, v4, v5
	v_fma_f32 v4, v109, s39, -v4
	v_fmac_f32_e32 v4, 0x32a5705f, v109
	v_add_f32_e32 v4, v6, v4
	v_cvt_i32_f32_e32 v5, v5
	v_exp_f32_e32 v4, v4
	v_cmp_ngt_f32_e32 vcc, s40, v109
	v_ldexp_f32 v4, v4, v5
	s_nop 0
	v_cndmask_b32_e32 v4, 0, v4, vcc
	v_cmp_nlt_f32_e32 vcc, s41, v109
	s_nop 1
	v_cndmask_b32_e32 v16, v155, v4, vcc
	v_add_f32_e32 v6, 1.0, v16
	v_add_f32_e32 v4, -1.0, v6
	v_sub_f32_e32 v5, v4, v6
	v_add_f32_e32 v5, 1.0, v5
	v_sub_f32_e32 v4, v16, v4
	v_add_f32_e32 v7, v4, v5
	v_frexp_mant_f32_e32 v12, v6
	v_cvt_f64_f32_e32 v[4:5], v6
	v_frexp_exp_i32_f64_e32 v4, v[4:5]
	v_cmp_gt_f32_e32 vcc, s43, v12
	v_cmp_gt_f32_e64 s[2:3], s45, v16
	s_nop 0
	v_subbrev_co_u32_e32 v17, vcc, 0, v4, vcc
	v_sub_u32_e32 v4, 0, v17
	v_ldexp_f32 v5, v6, v4
	v_add_f32_e32 v6, -1.0, v5
	v_add_f32_e32 v12, 1.0, v5
	v_ldexp_f32 v4, v7, v4
	v_add_f32_e32 v7, 1.0, v6
	v_add_f32_e32 v13, -1.0, v12
	v_sub_f32_e32 v7, v5, v7
	v_sub_f32_e32 v5, v5, v13
	v_add_f32_e32 v7, v4, v7
	v_add_f32_e32 v4, v4, v5
	;; [unrolled: 1-line block ×3, first 2 shown]
	v_rcp_f32_e32 v48, v18
	v_sub_f32_e32 v5, v12, v18
	v_add_f32_e32 v19, v4, v5
	v_add_f32_e32 v5, v6, v7
	v_mul_f32_e32 v50, v5, v48
	v_sub_f32_e32 v4, v6, v5
	v_mul_f32_e32 v6, v18, v50
	v_fma_f32 v12, v50, v18, -v6
	v_fmac_f32_e32 v12, v50, v19
	v_add_f32_e32 v49, v7, v4
	v_add_f32_e32 v4, v6, v12
	v_sub_f32_e32 v7, v5, v4
	v_pk_add_f32 v[14:15], v[4:5], v[6:7] neg_lo:[0,1] neg_hi:[0,1]
	v_mov_b32_e32 v13, v4
	v_pk_add_f32 v[4:5], v[14:15], v[12:13] neg_lo:[0,1] neg_hi:[0,1]
	v_cmp_eq_f32_e32 vcc, s42, v16
	v_add_f32_e32 v5, v49, v5
	v_add_f32_e32 v4, v4, v5
	;; [unrolled: 1-line block ×3, first 2 shown]
	v_mul_f32_e32 v49, v48, v5
	v_mul_f32_e32 v6, v18, v49
	v_fma_f32 v12, v49, v18, -v6
	v_fmac_f32_e32 v12, v49, v19
	v_sub_f32_e32 v7, v7, v5
	v_add_f32_e32 v18, v4, v7
	v_add_f32_e32 v4, v6, v12
	v_sub_f32_e32 v7, v5, v4
	v_pk_add_f32 v[14:15], v[4:5], v[6:7] neg_lo:[0,1] neg_hi:[0,1]
	v_mov_b32_e32 v13, v4
	v_pk_add_f32 v[4:5], v[14:15], v[12:13] neg_lo:[0,1] neg_hi:[0,1]
	s_or_b64 vcc, s[2:3], vcc
	v_add_f32_e32 v5, v18, v5
	v_add_f32_e32 v4, v4, v5
	;; [unrolled: 1-line block ×4, first 2 shown]
	v_sub_f32_e32 v6, v5, v50
	v_mul_f32_e32 v4, v48, v4
	v_sub_f32_e32 v6, v49, v6
	v_add_f32_e32 v6, v6, v4
	v_add_f32_e32 v12, v5, v6
	v_mul_f32_e32 v13, v12, v12
	v_fmamk_f32 v4, v13, 0x3e9b6dac, v75
	v_fmaak_f32 v107, v13, v4, 0x3f2aaada
	v_cvt_f32_i32_e32 v4, v17
	v_sub_f32_e32 v5, v12, v5
	v_sub_f32_e32 v5, v6, v5
	v_ldexp_f32 v14, v5, 1
	v_mul_f32_e32 v5, v12, v13
	v_ldexp_f32 v7, v12, 1
	v_pk_mul_f32 v[12:13], v[4:5], v[106:107]
	s_nop 0
	v_fma_f32 v6, v4, s44, -v12
	v_fmac_f32_e32 v6, 0xb102e308, v4
	v_pk_add_f32 v[4:5], v[12:13], v[6:7]
	s_nop 0
	v_sub_f32_e32 v7, v5, v7
	v_sub_f32_e32 v7, v13, v7
	v_add_f32_e32 v15, v14, v7
	v_mov_b32_e32 v14, v12
	v_pk_add_f32 v[12:13], v[4:5], v[12:13] neg_lo:[0,1] neg_hi:[0,1]
	v_pk_add_f32 v[48:49], v[4:5], v[14:15]
	v_mov_b32_e32 v7, v4
	v_mov_b32_e32 v13, v49
	v_pk_add_f32 v[50:51], v[6:7], v[12:13] neg_lo:[0,1] neg_hi:[0,1]
	v_pk_add_f32 v[6:7], v[6:7], v[12:13]
	v_mov_b32_e32 v14, v15
	v_mov_b32_e32 v12, v7
	v_pk_add_f32 v[52:53], v[12:13], v[4:5] neg_lo:[0,1] neg_hi:[0,1]
	v_mov_b32_e32 v6, v49
	v_mov_b32_e32 v13, v52
	v_pk_add_f32 v[54:55], v[48:49], v[12:13] neg_lo:[0,1] neg_hi:[0,1]
	v_mov_b32_e32 v48, v5
	v_mov_b32_e32 v49, v52
	;; [unrolled: 1-line block ×3, first 2 shown]
	v_pk_add_f32 v[6:7], v[6:7], v[48:49] neg_lo:[0,1] neg_hi:[0,1]
	v_mov_b32_e32 v15, v4
	v_pk_add_f32 v[4:5], v[14:15], v[6:7] neg_lo:[0,1] neg_hi:[0,1]
	v_mov_b32_e32 v54, v50
	v_pk_add_f32 v[6:7], v[54:55], v[4:5]
	s_nop 0
	v_mov_b32_e32 v14, v7
	v_pk_add_f32 v[14:15], v[6:7], v[14:15]
	s_nop 0
	v_pk_add_f32 v[12:13], v[12:13], v[14:15]
	v_mov_b32_e32 v5, v14
	v_mov_b32_e32 v7, v12
	v_pk_add_f32 v[48:49], v[6:7], v[50:51] neg_lo:[0,1] neg_hi:[0,1]
	s_nop 0
	v_sub_f32_e32 v6, v6, v48
	v_pk_add_f32 v[4:5], v[4:5], v[48:49] neg_lo:[0,1] neg_hi:[0,1]
	v_sub_f32_e32 v6, v50, v6
	v_add_f32_e32 v4, v4, v6
	v_add_f32_e32 v4, v4, v5
	;; [unrolled: 1-line block ×3, first 2 shown]
	v_cndmask_b32_e32 v109, v4, v16, vcc
.LBB153_61:                             ;   in Loop: Header=BB153_13 Depth=1
	s_or_b64 exec, exec, s[0:1]
	v_readlane_b32 s2, v167, 2
	v_readlane_b32 s3, v167, 3
	v_mul_f32_e32 v50, s4, v26
	v_mul_f32_e32 v49, s4, v25
	;; [unrolled: 1-line block ×15, first 2 shown]
	s_lshl_b32 s0, s47, 11
	v_mul_f32_e32 v51, s4, v27
	s_and_b64 vcc, exec, s[2:3]
	s_barrier
	s_cbranch_vccz .LBB153_94
; %bb.62:                               ;   in Loop: Header=BB153_13 Depth=1
	v_lshl_add_u64 v[4:5], s[74:75], 0, v[96:97]
	v_mov_b32_e32 v105, v97
	scratch_store_dwordx4 off, v[82:85], off offset:32 ; 16-byte Folded Spill
	scratch_store_dwordx4 off, v[78:81], off offset:16 ; 16-byte Folded Spill
	v_lshl_add_u64 v[110:111], v[4:5], 0, v[104:105]
	v_lshl_add_u64 v[4:5], s[78:79], 0, v[96:97]
	;; [unrolled: 1-line block ×3, first 2 shown]
	scratch_load_dword v4, off, off offset:72 ; 4-byte Folded Reload
	s_sub_i32 s1, s68, s0
	s_cmp_lg_u32 s47, 0
	v_readlane_b32 s2, v167, 5
	v_readlane_b32 s66, v167, 14
	s_cselect_b64 s[98:99], -1, 0
	s_cmp_eq_u32 s47, s2
	v_readlane_b32 s67, v167, 15
	s_cselect_b64 s[88:89], -1, 0
	s_mov_b32 s71, s47
	s_mov_b32 s94, 0
	v_mul_f32_e32 v107, v27, v109
	v_mul_f32_e32 v105, v26, v108
	;; [unrolled: 1-line block ×16, first 2 shown]
	s_mov_b32 s90, s94
	s_mov_b32 s96, s94
	v_readlane_b32 s70, v167, 16
	s_waitcnt vmcnt(0)
	v_cmp_gt_u32_e32 vcc, s1, v4
	scratch_load_dword v4, off, off offset:76 ; 4-byte Folded Reload
	s_or_b64 s[36:37], s[66:67], vcc
	s_waitcnt vmcnt(0)
	v_cmp_gt_u32_e32 vcc, s1, v4
	scratch_load_dword v4, off, off offset:80 ; 4-byte Folded Reload
	s_or_b64 s[38:39], s[66:67], vcc
	;; [unrolled: 4-line block ×14, first 2 shown]
	s_waitcnt vmcnt(0)
	v_cmp_gt_u32_e32 vcc, s1, v4
	scratch_load_dword v4, off, off offset:132 ; 4-byte Folded Reload
	s_waitcnt vmcnt(0)
	v_cmp_gt_u32_e64 s[2:3], s1, v4
	s_or_b64 s[64:65], s[66:67], s[2:3]
	s_or_b64 s[66:67], s[66:67], vcc
	s_mov_b32 s2, s94
	s_mov_b32 s1, s69
	s_branch .LBB153_64
.LBB153_63:                             ;   in Loop: Header=BB153_64 Depth=2
	s_or_b64 exec, exec, s[68:69]
	v_cndmask_b32_e64 v16, v82, v125, s[34:35]
	v_cndmask_b32_e64 v17, v119, v124, s[34:35]
	v_mul_f32_e32 v17, v17, v101
	v_fma_f32 v16, v16, v101, v92
	v_cndmask_b32_e64 v92, v16, v92, s[30:31]
	v_cndmask_b32_e64 v16, v17, v101, s[30:31]
	s_waitcnt lgkmcnt(0)
	v_fmac_f32_e32 v92, v122, v16
	v_fmac_f32_e32 v93, v92, v102
	v_fmac_f32_e32 v94, v93, v103
	v_fmac_f32_e32 v95, v94, v154
	v_fmac_f32_e32 v88, v95, v4
	v_fmac_f32_e32 v89, v88, v5
	v_fmac_f32_e32 v90, v89, v6
	v_fmac_f32_e32 v91, v90, v7
	v_fmac_f32_e32 v84, v91, v12
	v_fmac_f32_e32 v85, v84, v13
	v_fmac_f32_e32 v86, v85, v14
	v_fmac_f32_e32 v87, v86, v15
	v_fmac_f32_e32 v80, v87, v118
	v_fmac_f32_e32 v81, v80, v116
	v_fmac_f32_e32 v117, v81, v120
	v_fmac_f32_e32 v83, v117, v121
	v_mov_b32_e32 v82, v117
	s_add_i32 s70, s70, 8
	s_add_i32 s1, s1, -1
	s_add_i32 s96, s96, s5
	s_add_i32 s90, s90, s80
	;; [unrolled: 1-line block ×4, first 2 shown]
	v_pk_fma_f32 v[60:61], v[76:77], v[92:93], v[60:61]
	v_pk_fma_f32 v[62:63], v[78:79], v[94:95], v[62:63]
	v_pk_fma_f32 v[56:57], v[72:73], v[88:89], v[56:57]
	v_pk_fma_f32 v[58:59], v[74:75], v[90:91], v[58:59]
	v_pk_fma_f32 v[52:53], v[68:69], v[84:85], v[52:53]
	v_pk_fma_f32 v[54:55], v[70:71], v[86:87], v[54:55]
	v_pk_fma_f32 v[48:49], v[64:65], v[80:81], v[48:49]
	s_cmp_eq_u32 s1, 0
	v_pk_fma_f32 v[50:51], v[66:67], v[82:83], v[50:51]
	s_cbranch_scc1 .LBB153_93
.LBB153_64:                             ;   Parent Loop BB153_13 Depth=1
                                        ; =>  This Inner Loop Header: Depth=2
	s_mov_b32 s3, s95
	v_lshl_add_u64 v[6:7], s[2:3], 2, v[110:111]
	global_load_dwordx4 v[12:15], v[6:7], off
	s_lshl_b64 s[68:69], s[94:95], 2
	s_add_u32 s68, s72, s68
	s_mov_b32 s91, s95
	s_addc_u32 s69, s6, s69
	global_load_dword v4, v97, s[68:69]
	s_andn2_b64 vcc, exec, s[98:99]
	s_waitcnt vmcnt(1)
	ds_write_b128 v126, v[12:15]
	global_load_dwordx4 v[12:15], v[6:7], off offset:1024
	s_waitcnt vmcnt(0)
	ds_write_b128 v127, v[12:15] offset:1024
	global_load_dwordx4 v[12:15], v[6:7], off offset:2048
	s_waitcnt vmcnt(0)
	ds_write_b128 v128, v[12:15] offset:2048
	global_load_dwordx4 v[12:15], v[6:7], off offset:3072
	v_lshl_add_u64 v[6:7], s[90:91], 2, v[112:113]
	s_waitcnt vmcnt(0)
	ds_write_b128 v129, v[12:15] offset:3072
	; wave barrier
	ds_read_b128 v[92:95], v130
	ds_read_b128 v[88:91], v130 offset:16
	ds_read_b128 v[84:87], v130 offset:32
	;; [unrolled: 1-line block ×3, first 2 shown]
	global_load_dwordx4 v[12:15], v[6:7], off
	s_waitcnt vmcnt(0)
	ds_write_b128 v126, v[12:15] offset:8448
	global_load_dwordx4 v[12:15], v[6:7], off offset:1024
	s_waitcnt vmcnt(0)
	ds_write_b128 v131, v[12:15] offset:1024
	global_load_dwordx4 v[12:15], v[6:7], off offset:2048
	;; [unrolled: 3-line block ×3, first 2 shown]
	s_waitcnt vmcnt(0)
	ds_write_b128 v133, v[12:15] offset:3072
	; wave barrier
	ds_read_b128 v[76:79], v130 offset:8448
	ds_read_b128 v[72:75], v134 offset:16
	;; [unrolled: 1-line block ×4, first 2 shown]
	s_cbranch_vccnz .LBB153_66
; %bb.65:                               ;   in Loop: Header=BB153_64 Depth=2
	v_mov_b32_e32 v5, s70
	ds_read_b64 v[114:115], v5
	s_cbranch_execz .LBB153_67
	s_branch .LBB153_70
.LBB153_66:                             ;   in Loop: Header=BB153_64 Depth=2
                                        ; implicit-def: $vgpr115
.LBB153_67:                             ;   in Loop: Header=BB153_64 Depth=2
	v_readlane_b32 s68, v167, 0
	v_readlane_b32 s69, v167, 1
	s_andn2_b64 vcc, exec, s[68:69]
	s_waitcnt lgkmcnt(0)
	v_mov_b32_e32 v115, 0
	s_cbranch_vccnz .LBB153_69
; %bb.68:                               ;   in Loop: Header=BB153_64 Depth=2
	s_mov_b32 s97, s95
	s_lshl_b64 s[68:69], s[96:97], 2
	s_add_u32 s68, s7, s68
	s_addc_u32 s69, s77, s69
	global_load_dword v115, v97, s[68:69]
.LBB153_69:                             ;   in Loop: Header=BB153_64 Depth=2
	v_mov_b32_e32 v114, 1.0
.LBB153_70:                             ;   in Loop: Header=BB153_64 Depth=2
	v_mul_f32_e32 v120, 0x3fb8aa3b, v4
	v_mul_f32_e32 v4, v120, v158
	v_cmp_gt_f32_e32 vcc, s81, v4
	s_nop 1
	v_cndmask_b32_e32 v4, 0, v156, vcc
	v_fmac_f32_e32 v4, v120, v158
	v_exp_f32_e32 v4, v4
	v_cndmask_b32_e32 v5, 1.0, v157, vcc
	v_mul_f32_e32 v4, v4, v5
	v_cndmask_b32_e64 v101, 1.0, v4, s[36:37]
	v_mul_f32_e32 v4, v120, v159
	v_cmp_gt_f32_e32 vcc, s81, v4
	s_waitcnt lgkmcnt(11)
	v_mul_f32_e32 v5, v92, v100
	v_cndmask_b32_e64 v92, 0, v5, s[36:37]
	v_cndmask_b32_e32 v4, 0, v156, vcc
	v_fmac_f32_e32 v4, v120, v159
	v_exp_f32_e32 v4, v4
	v_cndmask_b32_e32 v5, 1.0, v157, vcc
	v_mul_f32_e32 v4, v4, v5
	v_cndmask_b32_e64 v102, 1.0, v4, s[38:39]
	v_mul_f32_e32 v4, v120, v160
	v_cmp_gt_f32_e32 vcc, s81, v4
	v_mul_f32_e32 v5, v93, v99
	v_cndmask_b32_e64 v93, 0, v5, s[38:39]
	v_cndmask_b32_e32 v4, 0, v156, vcc
	v_fmac_f32_e32 v4, v120, v160
	v_exp_f32_e32 v4, v4
	v_cndmask_b32_e32 v5, 1.0, v157, vcc
	v_mul_f32_e32 v4, v4, v5
	v_cndmask_b32_e64 v103, 1.0, v4, s[40:41]
	v_mul_f32_e32 v4, v120, v161
	v_cmp_gt_f32_e32 vcc, s81, v4
	;; [unrolled: 10-line block ×3, first 2 shown]
	v_mul_f32_e32 v5, v95, v135
	v_cndmask_b32_e64 v95, 0, v5, s[42:43]
	v_cndmask_b32_e32 v4, 0, v156, vcc
	v_fmac_f32_e32 v4, v120, v162
	v_exp_f32_e32 v4, v4
	v_cndmask_b32_e32 v5, 1.0, v157, vcc
	v_mul_f32_e32 v4, v4, v5
	s_waitcnt lgkmcnt(10)
	v_mul_f32_e32 v5, v88, v153
	v_cndmask_b32_e64 v88, 0, v5, s[44:45]
	v_mul_f32_e32 v5, v120, v163
	v_cmp_gt_f32_e32 vcc, s81, v5
	v_cndmask_b32_e64 v4, 1.0, v4, s[44:45]
	s_nop 0
	v_cndmask_b32_e32 v5, 0, v156, vcc
	v_fmac_f32_e32 v5, v120, v163
	v_exp_f32_e32 v5, v5
	v_cndmask_b32_e32 v6, 1.0, v157, vcc
	v_mul_f32_e32 v5, v5, v6
	v_mul_f32_e32 v6, v89, v152
	v_cndmask_b32_e64 v89, 0, v6, s[46:47]
	v_mul_f32_e32 v6, v120, v164
	v_cmp_gt_f32_e32 vcc, s81, v6
	v_cndmask_b32_e64 v5, 1.0, v5, s[46:47]
	s_nop 0
	v_cndmask_b32_e32 v6, 0, v156, vcc
	v_fmac_f32_e32 v6, v120, v164
	v_exp_f32_e32 v6, v6
	v_cndmask_b32_e32 v7, 1.0, v157, vcc
	v_mul_f32_e32 v6, v6, v7
	;; [unrolled: 11-line block ×4, first 2 shown]
	s_waitcnt lgkmcnt(9)
	v_mul_f32_e32 v13, v84, v149
	v_cndmask_b32_e64 v84, 0, v13, s[52:53]
	v_mul_f32_e32 v13, v120, v139
	v_cmp_gt_f32_e32 vcc, s81, v13
	v_cndmask_b32_e64 v12, 1.0, v12, s[52:53]
	s_nop 0
	v_cndmask_b32_e32 v13, 0, v156, vcc
	v_fmac_f32_e32 v13, v120, v139
	v_exp_f32_e32 v13, v13
	v_cndmask_b32_e32 v14, 1.0, v157, vcc
	v_mul_f32_e32 v13, v13, v14
	v_mul_f32_e32 v14, v85, v148
	v_cndmask_b32_e64 v85, 0, v14, s[54:55]
	v_mul_f32_e32 v14, v120, v140
	v_cmp_gt_f32_e32 vcc, s81, v14
	v_cndmask_b32_e64 v13, 1.0, v13, s[54:55]
	s_nop 0
	v_cndmask_b32_e32 v14, 0, v156, vcc
	v_fmac_f32_e32 v14, v120, v140
	v_exp_f32_e32 v14, v14
	v_cndmask_b32_e32 v15, 1.0, v157, vcc
	v_mul_f32_e32 v14, v14, v15
	;; [unrolled: 11-line block ×4, first 2 shown]
	v_cndmask_b32_e64 v118, 1.0, v16, s[60:61]
	v_mul_f32_e32 v16, v120, v143
	v_cmp_gt_f32_e32 vcc, s81, v16
	s_waitcnt lgkmcnt(8)
	v_mul_f32_e32 v17, v80, v145
	v_cndmask_b32_e64 v80, 0, v17, s[60:61]
	v_cndmask_b32_e32 v16, 0, v156, vcc
	v_fmac_f32_e32 v16, v120, v143
	v_exp_f32_e32 v16, v16
	v_cndmask_b32_e32 v17, 1.0, v157, vcc
	v_pk_mul_f32 v[120:121], v[120:121], v[108:109] op_sel_hi:[0,1]
	v_cmp_gt_f32_e32 vcc, s81, v120
	v_mul_f32_e32 v16, v16, v17
	v_cndmask_b32_e64 v116, 1.0, v16, s[62:63]
	v_cndmask_b32_e32 v16, 0, v156, vcc
	v_add_f32_e32 v16, v120, v16
	v_exp_f32_e32 v16, v16
	v_mul_f32_e32 v17, v81, v144
	v_cndmask_b32_e64 v81, 0, v17, s[62:63]
	v_mul_f32_e32 v17, v82, v105
	v_cndmask_b32_e64 v117, 0, v17, s[66:67]
	v_cndmask_b32_e32 v17, 1.0, v157, vcc
	v_cmp_gt_f32_e32 vcc, s81, v121
	v_mul_f32_e32 v16, v16, v17
	v_cndmask_b32_e64 v120, 1.0, v16, s[66:67]
	v_cndmask_b32_e32 v17, 0, v156, vcc
	v_add_f32_e32 v17, v121, v17
	v_exp_f32_e32 v17, v17
	v_cndmask_b32_e32 v18, 1.0, v157, vcc
	v_mul_f32_e32 v16, v102, v101
	v_mul_f32_e32 v16, v16, v103
	;; [unrolled: 1-line block ×3, first 2 shown]
	v_cndmask_b32_e64 v121, 1.0, v17, s[64:65]
	v_fma_f32 v17, v102, v92, v93
	v_fma_f32 v17, v17, v103, v94
	v_mul_f32_e32 v16, v16, v154
	v_fma_f32 v17, v17, v154, v95
	v_mul_f32_e32 v16, v16, v4
	;; [unrolled: 2-line block ×9, first 2 shown]
	v_fma_f32 v16, v17, v15, v87
	v_fma_f32 v16, v16, v118, v80
	;; [unrolled: 1-line block ×3, first 2 shown]
	v_mov_b32_e32 v119, v120
	v_mul_f32_e32 v18, v83, v107
	v_pk_mul_f32 v[16:17], v[122:123], v[118:119]
	v_cndmask_b32_e64 v83, 0, v18, s[64:65]
	v_pk_mul_f32 v[16:17], v[16:17], v[116:117]
	v_pk_fma_f32 v[18:19], v[122:123], v[118:119], v[116:117]
	v_mov_b32_e32 v124, v121
	v_mov_b32_e32 v17, v19
	;; [unrolled: 1-line block ×3, first 2 shown]
	v_pk_mul_f32 v[18:19], v[16:17], v[120:121]
	v_mov_b32_e32 v82, v121
	v_pk_mul_f32 v[18:19], v[18:19], v[124:125]
	v_pk_fma_f32 v[16:17], v[16:17], v[120:121], v[82:83]
	s_nop 1
	v_mov_b32_dpp v16, v18 row_shr:1 row_mask:0xf bank_mask:0xf
	v_mov_b32_dpp v19, v17 row_shr:1 row_mask:0xf bank_mask:0xf
	v_mul_f32_e32 v16, v18, v16
	v_fma_f32 v19, v18, v19, v17
	v_cndmask_b32_e64 v125, v19, v17, s[8:9]
	v_cndmask_b32_e64 v124, v16, v18, s[8:9]
	v_cndmask_b32_e64 v122, v16, v18, s[8:9]
	v_cndmask_b32_e64 v82, v19, v17, s[8:9]
	v_mov_b32_dpp v119, v124 row_shr:2 row_mask:0xf bank_mask:0xf
	v_mov_b32_dpp v123, v125 row_shr:2 row_mask:0xf bank_mask:0xf
	s_and_saveexec_b64 s[68:69], s[10:11]
; %bb.71:                               ;   in Loop: Header=BB153_64 Depth=2
	v_fmac_f32_e32 v125, v124, v123
	v_mul_f32_e32 v124, v124, v119
	v_mov_b32_e32 v122, v124
	v_mov_b32_e32 v82, v125
; %bb.72:                               ;   in Loop: Header=BB153_64 Depth=2
	s_or_b64 exec, exec, s[68:69]
	v_mov_b32_dpp v119, v124 row_shr:4 row_mask:0xf bank_mask:0xf
	v_mov_b32_dpp v123, v125 row_shr:4 row_mask:0xf bank_mask:0xf
	s_and_saveexec_b64 s[68:69], s[12:13]
; %bb.73:                               ;   in Loop: Header=BB153_64 Depth=2
	v_fmac_f32_e32 v125, v124, v123
	v_mul_f32_e32 v124, v124, v119
	v_mov_b32_e32 v122, v124
	v_mov_b32_e32 v82, v125
; %bb.74:                               ;   in Loop: Header=BB153_64 Depth=2
	s_or_b64 exec, exec, s[68:69]
	;; [unrolled: 10-line block ×3, first 2 shown]
	v_mov_b32_dpp v119, v124 row_bcast:15 row_mask:0xf bank_mask:0xf
	v_mov_b32_dpp v123, v125 row_bcast:15 row_mask:0xf bank_mask:0xf
	s_and_saveexec_b64 s[68:69], s[16:17]
; %bb.77:                               ;   in Loop: Header=BB153_64 Depth=2
	v_fmac_f32_e32 v125, v124, v123
	v_mul_f32_e32 v124, v124, v119
	v_mov_b32_e32 v122, v124
	v_mov_b32_e32 v82, v125
; %bb.78:                               ;   in Loop: Header=BB153_64 Depth=2
	s_or_b64 exec, exec, s[68:69]
	v_mov_b32_dpp v123, v124 row_bcast:31 row_mask:0xf bank_mask:0xf
	v_mov_b32_dpp v119, v125 row_bcast:31 row_mask:0xf bank_mask:0xf
	s_and_saveexec_b64 s[68:69], s[18:19]
; %bb.79:                               ;   in Loop: Header=BB153_64 Depth=2
	v_fmac_f32_e32 v125, v124, v119
	v_mul_f32_e32 v122, v124, v123
	v_mov_b32_e32 v123, v125
	v_mov_b32_e32 v82, v125
	v_mov_b64_e32 v[124:125], v[122:123]
; %bb.80:                               ;   in Loop: Header=BB153_64 Depth=2
	s_or_b64 exec, exec, s[68:69]
	s_and_saveexec_b64 s[68:69], s[20:21]
	s_cbranch_execz .LBB153_82
; %bb.81:                               ;   in Loop: Header=BB153_64 Depth=2
	ds_write_b64 v136, v[124:125] offset:16896
.LBB153_82:                             ;   in Loop: Header=BB153_64 Depth=2
	s_or_b64 exec, exec, s[68:69]
	s_waitcnt lgkmcnt(0)
	s_barrier
	s_and_saveexec_b64 s[68:69], s[22:23]
	s_cbranch_execz .LBB153_84
; %bb.83:                               ;   in Loop: Header=BB153_64 Depth=2
	ds_read_b64 v[16:17], v137 offset:16896
	s_waitcnt lgkmcnt(0)
	s_nop 0
	v_mov_b32_dpp v18, v16 row_shr:1 row_mask:0xf bank_mask:0xf
	v_mov_b32_dpp v19, v17 row_shr:1 row_mask:0xf bank_mask:0xf
	v_fma_f32 v19, v16, v19, v17
	v_mul_f32_e32 v18, v16, v18
	v_cndmask_b32_e64 v16, v18, v16, s[24:25]
	v_cndmask_b32_e64 v17, v19, v17, s[24:25]
	ds_write_b64 v137, v[16:17] offset:16896
.LBB153_84:                             ;   in Loop: Header=BB153_64 Depth=2
	s_or_b64 exec, exec, s[68:69]
	s_waitcnt lgkmcnt(0)
	s_barrier
	s_waitcnt lgkmcnt(0)
                                        ; implicit-def: $vgpr124
	s_and_saveexec_b64 s[68:69], s[28:29]
	s_cbranch_execz .LBB153_86
; %bb.85:                               ;   in Loop: Header=BB153_64 Depth=2
	ds_read_b64 v[124:125], v136 offset:16888
	s_waitcnt lgkmcnt(0)
	v_mul_f32_e32 v16, v122, v124
	v_fmac_f32_e32 v82, v122, v125
	v_mov_b32_e32 v122, v16
.LBB153_86:                             ;   in Loop: Header=BB153_64 Depth=2
	s_or_b64 exec, exec, s[68:69]
	ds_bpermute_b32 v119, v138, v122
	ds_bpermute_b32 v82, v138, v82
	s_waitcnt vmcnt(0)
	v_mov_b32_e32 v123, v115
	s_and_saveexec_b64 s[68:69], s[26:27]
	s_cbranch_execz .LBB153_90
; %bb.87:                               ;   in Loop: Header=BB153_64 Depth=2
	ds_read_b64 v[122:123], v97 offset:16904
	s_and_saveexec_b64 vcc, s[30:31]
	s_cbranch_execz .LBB153_89
; %bb.88:                               ;   in Loop: Header=BB153_64 Depth=2
	ds_write_b64 v97, v[114:115] offset:16904
.LBB153_89:                             ;   in Loop: Header=BB153_64 Depth=2
	s_or_b64 exec, exec, vcc
	s_waitcnt lgkmcnt(0)
	v_fmac_f32_e32 v123, v115, v122
	v_mul_f32_e32 v114, v114, v122
	v_mov_b32_e32 v115, v123
.LBB153_90:                             ;   in Loop: Header=BB153_64 Depth=2
	s_or_b64 exec, exec, s[68:69]
	s_waitcnt lgkmcnt(0)
	s_barrier
	ds_read_b32 v122, v97 offset:16908
	s_and_saveexec_b64 s[68:69], s[30:31]
	s_cbranch_execz .LBB153_63
; %bb.91:                               ;   in Loop: Header=BB153_64 Depth=2
	v_mov_b32_e32 v16, s70
	s_andn2_b64 vcc, exec, s[88:89]
	ds_write_b64 v16, v[114:115]
	s_cbranch_vccnz .LBB153_63
; %bb.92:                               ;   in Loop: Header=BB153_64 Depth=2
	s_mov_b32 s97, s95
	s_lshl_b64 s[86:87], s[96:97], 2
	s_add_u32 s86, s7, s86
	s_addc_u32 s87, s77, s87
	global_store_dword v97, v123, s[86:87]
	s_branch .LBB153_63
.LBB153_93:                             ;   in Loop: Header=BB153_13 Depth=1
	scratch_load_dwordx4 v[78:81], off, off offset:16 ; 16-byte Folded Reload
	scratch_load_dwordx4 v[82:85], off, off offset:32 ; 16-byte Folded Reload
	v_readlane_b32 s68, v167, 17
	v_readlane_b32 s69, v167, 18
	s_mov_b32 s38, 0x41a00000
	s_mov_b32 s39, 0x3fb8aa3b
	s_mov_b32 s40, 0xc2ce8ed0
	s_mov_b32 s41, 0x42b17218
	s_mov_b32 s42, 0x7f800000
	s_mov_b32 s43, 0x3f2aaaab
	s_mov_b32 s44, 0x3f317218
	s_mov_b32 s45, 0x33800000
	s_mov_b32 s47, s71
	v_mov_b32_e32 v75, 0x3ecc95a3
.LBB153_94:                             ;   in Loop: Header=BB153_13 Depth=1
	s_barrier
	ds_write_b128 v130, v[60:63]
	ds_write_b128 v130, v[56:59] offset:16
	ds_write_b128 v130, v[52:55] offset:32
	;; [unrolled: 1-line block ×3, first 2 shown]
	; wave barrier
	scratch_load_dwordx2 v[12:13], off, off offset:48 ; 8-byte Folded Reload
	ds_read_b128 v[4:7], v126
	s_mov_b32 s1, s95
	s_lshl_b64 s[2:3], s[0:1], 2
	s_waitcnt vmcnt(0)
	v_lshl_add_u64 v[76:77], v[12:13], 0, s[2:3]
	ds_read_b128 v[12:15], v127 offset:1024
	ds_read_b128 v[64:67], v128 offset:2048
	;; [unrolled: 1-line block ×3, first 2 shown]
	s_waitcnt lgkmcnt(3)
	v_mov_b32_e32 v72, v5
	v_mov_b32_e32 v73, v6
	;; [unrolled: 1-line block ×6, first 2 shown]
	global_store_dwordx4 v[76:77], v[4:7], off
	s_waitcnt lgkmcnt(2)
	global_store_dwordx4 v[76:77], v[12:15], off offset:1024
	s_waitcnt lgkmcnt(1)
	global_store_dwordx4 v[76:77], v[64:67], off offset:2048
	;; [unrolled: 2-line block ×3, first 2 shown]
	s_barrier
	scratch_load_dwordx2 v[4:5], off, off offset:56 ; 8-byte Folded Reload
	s_waitcnt vmcnt(0)
	v_lshl_add_u64 v[64:65], v[4:5], 0, s[2:3]
	s_mov_b64 s[2:3], exec
	v_readlane_b32 s36, v167, 6
	v_readlane_b32 s37, v167, 7
	s_and_b64 s[36:37], s[2:3], s[36:37]
	s_mov_b64 exec, s[36:37]
	s_cbranch_execz .LBB153_96
; %bb.95:                               ;   in Loop: Header=BB153_13 Depth=1
	global_load_dwordx4 v[8:11], v[64:65], off
.LBB153_96:                             ;   in Loop: Header=BB153_13 Depth=1
	s_or_b64 exec, exec, s[2:3]
	s_mov_b64 s[2:3], exec
	v_readlane_b32 s36, v167, 8
	v_readlane_b32 s37, v167, 9
	s_and_b64 s[36:37], s[2:3], s[36:37]
	s_mov_b64 exec, s[36:37]
	s_cbranch_execz .LBB153_98
; %bb.97:                               ;   in Loop: Header=BB153_13 Depth=1
	global_load_dwordx4 v[0:3], v[64:65], off offset:1024
.LBB153_98:                             ;   in Loop: Header=BB153_13 Depth=1
	s_or_b64 exec, exec, s[2:3]
	s_mov_b64 s[2:3], exec
	v_readlane_b32 s36, v167, 10
	v_readlane_b32 s37, v167, 11
	s_and_b64 s[36:37], s[2:3], s[36:37]
	s_mov_b64 exec, s[36:37]
	s_cbranch_execz .LBB153_100
; %bb.99:                               ;   in Loop: Header=BB153_13 Depth=1
	global_load_dwordx4 v[44:47], v[64:65], off offset:2048
.LBB153_100:                            ;   in Loop: Header=BB153_13 Depth=1
	s_or_b64 exec, exec, s[2:3]
	s_mov_b64 s[2:3], exec
	v_readlane_b32 s36, v167, 12
	v_readlane_b32 s37, v167, 13
	s_and_b64 s[36:37], s[2:3], s[36:37]
	s_mov_b64 exec, s[36:37]
	s_cbranch_execz .LBB153_12
; %bb.101:                              ;   in Loop: Header=BB153_13 Depth=1
	global_load_dwordx4 v[40:43], v[64:65], off offset:3072
	s_branch .LBB153_12
.LBB153_102:
	s_endpgm
	.section	.rodata,"a",@progbits
	.p2align	6, 0x0
	.amdhsa_kernel _Z25selective_scan_fwd_kernelI32Selective_Scan_fwd_kernel_traitsILi128ELi16ELi1ELb1ELb1ELb1ELb1ELb0EfffEEv13SSMParamsBase
		.amdhsa_group_segment_fixed_size 0
		.amdhsa_private_segment_fixed_size 140
		.amdhsa_kernarg_size 248
		.amdhsa_user_sgpr_count 2
		.amdhsa_user_sgpr_dispatch_ptr 0
		.amdhsa_user_sgpr_queue_ptr 0
		.amdhsa_user_sgpr_kernarg_segment_ptr 1
		.amdhsa_user_sgpr_dispatch_id 0
		.amdhsa_user_sgpr_kernarg_preload_length 0
		.amdhsa_user_sgpr_kernarg_preload_offset 0
		.amdhsa_user_sgpr_private_segment_size 0
		.amdhsa_uses_dynamic_stack 0
		.amdhsa_enable_private_segment 1
		.amdhsa_system_sgpr_workgroup_id_x 1
		.amdhsa_system_sgpr_workgroup_id_y 1
		.amdhsa_system_sgpr_workgroup_id_z 0
		.amdhsa_system_sgpr_workgroup_info 0
		.amdhsa_system_vgpr_workitem_id 0
		.amdhsa_next_free_vgpr 168
		.amdhsa_next_free_sgpr 100
		.amdhsa_accum_offset 168
		.amdhsa_reserve_vcc 1
		.amdhsa_float_round_mode_32 0
		.amdhsa_float_round_mode_16_64 0
		.amdhsa_float_denorm_mode_32 3
		.amdhsa_float_denorm_mode_16_64 3
		.amdhsa_dx10_clamp 1
		.amdhsa_ieee_mode 1
		.amdhsa_fp16_overflow 0
		.amdhsa_tg_split 0
		.amdhsa_exception_fp_ieee_invalid_op 0
		.amdhsa_exception_fp_denorm_src 0
		.amdhsa_exception_fp_ieee_div_zero 0
		.amdhsa_exception_fp_ieee_overflow 0
		.amdhsa_exception_fp_ieee_underflow 0
		.amdhsa_exception_fp_ieee_inexact 0
		.amdhsa_exception_int_div_zero 0
	.end_amdhsa_kernel
	.section	.text._Z25selective_scan_fwd_kernelI32Selective_Scan_fwd_kernel_traitsILi128ELi16ELi1ELb1ELb1ELb1ELb1ELb0EfffEEv13SSMParamsBase,"axG",@progbits,_Z25selective_scan_fwd_kernelI32Selective_Scan_fwd_kernel_traitsILi128ELi16ELi1ELb1ELb1ELb1ELb1ELb0EfffEEv13SSMParamsBase,comdat
.Lfunc_end153:
	.size	_Z25selective_scan_fwd_kernelI32Selective_Scan_fwd_kernel_traitsILi128ELi16ELi1ELb1ELb1ELb1ELb1ELb0EfffEEv13SSMParamsBase, .Lfunc_end153-_Z25selective_scan_fwd_kernelI32Selective_Scan_fwd_kernel_traitsILi128ELi16ELi1ELb1ELb1ELb1ELb1ELb0EfffEEv13SSMParamsBase
                                        ; -- End function
	.section	.AMDGPU.csdata,"",@progbits
; Kernel info:
; codeLenInByte = 19884
; NumSgprs: 106
; NumVgprs: 168
; NumAgprs: 0
; TotalNumVgprs: 168
; ScratchSize: 140
; MemoryBound: 1
; FloatMode: 240
; IeeeMode: 1
; LDSByteSize: 0 bytes/workgroup (compile time only)
; SGPRBlocks: 13
; VGPRBlocks: 20
; NumSGPRsForWavesPerEU: 106
; NumVGPRsForWavesPerEU: 168
; AccumOffset: 168
; Occupancy: 3
; WaveLimiterHint : 1
; COMPUTE_PGM_RSRC2:SCRATCH_EN: 1
; COMPUTE_PGM_RSRC2:USER_SGPR: 2
; COMPUTE_PGM_RSRC2:TRAP_HANDLER: 0
; COMPUTE_PGM_RSRC2:TGID_X_EN: 1
; COMPUTE_PGM_RSRC2:TGID_Y_EN: 1
; COMPUTE_PGM_RSRC2:TGID_Z_EN: 0
; COMPUTE_PGM_RSRC2:TIDIG_COMP_CNT: 0
; COMPUTE_PGM_RSRC3_GFX90A:ACCUM_OFFSET: 41
; COMPUTE_PGM_RSRC3_GFX90A:TG_SPLIT: 0
	.section	.text._Z25selective_scan_fwd_kernelI32Selective_Scan_fwd_kernel_traitsILi128ELi16ELi1ELb1ELb1ELb1ELb0ELb1EfffEEv13SSMParamsBase,"axG",@progbits,_Z25selective_scan_fwd_kernelI32Selective_Scan_fwd_kernel_traitsILi128ELi16ELi1ELb1ELb1ELb1ELb0ELb1EfffEEv13SSMParamsBase,comdat
	.protected	_Z25selective_scan_fwd_kernelI32Selective_Scan_fwd_kernel_traitsILi128ELi16ELi1ELb1ELb1ELb1ELb0ELb1EfffEEv13SSMParamsBase ; -- Begin function _Z25selective_scan_fwd_kernelI32Selective_Scan_fwd_kernel_traitsILi128ELi16ELi1ELb1ELb1ELb1ELb0ELb1EfffEEv13SSMParamsBase
	.globl	_Z25selective_scan_fwd_kernelI32Selective_Scan_fwd_kernel_traitsILi128ELi16ELi1ELb1ELb1ELb1ELb0ELb1EfffEEv13SSMParamsBase
	.p2align	8
	.type	_Z25selective_scan_fwd_kernelI32Selective_Scan_fwd_kernel_traitsILi128ELi16ELi1ELb1ELb1ELb1ELb0ELb1EfffEEv13SSMParamsBase,@function
_Z25selective_scan_fwd_kernelI32Selective_Scan_fwd_kernel_traitsILi128ELi16ELi1ELb1ELb1ELb1ELb0ELb1EfffEEv13SSMParamsBase: ; @_Z25selective_scan_fwd_kernelI32Selective_Scan_fwd_kernel_traitsILi128ELi16ELi1ELb1ELb1ELb1ELb0ELb1EfffEEv13SSMParamsBase
; %bb.0:
	s_load_dword s29, s[0:1], 0x18
	s_load_dwordx4 s[4:7], s[0:1], 0xe0
	s_load_dwordx2 s[10:11], s[0:1], 0xf0
	s_mov_b32 s24, s3
	s_ashr_i32 s3, s2, 31
	s_waitcnt lgkmcnt(0)
	s_abs_i32 s28, s29
	v_cvt_f32_u32_e32 v1, s28
	s_lshl_b64 s[8:9], s[2:3], 2
	s_add_u32 s26, s4, s8
	s_addc_u32 s27, s5, s9
	v_rcp_iflag_f32_e32 v1, v1
	s_cmp_eq_u64 s[10:11], 0
                                        ; implicit-def: $vgpr167 : SGPR spill to VGPR lane
	v_mul_f32_e32 v1, 0x4f7ffffe, v1
	v_cvt_u32_f32_e32 v1, v1
	s_nop 0
	v_readfirstlane_b32 s30, v1
	s_cbranch_scc1 .LBB154_2
; %bb.1:
	s_add_u32 s4, s10, s2
	s_addc_u32 s5, s11, s3
	v_mov_b32_e32 v1, 0
	global_load_ubyte v1, v1, s[4:5]
	s_waitcnt vmcnt(0)
	v_and_b32_e32 v1, 1, v1
	v_cmp_eq_u32_e64 s[4:5], 1, v1
	s_branch .LBB154_3
.LBB154_2:
	s_mov_b64 s[4:5], 0
.LBB154_3:
	s_nop 0
	v_writelane_b32 v167, s4, 0
	s_cmp_eq_u64 s[6:7], 0
	s_nop 0
	v_writelane_b32 v167, s5, 1
	s_load_dwordx2 s[4:5], s[0:1], 0x20
	s_cbranch_scc1 .LBB154_5
; %bb.4:
	s_add_u32 s2, s6, s8
	s_addc_u32 s3, s7, s9
	s_load_dword s2, s[2:3], 0x0
	s_waitcnt lgkmcnt(0)
	s_ashr_i32 s3, s2, 31
.LBB154_5:
	s_waitcnt lgkmcnt(0)
	s_cmp_eq_u64 s[4:5], s[2:3]
	s_cbranch_scc1 .LBB154_238
; %bb.6:
	s_load_dwordx16 s[36:51], s[0:1], 0x88
	s_load_dwordx2 s[4:5], s[26:27], 0x0
	s_mov_b32 s3, 0
	s_mov_b32 s62, 0
	v_writelane_b32 v167, s3, 2
	s_waitcnt lgkmcnt(0)
	s_cmp_eq_u64 s[42:43], 0
	s_cbranch_scc1 .LBB154_8
; %bb.7:
	s_ashr_i32 s25, s24, 31
	s_lshl_b64 s[6:7], s[24:25], 2
	s_add_u32 s6, s42, s6
	s_addc_u32 s7, s43, s7
	s_load_dword s3, s[6:7], 0x0
	s_waitcnt lgkmcnt(0)
	v_writelane_b32 v167, s3, 2
.LBB154_8:
	s_cmp_eq_u64 s[48:49], 0
	s_cbranch_scc1 .LBB154_10
; %bb.9:
	s_ashr_i32 s25, s24, 31
	s_lshl_b64 s[6:7], s[24:25], 2
	s_add_u32 s6, s48, s6
	s_addc_u32 s7, s49, s7
	s_load_dword s62, s[6:7], 0x0
.LBB154_10:
	s_sub_i32 s31, s5, s4
	s_cmp_lt_i32 s31, 1
	s_cbranch_scc1 .LBB154_238
; %bb.11:
	s_sub_i32 s3, 0, s28
	s_mul_i32 s3, s3, s30
	s_mul_hi_u32 s3, s30, s3
	s_load_dwordx8 s[8:15], s[0:1], 0x2c
	s_load_dwordx2 s[20:21], s[0:1], 0x5c
	s_load_dwordx4 s[52:55], s[0:1], 0x4c
	s_abs_i32 s5, s24
	s_add_i32 s30, s30, s3
	s_load_dwordx4 s[56:59], s[0:1], 0x7c
	s_load_dwordx2 s[18:19], s[0:1], 0x6c
	s_load_dwordx2 s[26:27], s[0:1], 0xc8
	s_mul_hi_u32 s3, s5, s30
	s_waitcnt lgkmcnt(0)
	s_load_dword s11, s[0:1], 0xc
	s_load_dword s25, s[0:1], 0x28
	s_ashr_i32 s0, s24, 31
	s_ashr_i32 s1, s29, 31
	s_xor_b32 s0, s0, s1
	s_mul_i32 s1, s3, s28
	s_sub_i32 s1, s5, s1
	s_add_i32 s5, s3, 1
	s_sub_i32 s6, s1, s28
	s_cmp_ge_u32 s1, s28
	s_cselect_b32 s3, s5, s3
	s_cselect_b32 s1, s6, s1
	s_add_i32 s5, s3, 1
	s_cmp_ge_u32 s1, s28
	s_cselect_b32 s1, s5, s3
	s_xor_b32 s1, s1, s0
	s_mul_i32 s6, s4, s54
	s_mov_b32 s7, 0
	s_sub_i32 s3, s1, s0
	s_lshl_b64 s[0:1], s[6:7], 2
	s_add_u32 s5, s44, s0
	s_mul_i32 s6, s55, s24
	s_addc_u32 s16, s45, s1
	s_lshl_b64 s[0:1], s[6:7], 2
	s_add_u32 s22, s5, s0
	s_mul_i32 s6, s4, s20
	s_addc_u32 s23, s16, s1
	s_lshl_b64 s[0:1], s[6:7], 2
	s_add_u32 s5, s46, s0
	s_mul_i32 s6, s21, s24
	s_addc_u32 s16, s47, s1
	s_lshl_b64 s[0:1], s[6:7], 2
	s_add_u32 s0, s5, s0
	s_addc_u32 s1, s16, s1
	v_writelane_b32 v167, s0, 3
	s_mul_i32 s6, s8, s24
	v_mbcnt_lo_u32_b32 v2, -1, 0
	v_writelane_b32 v167, s1, 4
	s_lshl_b64 s[0:1], s[6:7], 2
	s_add_u32 s0, s36, s0
	v_writelane_b32 v167, s0, 5
	s_addc_u32 s0, s37, s1
	s_mul_i32 s6, s4, s10
	v_writelane_b32 v167, s0, 6
	s_lshl_b64 s[0:1], s[6:7], 2
	s_add_u32 s5, s38, s0
	s_mul_i32 s6, s3, s13
	s_addc_u32 s8, s39, s1
	s_lshl_b64 s[0:1], s[6:7], 2
	s_add_u32 s16, s5, s0
	s_addc_u32 s17, s8, s1
	s_waitcnt lgkmcnt(0)
	v_writelane_b32 v167, s8, 7
	s_mul_i32 s6, s4, s14
	s_lshl_b64 s[0:1], s[6:7], 2
	v_writelane_b32 v167, s9, 8
	v_writelane_b32 v167, s10, 9
	;; [unrolled: 1-line block ×8, first 2 shown]
	s_add_u32 s5, s40, s0
	s_mul_i32 s6, s3, s53
	v_writelane_b32 v167, s53, 16
	s_addc_u32 s8, s41, s1
	v_writelane_b32 v167, s54, 17
	s_lshl_b64 s[0:1], s[6:7], 2
	v_writelane_b32 v167, s55, 18
	s_add_u32 s12, s5, s0
	s_mul_i32 s6, s2, s56
	s_addc_u32 s13, s8, s1
	s_lshl_b64 s[0:1], s[6:7], 2
	v_writelane_b32 v167, s56, 19
	s_add_u32 s2, s26, s0
	s_mul_i32 s6, s57, s24
	v_writelane_b32 v167, s57, 20
	s_addc_u32 s3, s27, s1
	v_writelane_b32 v167, s58, 21
	s_lshl_b64 s[0:1], s[6:7], 2
	v_writelane_b32 v167, s59, 22
	s_add_u32 s0, s2, s0
	v_writelane_b32 v167, s0, 23
	s_addc_u32 s0, s3, s1
	v_writelane_b32 v167, s0, 24
	s_add_i32 s0, s31, 0x7ff
	s_lshr_b32 s1, s0, 11
	s_bitcmp1_b32 s25, 0
	v_lshlrev_b32_e32 v3, 4, v0
	s_cselect_b64 s[2:3], -1, 0
	v_mbcnt_hi_u32_b32 v2, -1, v2
	v_and_b32_e32 v6, 0x400, v3
	v_writelane_b32 v167, s2, 25
	v_or_b32_e32 v76, v2, v6
	s_cmp_gt_i32 s11, 0
	v_writelane_b32 v167, s3, 26
	v_lshrrev_b32_e32 v4, 5, v76
	v_and_b32_e32 v20, 64, v0
	v_writelane_b32 v167, s11, 27
	s_cselect_b64 s[2:3], -1, 0
	v_add_u32_e32 v5, 64, v76
	v_or_b32_e32 v7, 0x80, v76
	v_add_u32_e32 v8, 0xc0, v76
	v_or_b32_e32 v9, 0x100, v76
	;; [unrolled: 2-line block ×7, first 2 shown]
	v_add_u32_e32 v91, 0x3c0, v76
	v_add_u32_e32 v4, v4, v76
	;; [unrolled: 1-line block ×3, first 2 shown]
	v_writelane_b32 v167, s2, 28
	v_lshl_add_u32 v92, v4, 2, 0
	v_lshrrev_b32_e32 v4, 5, v5
	v_lshrrev_b32_e32 v5, 5, v7
	;; [unrolled: 1-line block ×15, first 2 shown]
	v_lshlrev_b32_e32 v22, 4, v21
	v_bfe_u32 v21, v21, 1, 27
	v_writelane_b32 v167, s3, 29
	v_add_lshl_u32 v4, v4, v76, 2
	v_add_lshl_u32 v5, v5, v76, 2
	;; [unrolled: 1-line block ×16, first 2 shown]
	s_add_i32 s0, 0, 0x2100
	v_writelane_b32 v167, s31, 30
	v_add_u32_e32 v109, s0, v4
	v_add_u32_e32 v110, s0, v5
	;; [unrolled: 1-line block ×16, first 2 shown]
	v_writelane_b32 v167, s1, 31
	s_add_i32 s0, s1, -1
	s_mul_i32 s6, s4, s18
	s_and_b32 s5, s31, 0x7ff
	v_writelane_b32 v167, s0, 32
	s_lshl_b64 s[0:1], s[6:7], 2
	s_add_u32 s2, s50, s0
	s_mul_i32 s6, s19, s24
	s_addc_u32 s3, s51, s1
	s_lshl_b64 s[0:1], s[6:7], 2
	s_add_u32 s2, s2, s0
	s_addc_u32 s3, s3, s1
	s_cmp_eq_u32 s5, 0
	s_cselect_b64 s[0:1], -1, 0
	v_add_u32_e32 v93, 0, v4
	v_writelane_b32 v167, s0, 33
	v_and_b32_e32 v4, 15, v2
	v_cmp_lt_u32_e64 s[4:5], 1, v4
	v_writelane_b32 v167, s1, 34
	v_cmp_eq_u32_e64 s[0:1], 0, v4
	v_writelane_b32 v167, s4, 35
	v_add_u32_e32 v94, 0, v5
	v_and_b32_e32 v5, 64, v2
	v_writelane_b32 v167, s5, 36
	v_cmp_lt_u32_e64 s[4:5], 3, v4
	s_mov_b64 s[8:9], s[22:23]
	v_mov_b32_e32 v1, 0
	v_writelane_b32 v167, s4, 37
	v_lshl_add_u32 v126, v0, 3, 0
	v_cmp_lt_u32_e64 s[20:21], 63, v0
	v_writelane_b32 v167, s5, 38
	v_cmp_lt_u32_e64 s[4:5], 7, v4
	v_and_b32_e32 v4, 16, v2
	v_cmp_eq_u32_e64 s[22:23], 0, v0
	v_writelane_b32 v167, s4, 39
	v_add_u32_e32 v95, 0, v7
	v_add_u32_e32 v96, 0, v8
	v_writelane_b32 v167, s5, 40
	v_cmp_ne_u32_e64 s[4:5], 0, v4
	v_or_b32_e32 v4, 63, v20
	v_add_u32_e32 v97, 0, v9
	v_writelane_b32 v167, s4, 41
	v_add_u32_e32 v98, 0, v10
	v_add_u32_e32 v99, 0, v11
	v_writelane_b32 v167, s5, 42
	v_cmp_lt_u32_e64 s[4:5], 31, v2
	v_add_u32_e32 v100, 0, v12
	v_add_u32_e32 v101, 0, v13
	v_writelane_b32 v167, s4, 43
	v_add_u32_e32 v102, 0, v14
	v_add_u32_e32 v103, 0, v15
	v_writelane_b32 v167, s5, 44
	v_cmp_eq_u32_e64 s[4:5], v4, v0
	v_lshrrev_b32_e32 v4, 3, v0
	v_and_b32_e32 v4, 8, v4
	v_writelane_b32 v167, s4, 45
	v_add_u32_e32 v125, 0, v4
	v_and_b32_e32 v4, 1, v2
	v_writelane_b32 v167, s5, 46
	v_cmp_gt_u32_e64 s[4:5], 2, v0
	v_add_u32_e32 v104, 0, v16
	v_add_u32_e32 v105, 0, v17
	v_writelane_b32 v167, s4, 47
	v_add_u32_e32 v106, 0, v18
	v_add_u32_e32 v107, 0, v19
	v_writelane_b32 v167, s5, 48
	v_cmp_eq_u32_e64 s[4:5], 0, v4
	v_add_u32_e32 v4, -1, v2
	v_cmp_lt_i32_e32 vcc, v4, v5
	v_writelane_b32 v167, s4, 49
	v_add_u32_e32 v108, 0, v21
	v_cndmask_b32_e32 v4, v4, v2, vcc
	v_writelane_b32 v167, s5, 50
	v_cmp_gt_u32_e64 s[4:5], 64, v0
	v_lshlrev_b32_e32 v0, 2, v2
	v_lshlrev_b32_e32 v127, 2, v4
	v_writelane_b32 v167, s4, 51
	v_lshl_add_u64 v[4:5], s[2:3], 0, v[0:1]
	s_add_i32 s2, 0, 0x4210
	v_writelane_b32 v167, s5, 52
	v_lshlrev_b32_e32 v0, 2, v6
	v_writelane_b32 v167, s2, 53
	v_cmp_eq_u32_e64 s[24:25], 0, v2
	v_lshl_add_u64 v[4:5], v[4:5], 0, v[0:1]
	v_lshlrev_b32_e32 v6, 2, v6
	s_mov_b32 s33, 0xc2fc0000
	s_mov_b32 s10, 0
	v_mov_b32_e32 v143, 0x3ecc95a3
	v_mov_b32_e32 v144, 0x7f800000
	;; [unrolled: 1-line block ×5, first 2 shown]
	v_writelane_b32 v167, s62, 54
                                        ; implicit-def: $vgpr0
	s_branch .LBB154_13
.LBB154_12:                             ;   in Loop: Header=BB154_13 Depth=1
	s_or_b64 exec, exec, s[2:3]
	v_readlane_b32 s2, v167, 3
	v_readlane_b32 s3, v167, 4
	s_add_u32 s2, s2, 0x2000
	s_addc_u32 s3, s3, 0
	s_add_u32 s8, s8, 0x2000
	s_addc_u32 s9, s9, 0
	s_add_u32 s16, s16, 0x2000
	v_writelane_b32 v167, s2, 3
	s_addc_u32 s17, s17, 0
	s_add_u32 s12, s12, 0x2000
	v_writelane_b32 v167, s3, 4
	s_addc_u32 s13, s13, 0
	s_add_i32 s10, s10, 1
	v_readlane_b32 s2, v167, 31
	s_cmp_eq_u32 s10, s2
	s_cbranch_scc1 .LBB154_238
.LBB154_13:                             ; =>This Loop Header: Depth=1
                                        ;     Child Loop BB154_110 Depth 2
	s_lshl_b32 s6, s10, 11
	s_mov_b32 s4, s6
	v_readlane_b32 s2, v167, 30
	v_writelane_b32 v167, s4, 55
	s_waitcnt lgkmcnt(0)
	v_lshlrev_b32_e32 v0, 2, v2
	s_sub_i32 s88, s2, s6
	v_writelane_b32 v167, s5, 56
	v_writelane_b32 v167, s8, 57
	v_mov_b32_e32 v7, v1
	v_cmp_gt_u32_e64 s[26:27], s88, v76
	v_lshl_add_u64 v[10:11], s[8:9], 0, v[0:1]
	v_writelane_b32 v167, s9, 58
	v_lshl_add_u64 v[10:11], v[10:11], 0, v[6:7]
	v_mov_b32_e32 v7, 0
	s_barrier
	s_and_saveexec_b64 s[2:3], s[26:27]
	s_cbranch_execz .LBB154_15
; %bb.14:                               ;   in Loop: Header=BB154_13 Depth=1
	global_load_dword v7, v[10:11], off
.LBB154_15:                             ;   in Loop: Header=BB154_13 Depth=1
	s_or_b64 exec, exec, s[2:3]
	v_add_u32_e32 v9, 64, v76
	v_cmp_gt_u32_e64 s[28:29], s88, v9
	v_mov_b32_e32 v12, 0
	v_mov_b32_e32 v13, 0
	s_and_saveexec_b64 s[2:3], s[28:29]
	s_cbranch_execz .LBB154_17
; %bb.16:                               ;   in Loop: Header=BB154_13 Depth=1
	global_load_dword v13, v[10:11], off offset:256
.LBB154_17:                             ;   in Loop: Header=BB154_13 Depth=1
	s_or_b64 exec, exec, s[2:3]
	v_or_b32_e32 v9, 0x80, v76
	v_cmp_gt_u32_e64 s[30:31], s88, v9
	s_and_saveexec_b64 s[2:3], s[30:31]
	s_cbranch_execz .LBB154_19
; %bb.18:                               ;   in Loop: Header=BB154_13 Depth=1
	global_load_dword v12, v[10:11], off offset:512
.LBB154_19:                             ;   in Loop: Header=BB154_13 Depth=1
	s_or_b64 exec, exec, s[2:3]
	v_add_u32_e32 v9, 0xc0, v76
	v_cmp_gt_u32_e64 s[34:35], s88, v9
	v_mov_b32_e32 v14, 0
	v_mov_b32_e32 v15, 0
	s_and_saveexec_b64 s[2:3], s[34:35]
	s_cbranch_execz .LBB154_21
; %bb.20:                               ;   in Loop: Header=BB154_13 Depth=1
	global_load_dword v15, v[10:11], off offset:768
.LBB154_21:                             ;   in Loop: Header=BB154_13 Depth=1
	s_or_b64 exec, exec, s[2:3]
	v_or_b32_e32 v9, 0x100, v76
	v_cmp_gt_u32_e64 s[36:37], s88, v9
	s_and_saveexec_b64 s[2:3], s[36:37]
	s_cbranch_execz .LBB154_23
; %bb.22:                               ;   in Loop: Header=BB154_13 Depth=1
	global_load_dword v14, v[10:11], off offset:1024
.LBB154_23:                             ;   in Loop: Header=BB154_13 Depth=1
	;; [unrolled: 18-line block ×3, first 2 shown]
	s_or_b64 exec, exec, s[2:3]
	v_add_u32_e32 v9, 0x1c0, v76
	v_cmp_gt_u32_e64 s[42:43], s88, v9
	v_mov_b32_e32 v18, 0
	v_mov_b32_e32 v19, 0
	s_and_saveexec_b64 s[2:3], s[42:43]
	s_cbranch_execz .LBB154_29
; %bb.28:                               ;   in Loop: Header=BB154_13 Depth=1
	global_load_dword v19, v[10:11], off offset:1792
.LBB154_29:                             ;   in Loop: Header=BB154_13 Depth=1
	s_or_b64 exec, exec, s[2:3]
	v_cmp_gt_u32_e64 s[44:45], s88, v84
	s_and_saveexec_b64 s[2:3], s[44:45]
	s_cbranch_execz .LBB154_31
; %bb.30:                               ;   in Loop: Header=BB154_13 Depth=1
	global_load_dword v18, v[10:11], off offset:2048
.LBB154_31:                             ;   in Loop: Header=BB154_13 Depth=1
	s_or_b64 exec, exec, s[2:3]
	v_cmp_gt_u32_e64 s[46:47], s88, v85
	v_mov_b32_e32 v20, 0
	v_mov_b32_e32 v21, 0
	s_and_saveexec_b64 s[2:3], s[46:47]
	s_cbranch_execz .LBB154_33
; %bb.32:                               ;   in Loop: Header=BB154_13 Depth=1
	global_load_dword v21, v[10:11], off offset:2304
.LBB154_33:                             ;   in Loop: Header=BB154_13 Depth=1
	s_or_b64 exec, exec, s[2:3]
	v_cmp_gt_u32_e64 s[48:49], s88, v86
	s_and_saveexec_b64 s[2:3], s[48:49]
	s_cbranch_execz .LBB154_35
; %bb.34:                               ;   in Loop: Header=BB154_13 Depth=1
	global_load_dword v20, v[10:11], off offset:2560
.LBB154_35:                             ;   in Loop: Header=BB154_13 Depth=1
	s_or_b64 exec, exec, s[2:3]
	;; [unrolled: 16-line block ×4, first 2 shown]
	v_cmp_gt_u32_e64 s[58:59], s88, v91
	v_mov_b32_e32 v9, 0
	v_mov_b32_e32 v26, 0
	s_and_saveexec_b64 s[2:3], s[58:59]
	s_cbranch_execz .LBB154_45
; %bb.44:                               ;   in Loop: Header=BB154_13 Depth=1
	global_load_dword v26, v[10:11], off offset:3840
.LBB154_45:                             ;   in Loop: Header=BB154_13 Depth=1
	s_or_b64 exec, exec, s[2:3]
	s_waitcnt vmcnt(0)
	ds_write_b32 v92, v7
	ds_write_b32 v93, v13 offset:256
	ds_write_b32 v94, v12 offset:512
	;; [unrolled: 1-line block ×15, first 2 shown]
	; wave barrier
	ds_read2_b32 v[10:11], v108 offset1:1
	ds_read2_b32 v[12:13], v108 offset0:2 offset1:3
	ds_read2_b32 v[14:15], v108 offset0:4 offset1:5
	;; [unrolled: 1-line block ×7, first 2 shown]
	v_readlane_b32 s2, v167, 3
	v_readlane_b32 s3, v167, 4
	v_mov_b32_e32 v7, v1
	s_waitcnt lgkmcnt(0)
	v_lshl_add_u64 v[26:27], s[2:3], 0, v[0:1]
	v_lshl_add_u64 v[26:27], v[26:27], 0, v[6:7]
	s_barrier
	s_and_saveexec_b64 s[2:3], s[26:27]
	s_cbranch_execz .LBB154_47
; %bb.46:                               ;   in Loop: Header=BB154_13 Depth=1
	global_load_dword v9, v[26:27], off
.LBB154_47:                             ;   in Loop: Header=BB154_13 Depth=1
	s_or_b64 exec, exec, s[2:3]
	v_mov_b32_e32 v7, 0
	v_mov_b32_e32 v28, 0
	s_and_saveexec_b64 s[2:3], s[28:29]
	s_cbranch_execz .LBB154_49
; %bb.48:                               ;   in Loop: Header=BB154_13 Depth=1
	global_load_dword v28, v[26:27], off offset:256
.LBB154_49:                             ;   in Loop: Header=BB154_13 Depth=1
	s_or_b64 exec, exec, s[2:3]
	s_and_saveexec_b64 s[2:3], s[30:31]
	s_cbranch_execz .LBB154_51
; %bb.50:                               ;   in Loop: Header=BB154_13 Depth=1
	global_load_dword v7, v[26:27], off offset:512
.LBB154_51:                             ;   in Loop: Header=BB154_13 Depth=1
	s_or_b64 exec, exec, s[2:3]
	v_mov_b32_e32 v29, 0
	v_mov_b32_e32 v30, 0
	s_and_saveexec_b64 s[2:3], s[34:35]
	s_cbranch_execz .LBB154_53
; %bb.52:                               ;   in Loop: Header=BB154_13 Depth=1
	global_load_dword v30, v[26:27], off offset:768
.LBB154_53:                             ;   in Loop: Header=BB154_13 Depth=1
	s_or_b64 exec, exec, s[2:3]
	s_and_saveexec_b64 s[2:3], s[36:37]
	s_cbranch_execz .LBB154_55
; %bb.54:                               ;   in Loop: Header=BB154_13 Depth=1
	global_load_dword v29, v[26:27], off offset:1024
.LBB154_55:                             ;   in Loop: Header=BB154_13 Depth=1
	;; [unrolled: 14-line block ×6, first 2 shown]
	s_or_b64 exec, exec, s[2:3]
	v_mov_b32_e32 v39, 0
	v_mov_b32_e32 v40, 0
	s_and_saveexec_b64 s[2:3], s[54:55]
	s_cbranch_execnz .LBB154_221
; %bb.72:                               ;   in Loop: Header=BB154_13 Depth=1
	s_or_b64 exec, exec, s[2:3]
	s_and_saveexec_b64 s[2:3], s[56:57]
	s_cbranch_execnz .LBB154_222
.LBB154_73:                             ;   in Loop: Header=BB154_13 Depth=1
	s_or_b64 exec, exec, s[2:3]
	v_mov_b32_e32 v41, 0
	s_and_saveexec_b64 s[2:3], s[58:59]
	s_cbranch_execz .LBB154_75
.LBB154_74:                             ;   in Loop: Header=BB154_13 Depth=1
	global_load_dword v41, v[26:27], off offset:3840
.LBB154_75:                             ;   in Loop: Header=BB154_13 Depth=1
	s_or_b64 exec, exec, s[2:3]
	s_waitcnt vmcnt(0)
	ds_write_b32 v92, v9
	ds_write_b32 v93, v28 offset:256
	ds_write_b32 v94, v7 offset:512
	;; [unrolled: 1-line block ×15, first 2 shown]
	; wave barrier
	ds_read2_b32 v[40:41], v108 offset1:1
	ds_read2_b32 v[38:39], v108 offset0:2 offset1:3
	ds_read2_b32 v[36:37], v108 offset0:4 offset1:5
	;; [unrolled: 1-line block ×7, first 2 shown]
	s_waitcnt lgkmcnt(7)
	v_add_f32_e32 v147, s62, v40
	s_mov_b32 s2, 0x41a00000
	v_cmp_ge_f32_e32 vcc, s2, v147
	v_readlane_b32 s2, v167, 25
	v_readlane_b32 s3, v167, 26
	s_and_b64 s[2:3], s[2:3], vcc
	s_and_saveexec_b64 s[4:5], s[2:3]
	s_cbranch_execz .LBB154_77
; %bb.76:                               ;   in Loop: Header=BB154_13 Depth=1
	v_mul_f32_e32 v7, 0x3fb8aa3b, v147
	v_rndne_f32_e32 v9, v7
	s_mov_b32 s2, 0x3fb8aa3b
	v_sub_f32_e32 v40, v7, v9
	v_fma_f32 v7, v147, s2, -v7
	v_fmac_f32_e32 v7, 0x32a5705f, v147
	v_add_f32_e32 v7, v40, v7
	v_cvt_i32_f32_e32 v9, v9
	v_exp_f32_e32 v7, v7
	s_mov_b32 s2, 0xc2ce8ed0
	v_cmp_ngt_f32_e32 vcc, s2, v147
	s_mov_b32 s2, 0x42b17218
	v_ldexp_f32 v7, v7, v9
	v_cndmask_b32_e32 v7, 0, v7, vcc
	v_cmp_nlt_f32_e32 vcc, s2, v147
	s_mov_b32 s2, 0x3f2aaaab
	s_nop 0
	v_cndmask_b32_e32 v56, v144, v7, vcc
	v_add_f32_e32 v7, 1.0, v56
	v_add_f32_e32 v9, -1.0, v7
	v_sub_f32_e32 v40, v9, v7
	v_add_f32_e32 v40, 1.0, v40
	v_sub_f32_e32 v9, v56, v9
	v_add_f32_e32 v9, v9, v40
	v_frexp_mant_f32_e32 v40, v7
	v_cvt_f64_f32_e32 v[42:43], v7
	v_frexp_exp_i32_f64_e32 v42, v[42:43]
	v_cmp_gt_f32_e32 vcc, s2, v40
	s_mov_b32 s2, 0x3f317218
	s_nop 0
	v_subbrev_co_u32_e32 v40, vcc, 0, v42, vcc
	v_sub_u32_e32 v42, 0, v40
	v_ldexp_f32 v7, v7, v42
	v_ldexp_f32 v9, v9, v42
	v_add_f32_e32 v42, -1.0, v7
	v_add_f32_e32 v43, 1.0, v42
	v_sub_f32_e32 v43, v7, v43
	v_add_f32_e32 v44, v9, v43
	v_add_f32_e32 v43, 1.0, v7
	v_add_f32_e32 v45, -1.0, v43
	v_sub_f32_e32 v7, v7, v45
	v_add_f32_e32 v7, v9, v7
	v_add_f32_e32 v9, v43, v7
	v_rcp_f32_e32 v50, v9
	v_sub_f32_e32 v43, v43, v9
	v_add_f32_e32 v7, v7, v43
	v_add_f32_e32 v43, v42, v44
	v_sub_f32_e32 v42, v42, v43
	v_mul_f32_e32 v52, v43, v50
	v_add_f32_e32 v51, v44, v42
	v_mul_f32_e32 v44, v9, v52
	v_fma_f32 v46, v52, v9, -v44
	v_fmac_f32_e32 v46, v52, v7
	v_add_f32_e32 v42, v44, v46
	v_sub_f32_e32 v45, v43, v42
	v_pk_add_f32 v[48:49], v[42:43], v[44:45] neg_lo:[0,1] neg_hi:[0,1]
	v_mov_b32_e32 v47, v42
	v_pk_add_f32 v[42:43], v[48:49], v[46:47] neg_lo:[0,1] neg_hi:[0,1]
	s_nop 0
	v_add_f32_e32 v43, v51, v43
	v_add_f32_e32 v42, v42, v43
	;; [unrolled: 1-line block ×3, first 2 shown]
	v_mul_f32_e32 v51, v50, v43
	v_mul_f32_e32 v44, v9, v51
	v_fma_f32 v46, v51, v9, -v44
	v_fmac_f32_e32 v46, v51, v7
	v_sub_f32_e32 v7, v45, v43
	v_add_f32_e32 v7, v42, v7
	v_add_f32_e32 v42, v44, v46
	v_sub_f32_e32 v45, v43, v42
	v_pk_add_f32 v[48:49], v[42:43], v[44:45] neg_lo:[0,1] neg_hi:[0,1]
	v_mov_b32_e32 v47, v42
	v_pk_add_f32 v[42:43], v[48:49], v[46:47] neg_lo:[0,1] neg_hi:[0,1]
	s_nop 0
	v_add_f32_e32 v7, v7, v43
	v_add_f32_e32 v7, v42, v7
	;; [unrolled: 1-line block ×4, first 2 shown]
	v_sub_f32_e32 v9, v43, v52
	v_mul_f32_e32 v7, v50, v7
	v_sub_f32_e32 v9, v51, v9
	v_add_f32_e32 v7, v9, v7
	v_add_f32_e32 v44, v43, v7
	v_cvt_f32_i32_e32 v42, v40
	v_mul_f32_e32 v46, v44, v44
	v_fmamk_f32 v9, v46, 0x3e9b6dac, v143
	v_fmaak_f32 v9, v46, v9, 0x3f2aaada
	v_sub_f32_e32 v40, v44, v43
	v_mul_f32_e32 v43, v44, v46
	v_pk_mul_f32 v[46:47], v[42:43], v[8:9]
	v_ldexp_f32 v45, v44, 1
	v_fma_f32 v44, v42, s2, -v46
	v_fmac_f32_e32 v44, 0xb102e308, v42
	v_pk_add_f32 v[42:43], v[46:47], v[44:45]
	v_sub_f32_e32 v7, v7, v40
	v_sub_f32_e32 v9, v43, v45
	v_ldexp_f32 v7, v7, 1
	v_sub_f32_e32 v9, v47, v9
	v_add_f32_e32 v49, v7, v9
	v_mov_b32_e32 v48, v46
	v_pk_add_f32 v[46:47], v[42:43], v[46:47] neg_lo:[0,1] neg_hi:[0,1]
	v_pk_add_f32 v[50:51], v[42:43], v[48:49]
	v_mov_b32_e32 v45, v42
	v_mov_b32_e32 v47, v51
	v_pk_add_f32 v[52:53], v[44:45], v[46:47] neg_lo:[0,1] neg_hi:[0,1]
	v_pk_add_f32 v[44:45], v[44:45], v[46:47]
	s_mov_b32 s2, 0x7f800000
	v_mov_b32_e32 v40, v45
	v_pk_add_f32 v[46:47], v[40:41], v[42:43] neg_lo:[0,1] neg_hi:[0,1]
	v_mov_b32_e32 v44, v51
	v_mov_b32_e32 v7, v46
	v_pk_add_f32 v[54:55], v[50:51], v[6:7] neg_lo:[0,1] neg_hi:[0,1]
	v_mov_b32_e32 v50, v43
	v_mov_b32_e32 v51, v46
	;; [unrolled: 1-line block ×3, first 2 shown]
	v_pk_add_f32 v[44:45], v[44:45], v[50:51] neg_lo:[0,1] neg_hi:[0,1]
	v_mov_b32_e32 v46, v49
	v_mov_b32_e32 v47, v42
	v_pk_add_f32 v[42:43], v[46:47], v[44:45] neg_lo:[0,1] neg_hi:[0,1]
	v_mov_b32_e32 v54, v52
	v_pk_add_f32 v[44:45], v[54:55], v[42:43]
	v_cmp_eq_f32_e32 vcc, s2, v56
	v_mov_b32_e32 v46, v45
	v_pk_add_f32 v[46:47], v[44:45], v[46:47]
	s_mov_b32 s2, 0x33800000
	v_pk_add_f32 v[48:49], v[40:41], v[46:47]
	v_mov_b32_e32 v43, v46
	v_mov_b32_e32 v45, v48
	v_pk_add_f32 v[50:51], v[44:45], v[52:53] neg_lo:[0,1] neg_hi:[0,1]
	v_cmp_gt_f32_e64 s[60:61], s2, v56
	v_sub_f32_e32 v7, v44, v50
	v_pk_add_f32 v[42:43], v[42:43], v[50:51] neg_lo:[0,1] neg_hi:[0,1]
	v_sub_f32_e32 v7, v52, v7
	v_add_f32_e32 v7, v42, v7
	v_add_f32_e32 v7, v7, v43
	;; [unrolled: 1-line block ×3, first 2 shown]
	s_or_b64 vcc, s[60:61], vcc
	v_cndmask_b32_e32 v147, v7, v56, vcc
.LBB154_77:                             ;   in Loop: Header=BB154_13 Depth=1
	s_or_b64 exec, exec, s[4:5]
	v_add_f32_e32 v148, s62, v41
	s_mov_b32 s2, 0x41a00000
	v_cmp_ge_f32_e32 vcc, s2, v148
	v_readlane_b32 s2, v167, 25
	v_readlane_b32 s3, v167, 26
	s_and_b64 s[2:3], s[2:3], vcc
	s_and_saveexec_b64 s[4:5], s[2:3]
	s_cbranch_execz .LBB154_79
; %bb.78:                               ;   in Loop: Header=BB154_13 Depth=1
	v_mul_f32_e32 v7, 0x3fb8aa3b, v148
	v_rndne_f32_e32 v9, v7
	s_mov_b32 s2, 0x3fb8aa3b
	v_sub_f32_e32 v40, v7, v9
	v_fma_f32 v7, v148, s2, -v7
	v_fmac_f32_e32 v7, 0x32a5705f, v148
	v_add_f32_e32 v7, v40, v7
	v_cvt_i32_f32_e32 v9, v9
	v_exp_f32_e32 v7, v7
	s_mov_b32 s2, 0xc2ce8ed0
	v_cmp_ngt_f32_e32 vcc, s2, v148
	s_mov_b32 s2, 0x42b17218
	v_ldexp_f32 v7, v7, v9
	v_cndmask_b32_e32 v7, 0, v7, vcc
	v_cmp_nlt_f32_e32 vcc, s2, v148
	s_mov_b32 s2, 0x3f2aaaab
	s_nop 0
	v_cndmask_b32_e32 v56, v144, v7, vcc
	v_add_f32_e32 v7, 1.0, v56
	v_add_f32_e32 v9, -1.0, v7
	v_sub_f32_e32 v40, v9, v7
	v_add_f32_e32 v40, 1.0, v40
	v_sub_f32_e32 v9, v56, v9
	v_add_f32_e32 v9, v9, v40
	v_frexp_mant_f32_e32 v42, v7
	v_cvt_f64_f32_e32 v[40:41], v7
	v_frexp_exp_i32_f64_e32 v40, v[40:41]
	v_cmp_gt_f32_e32 vcc, s2, v42
	s_mov_b32 s2, 0x3f317218
	s_nop 0
	v_subbrev_co_u32_e32 v48, vcc, 0, v40, vcc
	v_sub_u32_e32 v40, 0, v48
	v_ldexp_f32 v7, v7, v40
	v_ldexp_f32 v9, v9, v40
	v_add_f32_e32 v40, -1.0, v7
	v_add_f32_e32 v41, 1.0, v40
	v_sub_f32_e32 v41, v7, v41
	v_add_f32_e32 v42, v9, v41
	v_add_f32_e32 v41, 1.0, v7
	v_add_f32_e32 v43, -1.0, v41
	v_sub_f32_e32 v7, v7, v43
	v_add_f32_e32 v7, v9, v7
	v_add_f32_e32 v9, v41, v7
	v_rcp_f32_e32 v49, v9
	v_sub_f32_e32 v41, v41, v9
	v_add_f32_e32 v7, v7, v41
	v_add_f32_e32 v41, v40, v42
	v_sub_f32_e32 v40, v40, v41
	v_mul_f32_e32 v51, v41, v49
	v_add_f32_e32 v50, v42, v40
	v_mul_f32_e32 v42, v9, v51
	v_fma_f32 v44, v51, v9, -v42
	v_fmac_f32_e32 v44, v51, v7
	v_add_f32_e32 v40, v42, v44
	v_sub_f32_e32 v43, v41, v40
	v_pk_add_f32 v[46:47], v[40:41], v[42:43] neg_lo:[0,1] neg_hi:[0,1]
	v_mov_b32_e32 v45, v40
	v_pk_add_f32 v[40:41], v[46:47], v[44:45] neg_lo:[0,1] neg_hi:[0,1]
	s_nop 0
	v_add_f32_e32 v41, v50, v41
	v_add_f32_e32 v40, v40, v41
	;; [unrolled: 1-line block ×3, first 2 shown]
	v_mul_f32_e32 v50, v49, v41
	v_mul_f32_e32 v42, v9, v50
	v_fma_f32 v44, v50, v9, -v42
	v_fmac_f32_e32 v44, v50, v7
	v_sub_f32_e32 v7, v43, v41
	v_add_f32_e32 v7, v40, v7
	v_add_f32_e32 v40, v42, v44
	v_sub_f32_e32 v43, v41, v40
	v_pk_add_f32 v[46:47], v[40:41], v[42:43] neg_lo:[0,1] neg_hi:[0,1]
	v_mov_b32_e32 v45, v40
	v_pk_add_f32 v[40:41], v[46:47], v[44:45] neg_lo:[0,1] neg_hi:[0,1]
	s_nop 0
	v_add_f32_e32 v7, v7, v41
	v_add_f32_e32 v7, v40, v7
	;; [unrolled: 1-line block ×4, first 2 shown]
	v_sub_f32_e32 v9, v41, v51
	v_mul_f32_e32 v7, v49, v7
	v_sub_f32_e32 v9, v50, v9
	v_add_f32_e32 v7, v9, v7
	v_add_f32_e32 v42, v41, v7
	v_cvt_f32_i32_e32 v40, v48
	v_mul_f32_e32 v44, v42, v42
	v_fmamk_f32 v9, v44, 0x3e9b6dac, v143
	v_sub_f32_e32 v41, v42, v41
	v_fmaak_f32 v9, v44, v9, 0x3f2aaada
	v_sub_f32_e32 v7, v7, v41
	v_mul_f32_e32 v41, v42, v44
	v_pk_mul_f32 v[44:45], v[40:41], v[8:9]
	v_ldexp_f32 v43, v42, 1
	v_fma_f32 v42, v40, s2, -v44
	v_fmac_f32_e32 v42, 0xb102e308, v40
	v_pk_add_f32 v[40:41], v[44:45], v[42:43]
	v_ldexp_f32 v7, v7, 1
	v_sub_f32_e32 v9, v41, v43
	v_sub_f32_e32 v9, v45, v9
	v_add_f32_e32 v47, v7, v9
	v_mov_b32_e32 v46, v44
	v_pk_add_f32 v[44:45], v[40:41], v[44:45] neg_lo:[0,1] neg_hi:[0,1]
	v_pk_add_f32 v[48:49], v[40:41], v[46:47]
	v_mov_b32_e32 v43, v40
	v_mov_b32_e32 v45, v49
	v_pk_add_f32 v[50:51], v[42:43], v[44:45] neg_lo:[0,1] neg_hi:[0,1]
	v_pk_add_f32 v[42:43], v[42:43], v[44:45]
	v_mov_b32_e32 v46, v47
	v_mov_b32_e32 v44, v43
	v_pk_add_f32 v[52:53], v[44:45], v[40:41] neg_lo:[0,1] neg_hi:[0,1]
	v_mov_b32_e32 v42, v49
	v_mov_b32_e32 v7, v52
	v_pk_add_f32 v[54:55], v[48:49], v[6:7] neg_lo:[0,1] neg_hi:[0,1]
	v_mov_b32_e32 v48, v41
	v_mov_b32_e32 v49, v52
	v_mov_b32_e32 v51, v43
	v_pk_add_f32 v[42:43], v[42:43], v[48:49] neg_lo:[0,1] neg_hi:[0,1]
	v_mov_b32_e32 v47, v40
	v_pk_add_f32 v[40:41], v[46:47], v[42:43] neg_lo:[0,1] neg_hi:[0,1]
	v_mov_b32_e32 v54, v50
	v_pk_add_f32 v[42:43], v[54:55], v[40:41]
	s_mov_b32 s2, 0x7f800000
	v_mov_b32_e32 v46, v43
	v_pk_add_f32 v[46:47], v[42:43], v[46:47]
	v_cmp_eq_f32_e32 vcc, s2, v56
	v_pk_add_f32 v[44:45], v[44:45], v[46:47]
	v_mov_b32_e32 v41, v46
	v_mov_b32_e32 v43, v44
	v_pk_add_f32 v[48:49], v[42:43], v[50:51] neg_lo:[0,1] neg_hi:[0,1]
	s_mov_b32 s2, 0x33800000
	v_sub_f32_e32 v7, v42, v48
	v_pk_add_f32 v[40:41], v[40:41], v[48:49] neg_lo:[0,1] neg_hi:[0,1]
	v_sub_f32_e32 v7, v50, v7
	v_add_f32_e32 v7, v40, v7
	v_add_f32_e32 v7, v7, v41
	v_cmp_gt_f32_e64 s[60:61], s2, v56
	v_add_f32_e32 v7, v44, v7
	s_or_b64 vcc, s[60:61], vcc
	v_cndmask_b32_e32 v148, v7, v56, vcc
.LBB154_79:                             ;   in Loop: Header=BB154_13 Depth=1
	s_or_b64 exec, exec, s[4:5]
	s_waitcnt lgkmcnt(6)
	v_add_f32_e32 v149, s62, v38
	s_mov_b32 s2, 0x41a00000
	v_cmp_ge_f32_e32 vcc, s2, v149
	v_readlane_b32 s2, v167, 25
	v_readlane_b32 s3, v167, 26
	s_and_b64 s[2:3], s[2:3], vcc
	s_and_saveexec_b64 s[4:5], s[2:3]
	s_cbranch_execz .LBB154_81
; %bb.80:                               ;   in Loop: Header=BB154_13 Depth=1
	v_mul_f32_e32 v7, 0x3fb8aa3b, v149
	v_rndne_f32_e32 v9, v7
	s_mov_b32 s2, 0x3fb8aa3b
	v_sub_f32_e32 v38, v7, v9
	v_fma_f32 v7, v149, s2, -v7
	v_fmac_f32_e32 v7, 0x32a5705f, v149
	v_add_f32_e32 v7, v38, v7
	v_cvt_i32_f32_e32 v9, v9
	v_exp_f32_e32 v7, v7
	s_mov_b32 s2, 0xc2ce8ed0
	v_cmp_ngt_f32_e32 vcc, s2, v149
	s_mov_b32 s2, 0x42b17218
	v_ldexp_f32 v7, v7, v9
	v_cndmask_b32_e32 v7, 0, v7, vcc
	v_cmp_nlt_f32_e32 vcc, s2, v149
	s_mov_b32 s2, 0x3f2aaaab
	s_nop 0
	v_cndmask_b32_e32 v54, v144, v7, vcc
	v_add_f32_e32 v7, 1.0, v54
	v_add_f32_e32 v9, -1.0, v7
	v_sub_f32_e32 v38, v9, v7
	v_add_f32_e32 v38, 1.0, v38
	v_sub_f32_e32 v9, v54, v9
	v_add_f32_e32 v9, v9, v38
	v_frexp_mant_f32_e32 v38, v7
	v_cvt_f64_f32_e32 v[40:41], v7
	v_frexp_exp_i32_f64_e32 v40, v[40:41]
	v_cmp_gt_f32_e32 vcc, s2, v38
	s_mov_b32 s2, 0x3f317218
	s_nop 0
	v_subbrev_co_u32_e32 v38, vcc, 0, v40, vcc
	v_sub_u32_e32 v40, 0, v38
	v_ldexp_f32 v7, v7, v40
	v_ldexp_f32 v9, v9, v40
	v_add_f32_e32 v40, -1.0, v7
	v_add_f32_e32 v41, 1.0, v40
	v_sub_f32_e32 v41, v7, v41
	v_add_f32_e32 v42, v9, v41
	v_add_f32_e32 v41, 1.0, v7
	v_add_f32_e32 v43, -1.0, v41
	v_sub_f32_e32 v7, v7, v43
	v_add_f32_e32 v7, v9, v7
	v_add_f32_e32 v9, v41, v7
	v_rcp_f32_e32 v48, v9
	v_sub_f32_e32 v41, v41, v9
	v_add_f32_e32 v7, v7, v41
	v_add_f32_e32 v41, v40, v42
	v_sub_f32_e32 v40, v40, v41
	v_mul_f32_e32 v50, v41, v48
	v_add_f32_e32 v49, v42, v40
	v_mul_f32_e32 v42, v9, v50
	v_fma_f32 v44, v50, v9, -v42
	v_fmac_f32_e32 v44, v50, v7
	v_add_f32_e32 v40, v42, v44
	v_sub_f32_e32 v43, v41, v40
	v_pk_add_f32 v[46:47], v[40:41], v[42:43] neg_lo:[0,1] neg_hi:[0,1]
	v_mov_b32_e32 v45, v40
	v_pk_add_f32 v[40:41], v[46:47], v[44:45] neg_lo:[0,1] neg_hi:[0,1]
	s_nop 0
	v_add_f32_e32 v41, v49, v41
	v_add_f32_e32 v40, v40, v41
	v_add_f32_e32 v41, v43, v40
	v_mul_f32_e32 v49, v48, v41
	v_mul_f32_e32 v42, v9, v49
	v_fma_f32 v44, v49, v9, -v42
	v_fmac_f32_e32 v44, v49, v7
	v_sub_f32_e32 v7, v43, v41
	v_add_f32_e32 v7, v40, v7
	v_add_f32_e32 v40, v42, v44
	v_sub_f32_e32 v43, v41, v40
	v_pk_add_f32 v[46:47], v[40:41], v[42:43] neg_lo:[0,1] neg_hi:[0,1]
	v_mov_b32_e32 v45, v40
	v_pk_add_f32 v[40:41], v[46:47], v[44:45] neg_lo:[0,1] neg_hi:[0,1]
	s_nop 0
	v_add_f32_e32 v7, v7, v41
	v_add_f32_e32 v7, v40, v7
	;; [unrolled: 1-line block ×4, first 2 shown]
	v_sub_f32_e32 v9, v41, v50
	v_mul_f32_e32 v7, v48, v7
	v_sub_f32_e32 v9, v49, v9
	v_add_f32_e32 v7, v9, v7
	v_add_f32_e32 v42, v41, v7
	v_cvt_f32_i32_e32 v40, v38
	v_mul_f32_e32 v44, v42, v42
	v_fmamk_f32 v9, v44, 0x3e9b6dac, v143
	v_fmaak_f32 v9, v44, v9, 0x3f2aaada
	v_sub_f32_e32 v38, v42, v41
	v_mul_f32_e32 v41, v42, v44
	v_pk_mul_f32 v[44:45], v[40:41], v[8:9]
	v_ldexp_f32 v43, v42, 1
	v_fma_f32 v42, v40, s2, -v44
	v_fmac_f32_e32 v42, 0xb102e308, v40
	v_pk_add_f32 v[40:41], v[44:45], v[42:43]
	v_sub_f32_e32 v7, v7, v38
	v_sub_f32_e32 v9, v41, v43
	v_ldexp_f32 v7, v7, 1
	v_sub_f32_e32 v9, v45, v9
	v_add_f32_e32 v47, v7, v9
	v_mov_b32_e32 v46, v44
	v_pk_add_f32 v[44:45], v[40:41], v[44:45] neg_lo:[0,1] neg_hi:[0,1]
	v_pk_add_f32 v[48:49], v[40:41], v[46:47]
	v_mov_b32_e32 v43, v40
	v_mov_b32_e32 v45, v49
	v_pk_add_f32 v[50:51], v[42:43], v[44:45] neg_lo:[0,1] neg_hi:[0,1]
	v_pk_add_f32 v[42:43], v[42:43], v[44:45]
	s_mov_b32 s2, 0x7f800000
	v_mov_b32_e32 v38, v43
	v_pk_add_f32 v[44:45], v[38:39], v[40:41] neg_lo:[0,1] neg_hi:[0,1]
	v_mov_b32_e32 v42, v49
	v_mov_b32_e32 v7, v44
	v_pk_add_f32 v[52:53], v[48:49], v[6:7] neg_lo:[0,1] neg_hi:[0,1]
	v_mov_b32_e32 v48, v41
	v_mov_b32_e32 v49, v44
	v_mov_b32_e32 v51, v43
	v_pk_add_f32 v[42:43], v[42:43], v[48:49] neg_lo:[0,1] neg_hi:[0,1]
	v_mov_b32_e32 v44, v47
	v_mov_b32_e32 v45, v40
	v_pk_add_f32 v[40:41], v[44:45], v[42:43] neg_lo:[0,1] neg_hi:[0,1]
	v_mov_b32_e32 v52, v50
	v_pk_add_f32 v[42:43], v[52:53], v[40:41]
	v_cmp_eq_f32_e32 vcc, s2, v54
	v_mov_b32_e32 v44, v43
	v_pk_add_f32 v[44:45], v[42:43], v[44:45]
	s_mov_b32 s2, 0x33800000
	v_pk_add_f32 v[46:47], v[38:39], v[44:45]
	v_mov_b32_e32 v41, v44
	v_mov_b32_e32 v43, v46
	v_pk_add_f32 v[48:49], v[42:43], v[50:51] neg_lo:[0,1] neg_hi:[0,1]
	v_cmp_gt_f32_e64 s[60:61], s2, v54
	v_sub_f32_e32 v7, v42, v48
	v_pk_add_f32 v[40:41], v[40:41], v[48:49] neg_lo:[0,1] neg_hi:[0,1]
	v_sub_f32_e32 v7, v50, v7
	v_add_f32_e32 v7, v40, v7
	v_add_f32_e32 v7, v7, v41
	;; [unrolled: 1-line block ×3, first 2 shown]
	s_or_b64 vcc, s[60:61], vcc
	v_cndmask_b32_e32 v149, v7, v54, vcc
.LBB154_81:                             ;   in Loop: Header=BB154_13 Depth=1
	s_or_b64 exec, exec, s[4:5]
	v_add_f32_e32 v150, s62, v39
	s_mov_b32 s2, 0x41a00000
	v_cmp_ge_f32_e32 vcc, s2, v150
	v_readlane_b32 s2, v167, 25
	v_readlane_b32 s3, v167, 26
	s_and_b64 s[2:3], s[2:3], vcc
	s_and_saveexec_b64 s[4:5], s[2:3]
	s_cbranch_execz .LBB154_83
; %bb.82:                               ;   in Loop: Header=BB154_13 Depth=1
	v_mul_f32_e32 v7, 0x3fb8aa3b, v150
	v_rndne_f32_e32 v9, v7
	s_mov_b32 s2, 0x3fb8aa3b
	v_sub_f32_e32 v38, v7, v9
	v_fma_f32 v7, v150, s2, -v7
	v_fmac_f32_e32 v7, 0x32a5705f, v150
	v_add_f32_e32 v7, v38, v7
	v_cvt_i32_f32_e32 v9, v9
	v_exp_f32_e32 v7, v7
	s_mov_b32 s2, 0xc2ce8ed0
	v_cmp_ngt_f32_e32 vcc, s2, v150
	s_mov_b32 s2, 0x42b17218
	v_ldexp_f32 v7, v7, v9
	v_cndmask_b32_e32 v7, 0, v7, vcc
	v_cmp_nlt_f32_e32 vcc, s2, v150
	s_mov_b32 s2, 0x3f2aaaab
	s_nop 0
	v_cndmask_b32_e32 v54, v144, v7, vcc
	v_add_f32_e32 v7, 1.0, v54
	v_add_f32_e32 v9, -1.0, v7
	v_sub_f32_e32 v38, v9, v7
	v_add_f32_e32 v38, 1.0, v38
	v_sub_f32_e32 v9, v54, v9
	v_add_f32_e32 v9, v9, v38
	v_frexp_mant_f32_e32 v40, v7
	v_cvt_f64_f32_e32 v[38:39], v7
	v_frexp_exp_i32_f64_e32 v38, v[38:39]
	v_cmp_gt_f32_e32 vcc, s2, v40
	s_mov_b32 s2, 0x3f317218
	s_nop 0
	v_subbrev_co_u32_e32 v46, vcc, 0, v38, vcc
	v_sub_u32_e32 v38, 0, v46
	v_ldexp_f32 v7, v7, v38
	v_ldexp_f32 v9, v9, v38
	v_add_f32_e32 v38, -1.0, v7
	v_add_f32_e32 v39, 1.0, v38
	v_sub_f32_e32 v39, v7, v39
	v_add_f32_e32 v40, v9, v39
	v_add_f32_e32 v39, 1.0, v7
	v_add_f32_e32 v41, -1.0, v39
	v_sub_f32_e32 v7, v7, v41
	v_add_f32_e32 v7, v9, v7
	v_add_f32_e32 v9, v39, v7
	v_rcp_f32_e32 v47, v9
	v_sub_f32_e32 v39, v39, v9
	v_add_f32_e32 v7, v7, v39
	v_add_f32_e32 v39, v38, v40
	v_sub_f32_e32 v38, v38, v39
	v_mul_f32_e32 v49, v39, v47
	v_add_f32_e32 v48, v40, v38
	v_mul_f32_e32 v40, v9, v49
	v_fma_f32 v42, v49, v9, -v40
	v_fmac_f32_e32 v42, v49, v7
	v_add_f32_e32 v38, v40, v42
	v_sub_f32_e32 v41, v39, v38
	v_pk_add_f32 v[44:45], v[38:39], v[40:41] neg_lo:[0,1] neg_hi:[0,1]
	v_mov_b32_e32 v43, v38
	v_pk_add_f32 v[38:39], v[44:45], v[42:43] neg_lo:[0,1] neg_hi:[0,1]
	s_nop 0
	v_add_f32_e32 v39, v48, v39
	v_add_f32_e32 v38, v38, v39
	;; [unrolled: 1-line block ×3, first 2 shown]
	v_mul_f32_e32 v48, v47, v39
	v_mul_f32_e32 v40, v9, v48
	v_fma_f32 v42, v48, v9, -v40
	v_fmac_f32_e32 v42, v48, v7
	v_sub_f32_e32 v7, v41, v39
	v_add_f32_e32 v7, v38, v7
	v_add_f32_e32 v38, v40, v42
	v_sub_f32_e32 v41, v39, v38
	v_pk_add_f32 v[44:45], v[38:39], v[40:41] neg_lo:[0,1] neg_hi:[0,1]
	v_mov_b32_e32 v43, v38
	v_pk_add_f32 v[38:39], v[44:45], v[42:43] neg_lo:[0,1] neg_hi:[0,1]
	s_nop 0
	v_add_f32_e32 v7, v7, v39
	v_add_f32_e32 v7, v38, v7
	;; [unrolled: 1-line block ×4, first 2 shown]
	v_sub_f32_e32 v9, v39, v49
	v_mul_f32_e32 v7, v47, v7
	v_sub_f32_e32 v9, v48, v9
	v_add_f32_e32 v7, v9, v7
	v_add_f32_e32 v40, v39, v7
	v_cvt_f32_i32_e32 v38, v46
	v_mul_f32_e32 v42, v40, v40
	v_fmamk_f32 v9, v42, 0x3e9b6dac, v143
	v_sub_f32_e32 v39, v40, v39
	v_fmaak_f32 v9, v42, v9, 0x3f2aaada
	v_sub_f32_e32 v7, v7, v39
	v_mul_f32_e32 v39, v40, v42
	v_pk_mul_f32 v[42:43], v[38:39], v[8:9]
	v_ldexp_f32 v41, v40, 1
	v_fma_f32 v40, v38, s2, -v42
	v_fmac_f32_e32 v40, 0xb102e308, v38
	v_pk_add_f32 v[38:39], v[42:43], v[40:41]
	v_ldexp_f32 v7, v7, 1
	v_sub_f32_e32 v9, v39, v41
	v_sub_f32_e32 v9, v43, v9
	v_add_f32_e32 v45, v7, v9
	v_mov_b32_e32 v44, v42
	v_pk_add_f32 v[42:43], v[38:39], v[42:43] neg_lo:[0,1] neg_hi:[0,1]
	v_pk_add_f32 v[46:47], v[38:39], v[44:45]
	v_mov_b32_e32 v41, v38
	v_mov_b32_e32 v43, v47
	v_pk_add_f32 v[48:49], v[40:41], v[42:43] neg_lo:[0,1] neg_hi:[0,1]
	v_pk_add_f32 v[40:41], v[40:41], v[42:43]
	v_mov_b32_e32 v44, v45
	v_mov_b32_e32 v42, v41
	v_pk_add_f32 v[50:51], v[42:43], v[38:39] neg_lo:[0,1] neg_hi:[0,1]
	v_mov_b32_e32 v40, v47
	v_mov_b32_e32 v7, v50
	v_pk_add_f32 v[52:53], v[46:47], v[6:7] neg_lo:[0,1] neg_hi:[0,1]
	v_mov_b32_e32 v46, v39
	v_mov_b32_e32 v47, v50
	v_mov_b32_e32 v49, v41
	v_pk_add_f32 v[40:41], v[40:41], v[46:47] neg_lo:[0,1] neg_hi:[0,1]
	v_mov_b32_e32 v45, v38
	v_pk_add_f32 v[38:39], v[44:45], v[40:41] neg_lo:[0,1] neg_hi:[0,1]
	v_mov_b32_e32 v52, v48
	v_pk_add_f32 v[40:41], v[52:53], v[38:39]
	s_mov_b32 s2, 0x7f800000
	v_mov_b32_e32 v44, v41
	v_pk_add_f32 v[44:45], v[40:41], v[44:45]
	v_cmp_eq_f32_e32 vcc, s2, v54
	v_pk_add_f32 v[42:43], v[42:43], v[44:45]
	v_mov_b32_e32 v39, v44
	v_mov_b32_e32 v41, v42
	v_pk_add_f32 v[46:47], v[40:41], v[48:49] neg_lo:[0,1] neg_hi:[0,1]
	s_mov_b32 s2, 0x33800000
	v_sub_f32_e32 v7, v40, v46
	v_pk_add_f32 v[38:39], v[38:39], v[46:47] neg_lo:[0,1] neg_hi:[0,1]
	v_sub_f32_e32 v7, v48, v7
	v_add_f32_e32 v7, v38, v7
	v_add_f32_e32 v7, v7, v39
	v_cmp_gt_f32_e64 s[60:61], s2, v54
	v_add_f32_e32 v7, v42, v7
	s_or_b64 vcc, s[60:61], vcc
	v_cndmask_b32_e32 v150, v7, v54, vcc
.LBB154_83:                             ;   in Loop: Header=BB154_13 Depth=1
	s_or_b64 exec, exec, s[4:5]
	s_waitcnt lgkmcnt(5)
	v_add_f32_e32 v151, s62, v36
	s_mov_b32 s2, 0x41a00000
	v_cmp_ge_f32_e32 vcc, s2, v151
	v_readlane_b32 s2, v167, 25
	v_readlane_b32 s3, v167, 26
	s_and_b64 s[2:3], s[2:3], vcc
	s_and_saveexec_b64 s[4:5], s[2:3]
	s_cbranch_execz .LBB154_85
; %bb.84:                               ;   in Loop: Header=BB154_13 Depth=1
	v_mul_f32_e32 v7, 0x3fb8aa3b, v151
	v_rndne_f32_e32 v9, v7
	s_mov_b32 s2, 0x3fb8aa3b
	v_sub_f32_e32 v36, v7, v9
	v_fma_f32 v7, v151, s2, -v7
	v_fmac_f32_e32 v7, 0x32a5705f, v151
	v_add_f32_e32 v7, v36, v7
	v_cvt_i32_f32_e32 v9, v9
	v_exp_f32_e32 v7, v7
	s_mov_b32 s2, 0xc2ce8ed0
	v_cmp_ngt_f32_e32 vcc, s2, v151
	s_mov_b32 s2, 0x42b17218
	v_ldexp_f32 v7, v7, v9
	v_cndmask_b32_e32 v7, 0, v7, vcc
	v_cmp_nlt_f32_e32 vcc, s2, v151
	s_mov_b32 s2, 0x3f2aaaab
	s_nop 0
	v_cndmask_b32_e32 v52, v144, v7, vcc
	v_add_f32_e32 v7, 1.0, v52
	v_add_f32_e32 v9, -1.0, v7
	v_sub_f32_e32 v36, v9, v7
	v_add_f32_e32 v36, 1.0, v36
	v_sub_f32_e32 v9, v52, v9
	v_add_f32_e32 v9, v9, v36
	v_frexp_mant_f32_e32 v36, v7
	v_cvt_f64_f32_e32 v[38:39], v7
	v_frexp_exp_i32_f64_e32 v38, v[38:39]
	v_cmp_gt_f32_e32 vcc, s2, v36
	s_mov_b32 s2, 0x3f317218
	s_nop 0
	v_subbrev_co_u32_e32 v36, vcc, 0, v38, vcc
	v_sub_u32_e32 v38, 0, v36
	v_ldexp_f32 v7, v7, v38
	v_ldexp_f32 v9, v9, v38
	v_add_f32_e32 v38, -1.0, v7
	v_add_f32_e32 v39, 1.0, v38
	v_sub_f32_e32 v39, v7, v39
	v_add_f32_e32 v40, v9, v39
	v_add_f32_e32 v39, 1.0, v7
	v_add_f32_e32 v41, -1.0, v39
	v_sub_f32_e32 v7, v7, v41
	v_add_f32_e32 v7, v9, v7
	v_add_f32_e32 v9, v39, v7
	v_rcp_f32_e32 v46, v9
	v_sub_f32_e32 v39, v39, v9
	v_add_f32_e32 v7, v7, v39
	v_add_f32_e32 v39, v38, v40
	v_sub_f32_e32 v38, v38, v39
	v_mul_f32_e32 v48, v39, v46
	v_add_f32_e32 v47, v40, v38
	v_mul_f32_e32 v40, v9, v48
	v_fma_f32 v42, v48, v9, -v40
	v_fmac_f32_e32 v42, v48, v7
	v_add_f32_e32 v38, v40, v42
	v_sub_f32_e32 v41, v39, v38
	v_pk_add_f32 v[44:45], v[38:39], v[40:41] neg_lo:[0,1] neg_hi:[0,1]
	v_mov_b32_e32 v43, v38
	v_pk_add_f32 v[38:39], v[44:45], v[42:43] neg_lo:[0,1] neg_hi:[0,1]
	s_nop 0
	v_add_f32_e32 v39, v47, v39
	v_add_f32_e32 v38, v38, v39
	v_add_f32_e32 v39, v41, v38
	v_mul_f32_e32 v47, v46, v39
	v_mul_f32_e32 v40, v9, v47
	v_fma_f32 v42, v47, v9, -v40
	v_fmac_f32_e32 v42, v47, v7
	v_sub_f32_e32 v7, v41, v39
	v_add_f32_e32 v7, v38, v7
	v_add_f32_e32 v38, v40, v42
	v_sub_f32_e32 v41, v39, v38
	v_pk_add_f32 v[44:45], v[38:39], v[40:41] neg_lo:[0,1] neg_hi:[0,1]
	v_mov_b32_e32 v43, v38
	v_pk_add_f32 v[38:39], v[44:45], v[42:43] neg_lo:[0,1] neg_hi:[0,1]
	s_nop 0
	v_add_f32_e32 v7, v7, v39
	v_add_f32_e32 v7, v38, v7
	;; [unrolled: 1-line block ×4, first 2 shown]
	v_sub_f32_e32 v9, v39, v48
	v_mul_f32_e32 v7, v46, v7
	v_sub_f32_e32 v9, v47, v9
	v_add_f32_e32 v7, v9, v7
	v_add_f32_e32 v40, v39, v7
	v_cvt_f32_i32_e32 v38, v36
	v_mul_f32_e32 v42, v40, v40
	v_fmamk_f32 v9, v42, 0x3e9b6dac, v143
	v_fmaak_f32 v9, v42, v9, 0x3f2aaada
	v_sub_f32_e32 v36, v40, v39
	v_mul_f32_e32 v39, v40, v42
	v_pk_mul_f32 v[42:43], v[38:39], v[8:9]
	v_ldexp_f32 v41, v40, 1
	v_fma_f32 v40, v38, s2, -v42
	v_fmac_f32_e32 v40, 0xb102e308, v38
	v_pk_add_f32 v[38:39], v[42:43], v[40:41]
	v_sub_f32_e32 v7, v7, v36
	v_sub_f32_e32 v9, v39, v41
	v_ldexp_f32 v7, v7, 1
	v_sub_f32_e32 v9, v43, v9
	v_add_f32_e32 v45, v7, v9
	v_mov_b32_e32 v44, v42
	v_pk_add_f32 v[42:43], v[38:39], v[42:43] neg_lo:[0,1] neg_hi:[0,1]
	v_pk_add_f32 v[46:47], v[38:39], v[44:45]
	v_mov_b32_e32 v41, v38
	v_mov_b32_e32 v43, v47
	v_pk_add_f32 v[48:49], v[40:41], v[42:43] neg_lo:[0,1] neg_hi:[0,1]
	v_pk_add_f32 v[40:41], v[40:41], v[42:43]
	s_mov_b32 s2, 0x7f800000
	v_mov_b32_e32 v36, v41
	v_pk_add_f32 v[42:43], v[36:37], v[38:39] neg_lo:[0,1] neg_hi:[0,1]
	v_mov_b32_e32 v40, v47
	v_mov_b32_e32 v7, v42
	v_pk_add_f32 v[50:51], v[46:47], v[6:7] neg_lo:[0,1] neg_hi:[0,1]
	v_mov_b32_e32 v46, v39
	v_mov_b32_e32 v47, v42
	v_mov_b32_e32 v49, v41
	v_pk_add_f32 v[40:41], v[40:41], v[46:47] neg_lo:[0,1] neg_hi:[0,1]
	v_mov_b32_e32 v42, v45
	v_mov_b32_e32 v43, v38
	v_pk_add_f32 v[38:39], v[42:43], v[40:41] neg_lo:[0,1] neg_hi:[0,1]
	v_mov_b32_e32 v50, v48
	v_pk_add_f32 v[40:41], v[50:51], v[38:39]
	v_cmp_eq_f32_e32 vcc, s2, v52
	v_mov_b32_e32 v42, v41
	v_pk_add_f32 v[42:43], v[40:41], v[42:43]
	s_mov_b32 s2, 0x33800000
	v_pk_add_f32 v[44:45], v[36:37], v[42:43]
	v_mov_b32_e32 v39, v42
	v_mov_b32_e32 v41, v44
	v_pk_add_f32 v[46:47], v[40:41], v[48:49] neg_lo:[0,1] neg_hi:[0,1]
	v_cmp_gt_f32_e64 s[60:61], s2, v52
	v_sub_f32_e32 v7, v40, v46
	v_pk_add_f32 v[38:39], v[38:39], v[46:47] neg_lo:[0,1] neg_hi:[0,1]
	v_sub_f32_e32 v7, v48, v7
	v_add_f32_e32 v7, v38, v7
	v_add_f32_e32 v7, v7, v39
	;; [unrolled: 1-line block ×3, first 2 shown]
	s_or_b64 vcc, s[60:61], vcc
	v_cndmask_b32_e32 v151, v7, v52, vcc
.LBB154_85:                             ;   in Loop: Header=BB154_13 Depth=1
	s_or_b64 exec, exec, s[4:5]
	v_add_f32_e32 v152, s62, v37
	s_mov_b32 s2, 0x41a00000
	v_cmp_ge_f32_e32 vcc, s2, v152
	v_readlane_b32 s2, v167, 25
	v_readlane_b32 s3, v167, 26
	s_and_b64 s[2:3], s[2:3], vcc
	s_and_saveexec_b64 s[4:5], s[2:3]
	s_cbranch_execz .LBB154_87
; %bb.86:                               ;   in Loop: Header=BB154_13 Depth=1
	v_mul_f32_e32 v7, 0x3fb8aa3b, v152
	v_rndne_f32_e32 v9, v7
	s_mov_b32 s2, 0x3fb8aa3b
	v_sub_f32_e32 v36, v7, v9
	v_fma_f32 v7, v152, s2, -v7
	v_fmac_f32_e32 v7, 0x32a5705f, v152
	v_add_f32_e32 v7, v36, v7
	v_cvt_i32_f32_e32 v9, v9
	v_exp_f32_e32 v7, v7
	s_mov_b32 s2, 0xc2ce8ed0
	v_cmp_ngt_f32_e32 vcc, s2, v152
	s_mov_b32 s2, 0x42b17218
	v_ldexp_f32 v7, v7, v9
	v_cndmask_b32_e32 v7, 0, v7, vcc
	v_cmp_nlt_f32_e32 vcc, s2, v152
	s_mov_b32 s2, 0x3f2aaaab
	s_nop 0
	v_cndmask_b32_e32 v52, v144, v7, vcc
	v_add_f32_e32 v7, 1.0, v52
	v_add_f32_e32 v9, -1.0, v7
	v_sub_f32_e32 v36, v9, v7
	v_add_f32_e32 v36, 1.0, v36
	v_sub_f32_e32 v9, v52, v9
	v_add_f32_e32 v9, v9, v36
	v_frexp_mant_f32_e32 v38, v7
	v_cvt_f64_f32_e32 v[36:37], v7
	v_frexp_exp_i32_f64_e32 v36, v[36:37]
	v_cmp_gt_f32_e32 vcc, s2, v38
	s_mov_b32 s2, 0x3f317218
	s_nop 0
	v_subbrev_co_u32_e32 v44, vcc, 0, v36, vcc
	v_sub_u32_e32 v36, 0, v44
	v_ldexp_f32 v7, v7, v36
	v_ldexp_f32 v9, v9, v36
	v_add_f32_e32 v36, -1.0, v7
	v_add_f32_e32 v37, 1.0, v36
	v_sub_f32_e32 v37, v7, v37
	v_add_f32_e32 v38, v9, v37
	v_add_f32_e32 v37, 1.0, v7
	v_add_f32_e32 v39, -1.0, v37
	v_sub_f32_e32 v7, v7, v39
	v_add_f32_e32 v7, v9, v7
	v_add_f32_e32 v9, v37, v7
	v_rcp_f32_e32 v45, v9
	v_sub_f32_e32 v37, v37, v9
	v_add_f32_e32 v7, v7, v37
	v_add_f32_e32 v37, v36, v38
	v_sub_f32_e32 v36, v36, v37
	v_mul_f32_e32 v47, v37, v45
	v_add_f32_e32 v46, v38, v36
	v_mul_f32_e32 v38, v9, v47
	v_fma_f32 v40, v47, v9, -v38
	v_fmac_f32_e32 v40, v47, v7
	v_add_f32_e32 v36, v38, v40
	v_sub_f32_e32 v39, v37, v36
	v_pk_add_f32 v[42:43], v[36:37], v[38:39] neg_lo:[0,1] neg_hi:[0,1]
	v_mov_b32_e32 v41, v36
	v_pk_add_f32 v[36:37], v[42:43], v[40:41] neg_lo:[0,1] neg_hi:[0,1]
	s_nop 0
	v_add_f32_e32 v37, v46, v37
	v_add_f32_e32 v36, v36, v37
	v_add_f32_e32 v37, v39, v36
	v_mul_f32_e32 v46, v45, v37
	v_mul_f32_e32 v38, v9, v46
	v_fma_f32 v40, v46, v9, -v38
	v_fmac_f32_e32 v40, v46, v7
	v_sub_f32_e32 v7, v39, v37
	v_add_f32_e32 v7, v36, v7
	v_add_f32_e32 v36, v38, v40
	v_sub_f32_e32 v39, v37, v36
	v_pk_add_f32 v[42:43], v[36:37], v[38:39] neg_lo:[0,1] neg_hi:[0,1]
	v_mov_b32_e32 v41, v36
	v_pk_add_f32 v[36:37], v[42:43], v[40:41] neg_lo:[0,1] neg_hi:[0,1]
	s_nop 0
	v_add_f32_e32 v7, v7, v37
	v_add_f32_e32 v7, v36, v7
	v_add_f32_e32 v37, v47, v46
	v_add_f32_e32 v7, v39, v7
	v_sub_f32_e32 v9, v37, v47
	v_mul_f32_e32 v7, v45, v7
	v_sub_f32_e32 v9, v46, v9
	v_add_f32_e32 v7, v9, v7
	v_add_f32_e32 v38, v37, v7
	v_cvt_f32_i32_e32 v36, v44
	v_mul_f32_e32 v40, v38, v38
	v_fmamk_f32 v9, v40, 0x3e9b6dac, v143
	v_sub_f32_e32 v37, v38, v37
	v_fmaak_f32 v9, v40, v9, 0x3f2aaada
	v_sub_f32_e32 v7, v7, v37
	v_mul_f32_e32 v37, v38, v40
	v_pk_mul_f32 v[40:41], v[36:37], v[8:9]
	v_ldexp_f32 v39, v38, 1
	v_fma_f32 v38, v36, s2, -v40
	v_fmac_f32_e32 v38, 0xb102e308, v36
	v_pk_add_f32 v[36:37], v[40:41], v[38:39]
	v_ldexp_f32 v7, v7, 1
	v_sub_f32_e32 v9, v37, v39
	v_sub_f32_e32 v9, v41, v9
	v_add_f32_e32 v43, v7, v9
	v_mov_b32_e32 v42, v40
	v_pk_add_f32 v[40:41], v[36:37], v[40:41] neg_lo:[0,1] neg_hi:[0,1]
	v_pk_add_f32 v[44:45], v[36:37], v[42:43]
	v_mov_b32_e32 v39, v36
	v_mov_b32_e32 v41, v45
	v_pk_add_f32 v[46:47], v[38:39], v[40:41] neg_lo:[0,1] neg_hi:[0,1]
	v_pk_add_f32 v[38:39], v[38:39], v[40:41]
	v_mov_b32_e32 v42, v43
	v_mov_b32_e32 v40, v39
	v_pk_add_f32 v[48:49], v[40:41], v[36:37] neg_lo:[0,1] neg_hi:[0,1]
	v_mov_b32_e32 v38, v45
	v_mov_b32_e32 v7, v48
	v_pk_add_f32 v[50:51], v[44:45], v[6:7] neg_lo:[0,1] neg_hi:[0,1]
	v_mov_b32_e32 v44, v37
	v_mov_b32_e32 v45, v48
	;; [unrolled: 1-line block ×3, first 2 shown]
	v_pk_add_f32 v[38:39], v[38:39], v[44:45] neg_lo:[0,1] neg_hi:[0,1]
	v_mov_b32_e32 v43, v36
	v_pk_add_f32 v[36:37], v[42:43], v[38:39] neg_lo:[0,1] neg_hi:[0,1]
	v_mov_b32_e32 v50, v46
	v_pk_add_f32 v[38:39], v[50:51], v[36:37]
	s_mov_b32 s2, 0x7f800000
	v_mov_b32_e32 v42, v39
	v_pk_add_f32 v[42:43], v[38:39], v[42:43]
	v_cmp_eq_f32_e32 vcc, s2, v52
	v_pk_add_f32 v[40:41], v[40:41], v[42:43]
	v_mov_b32_e32 v37, v42
	v_mov_b32_e32 v39, v40
	v_pk_add_f32 v[44:45], v[38:39], v[46:47] neg_lo:[0,1] neg_hi:[0,1]
	s_mov_b32 s2, 0x33800000
	v_sub_f32_e32 v7, v38, v44
	v_pk_add_f32 v[36:37], v[36:37], v[44:45] neg_lo:[0,1] neg_hi:[0,1]
	v_sub_f32_e32 v7, v46, v7
	v_add_f32_e32 v7, v36, v7
	v_add_f32_e32 v7, v7, v37
	v_cmp_gt_f32_e64 s[60:61], s2, v52
	v_add_f32_e32 v7, v40, v7
	s_or_b64 vcc, s[60:61], vcc
	v_cndmask_b32_e32 v152, v7, v52, vcc
.LBB154_87:                             ;   in Loop: Header=BB154_13 Depth=1
	s_or_b64 exec, exec, s[4:5]
	s_waitcnt lgkmcnt(4)
	v_add_f32_e32 v153, s62, v34
	s_mov_b32 s2, 0x41a00000
	v_cmp_ge_f32_e32 vcc, s2, v153
	v_readlane_b32 s2, v167, 25
	v_readlane_b32 s3, v167, 26
	s_and_b64 s[2:3], s[2:3], vcc
	s_and_saveexec_b64 s[4:5], s[2:3]
	s_cbranch_execz .LBB154_89
; %bb.88:                               ;   in Loop: Header=BB154_13 Depth=1
	v_mul_f32_e32 v7, 0x3fb8aa3b, v153
	v_rndne_f32_e32 v9, v7
	s_mov_b32 s2, 0x3fb8aa3b
	v_sub_f32_e32 v34, v7, v9
	v_fma_f32 v7, v153, s2, -v7
	v_fmac_f32_e32 v7, 0x32a5705f, v153
	v_add_f32_e32 v7, v34, v7
	v_cvt_i32_f32_e32 v9, v9
	v_exp_f32_e32 v7, v7
	s_mov_b32 s2, 0xc2ce8ed0
	v_cmp_ngt_f32_e32 vcc, s2, v153
	s_mov_b32 s2, 0x42b17218
	v_ldexp_f32 v7, v7, v9
	v_cndmask_b32_e32 v7, 0, v7, vcc
	v_cmp_nlt_f32_e32 vcc, s2, v153
	s_mov_b32 s2, 0x3f2aaaab
	s_nop 0
	v_cndmask_b32_e32 v50, v144, v7, vcc
	v_add_f32_e32 v7, 1.0, v50
	v_add_f32_e32 v9, -1.0, v7
	v_sub_f32_e32 v34, v9, v7
	v_add_f32_e32 v34, 1.0, v34
	v_sub_f32_e32 v9, v50, v9
	v_add_f32_e32 v9, v9, v34
	v_frexp_mant_f32_e32 v34, v7
	v_cvt_f64_f32_e32 v[36:37], v7
	v_frexp_exp_i32_f64_e32 v36, v[36:37]
	v_cmp_gt_f32_e32 vcc, s2, v34
	s_mov_b32 s2, 0x3f317218
	s_nop 0
	v_subbrev_co_u32_e32 v34, vcc, 0, v36, vcc
	v_sub_u32_e32 v36, 0, v34
	v_ldexp_f32 v7, v7, v36
	v_ldexp_f32 v9, v9, v36
	v_add_f32_e32 v36, -1.0, v7
	v_add_f32_e32 v37, 1.0, v36
	v_sub_f32_e32 v37, v7, v37
	v_add_f32_e32 v38, v9, v37
	v_add_f32_e32 v37, 1.0, v7
	v_add_f32_e32 v39, -1.0, v37
	v_sub_f32_e32 v7, v7, v39
	v_add_f32_e32 v7, v9, v7
	v_add_f32_e32 v9, v37, v7
	v_rcp_f32_e32 v44, v9
	v_sub_f32_e32 v37, v37, v9
	v_add_f32_e32 v7, v7, v37
	v_add_f32_e32 v37, v36, v38
	v_sub_f32_e32 v36, v36, v37
	v_mul_f32_e32 v46, v37, v44
	v_add_f32_e32 v45, v38, v36
	v_mul_f32_e32 v38, v9, v46
	v_fma_f32 v40, v46, v9, -v38
	v_fmac_f32_e32 v40, v46, v7
	v_add_f32_e32 v36, v38, v40
	v_sub_f32_e32 v39, v37, v36
	v_pk_add_f32 v[42:43], v[36:37], v[38:39] neg_lo:[0,1] neg_hi:[0,1]
	v_mov_b32_e32 v41, v36
	v_pk_add_f32 v[36:37], v[42:43], v[40:41] neg_lo:[0,1] neg_hi:[0,1]
	s_nop 0
	v_add_f32_e32 v37, v45, v37
	v_add_f32_e32 v36, v36, v37
	;; [unrolled: 1-line block ×3, first 2 shown]
	v_mul_f32_e32 v45, v44, v37
	v_mul_f32_e32 v38, v9, v45
	v_fma_f32 v40, v45, v9, -v38
	v_fmac_f32_e32 v40, v45, v7
	v_sub_f32_e32 v7, v39, v37
	v_add_f32_e32 v7, v36, v7
	v_add_f32_e32 v36, v38, v40
	v_sub_f32_e32 v39, v37, v36
	v_pk_add_f32 v[42:43], v[36:37], v[38:39] neg_lo:[0,1] neg_hi:[0,1]
	v_mov_b32_e32 v41, v36
	v_pk_add_f32 v[36:37], v[42:43], v[40:41] neg_lo:[0,1] neg_hi:[0,1]
	s_nop 0
	v_add_f32_e32 v7, v7, v37
	v_add_f32_e32 v7, v36, v7
	;; [unrolled: 1-line block ×4, first 2 shown]
	v_sub_f32_e32 v9, v37, v46
	v_mul_f32_e32 v7, v44, v7
	v_sub_f32_e32 v9, v45, v9
	v_add_f32_e32 v7, v9, v7
	v_add_f32_e32 v38, v37, v7
	v_cvt_f32_i32_e32 v36, v34
	v_mul_f32_e32 v40, v38, v38
	v_fmamk_f32 v9, v40, 0x3e9b6dac, v143
	v_fmaak_f32 v9, v40, v9, 0x3f2aaada
	v_sub_f32_e32 v34, v38, v37
	v_mul_f32_e32 v37, v38, v40
	v_pk_mul_f32 v[40:41], v[36:37], v[8:9]
	v_ldexp_f32 v39, v38, 1
	v_fma_f32 v38, v36, s2, -v40
	v_fmac_f32_e32 v38, 0xb102e308, v36
	v_pk_add_f32 v[36:37], v[40:41], v[38:39]
	v_sub_f32_e32 v7, v7, v34
	v_sub_f32_e32 v9, v37, v39
	v_ldexp_f32 v7, v7, 1
	v_sub_f32_e32 v9, v41, v9
	v_add_f32_e32 v43, v7, v9
	v_mov_b32_e32 v42, v40
	v_pk_add_f32 v[40:41], v[36:37], v[40:41] neg_lo:[0,1] neg_hi:[0,1]
	v_pk_add_f32 v[44:45], v[36:37], v[42:43]
	v_mov_b32_e32 v39, v36
	v_mov_b32_e32 v41, v45
	v_pk_add_f32 v[46:47], v[38:39], v[40:41] neg_lo:[0,1] neg_hi:[0,1]
	v_pk_add_f32 v[38:39], v[38:39], v[40:41]
	s_mov_b32 s2, 0x7f800000
	v_mov_b32_e32 v34, v39
	v_pk_add_f32 v[40:41], v[34:35], v[36:37] neg_lo:[0,1] neg_hi:[0,1]
	v_mov_b32_e32 v38, v45
	v_mov_b32_e32 v7, v40
	v_pk_add_f32 v[48:49], v[44:45], v[6:7] neg_lo:[0,1] neg_hi:[0,1]
	v_mov_b32_e32 v44, v37
	v_mov_b32_e32 v45, v40
	v_mov_b32_e32 v47, v39
	v_pk_add_f32 v[38:39], v[38:39], v[44:45] neg_lo:[0,1] neg_hi:[0,1]
	v_mov_b32_e32 v40, v43
	v_mov_b32_e32 v41, v36
	v_pk_add_f32 v[36:37], v[40:41], v[38:39] neg_lo:[0,1] neg_hi:[0,1]
	v_mov_b32_e32 v48, v46
	v_pk_add_f32 v[38:39], v[48:49], v[36:37]
	v_cmp_eq_f32_e32 vcc, s2, v50
	v_mov_b32_e32 v40, v39
	v_pk_add_f32 v[40:41], v[38:39], v[40:41]
	s_mov_b32 s2, 0x33800000
	v_pk_add_f32 v[42:43], v[34:35], v[40:41]
	v_mov_b32_e32 v37, v40
	v_mov_b32_e32 v39, v42
	v_pk_add_f32 v[44:45], v[38:39], v[46:47] neg_lo:[0,1] neg_hi:[0,1]
	v_cmp_gt_f32_e64 s[60:61], s2, v50
	v_sub_f32_e32 v7, v38, v44
	v_pk_add_f32 v[36:37], v[36:37], v[44:45] neg_lo:[0,1] neg_hi:[0,1]
	v_sub_f32_e32 v7, v46, v7
	v_add_f32_e32 v7, v36, v7
	v_add_f32_e32 v7, v7, v37
	;; [unrolled: 1-line block ×3, first 2 shown]
	s_or_b64 vcc, s[60:61], vcc
	v_cndmask_b32_e32 v153, v7, v50, vcc
.LBB154_89:                             ;   in Loop: Header=BB154_13 Depth=1
	s_or_b64 exec, exec, s[4:5]
	v_add_f32_e32 v154, s62, v35
	s_mov_b32 s2, 0x41a00000
	v_cmp_ge_f32_e32 vcc, s2, v154
	v_readlane_b32 s2, v167, 25
	v_readlane_b32 s3, v167, 26
	s_and_b64 s[2:3], s[2:3], vcc
	s_and_saveexec_b64 s[4:5], s[2:3]
	s_cbranch_execz .LBB154_91
; %bb.90:                               ;   in Loop: Header=BB154_13 Depth=1
	v_mul_f32_e32 v7, 0x3fb8aa3b, v154
	v_rndne_f32_e32 v9, v7
	s_mov_b32 s2, 0x3fb8aa3b
	v_sub_f32_e32 v34, v7, v9
	v_fma_f32 v7, v154, s2, -v7
	v_fmac_f32_e32 v7, 0x32a5705f, v154
	v_add_f32_e32 v7, v34, v7
	v_cvt_i32_f32_e32 v9, v9
	v_exp_f32_e32 v7, v7
	s_mov_b32 s2, 0xc2ce8ed0
	v_cmp_ngt_f32_e32 vcc, s2, v154
	s_mov_b32 s2, 0x42b17218
	v_ldexp_f32 v7, v7, v9
	v_cndmask_b32_e32 v7, 0, v7, vcc
	v_cmp_nlt_f32_e32 vcc, s2, v154
	s_mov_b32 s2, 0x3f2aaaab
	s_nop 0
	v_cndmask_b32_e32 v50, v144, v7, vcc
	v_add_f32_e32 v7, 1.0, v50
	v_add_f32_e32 v9, -1.0, v7
	v_sub_f32_e32 v34, v9, v7
	v_add_f32_e32 v34, 1.0, v34
	v_sub_f32_e32 v9, v50, v9
	v_add_f32_e32 v9, v9, v34
	v_frexp_mant_f32_e32 v36, v7
	v_cvt_f64_f32_e32 v[34:35], v7
	v_frexp_exp_i32_f64_e32 v34, v[34:35]
	v_cmp_gt_f32_e32 vcc, s2, v36
	s_mov_b32 s2, 0x3f317218
	s_nop 0
	v_subbrev_co_u32_e32 v42, vcc, 0, v34, vcc
	v_sub_u32_e32 v34, 0, v42
	v_ldexp_f32 v7, v7, v34
	v_ldexp_f32 v9, v9, v34
	v_add_f32_e32 v34, -1.0, v7
	v_add_f32_e32 v35, 1.0, v34
	v_sub_f32_e32 v35, v7, v35
	v_add_f32_e32 v36, v9, v35
	v_add_f32_e32 v35, 1.0, v7
	v_add_f32_e32 v37, -1.0, v35
	v_sub_f32_e32 v7, v7, v37
	v_add_f32_e32 v7, v9, v7
	v_add_f32_e32 v9, v35, v7
	v_rcp_f32_e32 v43, v9
	v_sub_f32_e32 v35, v35, v9
	v_add_f32_e32 v7, v7, v35
	v_add_f32_e32 v35, v34, v36
	v_sub_f32_e32 v34, v34, v35
	v_mul_f32_e32 v45, v35, v43
	v_add_f32_e32 v44, v36, v34
	v_mul_f32_e32 v36, v9, v45
	v_fma_f32 v38, v45, v9, -v36
	v_fmac_f32_e32 v38, v45, v7
	v_add_f32_e32 v34, v36, v38
	v_sub_f32_e32 v37, v35, v34
	v_pk_add_f32 v[40:41], v[34:35], v[36:37] neg_lo:[0,1] neg_hi:[0,1]
	v_mov_b32_e32 v39, v34
	v_pk_add_f32 v[34:35], v[40:41], v[38:39] neg_lo:[0,1] neg_hi:[0,1]
	s_nop 0
	v_add_f32_e32 v35, v44, v35
	v_add_f32_e32 v34, v34, v35
	;; [unrolled: 1-line block ×3, first 2 shown]
	v_mul_f32_e32 v44, v43, v35
	v_mul_f32_e32 v36, v9, v44
	v_fma_f32 v38, v44, v9, -v36
	v_fmac_f32_e32 v38, v44, v7
	v_sub_f32_e32 v7, v37, v35
	v_add_f32_e32 v7, v34, v7
	v_add_f32_e32 v34, v36, v38
	v_sub_f32_e32 v37, v35, v34
	v_pk_add_f32 v[40:41], v[34:35], v[36:37] neg_lo:[0,1] neg_hi:[0,1]
	v_mov_b32_e32 v39, v34
	v_pk_add_f32 v[34:35], v[40:41], v[38:39] neg_lo:[0,1] neg_hi:[0,1]
	s_nop 0
	v_add_f32_e32 v7, v7, v35
	v_add_f32_e32 v7, v34, v7
	;; [unrolled: 1-line block ×4, first 2 shown]
	v_sub_f32_e32 v9, v35, v45
	v_mul_f32_e32 v7, v43, v7
	v_sub_f32_e32 v9, v44, v9
	v_add_f32_e32 v7, v9, v7
	v_add_f32_e32 v36, v35, v7
	v_cvt_f32_i32_e32 v34, v42
	v_mul_f32_e32 v38, v36, v36
	v_fmamk_f32 v9, v38, 0x3e9b6dac, v143
	v_sub_f32_e32 v35, v36, v35
	v_fmaak_f32 v9, v38, v9, 0x3f2aaada
	v_sub_f32_e32 v7, v7, v35
	v_mul_f32_e32 v35, v36, v38
	v_pk_mul_f32 v[38:39], v[34:35], v[8:9]
	v_ldexp_f32 v37, v36, 1
	v_fma_f32 v36, v34, s2, -v38
	v_fmac_f32_e32 v36, 0xb102e308, v34
	v_pk_add_f32 v[34:35], v[38:39], v[36:37]
	v_ldexp_f32 v7, v7, 1
	v_sub_f32_e32 v9, v35, v37
	v_sub_f32_e32 v9, v39, v9
	v_add_f32_e32 v41, v7, v9
	v_mov_b32_e32 v40, v38
	v_pk_add_f32 v[38:39], v[34:35], v[38:39] neg_lo:[0,1] neg_hi:[0,1]
	v_pk_add_f32 v[42:43], v[34:35], v[40:41]
	v_mov_b32_e32 v37, v34
	v_mov_b32_e32 v39, v43
	v_pk_add_f32 v[44:45], v[36:37], v[38:39] neg_lo:[0,1] neg_hi:[0,1]
	v_pk_add_f32 v[36:37], v[36:37], v[38:39]
	v_mov_b32_e32 v40, v41
	v_mov_b32_e32 v38, v37
	v_pk_add_f32 v[46:47], v[38:39], v[34:35] neg_lo:[0,1] neg_hi:[0,1]
	v_mov_b32_e32 v36, v43
	v_mov_b32_e32 v7, v46
	v_pk_add_f32 v[48:49], v[42:43], v[6:7] neg_lo:[0,1] neg_hi:[0,1]
	v_mov_b32_e32 v42, v35
	v_mov_b32_e32 v43, v46
	;; [unrolled: 1-line block ×3, first 2 shown]
	v_pk_add_f32 v[36:37], v[36:37], v[42:43] neg_lo:[0,1] neg_hi:[0,1]
	v_mov_b32_e32 v41, v34
	v_pk_add_f32 v[34:35], v[40:41], v[36:37] neg_lo:[0,1] neg_hi:[0,1]
	v_mov_b32_e32 v48, v44
	v_pk_add_f32 v[36:37], v[48:49], v[34:35]
	s_mov_b32 s2, 0x7f800000
	v_mov_b32_e32 v40, v37
	v_pk_add_f32 v[40:41], v[36:37], v[40:41]
	v_cmp_eq_f32_e32 vcc, s2, v50
	v_pk_add_f32 v[38:39], v[38:39], v[40:41]
	v_mov_b32_e32 v35, v40
	v_mov_b32_e32 v37, v38
	v_pk_add_f32 v[42:43], v[36:37], v[44:45] neg_lo:[0,1] neg_hi:[0,1]
	s_mov_b32 s2, 0x33800000
	v_sub_f32_e32 v7, v36, v42
	v_pk_add_f32 v[34:35], v[34:35], v[42:43] neg_lo:[0,1] neg_hi:[0,1]
	v_sub_f32_e32 v7, v44, v7
	v_add_f32_e32 v7, v34, v7
	v_add_f32_e32 v7, v7, v35
	v_cmp_gt_f32_e64 s[60:61], s2, v50
	v_add_f32_e32 v7, v38, v7
	s_or_b64 vcc, s[60:61], vcc
	v_cndmask_b32_e32 v154, v7, v50, vcc
.LBB154_91:                             ;   in Loop: Header=BB154_13 Depth=1
	s_or_b64 exec, exec, s[4:5]
	s_waitcnt lgkmcnt(3)
	v_add_f32_e32 v155, s62, v32
	s_mov_b32 s2, 0x41a00000
	v_cmp_ge_f32_e32 vcc, s2, v155
	v_readlane_b32 s2, v167, 25
	v_readlane_b32 s3, v167, 26
	s_and_b64 s[2:3], s[2:3], vcc
	s_and_saveexec_b64 s[4:5], s[2:3]
	s_cbranch_execz .LBB154_93
; %bb.92:                               ;   in Loop: Header=BB154_13 Depth=1
	v_mul_f32_e32 v7, 0x3fb8aa3b, v155
	v_rndne_f32_e32 v9, v7
	s_mov_b32 s2, 0x3fb8aa3b
	v_sub_f32_e32 v32, v7, v9
	v_fma_f32 v7, v155, s2, -v7
	v_fmac_f32_e32 v7, 0x32a5705f, v155
	v_add_f32_e32 v7, v32, v7
	v_cvt_i32_f32_e32 v9, v9
	v_exp_f32_e32 v7, v7
	s_mov_b32 s2, 0xc2ce8ed0
	v_cmp_ngt_f32_e32 vcc, s2, v155
	s_mov_b32 s2, 0x42b17218
	v_ldexp_f32 v7, v7, v9
	v_cndmask_b32_e32 v7, 0, v7, vcc
	v_cmp_nlt_f32_e32 vcc, s2, v155
	s_mov_b32 s2, 0x3f2aaaab
	s_nop 0
	v_cndmask_b32_e32 v48, v144, v7, vcc
	v_add_f32_e32 v7, 1.0, v48
	v_add_f32_e32 v9, -1.0, v7
	v_sub_f32_e32 v32, v9, v7
	v_add_f32_e32 v32, 1.0, v32
	v_sub_f32_e32 v9, v48, v9
	v_add_f32_e32 v9, v9, v32
	v_frexp_mant_f32_e32 v32, v7
	v_cvt_f64_f32_e32 v[34:35], v7
	v_frexp_exp_i32_f64_e32 v34, v[34:35]
	v_cmp_gt_f32_e32 vcc, s2, v32
	s_mov_b32 s2, 0x3f317218
	s_nop 0
	v_subbrev_co_u32_e32 v32, vcc, 0, v34, vcc
	v_sub_u32_e32 v34, 0, v32
	v_ldexp_f32 v7, v7, v34
	v_ldexp_f32 v9, v9, v34
	v_add_f32_e32 v34, -1.0, v7
	v_add_f32_e32 v35, 1.0, v34
	v_sub_f32_e32 v35, v7, v35
	v_add_f32_e32 v36, v9, v35
	v_add_f32_e32 v35, 1.0, v7
	v_add_f32_e32 v37, -1.0, v35
	v_sub_f32_e32 v7, v7, v37
	v_add_f32_e32 v7, v9, v7
	v_add_f32_e32 v9, v35, v7
	v_rcp_f32_e32 v42, v9
	v_sub_f32_e32 v35, v35, v9
	v_add_f32_e32 v7, v7, v35
	v_add_f32_e32 v35, v34, v36
	v_sub_f32_e32 v34, v34, v35
	v_mul_f32_e32 v44, v35, v42
	v_add_f32_e32 v43, v36, v34
	v_mul_f32_e32 v36, v9, v44
	v_fma_f32 v38, v44, v9, -v36
	v_fmac_f32_e32 v38, v44, v7
	v_add_f32_e32 v34, v36, v38
	v_sub_f32_e32 v37, v35, v34
	v_pk_add_f32 v[40:41], v[34:35], v[36:37] neg_lo:[0,1] neg_hi:[0,1]
	v_mov_b32_e32 v39, v34
	v_pk_add_f32 v[34:35], v[40:41], v[38:39] neg_lo:[0,1] neg_hi:[0,1]
	s_nop 0
	v_add_f32_e32 v35, v43, v35
	v_add_f32_e32 v34, v34, v35
	;; [unrolled: 1-line block ×3, first 2 shown]
	v_mul_f32_e32 v43, v42, v35
	v_mul_f32_e32 v36, v9, v43
	v_fma_f32 v38, v43, v9, -v36
	v_fmac_f32_e32 v38, v43, v7
	v_sub_f32_e32 v7, v37, v35
	v_add_f32_e32 v7, v34, v7
	v_add_f32_e32 v34, v36, v38
	v_sub_f32_e32 v37, v35, v34
	v_pk_add_f32 v[40:41], v[34:35], v[36:37] neg_lo:[0,1] neg_hi:[0,1]
	v_mov_b32_e32 v39, v34
	v_pk_add_f32 v[34:35], v[40:41], v[38:39] neg_lo:[0,1] neg_hi:[0,1]
	s_nop 0
	v_add_f32_e32 v7, v7, v35
	v_add_f32_e32 v7, v34, v7
	;; [unrolled: 1-line block ×4, first 2 shown]
	v_sub_f32_e32 v9, v35, v44
	v_mul_f32_e32 v7, v42, v7
	v_sub_f32_e32 v9, v43, v9
	v_add_f32_e32 v7, v9, v7
	v_add_f32_e32 v36, v35, v7
	v_cvt_f32_i32_e32 v34, v32
	v_mul_f32_e32 v38, v36, v36
	v_fmamk_f32 v9, v38, 0x3e9b6dac, v143
	v_fmaak_f32 v9, v38, v9, 0x3f2aaada
	v_sub_f32_e32 v32, v36, v35
	v_mul_f32_e32 v35, v36, v38
	v_pk_mul_f32 v[38:39], v[34:35], v[8:9]
	v_ldexp_f32 v37, v36, 1
	v_fma_f32 v36, v34, s2, -v38
	v_fmac_f32_e32 v36, 0xb102e308, v34
	v_pk_add_f32 v[34:35], v[38:39], v[36:37]
	v_sub_f32_e32 v7, v7, v32
	v_sub_f32_e32 v9, v35, v37
	v_ldexp_f32 v7, v7, 1
	v_sub_f32_e32 v9, v39, v9
	v_add_f32_e32 v41, v7, v9
	v_mov_b32_e32 v40, v38
	v_pk_add_f32 v[38:39], v[34:35], v[38:39] neg_lo:[0,1] neg_hi:[0,1]
	v_pk_add_f32 v[42:43], v[34:35], v[40:41]
	v_mov_b32_e32 v37, v34
	v_mov_b32_e32 v39, v43
	v_pk_add_f32 v[44:45], v[36:37], v[38:39] neg_lo:[0,1] neg_hi:[0,1]
	v_pk_add_f32 v[36:37], v[36:37], v[38:39]
	s_mov_b32 s2, 0x7f800000
	v_mov_b32_e32 v32, v37
	v_pk_add_f32 v[38:39], v[32:33], v[34:35] neg_lo:[0,1] neg_hi:[0,1]
	v_mov_b32_e32 v36, v43
	v_mov_b32_e32 v7, v38
	v_pk_add_f32 v[46:47], v[42:43], v[6:7] neg_lo:[0,1] neg_hi:[0,1]
	v_mov_b32_e32 v42, v35
	v_mov_b32_e32 v43, v38
	;; [unrolled: 1-line block ×3, first 2 shown]
	v_pk_add_f32 v[36:37], v[36:37], v[42:43] neg_lo:[0,1] neg_hi:[0,1]
	v_mov_b32_e32 v38, v41
	v_mov_b32_e32 v39, v34
	v_pk_add_f32 v[34:35], v[38:39], v[36:37] neg_lo:[0,1] neg_hi:[0,1]
	v_mov_b32_e32 v46, v44
	v_pk_add_f32 v[36:37], v[46:47], v[34:35]
	v_cmp_eq_f32_e32 vcc, s2, v48
	v_mov_b32_e32 v38, v37
	v_pk_add_f32 v[38:39], v[36:37], v[38:39]
	s_mov_b32 s2, 0x33800000
	v_pk_add_f32 v[40:41], v[32:33], v[38:39]
	v_mov_b32_e32 v35, v38
	v_mov_b32_e32 v37, v40
	v_pk_add_f32 v[42:43], v[36:37], v[44:45] neg_lo:[0,1] neg_hi:[0,1]
	v_cmp_gt_f32_e64 s[60:61], s2, v48
	v_sub_f32_e32 v7, v36, v42
	v_pk_add_f32 v[34:35], v[34:35], v[42:43] neg_lo:[0,1] neg_hi:[0,1]
	v_sub_f32_e32 v7, v44, v7
	v_add_f32_e32 v7, v34, v7
	v_add_f32_e32 v7, v7, v35
	v_add_f32_e32 v7, v40, v7
	s_or_b64 vcc, s[60:61], vcc
	v_cndmask_b32_e32 v155, v7, v48, vcc
.LBB154_93:                             ;   in Loop: Header=BB154_13 Depth=1
	s_or_b64 exec, exec, s[4:5]
	v_add_f32_e32 v156, s62, v33
	s_mov_b32 s2, 0x41a00000
	v_cmp_ge_f32_e32 vcc, s2, v156
	v_readlane_b32 s2, v167, 25
	v_readlane_b32 s3, v167, 26
	s_and_b64 s[2:3], s[2:3], vcc
	s_and_saveexec_b64 s[4:5], s[2:3]
	s_cbranch_execz .LBB154_95
; %bb.94:                               ;   in Loop: Header=BB154_13 Depth=1
	v_mul_f32_e32 v7, 0x3fb8aa3b, v156
	v_rndne_f32_e32 v9, v7
	s_mov_b32 s2, 0x3fb8aa3b
	v_sub_f32_e32 v32, v7, v9
	v_fma_f32 v7, v156, s2, -v7
	v_fmac_f32_e32 v7, 0x32a5705f, v156
	v_add_f32_e32 v7, v32, v7
	v_cvt_i32_f32_e32 v9, v9
	v_exp_f32_e32 v7, v7
	s_mov_b32 s2, 0xc2ce8ed0
	v_cmp_ngt_f32_e32 vcc, s2, v156
	s_mov_b32 s2, 0x42b17218
	v_ldexp_f32 v7, v7, v9
	v_cndmask_b32_e32 v7, 0, v7, vcc
	v_cmp_nlt_f32_e32 vcc, s2, v156
	s_mov_b32 s2, 0x3f2aaaab
	s_nop 0
	v_cndmask_b32_e32 v48, v144, v7, vcc
	v_add_f32_e32 v7, 1.0, v48
	v_add_f32_e32 v9, -1.0, v7
	v_sub_f32_e32 v32, v9, v7
	v_add_f32_e32 v32, 1.0, v32
	v_sub_f32_e32 v9, v48, v9
	v_add_f32_e32 v9, v9, v32
	v_frexp_mant_f32_e32 v34, v7
	v_cvt_f64_f32_e32 v[32:33], v7
	v_frexp_exp_i32_f64_e32 v32, v[32:33]
	v_cmp_gt_f32_e32 vcc, s2, v34
	s_mov_b32 s2, 0x3f317218
	s_nop 0
	v_subbrev_co_u32_e32 v40, vcc, 0, v32, vcc
	v_sub_u32_e32 v32, 0, v40
	v_ldexp_f32 v7, v7, v32
	v_ldexp_f32 v9, v9, v32
	v_add_f32_e32 v32, -1.0, v7
	v_add_f32_e32 v33, 1.0, v32
	v_sub_f32_e32 v33, v7, v33
	v_add_f32_e32 v34, v9, v33
	v_add_f32_e32 v33, 1.0, v7
	v_add_f32_e32 v35, -1.0, v33
	v_sub_f32_e32 v7, v7, v35
	v_add_f32_e32 v7, v9, v7
	v_add_f32_e32 v9, v33, v7
	v_rcp_f32_e32 v41, v9
	v_sub_f32_e32 v33, v33, v9
	v_add_f32_e32 v7, v7, v33
	v_add_f32_e32 v33, v32, v34
	v_sub_f32_e32 v32, v32, v33
	v_mul_f32_e32 v43, v33, v41
	v_add_f32_e32 v42, v34, v32
	v_mul_f32_e32 v34, v9, v43
	v_fma_f32 v36, v43, v9, -v34
	v_fmac_f32_e32 v36, v43, v7
	v_add_f32_e32 v32, v34, v36
	v_sub_f32_e32 v35, v33, v32
	v_pk_add_f32 v[38:39], v[32:33], v[34:35] neg_lo:[0,1] neg_hi:[0,1]
	v_mov_b32_e32 v37, v32
	v_pk_add_f32 v[32:33], v[38:39], v[36:37] neg_lo:[0,1] neg_hi:[0,1]
	s_nop 0
	v_add_f32_e32 v33, v42, v33
	v_add_f32_e32 v32, v32, v33
	;; [unrolled: 1-line block ×3, first 2 shown]
	v_mul_f32_e32 v42, v41, v33
	v_mul_f32_e32 v34, v9, v42
	v_fma_f32 v36, v42, v9, -v34
	v_fmac_f32_e32 v36, v42, v7
	v_sub_f32_e32 v7, v35, v33
	v_add_f32_e32 v7, v32, v7
	v_add_f32_e32 v32, v34, v36
	v_sub_f32_e32 v35, v33, v32
	v_pk_add_f32 v[38:39], v[32:33], v[34:35] neg_lo:[0,1] neg_hi:[0,1]
	v_mov_b32_e32 v37, v32
	v_pk_add_f32 v[32:33], v[38:39], v[36:37] neg_lo:[0,1] neg_hi:[0,1]
	s_nop 0
	v_add_f32_e32 v7, v7, v33
	v_add_f32_e32 v7, v32, v7
	;; [unrolled: 1-line block ×4, first 2 shown]
	v_sub_f32_e32 v9, v33, v43
	v_mul_f32_e32 v7, v41, v7
	v_sub_f32_e32 v9, v42, v9
	v_add_f32_e32 v7, v9, v7
	v_add_f32_e32 v34, v33, v7
	v_cvt_f32_i32_e32 v32, v40
	v_mul_f32_e32 v36, v34, v34
	v_fmamk_f32 v9, v36, 0x3e9b6dac, v143
	v_sub_f32_e32 v33, v34, v33
	v_fmaak_f32 v9, v36, v9, 0x3f2aaada
	v_sub_f32_e32 v7, v7, v33
	v_mul_f32_e32 v33, v34, v36
	v_pk_mul_f32 v[36:37], v[32:33], v[8:9]
	v_ldexp_f32 v35, v34, 1
	v_fma_f32 v34, v32, s2, -v36
	v_fmac_f32_e32 v34, 0xb102e308, v32
	v_pk_add_f32 v[32:33], v[36:37], v[34:35]
	v_ldexp_f32 v7, v7, 1
	v_sub_f32_e32 v9, v33, v35
	v_sub_f32_e32 v9, v37, v9
	v_add_f32_e32 v39, v7, v9
	v_mov_b32_e32 v38, v36
	v_pk_add_f32 v[36:37], v[32:33], v[36:37] neg_lo:[0,1] neg_hi:[0,1]
	v_pk_add_f32 v[40:41], v[32:33], v[38:39]
	v_mov_b32_e32 v35, v32
	v_mov_b32_e32 v37, v41
	v_pk_add_f32 v[42:43], v[34:35], v[36:37] neg_lo:[0,1] neg_hi:[0,1]
	v_pk_add_f32 v[34:35], v[34:35], v[36:37]
	v_mov_b32_e32 v38, v39
	v_mov_b32_e32 v36, v35
	v_pk_add_f32 v[44:45], v[36:37], v[32:33] neg_lo:[0,1] neg_hi:[0,1]
	v_mov_b32_e32 v34, v41
	v_mov_b32_e32 v7, v44
	v_pk_add_f32 v[46:47], v[40:41], v[6:7] neg_lo:[0,1] neg_hi:[0,1]
	v_mov_b32_e32 v40, v33
	v_mov_b32_e32 v41, v44
	;; [unrolled: 1-line block ×3, first 2 shown]
	v_pk_add_f32 v[34:35], v[34:35], v[40:41] neg_lo:[0,1] neg_hi:[0,1]
	v_mov_b32_e32 v39, v32
	v_pk_add_f32 v[32:33], v[38:39], v[34:35] neg_lo:[0,1] neg_hi:[0,1]
	v_mov_b32_e32 v46, v42
	v_pk_add_f32 v[34:35], v[46:47], v[32:33]
	s_mov_b32 s2, 0x7f800000
	v_mov_b32_e32 v38, v35
	v_pk_add_f32 v[38:39], v[34:35], v[38:39]
	v_cmp_eq_f32_e32 vcc, s2, v48
	v_pk_add_f32 v[36:37], v[36:37], v[38:39]
	v_mov_b32_e32 v33, v38
	v_mov_b32_e32 v35, v36
	v_pk_add_f32 v[40:41], v[34:35], v[42:43] neg_lo:[0,1] neg_hi:[0,1]
	s_mov_b32 s2, 0x33800000
	v_sub_f32_e32 v7, v34, v40
	v_pk_add_f32 v[32:33], v[32:33], v[40:41] neg_lo:[0,1] neg_hi:[0,1]
	v_sub_f32_e32 v7, v42, v7
	v_add_f32_e32 v7, v32, v7
	v_add_f32_e32 v7, v7, v33
	v_cmp_gt_f32_e64 s[60:61], s2, v48
	v_add_f32_e32 v7, v36, v7
	s_or_b64 vcc, s[60:61], vcc
	v_cndmask_b32_e32 v156, v7, v48, vcc
.LBB154_95:                             ;   in Loop: Header=BB154_13 Depth=1
	s_or_b64 exec, exec, s[4:5]
	s_waitcnt lgkmcnt(2)
	v_add_f32_e32 v157, s62, v30
	s_mov_b32 s2, 0x41a00000
	v_cmp_ge_f32_e32 vcc, s2, v157
	v_readlane_b32 s2, v167, 25
	v_readlane_b32 s3, v167, 26
	s_and_b64 s[2:3], s[2:3], vcc
	s_and_saveexec_b64 s[4:5], s[2:3]
	s_cbranch_execz .LBB154_97
; %bb.96:                               ;   in Loop: Header=BB154_13 Depth=1
	v_mul_f32_e32 v7, 0x3fb8aa3b, v157
	v_rndne_f32_e32 v9, v7
	s_mov_b32 s2, 0x3fb8aa3b
	v_sub_f32_e32 v30, v7, v9
	v_fma_f32 v7, v157, s2, -v7
	v_fmac_f32_e32 v7, 0x32a5705f, v157
	v_add_f32_e32 v7, v30, v7
	v_cvt_i32_f32_e32 v9, v9
	v_exp_f32_e32 v7, v7
	s_mov_b32 s2, 0xc2ce8ed0
	v_cmp_ngt_f32_e32 vcc, s2, v157
	s_mov_b32 s2, 0x42b17218
	v_ldexp_f32 v7, v7, v9
	v_cndmask_b32_e32 v7, 0, v7, vcc
	v_cmp_nlt_f32_e32 vcc, s2, v157
	s_mov_b32 s2, 0x3f2aaaab
	s_nop 0
	v_cndmask_b32_e32 v46, v144, v7, vcc
	v_add_f32_e32 v7, 1.0, v46
	v_add_f32_e32 v9, -1.0, v7
	v_sub_f32_e32 v30, v9, v7
	v_add_f32_e32 v30, 1.0, v30
	v_sub_f32_e32 v9, v46, v9
	v_add_f32_e32 v9, v9, v30
	v_frexp_mant_f32_e32 v30, v7
	v_cvt_f64_f32_e32 v[32:33], v7
	v_frexp_exp_i32_f64_e32 v32, v[32:33]
	v_cmp_gt_f32_e32 vcc, s2, v30
	s_mov_b32 s2, 0x3f317218
	s_nop 0
	v_subbrev_co_u32_e32 v30, vcc, 0, v32, vcc
	v_sub_u32_e32 v32, 0, v30
	v_ldexp_f32 v7, v7, v32
	v_ldexp_f32 v9, v9, v32
	v_add_f32_e32 v32, -1.0, v7
	v_add_f32_e32 v33, 1.0, v32
	v_sub_f32_e32 v33, v7, v33
	v_add_f32_e32 v34, v9, v33
	v_add_f32_e32 v33, 1.0, v7
	v_add_f32_e32 v35, -1.0, v33
	v_sub_f32_e32 v7, v7, v35
	v_add_f32_e32 v7, v9, v7
	v_add_f32_e32 v9, v33, v7
	v_rcp_f32_e32 v40, v9
	v_sub_f32_e32 v33, v33, v9
	v_add_f32_e32 v7, v7, v33
	v_add_f32_e32 v33, v32, v34
	v_sub_f32_e32 v32, v32, v33
	v_mul_f32_e32 v42, v33, v40
	v_add_f32_e32 v41, v34, v32
	v_mul_f32_e32 v34, v9, v42
	v_fma_f32 v36, v42, v9, -v34
	v_fmac_f32_e32 v36, v42, v7
	v_add_f32_e32 v32, v34, v36
	v_sub_f32_e32 v35, v33, v32
	v_pk_add_f32 v[38:39], v[32:33], v[34:35] neg_lo:[0,1] neg_hi:[0,1]
	v_mov_b32_e32 v37, v32
	v_pk_add_f32 v[32:33], v[38:39], v[36:37] neg_lo:[0,1] neg_hi:[0,1]
	s_nop 0
	v_add_f32_e32 v33, v41, v33
	v_add_f32_e32 v32, v32, v33
	;; [unrolled: 1-line block ×3, first 2 shown]
	v_mul_f32_e32 v41, v40, v33
	v_mul_f32_e32 v34, v9, v41
	v_fma_f32 v36, v41, v9, -v34
	v_fmac_f32_e32 v36, v41, v7
	v_sub_f32_e32 v7, v35, v33
	v_add_f32_e32 v7, v32, v7
	v_add_f32_e32 v32, v34, v36
	v_sub_f32_e32 v35, v33, v32
	v_pk_add_f32 v[38:39], v[32:33], v[34:35] neg_lo:[0,1] neg_hi:[0,1]
	v_mov_b32_e32 v37, v32
	v_pk_add_f32 v[32:33], v[38:39], v[36:37] neg_lo:[0,1] neg_hi:[0,1]
	s_nop 0
	v_add_f32_e32 v7, v7, v33
	v_add_f32_e32 v7, v32, v7
	;; [unrolled: 1-line block ×4, first 2 shown]
	v_sub_f32_e32 v9, v33, v42
	v_mul_f32_e32 v7, v40, v7
	v_sub_f32_e32 v9, v41, v9
	v_add_f32_e32 v7, v9, v7
	v_add_f32_e32 v34, v33, v7
	v_cvt_f32_i32_e32 v32, v30
	v_mul_f32_e32 v36, v34, v34
	v_fmamk_f32 v9, v36, 0x3e9b6dac, v143
	v_fmaak_f32 v9, v36, v9, 0x3f2aaada
	v_sub_f32_e32 v30, v34, v33
	v_mul_f32_e32 v33, v34, v36
	v_pk_mul_f32 v[36:37], v[32:33], v[8:9]
	v_ldexp_f32 v35, v34, 1
	v_fma_f32 v34, v32, s2, -v36
	v_fmac_f32_e32 v34, 0xb102e308, v32
	v_pk_add_f32 v[32:33], v[36:37], v[34:35]
	v_sub_f32_e32 v7, v7, v30
	v_sub_f32_e32 v9, v33, v35
	v_ldexp_f32 v7, v7, 1
	v_sub_f32_e32 v9, v37, v9
	v_add_f32_e32 v39, v7, v9
	v_mov_b32_e32 v38, v36
	v_pk_add_f32 v[36:37], v[32:33], v[36:37] neg_lo:[0,1] neg_hi:[0,1]
	v_pk_add_f32 v[40:41], v[32:33], v[38:39]
	v_mov_b32_e32 v35, v32
	v_mov_b32_e32 v37, v41
	v_pk_add_f32 v[42:43], v[34:35], v[36:37] neg_lo:[0,1] neg_hi:[0,1]
	v_pk_add_f32 v[34:35], v[34:35], v[36:37]
	s_mov_b32 s2, 0x7f800000
	v_mov_b32_e32 v30, v35
	v_pk_add_f32 v[36:37], v[30:31], v[32:33] neg_lo:[0,1] neg_hi:[0,1]
	v_mov_b32_e32 v34, v41
	v_mov_b32_e32 v7, v36
	v_pk_add_f32 v[44:45], v[40:41], v[6:7] neg_lo:[0,1] neg_hi:[0,1]
	v_mov_b32_e32 v40, v33
	v_mov_b32_e32 v41, v36
	;; [unrolled: 1-line block ×3, first 2 shown]
	v_pk_add_f32 v[34:35], v[34:35], v[40:41] neg_lo:[0,1] neg_hi:[0,1]
	v_mov_b32_e32 v36, v39
	v_mov_b32_e32 v37, v32
	v_pk_add_f32 v[32:33], v[36:37], v[34:35] neg_lo:[0,1] neg_hi:[0,1]
	v_mov_b32_e32 v44, v42
	v_pk_add_f32 v[34:35], v[44:45], v[32:33]
	v_cmp_eq_f32_e32 vcc, s2, v46
	v_mov_b32_e32 v36, v35
	v_pk_add_f32 v[36:37], v[34:35], v[36:37]
	s_mov_b32 s2, 0x33800000
	v_pk_add_f32 v[38:39], v[30:31], v[36:37]
	v_mov_b32_e32 v33, v36
	v_mov_b32_e32 v35, v38
	v_pk_add_f32 v[40:41], v[34:35], v[42:43] neg_lo:[0,1] neg_hi:[0,1]
	v_cmp_gt_f32_e64 s[60:61], s2, v46
	v_sub_f32_e32 v7, v34, v40
	v_pk_add_f32 v[32:33], v[32:33], v[40:41] neg_lo:[0,1] neg_hi:[0,1]
	v_sub_f32_e32 v7, v42, v7
	v_add_f32_e32 v7, v32, v7
	v_add_f32_e32 v7, v7, v33
	;; [unrolled: 1-line block ×3, first 2 shown]
	s_or_b64 vcc, s[60:61], vcc
	v_cndmask_b32_e32 v157, v7, v46, vcc
.LBB154_97:                             ;   in Loop: Header=BB154_13 Depth=1
	s_or_b64 exec, exec, s[4:5]
	v_add_f32_e32 v158, s62, v31
	s_mov_b32 s2, 0x41a00000
	v_cmp_ge_f32_e32 vcc, s2, v158
	v_readlane_b32 s2, v167, 25
	v_readlane_b32 s3, v167, 26
	s_and_b64 s[2:3], s[2:3], vcc
	s_and_saveexec_b64 s[4:5], s[2:3]
	s_cbranch_execz .LBB154_99
; %bb.98:                               ;   in Loop: Header=BB154_13 Depth=1
	v_mul_f32_e32 v7, 0x3fb8aa3b, v158
	v_rndne_f32_e32 v9, v7
	s_mov_b32 s2, 0x3fb8aa3b
	v_sub_f32_e32 v30, v7, v9
	v_fma_f32 v7, v158, s2, -v7
	v_fmac_f32_e32 v7, 0x32a5705f, v158
	v_add_f32_e32 v7, v30, v7
	v_cvt_i32_f32_e32 v9, v9
	v_exp_f32_e32 v7, v7
	s_mov_b32 s2, 0xc2ce8ed0
	v_cmp_ngt_f32_e32 vcc, s2, v158
	s_mov_b32 s2, 0x42b17218
	v_ldexp_f32 v7, v7, v9
	v_cndmask_b32_e32 v7, 0, v7, vcc
	v_cmp_nlt_f32_e32 vcc, s2, v158
	s_mov_b32 s2, 0x3f2aaaab
	s_nop 0
	v_cndmask_b32_e32 v46, v144, v7, vcc
	v_add_f32_e32 v7, 1.0, v46
	v_add_f32_e32 v9, -1.0, v7
	v_sub_f32_e32 v30, v9, v7
	v_add_f32_e32 v30, 1.0, v30
	v_sub_f32_e32 v9, v46, v9
	v_add_f32_e32 v9, v9, v30
	v_frexp_mant_f32_e32 v32, v7
	v_cvt_f64_f32_e32 v[30:31], v7
	v_frexp_exp_i32_f64_e32 v30, v[30:31]
	v_cmp_gt_f32_e32 vcc, s2, v32
	s_mov_b32 s2, 0x3f317218
	s_nop 0
	v_subbrev_co_u32_e32 v38, vcc, 0, v30, vcc
	v_sub_u32_e32 v30, 0, v38
	v_ldexp_f32 v7, v7, v30
	v_ldexp_f32 v9, v9, v30
	v_add_f32_e32 v30, -1.0, v7
	v_add_f32_e32 v31, 1.0, v30
	v_sub_f32_e32 v31, v7, v31
	v_add_f32_e32 v32, v9, v31
	v_add_f32_e32 v31, 1.0, v7
	v_add_f32_e32 v33, -1.0, v31
	v_sub_f32_e32 v7, v7, v33
	v_add_f32_e32 v7, v9, v7
	v_add_f32_e32 v9, v31, v7
	v_rcp_f32_e32 v39, v9
	v_sub_f32_e32 v31, v31, v9
	v_add_f32_e32 v7, v7, v31
	v_add_f32_e32 v31, v30, v32
	v_sub_f32_e32 v30, v30, v31
	v_mul_f32_e32 v41, v31, v39
	v_add_f32_e32 v40, v32, v30
	v_mul_f32_e32 v32, v9, v41
	v_fma_f32 v34, v41, v9, -v32
	v_fmac_f32_e32 v34, v41, v7
	v_add_f32_e32 v30, v32, v34
	v_sub_f32_e32 v33, v31, v30
	v_pk_add_f32 v[36:37], v[30:31], v[32:33] neg_lo:[0,1] neg_hi:[0,1]
	v_mov_b32_e32 v35, v30
	v_pk_add_f32 v[30:31], v[36:37], v[34:35] neg_lo:[0,1] neg_hi:[0,1]
	s_nop 0
	v_add_f32_e32 v31, v40, v31
	v_add_f32_e32 v30, v30, v31
	v_add_f32_e32 v31, v33, v30
	v_mul_f32_e32 v40, v39, v31
	v_mul_f32_e32 v32, v9, v40
	v_fma_f32 v34, v40, v9, -v32
	v_fmac_f32_e32 v34, v40, v7
	v_sub_f32_e32 v7, v33, v31
	v_add_f32_e32 v7, v30, v7
	v_add_f32_e32 v30, v32, v34
	v_sub_f32_e32 v33, v31, v30
	v_pk_add_f32 v[36:37], v[30:31], v[32:33] neg_lo:[0,1] neg_hi:[0,1]
	v_mov_b32_e32 v35, v30
	v_pk_add_f32 v[30:31], v[36:37], v[34:35] neg_lo:[0,1] neg_hi:[0,1]
	s_nop 0
	v_add_f32_e32 v7, v7, v31
	v_add_f32_e32 v7, v30, v7
	;; [unrolled: 1-line block ×4, first 2 shown]
	v_sub_f32_e32 v9, v31, v41
	v_mul_f32_e32 v7, v39, v7
	v_sub_f32_e32 v9, v40, v9
	v_add_f32_e32 v7, v9, v7
	v_add_f32_e32 v32, v31, v7
	v_cvt_f32_i32_e32 v30, v38
	v_mul_f32_e32 v34, v32, v32
	v_fmamk_f32 v9, v34, 0x3e9b6dac, v143
	v_sub_f32_e32 v31, v32, v31
	v_fmaak_f32 v9, v34, v9, 0x3f2aaada
	v_sub_f32_e32 v7, v7, v31
	v_mul_f32_e32 v31, v32, v34
	v_pk_mul_f32 v[34:35], v[30:31], v[8:9]
	v_ldexp_f32 v33, v32, 1
	v_fma_f32 v32, v30, s2, -v34
	v_fmac_f32_e32 v32, 0xb102e308, v30
	v_pk_add_f32 v[30:31], v[34:35], v[32:33]
	v_ldexp_f32 v7, v7, 1
	v_sub_f32_e32 v9, v31, v33
	v_sub_f32_e32 v9, v35, v9
	v_add_f32_e32 v37, v7, v9
	v_mov_b32_e32 v36, v34
	v_pk_add_f32 v[34:35], v[30:31], v[34:35] neg_lo:[0,1] neg_hi:[0,1]
	v_pk_add_f32 v[38:39], v[30:31], v[36:37]
	v_mov_b32_e32 v33, v30
	v_mov_b32_e32 v35, v39
	v_pk_add_f32 v[40:41], v[32:33], v[34:35] neg_lo:[0,1] neg_hi:[0,1]
	v_pk_add_f32 v[32:33], v[32:33], v[34:35]
	v_mov_b32_e32 v36, v37
	v_mov_b32_e32 v34, v33
	v_pk_add_f32 v[42:43], v[34:35], v[30:31] neg_lo:[0,1] neg_hi:[0,1]
	v_mov_b32_e32 v32, v39
	v_mov_b32_e32 v7, v42
	v_pk_add_f32 v[44:45], v[38:39], v[6:7] neg_lo:[0,1] neg_hi:[0,1]
	v_mov_b32_e32 v38, v31
	v_mov_b32_e32 v39, v42
	;; [unrolled: 1-line block ×3, first 2 shown]
	v_pk_add_f32 v[32:33], v[32:33], v[38:39] neg_lo:[0,1] neg_hi:[0,1]
	v_mov_b32_e32 v37, v30
	v_pk_add_f32 v[30:31], v[36:37], v[32:33] neg_lo:[0,1] neg_hi:[0,1]
	v_mov_b32_e32 v44, v40
	v_pk_add_f32 v[32:33], v[44:45], v[30:31]
	s_mov_b32 s2, 0x7f800000
	v_mov_b32_e32 v36, v33
	v_pk_add_f32 v[36:37], v[32:33], v[36:37]
	v_cmp_eq_f32_e32 vcc, s2, v46
	v_pk_add_f32 v[34:35], v[34:35], v[36:37]
	v_mov_b32_e32 v31, v36
	v_mov_b32_e32 v33, v34
	v_pk_add_f32 v[38:39], v[32:33], v[40:41] neg_lo:[0,1] neg_hi:[0,1]
	s_mov_b32 s2, 0x33800000
	v_sub_f32_e32 v7, v32, v38
	v_pk_add_f32 v[30:31], v[30:31], v[38:39] neg_lo:[0,1] neg_hi:[0,1]
	v_sub_f32_e32 v7, v40, v7
	v_add_f32_e32 v7, v30, v7
	v_add_f32_e32 v7, v7, v31
	v_cmp_gt_f32_e64 s[60:61], s2, v46
	v_add_f32_e32 v7, v34, v7
	s_or_b64 vcc, s[60:61], vcc
	v_cndmask_b32_e32 v158, v7, v46, vcc
.LBB154_99:                             ;   in Loop: Header=BB154_13 Depth=1
	s_or_b64 exec, exec, s[4:5]
	s_waitcnt lgkmcnt(1)
	v_add_f32_e32 v159, s62, v28
	s_mov_b32 s2, 0x41a00000
	v_cmp_ge_f32_e32 vcc, s2, v159
	v_readlane_b32 s2, v167, 25
	v_readlane_b32 s3, v167, 26
	s_and_b64 s[2:3], s[2:3], vcc
	s_and_saveexec_b64 s[4:5], s[2:3]
	s_cbranch_execz .LBB154_101
; %bb.100:                              ;   in Loop: Header=BB154_13 Depth=1
	v_mul_f32_e32 v7, 0x3fb8aa3b, v159
	v_rndne_f32_e32 v9, v7
	s_mov_b32 s2, 0x3fb8aa3b
	v_sub_f32_e32 v28, v7, v9
	v_fma_f32 v7, v159, s2, -v7
	v_fmac_f32_e32 v7, 0x32a5705f, v159
	v_add_f32_e32 v7, v28, v7
	v_cvt_i32_f32_e32 v9, v9
	v_exp_f32_e32 v7, v7
	s_mov_b32 s2, 0xc2ce8ed0
	v_cmp_ngt_f32_e32 vcc, s2, v159
	s_mov_b32 s2, 0x42b17218
	v_ldexp_f32 v7, v7, v9
	v_cndmask_b32_e32 v7, 0, v7, vcc
	v_cmp_nlt_f32_e32 vcc, s2, v159
	s_mov_b32 s2, 0x3f2aaaab
	s_nop 0
	v_cndmask_b32_e32 v44, v144, v7, vcc
	v_add_f32_e32 v7, 1.0, v44
	v_add_f32_e32 v9, -1.0, v7
	v_sub_f32_e32 v28, v9, v7
	v_add_f32_e32 v28, 1.0, v28
	v_sub_f32_e32 v9, v44, v9
	v_add_f32_e32 v9, v9, v28
	v_frexp_mant_f32_e32 v28, v7
	v_cvt_f64_f32_e32 v[30:31], v7
	v_frexp_exp_i32_f64_e32 v30, v[30:31]
	v_cmp_gt_f32_e32 vcc, s2, v28
	s_mov_b32 s2, 0x3f317218
	s_nop 0
	v_subbrev_co_u32_e32 v28, vcc, 0, v30, vcc
	v_sub_u32_e32 v30, 0, v28
	v_ldexp_f32 v7, v7, v30
	v_ldexp_f32 v9, v9, v30
	v_add_f32_e32 v30, -1.0, v7
	v_add_f32_e32 v31, 1.0, v30
	v_sub_f32_e32 v31, v7, v31
	v_add_f32_e32 v32, v9, v31
	v_add_f32_e32 v31, 1.0, v7
	v_add_f32_e32 v33, -1.0, v31
	v_sub_f32_e32 v7, v7, v33
	v_add_f32_e32 v7, v9, v7
	v_add_f32_e32 v9, v31, v7
	v_rcp_f32_e32 v38, v9
	v_sub_f32_e32 v31, v31, v9
	v_add_f32_e32 v7, v7, v31
	v_add_f32_e32 v31, v30, v32
	v_sub_f32_e32 v30, v30, v31
	v_mul_f32_e32 v40, v31, v38
	v_add_f32_e32 v39, v32, v30
	v_mul_f32_e32 v32, v9, v40
	v_fma_f32 v34, v40, v9, -v32
	v_fmac_f32_e32 v34, v40, v7
	v_add_f32_e32 v30, v32, v34
	v_sub_f32_e32 v33, v31, v30
	v_pk_add_f32 v[36:37], v[30:31], v[32:33] neg_lo:[0,1] neg_hi:[0,1]
	v_mov_b32_e32 v35, v30
	v_pk_add_f32 v[30:31], v[36:37], v[34:35] neg_lo:[0,1] neg_hi:[0,1]
	s_nop 0
	v_add_f32_e32 v31, v39, v31
	v_add_f32_e32 v30, v30, v31
	;; [unrolled: 1-line block ×3, first 2 shown]
	v_mul_f32_e32 v39, v38, v31
	v_mul_f32_e32 v32, v9, v39
	v_fma_f32 v34, v39, v9, -v32
	v_fmac_f32_e32 v34, v39, v7
	v_sub_f32_e32 v7, v33, v31
	v_add_f32_e32 v7, v30, v7
	v_add_f32_e32 v30, v32, v34
	v_sub_f32_e32 v33, v31, v30
	v_pk_add_f32 v[36:37], v[30:31], v[32:33] neg_lo:[0,1] neg_hi:[0,1]
	v_mov_b32_e32 v35, v30
	v_pk_add_f32 v[30:31], v[36:37], v[34:35] neg_lo:[0,1] neg_hi:[0,1]
	s_nop 0
	v_add_f32_e32 v7, v7, v31
	v_add_f32_e32 v7, v30, v7
	;; [unrolled: 1-line block ×4, first 2 shown]
	v_sub_f32_e32 v9, v31, v40
	v_mul_f32_e32 v7, v38, v7
	v_sub_f32_e32 v9, v39, v9
	v_add_f32_e32 v7, v9, v7
	v_add_f32_e32 v32, v31, v7
	v_cvt_f32_i32_e32 v30, v28
	v_mul_f32_e32 v34, v32, v32
	v_fmamk_f32 v9, v34, 0x3e9b6dac, v143
	v_fmaak_f32 v9, v34, v9, 0x3f2aaada
	v_sub_f32_e32 v28, v32, v31
	v_mul_f32_e32 v31, v32, v34
	v_pk_mul_f32 v[34:35], v[30:31], v[8:9]
	v_ldexp_f32 v33, v32, 1
	v_fma_f32 v32, v30, s2, -v34
	v_fmac_f32_e32 v32, 0xb102e308, v30
	v_pk_add_f32 v[30:31], v[34:35], v[32:33]
	v_sub_f32_e32 v7, v7, v28
	v_sub_f32_e32 v9, v31, v33
	v_ldexp_f32 v7, v7, 1
	v_sub_f32_e32 v9, v35, v9
	v_add_f32_e32 v37, v7, v9
	v_mov_b32_e32 v36, v34
	v_pk_add_f32 v[34:35], v[30:31], v[34:35] neg_lo:[0,1] neg_hi:[0,1]
	v_pk_add_f32 v[38:39], v[30:31], v[36:37]
	v_mov_b32_e32 v33, v30
	v_mov_b32_e32 v35, v39
	v_pk_add_f32 v[40:41], v[32:33], v[34:35] neg_lo:[0,1] neg_hi:[0,1]
	v_pk_add_f32 v[32:33], v[32:33], v[34:35]
	s_mov_b32 s2, 0x7f800000
	v_mov_b32_e32 v28, v33
	v_pk_add_f32 v[34:35], v[28:29], v[30:31] neg_lo:[0,1] neg_hi:[0,1]
	v_mov_b32_e32 v32, v39
	v_mov_b32_e32 v7, v34
	v_pk_add_f32 v[42:43], v[38:39], v[6:7] neg_lo:[0,1] neg_hi:[0,1]
	v_mov_b32_e32 v38, v31
	v_mov_b32_e32 v39, v34
	;; [unrolled: 1-line block ×3, first 2 shown]
	v_pk_add_f32 v[32:33], v[32:33], v[38:39] neg_lo:[0,1] neg_hi:[0,1]
	v_mov_b32_e32 v34, v37
	v_mov_b32_e32 v35, v30
	v_pk_add_f32 v[30:31], v[34:35], v[32:33] neg_lo:[0,1] neg_hi:[0,1]
	v_mov_b32_e32 v42, v40
	v_pk_add_f32 v[32:33], v[42:43], v[30:31]
	v_cmp_eq_f32_e32 vcc, s2, v44
	v_mov_b32_e32 v34, v33
	v_pk_add_f32 v[34:35], v[32:33], v[34:35]
	s_mov_b32 s2, 0x33800000
	v_pk_add_f32 v[36:37], v[28:29], v[34:35]
	v_mov_b32_e32 v31, v34
	v_mov_b32_e32 v33, v36
	v_pk_add_f32 v[38:39], v[32:33], v[40:41] neg_lo:[0,1] neg_hi:[0,1]
	v_cmp_gt_f32_e64 s[60:61], s2, v44
	v_sub_f32_e32 v7, v32, v38
	v_pk_add_f32 v[30:31], v[30:31], v[38:39] neg_lo:[0,1] neg_hi:[0,1]
	v_sub_f32_e32 v7, v40, v7
	v_add_f32_e32 v7, v30, v7
	v_add_f32_e32 v7, v7, v31
	;; [unrolled: 1-line block ×3, first 2 shown]
	s_or_b64 vcc, s[60:61], vcc
	v_cndmask_b32_e32 v159, v7, v44, vcc
.LBB154_101:                            ;   in Loop: Header=BB154_13 Depth=1
	s_or_b64 exec, exec, s[4:5]
	v_add_f32_e32 v160, s62, v29
	s_mov_b32 s2, 0x41a00000
	v_cmp_ge_f32_e32 vcc, s2, v160
	v_readlane_b32 s2, v167, 25
	v_readlane_b32 s3, v167, 26
	s_and_b64 s[2:3], s[2:3], vcc
	s_and_saveexec_b64 s[4:5], s[2:3]
	s_cbranch_execz .LBB154_103
; %bb.102:                              ;   in Loop: Header=BB154_13 Depth=1
	v_mul_f32_e32 v7, 0x3fb8aa3b, v160
	v_rndne_f32_e32 v9, v7
	s_mov_b32 s2, 0x3fb8aa3b
	v_sub_f32_e32 v28, v7, v9
	v_fma_f32 v7, v160, s2, -v7
	v_fmac_f32_e32 v7, 0x32a5705f, v160
	v_add_f32_e32 v7, v28, v7
	v_cvt_i32_f32_e32 v9, v9
	v_exp_f32_e32 v7, v7
	s_mov_b32 s2, 0xc2ce8ed0
	v_cmp_ngt_f32_e32 vcc, s2, v160
	s_mov_b32 s2, 0x42b17218
	v_ldexp_f32 v7, v7, v9
	v_cndmask_b32_e32 v7, 0, v7, vcc
	v_cmp_nlt_f32_e32 vcc, s2, v160
	s_mov_b32 s2, 0x3f2aaaab
	s_nop 0
	v_cndmask_b32_e32 v44, v144, v7, vcc
	v_add_f32_e32 v7, 1.0, v44
	v_add_f32_e32 v9, -1.0, v7
	v_sub_f32_e32 v28, v9, v7
	v_add_f32_e32 v28, 1.0, v28
	v_sub_f32_e32 v9, v44, v9
	v_add_f32_e32 v9, v9, v28
	v_frexp_mant_f32_e32 v30, v7
	v_cvt_f64_f32_e32 v[28:29], v7
	v_frexp_exp_i32_f64_e32 v28, v[28:29]
	v_cmp_gt_f32_e32 vcc, s2, v30
	s_mov_b32 s2, 0x3f317218
	s_nop 0
	v_subbrev_co_u32_e32 v36, vcc, 0, v28, vcc
	v_sub_u32_e32 v28, 0, v36
	v_ldexp_f32 v7, v7, v28
	v_ldexp_f32 v9, v9, v28
	v_add_f32_e32 v28, -1.0, v7
	v_add_f32_e32 v29, 1.0, v28
	v_sub_f32_e32 v29, v7, v29
	v_add_f32_e32 v30, v9, v29
	v_add_f32_e32 v29, 1.0, v7
	v_add_f32_e32 v31, -1.0, v29
	v_sub_f32_e32 v7, v7, v31
	v_add_f32_e32 v7, v9, v7
	v_add_f32_e32 v9, v29, v7
	v_rcp_f32_e32 v37, v9
	v_sub_f32_e32 v29, v29, v9
	v_add_f32_e32 v7, v7, v29
	v_add_f32_e32 v29, v28, v30
	v_sub_f32_e32 v28, v28, v29
	v_mul_f32_e32 v39, v29, v37
	v_add_f32_e32 v38, v30, v28
	v_mul_f32_e32 v30, v9, v39
	v_fma_f32 v32, v39, v9, -v30
	v_fmac_f32_e32 v32, v39, v7
	v_add_f32_e32 v28, v30, v32
	v_sub_f32_e32 v31, v29, v28
	v_pk_add_f32 v[34:35], v[28:29], v[30:31] neg_lo:[0,1] neg_hi:[0,1]
	v_mov_b32_e32 v33, v28
	v_pk_add_f32 v[28:29], v[34:35], v[32:33] neg_lo:[0,1] neg_hi:[0,1]
	s_nop 0
	v_add_f32_e32 v29, v38, v29
	v_add_f32_e32 v28, v28, v29
	;; [unrolled: 1-line block ×3, first 2 shown]
	v_mul_f32_e32 v38, v37, v29
	v_mul_f32_e32 v30, v9, v38
	v_fma_f32 v32, v38, v9, -v30
	v_fmac_f32_e32 v32, v38, v7
	v_sub_f32_e32 v7, v31, v29
	v_add_f32_e32 v7, v28, v7
	v_add_f32_e32 v28, v30, v32
	v_sub_f32_e32 v31, v29, v28
	v_pk_add_f32 v[34:35], v[28:29], v[30:31] neg_lo:[0,1] neg_hi:[0,1]
	v_mov_b32_e32 v33, v28
	v_pk_add_f32 v[28:29], v[34:35], v[32:33] neg_lo:[0,1] neg_hi:[0,1]
	s_nop 0
	v_add_f32_e32 v7, v7, v29
	v_add_f32_e32 v7, v28, v7
	;; [unrolled: 1-line block ×4, first 2 shown]
	v_sub_f32_e32 v9, v29, v39
	v_mul_f32_e32 v7, v37, v7
	v_sub_f32_e32 v9, v38, v9
	v_add_f32_e32 v7, v9, v7
	v_add_f32_e32 v30, v29, v7
	v_cvt_f32_i32_e32 v28, v36
	v_mul_f32_e32 v32, v30, v30
	v_fmamk_f32 v9, v32, 0x3e9b6dac, v143
	v_sub_f32_e32 v29, v30, v29
	v_fmaak_f32 v9, v32, v9, 0x3f2aaada
	v_sub_f32_e32 v7, v7, v29
	v_mul_f32_e32 v29, v30, v32
	v_pk_mul_f32 v[32:33], v[28:29], v[8:9]
	v_ldexp_f32 v31, v30, 1
	v_fma_f32 v30, v28, s2, -v32
	v_fmac_f32_e32 v30, 0xb102e308, v28
	v_pk_add_f32 v[28:29], v[32:33], v[30:31]
	v_ldexp_f32 v7, v7, 1
	v_sub_f32_e32 v9, v29, v31
	v_sub_f32_e32 v9, v33, v9
	v_add_f32_e32 v35, v7, v9
	v_mov_b32_e32 v34, v32
	v_pk_add_f32 v[32:33], v[28:29], v[32:33] neg_lo:[0,1] neg_hi:[0,1]
	v_pk_add_f32 v[36:37], v[28:29], v[34:35]
	v_mov_b32_e32 v31, v28
	v_mov_b32_e32 v33, v37
	v_pk_add_f32 v[38:39], v[30:31], v[32:33] neg_lo:[0,1] neg_hi:[0,1]
	v_pk_add_f32 v[30:31], v[30:31], v[32:33]
	v_mov_b32_e32 v34, v35
	v_mov_b32_e32 v32, v31
	v_pk_add_f32 v[40:41], v[32:33], v[28:29] neg_lo:[0,1] neg_hi:[0,1]
	v_mov_b32_e32 v30, v37
	v_mov_b32_e32 v7, v40
	v_pk_add_f32 v[42:43], v[36:37], v[6:7] neg_lo:[0,1] neg_hi:[0,1]
	v_mov_b32_e32 v36, v29
	v_mov_b32_e32 v37, v40
	;; [unrolled: 1-line block ×3, first 2 shown]
	v_pk_add_f32 v[30:31], v[30:31], v[36:37] neg_lo:[0,1] neg_hi:[0,1]
	v_mov_b32_e32 v35, v28
	v_pk_add_f32 v[28:29], v[34:35], v[30:31] neg_lo:[0,1] neg_hi:[0,1]
	v_mov_b32_e32 v42, v38
	v_pk_add_f32 v[30:31], v[42:43], v[28:29]
	s_mov_b32 s2, 0x7f800000
	v_mov_b32_e32 v34, v31
	v_pk_add_f32 v[34:35], v[30:31], v[34:35]
	v_cmp_eq_f32_e32 vcc, s2, v44
	v_pk_add_f32 v[32:33], v[32:33], v[34:35]
	v_mov_b32_e32 v29, v34
	v_mov_b32_e32 v31, v32
	v_pk_add_f32 v[36:37], v[30:31], v[38:39] neg_lo:[0,1] neg_hi:[0,1]
	s_mov_b32 s2, 0x33800000
	v_sub_f32_e32 v7, v30, v36
	v_pk_add_f32 v[28:29], v[28:29], v[36:37] neg_lo:[0,1] neg_hi:[0,1]
	v_sub_f32_e32 v7, v38, v7
	v_add_f32_e32 v7, v28, v7
	v_add_f32_e32 v7, v7, v29
	v_cmp_gt_f32_e64 s[60:61], s2, v44
	v_add_f32_e32 v7, v32, v7
	s_or_b64 vcc, s[60:61], vcc
	v_cndmask_b32_e32 v160, v7, v44, vcc
.LBB154_103:                            ;   in Loop: Header=BB154_13 Depth=1
	s_or_b64 exec, exec, s[4:5]
	s_waitcnt lgkmcnt(0)
	v_add_f32_e32 v26, s62, v26
	s_mov_b32 s2, 0x41a00000
	v_cmp_ge_f32_e32 vcc, s2, v26
	v_readlane_b32 s2, v167, 25
	v_readlane_b32 s3, v167, 26
	s_and_b64 s[2:3], s[2:3], vcc
	s_and_saveexec_b64 s[4:5], s[2:3]
	s_cbranch_execz .LBB154_105
; %bb.104:                              ;   in Loop: Header=BB154_13 Depth=1
	v_mul_f32_e32 v7, 0x3fb8aa3b, v26
	v_rndne_f32_e32 v9, v7
	s_mov_b32 s2, 0x3fb8aa3b
	v_sub_f32_e32 v28, v7, v9
	v_fma_f32 v7, v26, s2, -v7
	v_fmac_f32_e32 v7, 0x32a5705f, v26
	v_add_f32_e32 v7, v28, v7
	v_cvt_i32_f32_e32 v9, v9
	v_exp_f32_e32 v7, v7
	s_mov_b32 s2, 0xc2ce8ed0
	v_cmp_ngt_f32_e32 vcc, s2, v26
	s_mov_b32 s2, 0x42b17218
	v_ldexp_f32 v7, v7, v9
	v_cndmask_b32_e32 v7, 0, v7, vcc
	v_cmp_nlt_f32_e32 vcc, s2, v26
	s_mov_b32 s2, 0x3f2aaaab
	s_nop 0
	v_cndmask_b32_e32 v42, v144, v7, vcc
	v_add_f32_e32 v7, 1.0, v42
	v_add_f32_e32 v9, -1.0, v7
	v_sub_f32_e32 v26, v9, v7
	v_add_f32_e32 v26, 1.0, v26
	v_sub_f32_e32 v9, v42, v9
	v_add_f32_e32 v9, v9, v26
	v_frexp_mant_f32_e32 v26, v7
	v_cvt_f64_f32_e32 v[28:29], v7
	v_frexp_exp_i32_f64_e32 v28, v[28:29]
	v_cmp_gt_f32_e32 vcc, s2, v26
	s_mov_b32 s2, 0x3f317218
	s_nop 0
	v_subbrev_co_u32_e32 v26, vcc, 0, v28, vcc
	v_sub_u32_e32 v28, 0, v26
	v_ldexp_f32 v7, v7, v28
	v_ldexp_f32 v9, v9, v28
	v_add_f32_e32 v28, -1.0, v7
	v_add_f32_e32 v29, 1.0, v28
	v_sub_f32_e32 v29, v7, v29
	v_add_f32_e32 v30, v9, v29
	v_add_f32_e32 v29, 1.0, v7
	v_add_f32_e32 v31, -1.0, v29
	v_sub_f32_e32 v7, v7, v31
	v_add_f32_e32 v7, v9, v7
	v_add_f32_e32 v9, v29, v7
	v_rcp_f32_e32 v36, v9
	v_sub_f32_e32 v29, v29, v9
	v_add_f32_e32 v7, v7, v29
	v_add_f32_e32 v29, v28, v30
	v_sub_f32_e32 v28, v28, v29
	v_mul_f32_e32 v38, v29, v36
	v_add_f32_e32 v37, v30, v28
	v_mul_f32_e32 v30, v9, v38
	v_fma_f32 v32, v38, v9, -v30
	v_fmac_f32_e32 v32, v38, v7
	v_add_f32_e32 v28, v30, v32
	v_sub_f32_e32 v31, v29, v28
	v_pk_add_f32 v[34:35], v[28:29], v[30:31] neg_lo:[0,1] neg_hi:[0,1]
	v_mov_b32_e32 v33, v28
	v_pk_add_f32 v[28:29], v[34:35], v[32:33] neg_lo:[0,1] neg_hi:[0,1]
	s_nop 0
	v_add_f32_e32 v29, v37, v29
	v_add_f32_e32 v28, v28, v29
	;; [unrolled: 1-line block ×3, first 2 shown]
	v_mul_f32_e32 v37, v36, v29
	v_mul_f32_e32 v30, v9, v37
	v_fma_f32 v32, v37, v9, -v30
	v_fmac_f32_e32 v32, v37, v7
	v_sub_f32_e32 v7, v31, v29
	v_add_f32_e32 v7, v28, v7
	v_add_f32_e32 v28, v30, v32
	v_sub_f32_e32 v31, v29, v28
	v_pk_add_f32 v[34:35], v[28:29], v[30:31] neg_lo:[0,1] neg_hi:[0,1]
	v_mov_b32_e32 v33, v28
	v_pk_add_f32 v[28:29], v[34:35], v[32:33] neg_lo:[0,1] neg_hi:[0,1]
	s_nop 0
	v_add_f32_e32 v7, v7, v29
	v_add_f32_e32 v7, v28, v7
	;; [unrolled: 1-line block ×4, first 2 shown]
	v_sub_f32_e32 v9, v29, v38
	v_mul_f32_e32 v7, v36, v7
	v_sub_f32_e32 v9, v37, v9
	v_add_f32_e32 v7, v9, v7
	v_add_f32_e32 v30, v29, v7
	v_cvt_f32_i32_e32 v28, v26
	v_mul_f32_e32 v32, v30, v30
	v_fmamk_f32 v9, v32, 0x3e9b6dac, v143
	v_fmaak_f32 v9, v32, v9, 0x3f2aaada
	v_sub_f32_e32 v26, v30, v29
	v_mul_f32_e32 v29, v30, v32
	v_pk_mul_f32 v[32:33], v[28:29], v[8:9]
	v_ldexp_f32 v31, v30, 1
	v_fma_f32 v30, v28, s2, -v32
	v_fmac_f32_e32 v30, 0xb102e308, v28
	v_pk_add_f32 v[28:29], v[32:33], v[30:31]
	v_sub_f32_e32 v7, v7, v26
	v_sub_f32_e32 v9, v29, v31
	v_ldexp_f32 v7, v7, 1
	v_sub_f32_e32 v9, v33, v9
	v_add_f32_e32 v35, v7, v9
	v_mov_b32_e32 v34, v32
	v_pk_add_f32 v[32:33], v[28:29], v[32:33] neg_lo:[0,1] neg_hi:[0,1]
	v_pk_add_f32 v[36:37], v[28:29], v[34:35]
	v_mov_b32_e32 v31, v28
	v_mov_b32_e32 v33, v37
	v_pk_add_f32 v[38:39], v[30:31], v[32:33] neg_lo:[0,1] neg_hi:[0,1]
	v_pk_add_f32 v[30:31], v[30:31], v[32:33]
	s_mov_b32 s2, 0x7f800000
	v_mov_b32_e32 v26, v31
	v_pk_add_f32 v[32:33], v[26:27], v[28:29] neg_lo:[0,1] neg_hi:[0,1]
	v_mov_b32_e32 v30, v37
	v_mov_b32_e32 v7, v32
	v_pk_add_f32 v[40:41], v[36:37], v[6:7] neg_lo:[0,1] neg_hi:[0,1]
	v_mov_b32_e32 v36, v29
	v_mov_b32_e32 v37, v32
	;; [unrolled: 1-line block ×3, first 2 shown]
	v_pk_add_f32 v[30:31], v[30:31], v[36:37] neg_lo:[0,1] neg_hi:[0,1]
	v_mov_b32_e32 v32, v35
	v_mov_b32_e32 v33, v28
	v_pk_add_f32 v[28:29], v[32:33], v[30:31] neg_lo:[0,1] neg_hi:[0,1]
	v_mov_b32_e32 v40, v38
	v_pk_add_f32 v[30:31], v[40:41], v[28:29]
	v_cmp_eq_f32_e32 vcc, s2, v42
	v_mov_b32_e32 v32, v31
	v_pk_add_f32 v[32:33], v[30:31], v[32:33]
	s_mov_b32 s2, 0x33800000
	v_pk_add_f32 v[34:35], v[26:27], v[32:33]
	v_mov_b32_e32 v29, v32
	v_mov_b32_e32 v31, v34
	v_pk_add_f32 v[36:37], v[30:31], v[38:39] neg_lo:[0,1] neg_hi:[0,1]
	v_cmp_gt_f32_e64 s[60:61], s2, v42
	v_sub_f32_e32 v7, v30, v36
	v_pk_add_f32 v[28:29], v[28:29], v[36:37] neg_lo:[0,1] neg_hi:[0,1]
	v_sub_f32_e32 v7, v38, v7
	v_add_f32_e32 v7, v28, v7
	v_add_f32_e32 v7, v7, v29
	v_add_f32_e32 v7, v34, v7
	s_or_b64 vcc, s[60:61], vcc
	v_cndmask_b32_e32 v26, v7, v42, vcc
.LBB154_105:                            ;   in Loop: Header=BB154_13 Depth=1
	s_or_b64 exec, exec, s[4:5]
	v_add_f32_e32 v27, s62, v27
	s_mov_b32 s2, 0x41a00000
	v_cmp_ge_f32_e32 vcc, s2, v27
	v_readlane_b32 s2, v167, 25
	v_readlane_b32 s3, v167, 26
	s_and_b64 s[2:3], s[2:3], vcc
	s_and_saveexec_b64 s[4:5], s[2:3]
	s_cbranch_execz .LBB154_107
; %bb.106:                              ;   in Loop: Header=BB154_13 Depth=1
	v_mul_f32_e32 v7, 0x3fb8aa3b, v27
	v_rndne_f32_e32 v9, v7
	s_mov_b32 s2, 0x3fb8aa3b
	v_sub_f32_e32 v28, v7, v9
	v_fma_f32 v7, v27, s2, -v7
	v_fmac_f32_e32 v7, 0x32a5705f, v27
	v_add_f32_e32 v7, v28, v7
	v_cvt_i32_f32_e32 v9, v9
	v_exp_f32_e32 v7, v7
	s_mov_b32 s2, 0xc2ce8ed0
	v_cmp_ngt_f32_e32 vcc, s2, v27
	s_mov_b32 s2, 0x42b17218
	v_ldexp_f32 v7, v7, v9
	v_cndmask_b32_e32 v7, 0, v7, vcc
	v_cmp_nlt_f32_e32 vcc, s2, v27
	s_mov_b32 s2, 0x3f2aaaab
	s_nop 0
	v_cndmask_b32_e32 v27, v144, v7, vcc
	v_add_f32_e32 v7, 1.0, v27
	v_add_f32_e32 v9, -1.0, v7
	v_sub_f32_e32 v28, v9, v7
	v_add_f32_e32 v28, 1.0, v28
	v_sub_f32_e32 v9, v27, v9
	v_add_f32_e32 v9, v9, v28
	v_frexp_mant_f32_e32 v30, v7
	v_cvt_f64_f32_e32 v[28:29], v7
	v_frexp_exp_i32_f64_e32 v28, v[28:29]
	v_cmp_gt_f32_e32 vcc, s2, v30
	s_mov_b32 s2, 0x3f317218
	s_nop 0
	v_subbrev_co_u32_e32 v36, vcc, 0, v28, vcc
	v_sub_u32_e32 v28, 0, v36
	v_ldexp_f32 v7, v7, v28
	v_ldexp_f32 v9, v9, v28
	v_add_f32_e32 v28, -1.0, v7
	v_add_f32_e32 v29, 1.0, v28
	v_sub_f32_e32 v29, v7, v29
	v_add_f32_e32 v30, v9, v29
	v_add_f32_e32 v29, 1.0, v7
	v_add_f32_e32 v31, -1.0, v29
	v_sub_f32_e32 v7, v7, v31
	v_add_f32_e32 v7, v9, v7
	v_add_f32_e32 v9, v29, v7
	v_rcp_f32_e32 v37, v9
	v_sub_f32_e32 v29, v29, v9
	v_add_f32_e32 v7, v7, v29
	v_add_f32_e32 v29, v28, v30
	v_sub_f32_e32 v28, v28, v29
	v_mul_f32_e32 v39, v29, v37
	v_add_f32_e32 v38, v30, v28
	v_mul_f32_e32 v30, v9, v39
	v_fma_f32 v32, v39, v9, -v30
	v_fmac_f32_e32 v32, v39, v7
	v_add_f32_e32 v28, v30, v32
	v_sub_f32_e32 v31, v29, v28
	v_pk_add_f32 v[34:35], v[28:29], v[30:31] neg_lo:[0,1] neg_hi:[0,1]
	v_mov_b32_e32 v33, v28
	v_pk_add_f32 v[28:29], v[34:35], v[32:33] neg_lo:[0,1] neg_hi:[0,1]
	s_nop 0
	v_add_f32_e32 v29, v38, v29
	v_add_f32_e32 v28, v28, v29
	;; [unrolled: 1-line block ×3, first 2 shown]
	v_mul_f32_e32 v38, v37, v29
	v_mul_f32_e32 v30, v9, v38
	v_fma_f32 v32, v38, v9, -v30
	v_fmac_f32_e32 v32, v38, v7
	v_sub_f32_e32 v7, v31, v29
	v_add_f32_e32 v7, v28, v7
	v_add_f32_e32 v28, v30, v32
	v_sub_f32_e32 v31, v29, v28
	v_pk_add_f32 v[34:35], v[28:29], v[30:31] neg_lo:[0,1] neg_hi:[0,1]
	v_mov_b32_e32 v33, v28
	v_pk_add_f32 v[28:29], v[34:35], v[32:33] neg_lo:[0,1] neg_hi:[0,1]
	s_nop 0
	v_add_f32_e32 v7, v7, v29
	v_add_f32_e32 v7, v28, v7
	;; [unrolled: 1-line block ×4, first 2 shown]
	v_sub_f32_e32 v9, v29, v39
	v_mul_f32_e32 v7, v37, v7
	v_sub_f32_e32 v9, v38, v9
	v_add_f32_e32 v7, v9, v7
	v_add_f32_e32 v30, v29, v7
	v_cvt_f32_i32_e32 v28, v36
	v_mul_f32_e32 v32, v30, v30
	v_fmamk_f32 v9, v32, 0x3e9b6dac, v143
	v_sub_f32_e32 v29, v30, v29
	v_fmaak_f32 v9, v32, v9, 0x3f2aaada
	v_sub_f32_e32 v7, v7, v29
	v_mul_f32_e32 v29, v30, v32
	v_pk_mul_f32 v[32:33], v[28:29], v[8:9]
	v_ldexp_f32 v31, v30, 1
	v_fma_f32 v30, v28, s2, -v32
	v_fmac_f32_e32 v30, 0xb102e308, v28
	v_pk_add_f32 v[28:29], v[32:33], v[30:31]
	v_ldexp_f32 v7, v7, 1
	v_sub_f32_e32 v9, v29, v31
	v_sub_f32_e32 v9, v33, v9
	v_add_f32_e32 v35, v7, v9
	v_mov_b32_e32 v34, v32
	v_pk_add_f32 v[32:33], v[28:29], v[32:33] neg_lo:[0,1] neg_hi:[0,1]
	v_pk_add_f32 v[36:37], v[28:29], v[34:35]
	v_mov_b32_e32 v31, v28
	v_mov_b32_e32 v33, v37
	v_pk_add_f32 v[38:39], v[30:31], v[32:33] neg_lo:[0,1] neg_hi:[0,1]
	v_pk_add_f32 v[30:31], v[30:31], v[32:33]
	v_mov_b32_e32 v34, v35
	v_mov_b32_e32 v32, v31
	v_pk_add_f32 v[40:41], v[32:33], v[28:29] neg_lo:[0,1] neg_hi:[0,1]
	v_mov_b32_e32 v30, v37
	v_mov_b32_e32 v7, v40
	v_pk_add_f32 v[42:43], v[36:37], v[6:7] neg_lo:[0,1] neg_hi:[0,1]
	v_mov_b32_e32 v36, v29
	v_mov_b32_e32 v37, v40
	;; [unrolled: 1-line block ×3, first 2 shown]
	v_pk_add_f32 v[30:31], v[30:31], v[36:37] neg_lo:[0,1] neg_hi:[0,1]
	v_mov_b32_e32 v35, v28
	v_pk_add_f32 v[28:29], v[34:35], v[30:31] neg_lo:[0,1] neg_hi:[0,1]
	v_mov_b32_e32 v42, v38
	v_pk_add_f32 v[30:31], v[42:43], v[28:29]
	s_mov_b32 s2, 0x7f800000
	v_mov_b32_e32 v34, v31
	v_pk_add_f32 v[34:35], v[30:31], v[34:35]
	v_cmp_eq_f32_e32 vcc, s2, v27
	v_pk_add_f32 v[32:33], v[32:33], v[34:35]
	v_mov_b32_e32 v29, v34
	v_mov_b32_e32 v31, v32
	v_pk_add_f32 v[36:37], v[30:31], v[38:39] neg_lo:[0,1] neg_hi:[0,1]
	s_mov_b32 s2, 0x33800000
	v_sub_f32_e32 v7, v30, v36
	v_pk_add_f32 v[28:29], v[28:29], v[36:37] neg_lo:[0,1] neg_hi:[0,1]
	v_sub_f32_e32 v7, v38, v7
	v_add_f32_e32 v7, v28, v7
	v_add_f32_e32 v7, v7, v29
	v_cmp_gt_f32_e64 s[60:61], s2, v27
	v_add_f32_e32 v7, v32, v7
	s_or_b64 vcc, s[60:61], vcc
	v_cndmask_b32_e32 v27, v7, v27, vcc
.LBB154_107:                            ;   in Loop: Header=BB154_13 Depth=1
	s_or_b64 exec, exec, s[4:5]
	v_readlane_b32 s2, v167, 2
	s_barrier
	s_nop 0
	v_mul_f32_e32 v28, s2, v24
	v_mul_f32_e32 v31, s2, v23
	;; [unrolled: 1-line block ×16, first 2 shown]
	v_readlane_b32 s2, v167, 28
	v_readlane_b32 s3, v167, 29
	s_and_b64 vcc, exec, s[2:3]
	s_cbranch_vccz .LBB154_204
; %bb.108:                              ;   in Loop: Header=BB154_13 Depth=1
	v_writelane_b32 v167, s16, 59
	s_cmp_lg_u32 s10, 0
	s_cselect_b64 s[94:95], -1, 0
	v_writelane_b32 v167, s17, 60
	v_writelane_b32 v167, s12, 61
	v_lshl_add_u64 v[44:45], s[16:17], 0, v[0:1]
	v_cmp_gt_u32_e32 vcc, s88, v3
	v_writelane_b32 v167, s13, 62
	v_lshl_add_u64 v[46:47], s[12:13], 0, v[0:1]
	v_readlane_b32 s2, v167, 32
	v_writelane_b32 v167, s10, 63
	s_cmp_eq_u32 s10, s2
	v_readlane_b32 s2, v167, 33
	v_readlane_b32 s3, v167, 34
	v_or_b32_e32 v0, 1, v3
	s_cselect_b64 s[96:97], -1, 0
	s_or_b64 s[60:61], s[2:3], vcc
	v_cmp_gt_u32_e32 vcc, s88, v0
	v_or_b32_e32 v0, 2, v3
	s_or_b64 s[62:63], s[2:3], vcc
	v_cmp_gt_u32_e32 vcc, s88, v0
	v_or_b32_e32 v0, 3, v3
	s_or_b64 s[64:65], s[2:3], vcc
	v_cmp_gt_u32_e32 vcc, s88, v0
	v_or_b32_e32 v0, 4, v3
	s_or_b64 s[66:67], s[2:3], vcc
	v_cmp_gt_u32_e32 vcc, s88, v0
	v_or_b32_e32 v0, 5, v3
	s_or_b64 s[68:69], s[2:3], vcc
	v_cmp_gt_u32_e32 vcc, s88, v0
	v_or_b32_e32 v0, 6, v3
	s_or_b64 s[70:71], s[2:3], vcc
	v_cmp_gt_u32_e32 vcc, s88, v0
	v_or_b32_e32 v0, 7, v3
	s_or_b64 s[72:73], s[2:3], vcc
	v_cmp_gt_u32_e32 vcc, s88, v0
	v_or_b32_e32 v0, 8, v3
	s_or_b64 s[74:75], s[2:3], vcc
	v_cmp_gt_u32_e32 vcc, s88, v0
	v_or_b32_e32 v0, 9, v3
	s_or_b64 s[76:77], s[2:3], vcc
	v_cmp_gt_u32_e32 vcc, s88, v0
	v_or_b32_e32 v0, 10, v3
	s_or_b64 s[78:79], s[2:3], vcc
	v_cmp_gt_u32_e32 vcc, s88, v0
	v_or_b32_e32 v0, 11, v3
	s_or_b64 s[80:81], s[2:3], vcc
	v_cmp_gt_u32_e32 vcc, s88, v0
	v_or_b32_e32 v0, 12, v3
	s_or_b64 s[82:83], s[2:3], vcc
	v_cmp_gt_u32_e32 vcc, s88, v0
	v_or_b32_e32 v0, 13, v3
	s_or_b64 s[84:85], s[2:3], vcc
	v_cmp_gt_u32_e32 vcc, s88, v0
	v_or_b32_e32 v0, 14, v3
	s_or_b64 s[86:87], s[2:3], vcc
	v_cmp_gt_u32_e32 vcc, s88, v0
	v_or_b32_e32 v0, 15, v3
	v_mov_b32_e32 v7, v1
	s_mov_b32 s6, 0
	v_cmp_gt_u32_e64 s[88:89], s88, v0
	v_mul_f32_e32 v9, v25, v27
	v_lshl_add_u64 v[44:45], v[44:45], 0, v[6:7]
	v_lshl_add_u64 v[46:47], v[46:47], 0, v[6:7]
	v_mul_f32_e32 v7, v24, v26
	v_mul_f32_e32 v161, v23, v160
	;; [unrolled: 1-line block ×15, first 2 shown]
	s_or_b64 s[88:89], s[2:3], s[88:89]
	s_or_b64 s[90:91], s[2:3], vcc
	s_mov_b32 s92, s6
	s_mov_b32 s98, s6
	;; [unrolled: 1-line block ×3, first 2 shown]
	v_readlane_b32 s8, v167, 27
	v_readlane_b32 s9, v167, 53
	s_branch .LBB154_110
.LBB154_109:                            ;   in Loop: Header=BB154_110 Depth=2
	s_or_b64 exec, exec, s[2:3]
	v_cndmask_b32_e64 v0, v0, v75, s[24:25]
	v_cndmask_b32_e64 v50, v56, v74, s[24:25]
	v_mul_f32_e32 v50, v50, v136
	v_fma_f32 v0, v0, v136, v48
	v_cndmask_b32_e64 v48, v0, v48, s[22:23]
	v_cndmask_b32_e64 v0, v50, v136, s[22:23]
	s_waitcnt lgkmcnt(0)
	v_fmac_f32_e32 v48, v69, v0
	v_fmac_f32_e32 v49, v48, v137
	;; [unrolled: 1-line block ×10, first 2 shown]
	v_readlane_b32 s12, v167, 19
	v_fmac_f32_e32 v64, v63, v80
	v_readlane_b32 s13, v167, 20
	v_readlane_b32 s14, v167, 21
	v_readlane_b32 s15, v167, 22
	v_fmac_f32_e32 v65, v64, v81
	s_add_i32 s4, s4, s14
	v_readlane_b32 s12, v167, 15
	v_fmac_f32_e32 v60, v65, v68
	v_readlane_b32 s13, v167, 16
	v_readlane_b32 s14, v167, 17
	;; [unrolled: 1-line block ×3, first 2 shown]
	v_fmac_f32_e32 v61, v60, v66
	s_add_i32 s98, s98, s12
	v_readlane_b32 s12, v167, 7
	v_fmac_f32_e32 v67, v61, v70
	v_readlane_b32 s13, v167, 8
	v_readlane_b32 s16, v167, 11
	v_fmac_f32_e32 v57, v67, v71
	v_mov_b32_e32 v56, v67
	s_add_i32 s9, s9, 8
	s_add_i32 s8, s8, -1
	s_add_i32 s92, s92, s16
	s_add_i32 s6, s6, s13
	v_pk_fma_f32 v[42:43], v[24:25], v[48:49], v[42:43]
	v_pk_fma_f32 v[40:41], v[22:23], v[52:53], v[40:41]
	;; [unrolled: 1-line block ×7, first 2 shown]
	s_cmp_eq_u32 s8, 0
	v_pk_fma_f32 v[28:29], v[10:11], v[56:57], v[28:29]
	v_readlane_b32 s14, v167, 9
	v_readlane_b32 s15, v167, 10
	v_readlane_b32 s17, v167, 12
	v_readlane_b32 s18, v167, 13
	v_readlane_b32 s19, v167, 14
	s_cbranch_scc1 .LBB154_203
.LBB154_110:                            ;   Parent Loop BB154_13 Depth=1
                                        ; =>  This Inner Loop Header: Depth=2
	s_lshl_b64 s[2:3], s[6:7], 2
	v_readlane_b32 s5, v167, 5
	s_add_u32 s2, s5, s2
	v_readlane_b32 s5, v167, 6
	s_addc_u32 s3, s5, s3
	global_load_dword v0, v1, s[2:3]
	s_mov_b32 s93, s7
	v_lshl_add_u64 v[10:11], s[92:93], 2, v[44:45]
	v_mov_b32_e32 v12, 0
	v_mov_b32_e32 v13, 0
	s_and_saveexec_b64 s[2:3], s[26:27]
	s_cbranch_execz .LBB154_112
; %bb.111:                              ;   in Loop: Header=BB154_110 Depth=2
	global_load_dword v13, v[10:11], off
.LBB154_112:                            ;   in Loop: Header=BB154_110 Depth=2
	s_or_b64 exec, exec, s[2:3]
	s_and_saveexec_b64 s[2:3], s[28:29]
	s_cbranch_execz .LBB154_114
; %bb.113:                              ;   in Loop: Header=BB154_110 Depth=2
	global_load_dword v12, v[10:11], off offset:256
.LBB154_114:                            ;   in Loop: Header=BB154_110 Depth=2
	s_or_b64 exec, exec, s[2:3]
	v_mov_b32_e32 v14, 0
	v_mov_b32_e32 v15, 0
	s_and_saveexec_b64 s[2:3], s[30:31]
	s_cbranch_execz .LBB154_116
; %bb.115:                              ;   in Loop: Header=BB154_110 Depth=2
	global_load_dword v15, v[10:11], off offset:512
.LBB154_116:                            ;   in Loop: Header=BB154_110 Depth=2
	s_or_b64 exec, exec, s[2:3]
	s_and_saveexec_b64 s[2:3], s[34:35]
	s_cbranch_execz .LBB154_118
; %bb.117:                              ;   in Loop: Header=BB154_110 Depth=2
	global_load_dword v14, v[10:11], off offset:768
.LBB154_118:                            ;   in Loop: Header=BB154_110 Depth=2
	s_or_b64 exec, exec, s[2:3]
	v_mov_b32_e32 v16, 0
	v_mov_b32_e32 v17, 0
	s_and_saveexec_b64 s[2:3], s[36:37]
	s_cbranch_execz .LBB154_120
; %bb.119:                              ;   in Loop: Header=BB154_110 Depth=2
	global_load_dword v17, v[10:11], off offset:1024
.LBB154_120:                            ;   in Loop: Header=BB154_110 Depth=2
	;; [unrolled: 14-line block ×7, first 2 shown]
	s_or_b64 exec, exec, s[2:3]
	s_and_saveexec_b64 s[2:3], s[58:59]
	s_cbranch_execz .LBB154_142
; %bb.141:                              ;   in Loop: Header=BB154_110 Depth=2
	global_load_dword v48, v[10:11], off offset:3840
.LBB154_142:                            ;   in Loop: Header=BB154_110 Depth=2
	s_or_b64 exec, exec, s[2:3]
	s_waitcnt vmcnt(0)
	ds_write_b32 v92, v13
	ds_write_b32 v93, v12 offset:256
	ds_write_b32 v94, v15 offset:512
	;; [unrolled: 1-line block ×15, first 2 shown]
	; wave barrier
	ds_read2_b32 v[48:49], v108 offset1:1
	ds_read2_b32 v[52:53], v108 offset0:2 offset1:3
	ds_read2_b32 v[54:55], v108 offset0:4 offset1:5
	;; [unrolled: 1-line block ×7, first 2 shown]
	s_mov_b32 s99, s7
	v_lshl_add_u64 v[10:11], s[98:99], 2, v[46:47]
	v_mov_b32_e32 v12, 0
	v_mov_b32_e32 v13, 0
	s_and_saveexec_b64 s[2:3], s[26:27]
	s_cbranch_execz .LBB154_144
; %bb.143:                              ;   in Loop: Header=BB154_110 Depth=2
	global_load_dword v13, v[10:11], off
.LBB154_144:                            ;   in Loop: Header=BB154_110 Depth=2
	s_or_b64 exec, exec, s[2:3]
	s_and_saveexec_b64 s[2:3], s[28:29]
	s_cbranch_execz .LBB154_146
; %bb.145:                              ;   in Loop: Header=BB154_110 Depth=2
	global_load_dword v12, v[10:11], off offset:256
.LBB154_146:                            ;   in Loop: Header=BB154_110 Depth=2
	s_or_b64 exec, exec, s[2:3]
	v_mov_b32_e32 v14, 0
	v_mov_b32_e32 v15, 0
	s_and_saveexec_b64 s[2:3], s[30:31]
	s_cbranch_execz .LBB154_148
; %bb.147:                              ;   in Loop: Header=BB154_110 Depth=2
	global_load_dword v15, v[10:11], off offset:512
.LBB154_148:                            ;   in Loop: Header=BB154_110 Depth=2
	s_or_b64 exec, exec, s[2:3]
	s_and_saveexec_b64 s[2:3], s[34:35]
	s_cbranch_execz .LBB154_150
; %bb.149:                              ;   in Loop: Header=BB154_110 Depth=2
	global_load_dword v14, v[10:11], off offset:768
.LBB154_150:                            ;   in Loop: Header=BB154_110 Depth=2
	s_or_b64 exec, exec, s[2:3]
	v_mov_b32_e32 v16, 0
	v_mov_b32_e32 v17, 0
	s_and_saveexec_b64 s[2:3], s[36:37]
	s_cbranch_execz .LBB154_152
; %bb.151:                              ;   in Loop: Header=BB154_110 Depth=2
	global_load_dword v17, v[10:11], off offset:1024
.LBB154_152:                            ;   in Loop: Header=BB154_110 Depth=2
	;; [unrolled: 14-line block ×7, first 2 shown]
	s_or_b64 exec, exec, s[2:3]
	s_and_saveexec_b64 s[2:3], s[58:59]
	s_cbranch_execz .LBB154_174
; %bb.173:                              ;   in Loop: Header=BB154_110 Depth=2
	global_load_dword v50, v[10:11], off offset:3840
.LBB154_174:                            ;   in Loop: Header=BB154_110 Depth=2
	s_or_b64 exec, exec, s[2:3]
	v_add_u32_e32 v10, 0x2100, v108
	s_waitcnt vmcnt(0)
	ds_write_b32 v92, v13 offset:8448
	ds_write_b32 v109, v12 offset:256
	;; [unrolled: 1-line block ×16, first 2 shown]
	; wave barrier
	ds_read2_b32 v[22:23], v124 offset0:2 offset1:3
	ds_read2_b32 v[20:21], v124 offset0:4 offset1:5
	;; [unrolled: 1-line block ×6, first 2 shown]
	ds_read2_b32 v[24:25], v10 offset1:1
	ds_read2_b32 v[10:11], v124 offset0:14 offset1:15
	s_andn2_b64 vcc, exec, s[94:95]
	s_cbranch_vccnz .LBB154_176
; %bb.175:                              ;   in Loop: Header=BB154_110 Depth=2
	v_mov_b32_e32 v50, s9
	ds_read_b64 v[50:51], v50
	s_cbranch_execz .LBB154_177
	s_branch .LBB154_180
.LBB154_176:                            ;   in Loop: Header=BB154_110 Depth=2
                                        ; implicit-def: $vgpr51
.LBB154_177:                            ;   in Loop: Header=BB154_110 Depth=2
	v_readlane_b32 s2, v167, 0
	v_readlane_b32 s3, v167, 1
	s_andn2_b64 vcc, exec, s[2:3]
	s_waitcnt lgkmcnt(0)
	v_mov_b32_e32 v51, 0
	s_cbranch_vccnz .LBB154_179
; %bb.178:                              ;   in Loop: Header=BB154_110 Depth=2
	s_mov_b32 s5, s7
	s_lshl_b64 s[2:3], s[4:5], 2
	v_readlane_b32 s5, v167, 23
	s_add_u32 s2, s5, s2
	v_readlane_b32 s5, v167, 24
	s_addc_u32 s3, s5, s3
	global_load_dword v51, v1, s[2:3]
.LBB154_179:                            ;   in Loop: Header=BB154_110 Depth=2
	v_mov_b32_e32 v50, 1.0
.LBB154_180:                            ;   in Loop: Header=BB154_110 Depth=2
	v_mul_f32_e32 v0, 0x3fb8aa3b, v0
	v_mul_f32_e32 v66, v0, v147
	v_cmp_gt_f32_e32 vcc, s33, v66
	v_pk_mul_f32 v[70:71], v[0:1], v[26:27] op_sel_hi:[0,1]
	s_waitcnt lgkmcnt(14)
	v_mul_f32_e32 v48, v48, v135
	v_cndmask_b32_e32 v66, 0, v145, vcc
	v_fmac_f32_e32 v66, v0, v147
	v_exp_f32_e32 v66, v66
	v_cndmask_b32_e32 v67, 1.0, v146, vcc
	v_mul_f32_e32 v49, v49, v134
	v_cndmask_b32_e64 v48, 0, v48, s[60:61]
	v_mul_f32_e32 v66, v66, v67
	v_cndmask_b32_e64 v136, 1.0, v66, s[60:61]
	v_mul_f32_e32 v66, v0, v148
	v_cmp_gt_f32_e32 vcc, s33, v66
	v_cndmask_b32_e64 v49, 0, v49, s[62:63]
	v_mul_f32_e32 v52, v52, v133
	v_cndmask_b32_e32 v66, 0, v145, vcc
	v_fmac_f32_e32 v66, v0, v148
	v_exp_f32_e32 v66, v66
	v_cndmask_b32_e32 v67, 1.0, v146, vcc
	v_cndmask_b32_e64 v52, 0, v52, s[64:65]
	v_mul_f32_e32 v53, v53, v132
	v_mul_f32_e32 v66, v66, v67
	v_cndmask_b32_e64 v137, 1.0, v66, s[62:63]
	v_mul_f32_e32 v66, v0, v149
	v_cmp_gt_f32_e32 vcc, s33, v66
	v_cndmask_b32_e64 v53, 0, v53, s[66:67]
	v_mul_f32_e32 v54, v54, v131
	v_cndmask_b32_e32 v66, 0, v145, vcc
	v_fmac_f32_e32 v66, v0, v149
	v_exp_f32_e32 v66, v66
	v_cndmask_b32_e32 v67, 1.0, v146, vcc
	v_cndmask_b32_e64 v54, 0, v54, s[68:69]
	v_mul_f32_e32 v55, v55, v130
	;; [unrolled: 12-line block ×6, first 2 shown]
	v_mul_f32_e32 v66, v66, v67
	v_cndmask_b32_e64 v142, 1.0, v66, s[72:73]
	v_mul_f32_e32 v66, v0, v154
	v_cmp_gt_f32_e32 vcc, s33, v66
	v_cndmask_b32_e64 v61, 0, v61, s[86:87]
	v_mul_f32_e32 v57, v57, v9
	v_cndmask_b32_e32 v66, 0, v145, vcc
	v_fmac_f32_e32 v66, v0, v154
	v_exp_f32_e32 v66, v66
	v_cndmask_b32_e32 v67, 1.0, v146, vcc
	v_cndmask_b32_e64 v57, 0, v57, s[88:89]
	v_readlane_b32 s10, v167, 35
	v_mul_f32_e32 v66, v66, v67
	v_cndmask_b32_e64 v77, 1.0, v66, s[74:75]
	v_mul_f32_e32 v66, v0, v155
	v_cmp_gt_f32_e32 vcc, s33, v66
	v_readlane_b32 s11, v167, 36
	s_nop 0
	v_cndmask_b32_e32 v66, 0, v145, vcc
	v_fmac_f32_e32 v66, v0, v155
	v_exp_f32_e32 v66, v66
	v_cndmask_b32_e32 v67, 1.0, v146, vcc
	v_mul_f32_e32 v66, v66, v67
	v_cndmask_b32_e64 v78, 1.0, v66, s[76:77]
	v_mul_f32_e32 v66, v0, v156
	v_cmp_gt_f32_e32 vcc, s33, v66
	s_nop 1
	v_cndmask_b32_e32 v66, 0, v145, vcc
	v_fmac_f32_e32 v66, v0, v156
	v_exp_f32_e32 v66, v66
	v_cndmask_b32_e32 v67, 1.0, v146, vcc
	v_mul_f32_e32 v66, v66, v67
	v_cndmask_b32_e64 v79, 1.0, v66, s[78:79]
	v_mul_f32_e32 v66, v0, v157
	v_cmp_gt_f32_e32 vcc, s33, v66
	;; [unrolled: 9-line block ×5, first 2 shown]
	s_nop 1
	v_cndmask_b32_e32 v66, 0, v145, vcc
	v_fmac_f32_e32 v66, v0, v160
	v_exp_f32_e32 v66, v66
	v_cndmask_b32_e32 v67, 1.0, v146, vcc
	v_mul_f32_e32 v0, v56, v7
	v_cmp_gt_f32_e32 vcc, s33, v70
	v_mul_f32_e32 v66, v66, v67
	v_cndmask_b32_e64 v67, 0, v0, s[90:91]
	v_cndmask_b32_e32 v0, 0, v145, vcc
	v_add_f32_e32 v0, v70, v0
	v_exp_f32_e32 v0, v0
	v_cndmask_b32_e32 v56, 1.0, v146, vcc
	v_cmp_gt_f32_e32 vcc, s33, v71
	v_cndmask_b32_e64 v66, 1.0, v66, s[86:87]
	v_mul_f32_e32 v0, v0, v56
	v_cndmask_b32_e32 v56, 0, v145, vcc
	v_add_f32_e32 v56, v71, v56
	v_exp_f32_e32 v56, v56
	v_cndmask_b32_e32 v69, 1.0, v146, vcc
	v_cndmask_b32_e64 v70, 1.0, v0, s[90:91]
	v_mul_f32_e32 v0, v137, v136
	v_mul_f32_e32 v56, v56, v69
	v_cndmask_b32_e64 v71, 1.0, v56, s[88:89]
	v_fma_f32 v56, v137, v48, v49
	v_mul_f32_e32 v0, v0, v138
	v_fma_f32 v56, v56, v138, v52
	v_mul_f32_e32 v0, v0, v139
	;; [unrolled: 2-line block ×10, first 2 shown]
	v_fma_f32 v0, v56, v81, v65
	v_fma_f32 v0, v0, v68, v60
	;; [unrolled: 1-line block ×3, first 2 shown]
	v_mov_b32_e32 v69, v70
	v_pk_mul_f32 v[82:83], v[72:73], v[68:69]
	v_pk_fma_f32 v[72:73], v[72:73], v[68:69], v[66:67]
	v_pk_mul_f32 v[82:83], v[82:83], v[66:67]
	v_mov_b32_e32 v74, v71
	v_mov_b32_e32 v83, v73
	;; [unrolled: 1-line block ×3, first 2 shown]
	v_pk_mul_f32 v[72:73], v[82:83], v[70:71]
	v_mov_b32_e32 v56, v71
	v_pk_mul_f32 v[74:75], v[72:73], v[74:75]
	v_pk_fma_f32 v[72:73], v[82:83], v[70:71], v[56:57]
	s_nop 0
	v_mov_b32_dpp v0, v74 row_shr:1 row_mask:0xf bank_mask:0xf
	v_mov_b32_dpp v56, v73 row_shr:1 row_mask:0xf bank_mask:0xf
	v_mul_f32_e32 v69, v74, v0
	v_fma_f32 v56, v74, v56, v73
	v_cndmask_b32_e64 v72, v69, v74, s[0:1]
	v_cndmask_b32_e64 v75, v56, v73, s[0:1]
	;; [unrolled: 1-line block ×4, first 2 shown]
	v_mov_b32_dpp v69, v75 row_shr:2 row_mask:0xf bank_mask:0xf
	v_mov_b32_dpp v56, v74 row_shr:2 row_mask:0xf bank_mask:0xf
	s_and_saveexec_b64 s[2:3], s[10:11]
; %bb.181:                              ;   in Loop: Header=BB154_110 Depth=2
	v_fmac_f32_e32 v75, v74, v69
	v_mul_f32_e32 v74, v74, v56
	v_mov_b32_e32 v72, v74
	v_mov_b32_e32 v0, v75
; %bb.182:                              ;   in Loop: Header=BB154_110 Depth=2
	s_or_b64 exec, exec, s[2:3]
	v_readlane_b32 s10, v167, 37
	v_mov_b32_dpp v56, v74 row_shr:4 row_mask:0xf bank_mask:0xf
	v_mov_b32_dpp v69, v75 row_shr:4 row_mask:0xf bank_mask:0xf
	v_readlane_b32 s11, v167, 38
	s_and_saveexec_b64 s[2:3], s[10:11]
; %bb.183:                              ;   in Loop: Header=BB154_110 Depth=2
	v_fmac_f32_e32 v75, v74, v69
	v_mul_f32_e32 v74, v74, v56
	v_mov_b32_e32 v72, v74
	v_mov_b32_e32 v0, v75
; %bb.184:                              ;   in Loop: Header=BB154_110 Depth=2
	s_or_b64 exec, exec, s[2:3]
	v_readlane_b32 s10, v167, 39
	v_mov_b32_dpp v56, v74 row_shr:8 row_mask:0xf bank_mask:0xf
	v_mov_b32_dpp v69, v75 row_shr:8 row_mask:0xf bank_mask:0xf
	v_readlane_b32 s11, v167, 40
	s_and_saveexec_b64 s[2:3], s[10:11]
; %bb.185:                              ;   in Loop: Header=BB154_110 Depth=2
	v_fmac_f32_e32 v75, v74, v69
	v_mul_f32_e32 v74, v74, v56
	v_mov_b32_e32 v72, v74
	v_mov_b32_e32 v0, v75
; %bb.186:                              ;   in Loop: Header=BB154_110 Depth=2
	s_or_b64 exec, exec, s[2:3]
	v_readlane_b32 s10, v167, 41
	v_mov_b32_dpp v56, v74 row_bcast:15 row_mask:0xf bank_mask:0xf
	v_mov_b32_dpp v69, v75 row_bcast:15 row_mask:0xf bank_mask:0xf
	v_readlane_b32 s11, v167, 42
	s_and_saveexec_b64 s[2:3], s[10:11]
; %bb.187:                              ;   in Loop: Header=BB154_110 Depth=2
	v_fmac_f32_e32 v75, v74, v69
	v_mul_f32_e32 v74, v74, v56
	v_mov_b32_e32 v72, v74
	v_mov_b32_e32 v0, v75
; %bb.188:                              ;   in Loop: Header=BB154_110 Depth=2
	s_or_b64 exec, exec, s[2:3]
	v_readlane_b32 s10, v167, 43
	v_mov_b32_dpp v69, v74 row_bcast:31 row_mask:0xf bank_mask:0xf
	v_mov_b32_dpp v56, v75 row_bcast:31 row_mask:0xf bank_mask:0xf
	v_readlane_b32 s11, v167, 44
	s_and_saveexec_b64 s[2:3], s[10:11]
; %bb.189:                              ;   in Loop: Header=BB154_110 Depth=2
	v_fmac_f32_e32 v75, v74, v56
	v_mul_f32_e32 v72, v74, v69
	v_mov_b32_e32 v73, v75
	v_mov_b32_e32 v0, v75
	v_mov_b64_e32 v[74:75], v[72:73]
; %bb.190:                              ;   in Loop: Header=BB154_110 Depth=2
	s_or_b64 exec, exec, s[2:3]
	v_readlane_b32 s10, v167, 45
	v_readlane_b32 s11, v167, 46
	s_and_saveexec_b64 s[2:3], s[10:11]
	s_cbranch_execz .LBB154_192
; %bb.191:                              ;   in Loop: Header=BB154_110 Depth=2
	ds_write_b64 v125, v[74:75] offset:16896
.LBB154_192:                            ;   in Loop: Header=BB154_110 Depth=2
	s_or_b64 exec, exec, s[2:3]
	v_readlane_b32 s10, v167, 47
	v_readlane_b32 s11, v167, 48
	s_waitcnt lgkmcnt(0)
	s_barrier
	s_and_saveexec_b64 s[2:3], s[10:11]
	s_cbranch_execz .LBB154_194
; %bb.193:                              ;   in Loop: Header=BB154_110 Depth=2
	ds_read_b64 v[74:75], v126 offset:16896
	v_readlane_b32 s10, v167, 49
	v_readlane_b32 s11, v167, 50
	s_waitcnt lgkmcnt(0)
	v_mov_b32_dpp v56, v74 row_shr:1 row_mask:0xf bank_mask:0xf
	v_mov_b32_dpp v69, v75 row_shr:1 row_mask:0xf bank_mask:0xf
	v_fma_f32 v69, v74, v69, v75
	v_mul_f32_e32 v56, v74, v56
	v_cndmask_b32_e64 v74, v56, v74, s[10:11]
	v_cndmask_b32_e64 v75, v69, v75, s[10:11]
	ds_write_b64 v126, v[74:75] offset:16896
.LBB154_194:                            ;   in Loop: Header=BB154_110 Depth=2
	s_or_b64 exec, exec, s[2:3]
	s_waitcnt lgkmcnt(0)
	s_barrier
	s_waitcnt lgkmcnt(0)
                                        ; implicit-def: $vgpr74
	s_and_saveexec_b64 s[2:3], s[20:21]
	s_cbranch_execz .LBB154_196
; %bb.195:                              ;   in Loop: Header=BB154_110 Depth=2
	ds_read_b64 v[74:75], v125 offset:16888
	s_waitcnt lgkmcnt(0)
	v_mul_f32_e32 v56, v72, v74
	v_fmac_f32_e32 v0, v72, v75
	v_mov_b32_e32 v72, v56
.LBB154_196:                            ;   in Loop: Header=BB154_110 Depth=2
	s_or_b64 exec, exec, s[2:3]
	ds_bpermute_b32 v56, v127, v72
	ds_bpermute_b32 v0, v127, v0
	v_readlane_b32 s10, v167, 51
	s_waitcnt vmcnt(0)
	v_mov_b32_e32 v73, v51
	v_readlane_b32 s11, v167, 52
	s_and_saveexec_b64 s[2:3], s[10:11]
	s_cbranch_execz .LBB154_200
; %bb.197:                              ;   in Loop: Header=BB154_110 Depth=2
	ds_read_b64 v[72:73], v1 offset:16904
	s_and_saveexec_b64 vcc, s[22:23]
	s_cbranch_execz .LBB154_199
; %bb.198:                              ;   in Loop: Header=BB154_110 Depth=2
	ds_write_b64 v1, v[50:51] offset:16904
.LBB154_199:                            ;   in Loop: Header=BB154_110 Depth=2
	s_or_b64 exec, exec, vcc
	s_waitcnt lgkmcnt(0)
	v_fmac_f32_e32 v73, v51, v72
	v_mul_f32_e32 v50, v50, v72
	v_mov_b32_e32 v51, v73
.LBB154_200:                            ;   in Loop: Header=BB154_110 Depth=2
	s_or_b64 exec, exec, s[2:3]
	s_waitcnt lgkmcnt(0)
	s_barrier
	ds_read_b32 v69, v1 offset:16908
	s_and_saveexec_b64 s[2:3], s[22:23]
	s_cbranch_execz .LBB154_109
; %bb.201:                              ;   in Loop: Header=BB154_110 Depth=2
	v_mov_b32_e32 v72, s9
	s_andn2_b64 vcc, exec, s[96:97]
	ds_write_b64 v72, v[50:51]
	s_cbranch_vccnz .LBB154_109
; %bb.202:                              ;   in Loop: Header=BB154_110 Depth=2
	s_mov_b32 s5, s7
	s_lshl_b64 s[10:11], s[4:5], 2
	v_readlane_b32 s5, v167, 23
	s_add_u32 s10, s5, s10
	v_readlane_b32 s5, v167, 24
	s_addc_u32 s11, s5, s11
	global_store_dword v1, v73, s[10:11]
	s_branch .LBB154_109
.LBB154_203:                            ;   in Loop: Header=BB154_13 Depth=1
	v_readlane_b32 s16, v167, 59
	v_readlane_b32 s12, v167, 61
	;; [unrolled: 1-line block ×6, first 2 shown]
.LBB154_204:                            ;   in Loop: Header=BB154_13 Depth=1
	s_barrier
	ds_write2_b32 v108, v42, v43 offset1:1
	ds_write2_b32 v108, v40, v41 offset0:2 offset1:3
	ds_write2_b32 v108, v38, v39 offset0:4 offset1:5
	;; [unrolled: 1-line block ×7, first 2 shown]
	; wave barrier
	ds_read_b32 v23, v93 offset:256
	ds_read_b32 v22, v94 offset:512
	;; [unrolled: 1-line block ×15, first 2 shown]
	v_readlane_b32 s2, v167, 55
	v_readlane_b32 s3, v167, 56
	s_mov_b32 s3, s7
	s_nop 0
	v_lshl_add_u64 v[10:11], s[2:3], 2, v[4:5]
	s_and_saveexec_b64 s[2:3], s[26:27]
	s_cbranch_execz .LBB154_206
; %bb.205:                              ;   in Loop: Header=BB154_13 Depth=1
	ds_read_b32 v24, v92
	s_waitcnt lgkmcnt(0)
	global_store_dword v[10:11], v24, off
.LBB154_206:                            ;   in Loop: Header=BB154_13 Depth=1
	s_or_b64 exec, exec, s[2:3]
	s_and_saveexec_b64 s[2:3], s[28:29]
	v_readlane_b32 s8, v167, 57
	v_readlane_b32 s9, v167, 58
	s_cbranch_execnz .LBB154_223
; %bb.207:                              ;   in Loop: Header=BB154_13 Depth=1
	s_or_b64 exec, exec, s[2:3]
	s_and_saveexec_b64 s[2:3], s[30:31]
	s_cbranch_execnz .LBB154_224
.LBB154_208:                            ;   in Loop: Header=BB154_13 Depth=1
	s_or_b64 exec, exec, s[2:3]
	s_and_saveexec_b64 s[2:3], s[34:35]
	s_cbranch_execnz .LBB154_225
.LBB154_209:                            ;   in Loop: Header=BB154_13 Depth=1
	s_or_b64 exec, exec, s[2:3]
	s_and_saveexec_b64 s[2:3], s[36:37]
	s_cbranch_execnz .LBB154_226
.LBB154_210:                            ;   in Loop: Header=BB154_13 Depth=1
	s_or_b64 exec, exec, s[2:3]
	s_and_saveexec_b64 s[2:3], s[38:39]
	s_cbranch_execnz .LBB154_227
.LBB154_211:                            ;   in Loop: Header=BB154_13 Depth=1
	s_or_b64 exec, exec, s[2:3]
	s_and_saveexec_b64 s[2:3], s[40:41]
	s_cbranch_execnz .LBB154_228
.LBB154_212:                            ;   in Loop: Header=BB154_13 Depth=1
	s_or_b64 exec, exec, s[2:3]
	s_and_saveexec_b64 s[2:3], s[42:43]
	s_cbranch_execnz .LBB154_229
.LBB154_213:                            ;   in Loop: Header=BB154_13 Depth=1
	s_or_b64 exec, exec, s[2:3]
	s_and_saveexec_b64 s[2:3], s[44:45]
	s_cbranch_execnz .LBB154_230
.LBB154_214:                            ;   in Loop: Header=BB154_13 Depth=1
	s_or_b64 exec, exec, s[2:3]
	s_and_saveexec_b64 s[2:3], s[46:47]
	s_cbranch_execnz .LBB154_231
.LBB154_215:                            ;   in Loop: Header=BB154_13 Depth=1
	s_or_b64 exec, exec, s[2:3]
	s_and_saveexec_b64 s[2:3], s[48:49]
	s_cbranch_execnz .LBB154_232
.LBB154_216:                            ;   in Loop: Header=BB154_13 Depth=1
	s_or_b64 exec, exec, s[2:3]
	s_and_saveexec_b64 s[2:3], s[50:51]
	s_cbranch_execnz .LBB154_233
.LBB154_217:                            ;   in Loop: Header=BB154_13 Depth=1
	s_or_b64 exec, exec, s[2:3]
	s_and_saveexec_b64 s[2:3], s[52:53]
	s_cbranch_execnz .LBB154_234
.LBB154_218:                            ;   in Loop: Header=BB154_13 Depth=1
	s_or_b64 exec, exec, s[2:3]
	s_and_saveexec_b64 s[2:3], s[54:55]
	s_cbranch_execnz .LBB154_235
.LBB154_219:                            ;   in Loop: Header=BB154_13 Depth=1
	s_or_b64 exec, exec, s[2:3]
	s_and_saveexec_b64 s[2:3], s[56:57]
	s_cbranch_execnz .LBB154_236
.LBB154_220:                            ;   in Loop: Header=BB154_13 Depth=1
	s_or_b64 exec, exec, s[2:3]
	s_and_saveexec_b64 s[2:3], s[58:59]
	s_cbranch_execz .LBB154_12
	s_branch .LBB154_237
.LBB154_221:                            ;   in Loop: Header=BB154_13 Depth=1
	global_load_dword v40, v[26:27], off offset:3328
	s_or_b64 exec, exec, s[2:3]
	s_and_saveexec_b64 s[2:3], s[56:57]
	s_cbranch_execz .LBB154_73
.LBB154_222:                            ;   in Loop: Header=BB154_13 Depth=1
	global_load_dword v39, v[26:27], off offset:3584
	s_or_b64 exec, exec, s[2:3]
	v_mov_b32_e32 v41, 0
	s_and_saveexec_b64 s[2:3], s[58:59]
	s_cbranch_execnz .LBB154_74
	s_branch .LBB154_75
.LBB154_223:                            ;   in Loop: Header=BB154_13 Depth=1
	s_waitcnt lgkmcnt(14)
	global_store_dword v[10:11], v23, off offset:256
	s_or_b64 exec, exec, s[2:3]
	s_and_saveexec_b64 s[2:3], s[30:31]
	s_cbranch_execz .LBB154_208
.LBB154_224:                            ;   in Loop: Header=BB154_13 Depth=1
	s_waitcnt lgkmcnt(13)
	global_store_dword v[10:11], v22, off offset:512
	s_or_b64 exec, exec, s[2:3]
	s_and_saveexec_b64 s[2:3], s[34:35]
	s_cbranch_execz .LBB154_209
.LBB154_225:                            ;   in Loop: Header=BB154_13 Depth=1
	s_waitcnt lgkmcnt(12)
	global_store_dword v[10:11], v21, off offset:768
	s_or_b64 exec, exec, s[2:3]
	s_and_saveexec_b64 s[2:3], s[36:37]
	s_cbranch_execz .LBB154_210
.LBB154_226:                            ;   in Loop: Header=BB154_13 Depth=1
	s_waitcnt lgkmcnt(11)
	global_store_dword v[10:11], v20, off offset:1024
	s_or_b64 exec, exec, s[2:3]
	s_and_saveexec_b64 s[2:3], s[38:39]
	s_cbranch_execz .LBB154_211
.LBB154_227:                            ;   in Loop: Header=BB154_13 Depth=1
	s_waitcnt lgkmcnt(10)
	global_store_dword v[10:11], v19, off offset:1280
	s_or_b64 exec, exec, s[2:3]
	s_and_saveexec_b64 s[2:3], s[40:41]
	s_cbranch_execz .LBB154_212
.LBB154_228:                            ;   in Loop: Header=BB154_13 Depth=1
	s_waitcnt lgkmcnt(9)
	global_store_dword v[10:11], v18, off offset:1536
	s_or_b64 exec, exec, s[2:3]
	s_and_saveexec_b64 s[2:3], s[42:43]
	s_cbranch_execz .LBB154_213
.LBB154_229:                            ;   in Loop: Header=BB154_13 Depth=1
	s_waitcnt lgkmcnt(8)
	global_store_dword v[10:11], v17, off offset:1792
	s_or_b64 exec, exec, s[2:3]
	s_and_saveexec_b64 s[2:3], s[44:45]
	s_cbranch_execz .LBB154_214
.LBB154_230:                            ;   in Loop: Header=BB154_13 Depth=1
	s_waitcnt lgkmcnt(7)
	global_store_dword v[10:11], v16, off offset:2048
	s_or_b64 exec, exec, s[2:3]
	s_and_saveexec_b64 s[2:3], s[46:47]
	s_cbranch_execz .LBB154_215
.LBB154_231:                            ;   in Loop: Header=BB154_13 Depth=1
	s_waitcnt lgkmcnt(6)
	global_store_dword v[10:11], v15, off offset:2304
	s_or_b64 exec, exec, s[2:3]
	s_and_saveexec_b64 s[2:3], s[48:49]
	s_cbranch_execz .LBB154_216
.LBB154_232:                            ;   in Loop: Header=BB154_13 Depth=1
	s_waitcnt lgkmcnt(5)
	global_store_dword v[10:11], v14, off offset:2560
	s_or_b64 exec, exec, s[2:3]
	s_and_saveexec_b64 s[2:3], s[50:51]
	s_cbranch_execz .LBB154_217
.LBB154_233:                            ;   in Loop: Header=BB154_13 Depth=1
	s_waitcnt lgkmcnt(4)
	global_store_dword v[10:11], v13, off offset:2816
	s_or_b64 exec, exec, s[2:3]
	s_and_saveexec_b64 s[2:3], s[52:53]
	s_cbranch_execz .LBB154_218
.LBB154_234:                            ;   in Loop: Header=BB154_13 Depth=1
	s_waitcnt lgkmcnt(3)
	global_store_dword v[10:11], v12, off offset:3072
	s_or_b64 exec, exec, s[2:3]
	s_and_saveexec_b64 s[2:3], s[54:55]
	s_cbranch_execz .LBB154_219
.LBB154_235:                            ;   in Loop: Header=BB154_13 Depth=1
	s_waitcnt lgkmcnt(2)
	global_store_dword v[10:11], v9, off offset:3328
	s_or_b64 exec, exec, s[2:3]
	s_and_saveexec_b64 s[2:3], s[56:57]
	s_cbranch_execz .LBB154_220
.LBB154_236:                            ;   in Loop: Header=BB154_13 Depth=1
	s_waitcnt lgkmcnt(1)
	global_store_dword v[10:11], v7, off offset:3584
	s_or_b64 exec, exec, s[2:3]
	s_and_saveexec_b64 s[2:3], s[58:59]
	s_cbranch_execz .LBB154_12
.LBB154_237:                            ;   in Loop: Header=BB154_13 Depth=1
	s_waitcnt lgkmcnt(0)
	global_store_dword v[10:11], v0, off offset:3840
	s_branch .LBB154_12
.LBB154_238:
	s_endpgm
	.section	.rodata,"a",@progbits
	.p2align	6, 0x0
	.amdhsa_kernel _Z25selective_scan_fwd_kernelI32Selective_Scan_fwd_kernel_traitsILi128ELi16ELi1ELb1ELb1ELb1ELb0ELb1EfffEEv13SSMParamsBase
		.amdhsa_group_segment_fixed_size 0
		.amdhsa_private_segment_fixed_size 0
		.amdhsa_kernarg_size 248
		.amdhsa_user_sgpr_count 2
		.amdhsa_user_sgpr_dispatch_ptr 0
		.amdhsa_user_sgpr_queue_ptr 0
		.amdhsa_user_sgpr_kernarg_segment_ptr 1
		.amdhsa_user_sgpr_dispatch_id 0
		.amdhsa_user_sgpr_kernarg_preload_length 0
		.amdhsa_user_sgpr_kernarg_preload_offset 0
		.amdhsa_user_sgpr_private_segment_size 0
		.amdhsa_uses_dynamic_stack 0
		.amdhsa_enable_private_segment 0
		.amdhsa_system_sgpr_workgroup_id_x 1
		.amdhsa_system_sgpr_workgroup_id_y 1
		.amdhsa_system_sgpr_workgroup_id_z 0
		.amdhsa_system_sgpr_workgroup_info 0
		.amdhsa_system_vgpr_workitem_id 0
		.amdhsa_next_free_vgpr 168
		.amdhsa_next_free_sgpr 100
		.amdhsa_accum_offset 168
		.amdhsa_reserve_vcc 1
		.amdhsa_float_round_mode_32 0
		.amdhsa_float_round_mode_16_64 0
		.amdhsa_float_denorm_mode_32 3
		.amdhsa_float_denorm_mode_16_64 3
		.amdhsa_dx10_clamp 1
		.amdhsa_ieee_mode 1
		.amdhsa_fp16_overflow 0
		.amdhsa_tg_split 0
		.amdhsa_exception_fp_ieee_invalid_op 0
		.amdhsa_exception_fp_denorm_src 0
		.amdhsa_exception_fp_ieee_div_zero 0
		.amdhsa_exception_fp_ieee_overflow 0
		.amdhsa_exception_fp_ieee_underflow 0
		.amdhsa_exception_fp_ieee_inexact 0
		.amdhsa_exception_int_div_zero 0
	.end_amdhsa_kernel
	.section	.text._Z25selective_scan_fwd_kernelI32Selective_Scan_fwd_kernel_traitsILi128ELi16ELi1ELb1ELb1ELb1ELb0ELb1EfffEEv13SSMParamsBase,"axG",@progbits,_Z25selective_scan_fwd_kernelI32Selective_Scan_fwd_kernel_traitsILi128ELi16ELi1ELb1ELb1ELb1ELb0ELb1EfffEEv13SSMParamsBase,comdat
.Lfunc_end154:
	.size	_Z25selective_scan_fwd_kernelI32Selective_Scan_fwd_kernel_traitsILi128ELi16ELi1ELb1ELb1ELb1ELb0ELb1EfffEEv13SSMParamsBase, .Lfunc_end154-_Z25selective_scan_fwd_kernelI32Selective_Scan_fwd_kernel_traitsILi128ELi16ELi1ELb1ELb1ELb1ELb0ELb1EfffEEv13SSMParamsBase
                                        ; -- End function
	.section	.AMDGPU.csdata,"",@progbits
; Kernel info:
; codeLenInByte = 20584
; NumSgprs: 106
; NumVgprs: 168
; NumAgprs: 0
; TotalNumVgprs: 168
; ScratchSize: 0
; MemoryBound: 0
; FloatMode: 240
; IeeeMode: 1
; LDSByteSize: 0 bytes/workgroup (compile time only)
; SGPRBlocks: 13
; VGPRBlocks: 20
; NumSGPRsForWavesPerEU: 106
; NumVGPRsForWavesPerEU: 168
; AccumOffset: 168
; Occupancy: 3
; WaveLimiterHint : 1
; COMPUTE_PGM_RSRC2:SCRATCH_EN: 0
; COMPUTE_PGM_RSRC2:USER_SGPR: 2
; COMPUTE_PGM_RSRC2:TRAP_HANDLER: 0
; COMPUTE_PGM_RSRC2:TGID_X_EN: 1
; COMPUTE_PGM_RSRC2:TGID_Y_EN: 1
; COMPUTE_PGM_RSRC2:TGID_Z_EN: 0
; COMPUTE_PGM_RSRC2:TIDIG_COMP_CNT: 0
; COMPUTE_PGM_RSRC3_GFX90A:ACCUM_OFFSET: 41
; COMPUTE_PGM_RSRC3_GFX90A:TG_SPLIT: 0
	.section	.text._Z25selective_scan_fwd_kernelI32Selective_Scan_fwd_kernel_traitsILi128ELi16ELi1ELb1ELb1ELb1ELb0ELb0EfffEEv13SSMParamsBase,"axG",@progbits,_Z25selective_scan_fwd_kernelI32Selective_Scan_fwd_kernel_traitsILi128ELi16ELi1ELb1ELb1ELb1ELb0ELb0EfffEEv13SSMParamsBase,comdat
	.protected	_Z25selective_scan_fwd_kernelI32Selective_Scan_fwd_kernel_traitsILi128ELi16ELi1ELb1ELb1ELb1ELb0ELb0EfffEEv13SSMParamsBase ; -- Begin function _Z25selective_scan_fwd_kernelI32Selective_Scan_fwd_kernel_traitsILi128ELi16ELi1ELb1ELb1ELb1ELb0ELb0EfffEEv13SSMParamsBase
	.globl	_Z25selective_scan_fwd_kernelI32Selective_Scan_fwd_kernel_traitsILi128ELi16ELi1ELb1ELb1ELb1ELb0ELb0EfffEEv13SSMParamsBase
	.p2align	8
	.type	_Z25selective_scan_fwd_kernelI32Selective_Scan_fwd_kernel_traitsILi128ELi16ELi1ELb1ELb1ELb1ELb0ELb0EfffEEv13SSMParamsBase,@function
_Z25selective_scan_fwd_kernelI32Selective_Scan_fwd_kernel_traitsILi128ELi16ELi1ELb1ELb1ELb1ELb0ELb0EfffEEv13SSMParamsBase: ; @_Z25selective_scan_fwd_kernelI32Selective_Scan_fwd_kernel_traitsILi128ELi16ELi1ELb1ELb1ELb1ELb0ELb0EfffEEv13SSMParamsBase
; %bb.0:
	s_load_dword s9, s[0:1], 0x18
	s_load_dwordx4 s[4:7], s[0:1], 0xe8
	s_mov_b32 s20, s3
                                        ; implicit-def: $vgpr167 : SGPR spill to VGPR lane
	s_waitcnt lgkmcnt(0)
	s_abs_i32 s8, s9
	v_cvt_f32_u32_e32 v1, s8
	s_cmp_eq_u64 s[6:7], 0
	v_rcp_iflag_f32_e32 v1, v1
	s_nop 0
	v_mul_f32_e32 v1, 0x4f7ffffe, v1
	v_cvt_u32_f32_e32 v1, v1
	s_nop 0
	v_readfirstlane_b32 s10, v1
	s_cbranch_scc1 .LBB155_2
; %bb.1:
	s_ashr_i32 s3, s2, 31
	s_add_u32 s6, s6, s2
	s_addc_u32 s7, s7, s3
	v_mov_b32_e32 v1, 0
	global_load_ubyte v1, v1, s[6:7]
	s_waitcnt vmcnt(0)
	v_and_b32_e32 v1, 1, v1
	v_cmp_eq_u32_e64 s[6:7], 1, v1
	s_branch .LBB155_3
.LBB155_2:
	s_mov_b64 s[6:7], 0
.LBB155_3:
	s_nop 0
	v_writelane_b32 v167, s6, 0
	s_cmp_eq_u64 s[4:5], 0
	s_nop 0
	v_writelane_b32 v167, s7, 1
	s_load_dwordx2 s[6:7], s[0:1], 0x20
	s_cbranch_scc1 .LBB155_5
; %bb.4:
	s_ashr_i32 s3, s2, 31
	s_lshl_b64 s[12:13], s[2:3], 2
	s_add_u32 s4, s4, s12
	s_addc_u32 s5, s5, s13
	s_load_dword s22, s[4:5], 0x0
	s_waitcnt lgkmcnt(0)
	s_ashr_i32 s23, s22, 31
	s_cmp_eq_u64 s[6:7], s[22:23]
	s_cbranch_scc0 .LBB155_6
	s_branch .LBB155_94
.LBB155_5:
	s_mov_b32 s22, s2
	s_ashr_i32 s23, s22, 31
	s_waitcnt lgkmcnt(0)
	s_cmp_eq_u64 s[6:7], s[22:23]
	s_cbranch_scc1 .LBB155_94
.LBB155_6:
	s_load_dwordx16 s[36:51], s[0:1], 0x88
	s_load_dwordx2 s[96:97], s[0:1], 0x8
	s_mov_b32 s33, 0
	s_mov_b32 s6, 0
	s_waitcnt lgkmcnt(0)
	s_cmp_eq_u64 s[42:43], 0
	s_cbranch_scc1 .LBB155_8
; %bb.7:
	s_ashr_i32 s21, s20, 31
	s_lshl_b64 s[4:5], s[20:21], 2
	s_add_u32 s4, s42, s4
	s_addc_u32 s5, s43, s5
	s_load_dword s6, s[4:5], 0x0
.LBB155_8:
	s_cmp_eq_u64 s[48:49], 0
	s_cbranch_scc1 .LBB155_10
; %bb.9:
	s_ashr_i32 s21, s20, 31
	s_lshl_b64 s[4:5], s[20:21], 2
	s_add_u32 s4, s48, s4
	s_addc_u32 s5, s49, s5
	s_load_dword s33, s[4:5], 0x0
.LBB155_10:
	s_cmp_lt_i32 s96, 1
	s_cbranch_scc1 .LBB155_94
; %bb.11:
	s_sub_i32 s3, 0, s8
	s_mul_i32 s3, s3, s10
	s_mul_hi_u32 s3, s10, s3
	s_abs_i32 s7, s20
	s_add_i32 s3, s10, s3
	s_load_dwordx8 s[72:79], s[0:1], 0x2c
	s_load_dwordx2 s[4:5], s[0:1], 0x5c
	s_load_dwordx4 s[80:83], s[0:1], 0x4c
	s_load_dwordx4 s[68:71], s[0:1], 0x7c
	s_load_dwordx2 s[10:11], s[0:1], 0x6c
	s_load_dwordx2 s[12:13], s[0:1], 0xc8
	s_mul_hi_u32 s3, s7, s3
	s_load_dword s14, s[0:1], 0x28
	s_ashr_i32 s0, s20, 31
	s_ashr_i32 s1, s9, 31
	s_xor_b32 s0, s0, s1
	s_mul_i32 s1, s3, s8
	s_sub_i32 s1, s7, s1
	s_add_i32 s7, s3, 1
	s_sub_i32 s9, s1, s8
	s_cmp_ge_u32 s1, s8
	s_cselect_b32 s3, s7, s3
	s_cselect_b32 s1, s9, s1
	s_add_i32 s7, s3, 1
	s_cmp_ge_u32 s1, s8
	s_cselect_b32 s1, s7, s3
	s_xor_b32 s1, s1, s0
	s_sub_i32 s3, s1, s0
	s_waitcnt lgkmcnt(0)
	s_mul_i32 s0, s82, s2
	s_mov_b32 s1, 0
	s_lshl_b64 s[8:9], s[0:1], 2
	s_add_u32 s7, s44, s8
	s_mul_i32 s0, s83, s20
	s_addc_u32 s15, s45, s9
	s_lshl_b64 s[8:9], s[0:1], 2
	s_add_u32 s82, s7, s8
	s_mul_i32 s0, s4, s2
	s_addc_u32 s83, s15, s9
	;; [unrolled: 4-line block ×10, first 2 shown]
	s_lshl_b64 s[4:5], s[0:1], 2
	v_mbcnt_lo_u32_b32 v1, -1, 0
	s_add_u32 s72, s3, s4
	v_mbcnt_hi_u32_b32 v2, -1, v1
	v_lshlrev_b32_e32 v1, 2, v0
	s_addc_u32 s77, s8, s5
	s_add_i32 s0, s96, 0x7ff
	v_and_b32_e32 v4, 0x100, v1
	s_lshr_b32 s3, s0, 11
	v_or_b32_e32 v1, v2, v4
	s_movk_i32 s0, 0x200
	v_cmp_gt_u32_e64 s[4:5], s0, v1
	v_or_b32_e32 v5, 0x80, v1
	v_add_u32_e32 v3, 64, v1
	v_writelane_b32 v167, s4, 2
	v_add_u32_e32 v6, 0xc0, v1
	v_cmp_gt_u32_e64 s[38:39], s0, v3
	v_writelane_b32 v167, s5, 3
	v_cmp_gt_u32_e64 s[4:5], s0, v5
	v_lshrrev_b32_e32 v7, 5, v1
	v_lshrrev_b32_e32 v3, 5, v3
	v_writelane_b32 v167, s4, 4
	v_lshrrev_b32_e32 v5, 5, v5
	s_bitcmp1_b32 s14, 0
	v_writelane_b32 v167, s5, 5
	v_cmp_gt_u32_e64 s[4:5], s0, v6
	v_lshrrev_b32_e32 v6, 5, v6
	v_add_u32_e32 v7, v7, v1
	v_writelane_b32 v167, s4, 6
	v_add_lshl_u32 v3, v3, v1, 4
	v_add_lshl_u32 v5, v5, v1, 4
	;; [unrolled: 1-line block ×3, first 2 shown]
	v_and_b32_e32 v6, 64, v0
	s_cselect_b64 s[92:93], -1, 0
	s_cmp_gt_i32 s97, 0
	v_writelane_b32 v167, s5, 7
	v_lshl_add_u32 v108, v7, 4, 0
	v_add_u32_e32 v7, v2, v6
	s_cselect_b64 s[4:5], -1, 0
	v_lshlrev_b32_e32 v8, 2, v7
	v_bfe_u32 v7, v7, 3, 27
	v_writelane_b32 v167, s4, 8
	v_add_lshl_u32 v7, v7, v8, 4
	s_add_i32 s0, 0, 0x2100
	v_writelane_b32 v167, s5, 9
	v_add_u32_e32 v113, s0, v3
	v_add_u32_e32 v114, s0, v5
	;; [unrolled: 1-line block ×4, first 2 shown]
	v_writelane_b32 v167, s3, 10
	s_add_i32 s0, s3, -1
	v_writelane_b32 v167, s0, 11
	s_mul_i32 s0, s10, s2
	s_and_b32 s4, s96, 0x7ff
	s_lshl_b64 s[2:3], s[0:1], 2
	s_add_u32 s5, s50, s2
	s_mul_i32 s0, s11, s20
	s_addc_u32 s8, s51, s3
	s_lshl_b64 s[2:3], s[0:1], 2
	v_add_u32_e32 v111, 0, v1
	s_add_u32 s2, s5, s2
	v_and_b32_e32 v1, 15, v2
	s_addc_u32 s3, s8, s3
	v_cmp_eq_u32_e64 s[8:9], 0, v1
	v_cmp_lt_u32_e64 s[10:11], 1, v1
	v_cmp_lt_u32_e64 s[12:13], 3, v1
	;; [unrolled: 1-line block ×3, first 2 shown]
	v_and_b32_e32 v1, 16, v2
	s_cmp_eq_u32 s4, 0
	v_cmp_ne_u32_e64 s[16:17], 0, v1
	v_or_b32_e32 v1, 63, v6
	s_cselect_b64 s[4:5], -1, 0
	v_cmp_eq_u32_e64 s[20:21], v1, v0
	v_lshrrev_b32_e32 v1, 3, v0
	v_writelane_b32 v167, s4, 12
	v_and_b32_e32 v1, 8, v1
	v_add_u32_e32 v118, 0, v1
	v_writelane_b32 v167, s5, 13
	v_and_b32_e32 v1, 1, v2
	s_add_i32 s0, 0, 0x4210
	v_add_u32_e32 v109, 0, v3
	v_cmp_eq_u32_e64 s[24:25], 0, v1
	v_add_u32_e32 v1, -1, v2
	v_and_b32_e32 v3, 64, v2
	v_writelane_b32 v167, s0, 14
	v_cmp_lt_i32_e32 vcc, v1, v3
	v_writelane_b32 v167, s96, 15
	v_mov_b32_e32 v81, 0
	v_cndmask_b32_e32 v1, v1, v2, vcc
	v_lshlrev_b32_e32 v80, 4, v2
	v_writelane_b32 v167, s97, 16
	v_lshlrev_b32_e32 v117, 4, v0
	v_cmp_gt_u32_e64 s[22:23], 2, v0
	v_lshl_add_u32 v119, v0, 3, 0
	v_cmp_gt_u32_e64 s[26:27], 64, v0
	v_cmp_lt_u32_e64 s[28:29], 63, v0
	v_lshlrev_b32_e32 v120, 2, v1
	v_cmp_eq_u32_e64 s[30:31], 0, v0
	v_lshl_add_u64 v[0:1], s[2:3], 0, v[80:81]
	v_lshlrev_b32_e32 v80, 4, v4
	v_lshlrev_b32_e32 v84, 4, v4
	v_writelane_b32 v167, s38, 17
	v_add_u32_e32 v110, 0, v5
	v_add_u32_e32 v112, 0, v7
	v_cmp_lt_u32_e64 s[18:19], 31, v2
	v_cmp_eq_u32_e64 s[34:35], 0, v2
	v_lshl_add_u64 v[82:83], v[0:1], 0, v[80:81]
	v_lshlrev_b32_e32 v80, 4, v2
	v_mov_b32_e32 v86, v84
	v_mov_b32_e32 v88, 0x3f317218
	;; [unrolled: 1-line block ×4, first 2 shown]
	s_mov_b32 s81, 0xc2fc0000
	v_mov_b32_e32 v87, v81
	v_mov_b32_e32 v138, 0x42800000
	s_mov_b32 s40, 0
	v_mov_b32_e32 v139, 0x1f800000
	v_writelane_b32 v167, s39, 18
                                        ; implicit-def: $vgpr16_vgpr17
                                        ; implicit-def: $vgpr8_vgpr9
                                        ; implicit-def: $vgpr4_vgpr5
                                        ; implicit-def: $vgpr0_vgpr1
                                        ; implicit-def: $vgpr24_vgpr25
                                        ; implicit-def: $vgpr20_vgpr21
                                        ; implicit-def: $vgpr12_vgpr13
                                        ; implicit-def: $vgpr2
                                        ; implicit-def: $vgpr28_vgpr29
	s_branch .LBB155_14
.LBB155_12:                             ;   in Loop: Header=BB155_14 Depth=1
	v_readlane_b32 s96, v167, 15
	v_readlane_b32 s38, v167, 17
	;; [unrolled: 1-line block ×4, first 2 shown]
	s_mov_b32 s40, s85
.LBB155_13:                             ;   in Loop: Header=BB155_14 Depth=1
	s_barrier
	ds_write_b128 v112, v[44:47]
	ds_write_b128 v112, v[40:43] offset:16
	ds_write_b128 v112, v[36:39] offset:32
	;; [unrolled: 1-line block ×3, first 2 shown]
	; wave barrier
	ds_read_b128 v[32:35], v108
	ds_read_b128 v[36:39], v109 offset:1024
	s_add_u32 s90, s90, 0x2000
	s_addc_u32 s91, s91, 0
	s_mov_b32 s69, s1
	s_waitcnt lgkmcnt(1)
	v_mov_b32_e32 v44, v33
	v_mov_b32_e32 v45, v34
	;; [unrolled: 1-line block ×4, first 2 shown]
	s_add_u32 s82, s82, 0x2000
	v_lshl_add_u64 v[48:49], s[68:69], 2, v[82:83]
	v_mov_b32_e32 v34, v45
	v_mov_b32_e32 v35, v46
	s_addc_u32 s83, s83, 0
	ds_read_b128 v[40:43], v110 offset:2048
	global_store_dwordx4 v[48:49], v[32:35], off
	s_waitcnt lgkmcnt(1)
	global_store_dwordx4 v[48:49], v[36:39], off offset:1024
	ds_read_b128 v[32:35], v111 offset:3072
	s_add_u32 s74, s74, 0x2000
	s_addc_u32 s75, s75, 0
	s_add_u32 s78, s78, 0x2000
	s_addc_u32 s79, s79, 0
	s_add_i32 s40, s40, 1
	v_readlane_b32 s0, v167, 10
	s_cmp_eq_u32 s40, s0
	s_waitcnt lgkmcnt(1)
	global_store_dwordx4 v[48:49], v[40:43], off offset:2048
	s_waitcnt lgkmcnt(0)
	global_store_dwordx4 v[48:49], v[32:35], off offset:3072
	s_cbranch_scc1 .LBB155_94
.LBB155_14:                             ; =>This Loop Header: Depth=1
                                        ;     Child Loop BB155_65 Depth 2
	s_nop 0
	v_lshl_add_u64 v[32:33], s[82:83], 0, v[80:81]
	v_lshl_add_u64 v[32:33], v[32:33], 0, v[86:87]
	s_barrier
	s_mov_b64 s[2:3], exec
	v_readlane_b32 s4, v167, 2
	v_readlane_b32 s5, v167, 3
	s_and_b64 s[4:5], s[2:3], s[4:5]
	s_mov_b64 exec, s[4:5]
	s_cbranch_execz .LBB155_16
; %bb.15:                               ;   in Loop: Header=BB155_14 Depth=1
	global_load_dwordx4 v[24:27], v[32:33], off
.LBB155_16:                             ;   in Loop: Header=BB155_14 Depth=1
	s_or_b64 exec, exec, s[2:3]
	s_and_saveexec_b64 s[2:3], s[38:39]
	s_cbranch_execz .LBB155_18
; %bb.17:                               ;   in Loop: Header=BB155_14 Depth=1
	global_load_dwordx4 v[20:23], v[32:33], off offset:1024
.LBB155_18:                             ;   in Loop: Header=BB155_14 Depth=1
	s_or_b64 exec, exec, s[2:3]
	s_mov_b64 s[2:3], exec
	v_readlane_b32 s4, v167, 4
	v_readlane_b32 s5, v167, 5
	s_and_b64 s[4:5], s[2:3], s[4:5]
	s_mov_b64 exec, s[4:5]
	s_cbranch_execz .LBB155_20
; %bb.19:                               ;   in Loop: Header=BB155_14 Depth=1
	global_load_dwordx4 v[12:15], v[32:33], off offset:2048
.LBB155_20:                             ;   in Loop: Header=BB155_14 Depth=1
	s_or_b64 exec, exec, s[2:3]
	s_mov_b64 s[2:3], exec
	v_readlane_b32 s4, v167, 6
	v_readlane_b32 s5, v167, 7
	s_and_b64 s[4:5], s[2:3], s[4:5]
	s_mov_b64 exec, s[4:5]
	s_cbranch_execz .LBB155_22
; %bb.21:                               ;   in Loop: Header=BB155_14 Depth=1
	global_load_dwordx4 v[28:31], v[32:33], off offset:3072
.LBB155_22:                             ;   in Loop: Header=BB155_14 Depth=1
	s_or_b64 exec, exec, s[2:3]
	s_waitcnt vmcnt(0)
	ds_write_b128 v108, v[24:27]
	ds_write_b128 v109, v[20:23] offset:1024
	ds_write_b128 v110, v[12:15] offset:2048
	;; [unrolled: 1-line block ×3, first 2 shown]
	; wave barrier
	ds_read_b128 v[24:27], v112
	ds_read_b128 v[20:23], v112 offset:16
	ds_read_b128 v[12:15], v112 offset:32
	;; [unrolled: 1-line block ×3, first 2 shown]
	v_lshl_add_u64 v[32:33], s[90:91], 0, v[80:81]
	v_mov_b32_e32 v85, v81
	v_lshl_add_u64 v[32:33], v[32:33], 0, v[84:85]
	s_waitcnt lgkmcnt(0)
	s_barrier
	s_mov_b64 s[2:3], exec
	v_readlane_b32 s4, v167, 2
	v_readlane_b32 s5, v167, 3
	s_and_b64 s[4:5], s[2:3], s[4:5]
	s_mov_b64 exec, s[4:5]
	s_cbranch_execz .LBB155_24
; %bb.23:                               ;   in Loop: Header=BB155_14 Depth=1
	global_load_dwordx4 v[16:19], v[32:33], off
.LBB155_24:                             ;   in Loop: Header=BB155_14 Depth=1
	s_or_b64 exec, exec, s[2:3]
	s_and_saveexec_b64 s[2:3], s[38:39]
	s_cbranch_execz .LBB155_26
; %bb.25:                               ;   in Loop: Header=BB155_14 Depth=1
	global_load_dwordx4 v[8:11], v[32:33], off offset:1024
.LBB155_26:                             ;   in Loop: Header=BB155_14 Depth=1
	s_or_b64 exec, exec, s[2:3]
	s_mov_b64 s[2:3], exec
	v_readlane_b32 s4, v167, 4
	v_readlane_b32 s5, v167, 5
	s_and_b64 s[4:5], s[2:3], s[4:5]
	s_mov_b64 exec, s[4:5]
	s_cbranch_execz .LBB155_28
; %bb.27:                               ;   in Loop: Header=BB155_14 Depth=1
	global_load_dwordx4 v[4:7], v[32:33], off offset:2048
.LBB155_28:                             ;   in Loop: Header=BB155_14 Depth=1
	s_or_b64 exec, exec, s[2:3]
	s_mov_b64 s[2:3], exec
	v_readlane_b32 s4, v167, 6
	v_readlane_b32 s5, v167, 7
	s_and_b64 s[4:5], s[2:3], s[4:5]
	s_mov_b64 exec, s[4:5]
	s_cbranch_execz .LBB155_30
; %bb.29:                               ;   in Loop: Header=BB155_14 Depth=1
	global_load_dwordx4 v[0:3], v[32:33], off offset:3072
.LBB155_30:                             ;   in Loop: Header=BB155_14 Depth=1
	s_or_b64 exec, exec, s[2:3]
	s_waitcnt vmcnt(0)
	ds_write_b128 v108, v[16:19]
	ds_write_b128 v109, v[8:11] offset:1024
	ds_write_b128 v110, v[4:7] offset:2048
	;; [unrolled: 1-line block ×3, first 2 shown]
	; wave barrier
	ds_read_b128 v[16:19], v112
	ds_read_b128 v[8:11], v112 offset:16
	ds_read_b128 v[4:7], v112 offset:32
	;; [unrolled: 1-line block ×3, first 2 shown]
	s_mov_b32 s0, 0x41a00000
	s_waitcnt lgkmcnt(3)
	v_add_f32_e32 v140, s33, v16
	v_cmp_ge_f32_e32 vcc, s0, v140
	s_and_b64 s[2:3], s[92:93], vcc
	s_and_saveexec_b64 s[36:37], s[2:3]
	s_cbranch_execz .LBB155_32
; %bb.31:                               ;   in Loop: Header=BB155_14 Depth=1
	v_mul_f32_e32 v32, 0x3fb8aa3b, v140
	v_rndne_f32_e32 v33, v32
	s_mov_b32 s0, 0x3fb8aa3b
	v_sub_f32_e32 v34, v32, v33
	v_fma_f32 v32, v140, s0, -v32
	v_fmac_f32_e32 v32, 0x32a5705f, v140
	v_add_f32_e32 v32, v34, v32
	v_cvt_i32_f32_e32 v33, v33
	v_exp_f32_e32 v32, v32
	s_mov_b32 s0, 0xc2ce8ed0
	v_cmp_ngt_f32_e32 vcc, s0, v140
	s_mov_b32 s0, 0x42b17218
	v_ldexp_f32 v32, v32, v33
	v_cndmask_b32_e32 v32, 0, v32, vcc
	v_cmp_nlt_f32_e32 vcc, s0, v140
	s_mov_b32 s0, 0x3f2aaaab
	s_nop 0
	v_cndmask_b32_e32 v48, v137, v32, vcc
	v_add_f32_e32 v34, 1.0, v48
	v_add_f32_e32 v32, -1.0, v34
	v_sub_f32_e32 v33, v32, v34
	v_add_f32_e32 v33, 1.0, v33
	v_sub_f32_e32 v32, v48, v32
	v_add_f32_e32 v35, v32, v33
	v_frexp_mant_f32_e32 v36, v34
	v_cvt_f64_f32_e32 v[32:33], v34
	v_frexp_exp_i32_f64_e32 v32, v[32:33]
	v_cmp_gt_f32_e32 vcc, s0, v36
	s_mov_b32 s0, 0x3f317218
	s_nop 0
	v_subbrev_co_u32_e32 v40, vcc, 0, v32, vcc
	v_sub_u32_e32 v32, 0, v40
	v_ldexp_f32 v33, v34, v32
	v_add_f32_e32 v34, -1.0, v33
	v_add_f32_e32 v36, 1.0, v33
	v_ldexp_f32 v32, v35, v32
	v_add_f32_e32 v35, 1.0, v34
	v_add_f32_e32 v37, -1.0, v36
	v_sub_f32_e32 v35, v33, v35
	v_sub_f32_e32 v33, v33, v37
	v_add_f32_e32 v35, v32, v35
	v_add_f32_e32 v32, v32, v33
	;; [unrolled: 1-line block ×3, first 2 shown]
	v_rcp_f32_e32 v43, v41
	v_sub_f32_e32 v33, v36, v41
	v_add_f32_e32 v42, v32, v33
	v_add_f32_e32 v33, v34, v35
	v_mul_f32_e32 v45, v33, v43
	v_sub_f32_e32 v32, v34, v33
	v_mul_f32_e32 v34, v41, v45
	v_fma_f32 v36, v45, v41, -v34
	v_fmac_f32_e32 v36, v45, v42
	v_add_f32_e32 v44, v35, v32
	v_add_f32_e32 v32, v34, v36
	v_sub_f32_e32 v35, v33, v32
	v_pk_add_f32 v[38:39], v[32:33], v[34:35] neg_lo:[0,1] neg_hi:[0,1]
	v_mov_b32_e32 v37, v32
	v_pk_add_f32 v[32:33], v[38:39], v[36:37] neg_lo:[0,1] neg_hi:[0,1]
	s_nop 0
	v_add_f32_e32 v33, v44, v33
	v_add_f32_e32 v32, v32, v33
	;; [unrolled: 1-line block ×3, first 2 shown]
	v_mul_f32_e32 v44, v43, v33
	v_mul_f32_e32 v34, v41, v44
	v_fma_f32 v36, v44, v41, -v34
	v_fmac_f32_e32 v36, v44, v42
	v_sub_f32_e32 v35, v35, v33
	v_add_f32_e32 v41, v32, v35
	v_add_f32_e32 v32, v34, v36
	v_sub_f32_e32 v35, v33, v32
	v_pk_add_f32 v[38:39], v[32:33], v[34:35] neg_lo:[0,1] neg_hi:[0,1]
	v_mov_b32_e32 v37, v32
	v_pk_add_f32 v[32:33], v[38:39], v[36:37] neg_lo:[0,1] neg_hi:[0,1]
	s_nop 0
	v_add_f32_e32 v33, v41, v33
	v_add_f32_e32 v32, v32, v33
	;; [unrolled: 1-line block ×4, first 2 shown]
	v_sub_f32_e32 v34, v33, v45
	v_mul_f32_e32 v32, v43, v32
	v_sub_f32_e32 v34, v44, v34
	v_add_f32_e32 v34, v34, v32
	v_add_f32_e32 v36, v33, v34
	v_mul_f32_e32 v37, v36, v36
	v_fmamk_f32 v32, v37, 0x3e9b6dac, v136
	v_fmaak_f32 v89, v37, v32, 0x3f2aaada
	v_cvt_f32_i32_e32 v32, v40
	v_sub_f32_e32 v33, v36, v33
	v_sub_f32_e32 v33, v34, v33
	v_ldexp_f32 v38, v33, 1
	v_mul_f32_e32 v33, v36, v37
	v_ldexp_f32 v35, v36, 1
	v_pk_mul_f32 v[36:37], v[32:33], v[88:89]
	s_nop 0
	v_fma_f32 v34, v32, s0, -v36
	v_fmac_f32_e32 v34, 0xb102e308, v32
	v_pk_add_f32 v[32:33], v[36:37], v[34:35]
	s_mov_b32 s0, 0x7f800000
	v_sub_f32_e32 v35, v33, v35
	v_sub_f32_e32 v35, v37, v35
	v_add_f32_e32 v39, v38, v35
	v_mov_b32_e32 v38, v36
	v_pk_add_f32 v[36:37], v[32:33], v[36:37] neg_lo:[0,1] neg_hi:[0,1]
	v_pk_add_f32 v[40:41], v[32:33], v[38:39]
	v_mov_b32_e32 v35, v32
	v_mov_b32_e32 v37, v41
	v_pk_add_f32 v[42:43], v[34:35], v[36:37] neg_lo:[0,1] neg_hi:[0,1]
	v_pk_add_f32 v[34:35], v[34:35], v[36:37]
	v_mov_b32_e32 v38, v39
	v_mov_b32_e32 v36, v35
	v_pk_add_f32 v[44:45], v[36:37], v[32:33] neg_lo:[0,1] neg_hi:[0,1]
	v_mov_b32_e32 v34, v41
	v_mov_b32_e32 v37, v44
	v_pk_add_f32 v[46:47], v[40:41], v[36:37] neg_lo:[0,1] neg_hi:[0,1]
	v_mov_b32_e32 v40, v33
	v_mov_b32_e32 v41, v44
	;; [unrolled: 1-line block ×3, first 2 shown]
	v_pk_add_f32 v[34:35], v[34:35], v[40:41] neg_lo:[0,1] neg_hi:[0,1]
	v_mov_b32_e32 v39, v32
	v_pk_add_f32 v[32:33], v[38:39], v[34:35] neg_lo:[0,1] neg_hi:[0,1]
	v_mov_b32_e32 v46, v42
	v_pk_add_f32 v[34:35], v[46:47], v[32:33]
	v_cmp_eq_f32_e32 vcc, s0, v48
	v_mov_b32_e32 v38, v35
	v_pk_add_f32 v[38:39], v[34:35], v[38:39]
	s_mov_b32 s0, 0x33800000
	v_pk_add_f32 v[36:37], v[36:37], v[38:39]
	v_mov_b32_e32 v33, v38
	v_mov_b32_e32 v35, v36
	v_pk_add_f32 v[40:41], v[34:35], v[42:43] neg_lo:[0,1] neg_hi:[0,1]
	v_cmp_gt_f32_e64 s[2:3], s0, v48
	v_sub_f32_e32 v34, v34, v40
	v_pk_add_f32 v[32:33], v[32:33], v[40:41] neg_lo:[0,1] neg_hi:[0,1]
	v_sub_f32_e32 v34, v42, v34
	v_add_f32_e32 v32, v32, v34
	v_add_f32_e32 v32, v32, v33
	v_add_f32_e32 v32, v36, v32
	s_or_b64 vcc, s[2:3], vcc
	v_cndmask_b32_e32 v140, v32, v48, vcc
.LBB155_32:                             ;   in Loop: Header=BB155_14 Depth=1
	s_or_b64 exec, exec, s[36:37]
	v_add_f32_e32 v141, s33, v17
	s_mov_b32 s0, 0x41a00000
	v_cmp_ge_f32_e32 vcc, s0, v141
	s_and_b64 s[2:3], s[92:93], vcc
	s_and_saveexec_b64 s[36:37], s[2:3]
	s_cbranch_execz .LBB155_34
; %bb.33:                               ;   in Loop: Header=BB155_14 Depth=1
	v_mul_f32_e32 v32, 0x3fb8aa3b, v141
	v_rndne_f32_e32 v33, v32
	s_mov_b32 s0, 0x3fb8aa3b
	v_sub_f32_e32 v34, v32, v33
	v_fma_f32 v32, v141, s0, -v32
	v_fmac_f32_e32 v32, 0x32a5705f, v141
	v_add_f32_e32 v32, v34, v32
	v_cvt_i32_f32_e32 v33, v33
	v_exp_f32_e32 v32, v32
	s_mov_b32 s0, 0xc2ce8ed0
	v_cmp_ngt_f32_e32 vcc, s0, v141
	s_mov_b32 s0, 0x42b17218
	v_ldexp_f32 v32, v32, v33
	v_cndmask_b32_e32 v32, 0, v32, vcc
	v_cmp_nlt_f32_e32 vcc, s0, v141
	s_mov_b32 s0, 0x3f2aaaab
	s_nop 0
	v_cndmask_b32_e32 v48, v137, v32, vcc
	v_add_f32_e32 v34, 1.0, v48
	v_add_f32_e32 v32, -1.0, v34
	v_sub_f32_e32 v33, v32, v34
	v_add_f32_e32 v33, 1.0, v33
	v_sub_f32_e32 v32, v48, v32
	v_add_f32_e32 v35, v32, v33
	v_frexp_mant_f32_e32 v36, v34
	v_cvt_f64_f32_e32 v[32:33], v34
	v_frexp_exp_i32_f64_e32 v32, v[32:33]
	v_cmp_gt_f32_e32 vcc, s0, v36
	s_mov_b32 s0, 0x3f317218
	s_nop 0
	v_subbrev_co_u32_e32 v40, vcc, 0, v32, vcc
	v_sub_u32_e32 v32, 0, v40
	v_ldexp_f32 v33, v34, v32
	v_add_f32_e32 v34, -1.0, v33
	v_add_f32_e32 v36, 1.0, v33
	v_ldexp_f32 v32, v35, v32
	v_add_f32_e32 v35, 1.0, v34
	v_add_f32_e32 v37, -1.0, v36
	v_sub_f32_e32 v35, v33, v35
	v_sub_f32_e32 v33, v33, v37
	v_add_f32_e32 v35, v32, v35
	v_add_f32_e32 v32, v32, v33
	;; [unrolled: 1-line block ×3, first 2 shown]
	v_rcp_f32_e32 v43, v41
	v_sub_f32_e32 v33, v36, v41
	v_add_f32_e32 v42, v32, v33
	v_add_f32_e32 v33, v34, v35
	v_mul_f32_e32 v45, v33, v43
	v_sub_f32_e32 v32, v34, v33
	v_mul_f32_e32 v34, v41, v45
	v_fma_f32 v36, v45, v41, -v34
	v_fmac_f32_e32 v36, v45, v42
	v_add_f32_e32 v44, v35, v32
	v_add_f32_e32 v32, v34, v36
	v_sub_f32_e32 v35, v33, v32
	v_pk_add_f32 v[38:39], v[32:33], v[34:35] neg_lo:[0,1] neg_hi:[0,1]
	v_mov_b32_e32 v37, v32
	v_pk_add_f32 v[32:33], v[38:39], v[36:37] neg_lo:[0,1] neg_hi:[0,1]
	s_nop 0
	v_add_f32_e32 v33, v44, v33
	v_add_f32_e32 v32, v32, v33
	;; [unrolled: 1-line block ×3, first 2 shown]
	v_mul_f32_e32 v44, v43, v33
	v_mul_f32_e32 v34, v41, v44
	v_fma_f32 v36, v44, v41, -v34
	v_fmac_f32_e32 v36, v44, v42
	v_sub_f32_e32 v35, v35, v33
	v_add_f32_e32 v41, v32, v35
	v_add_f32_e32 v32, v34, v36
	v_sub_f32_e32 v35, v33, v32
	v_pk_add_f32 v[38:39], v[32:33], v[34:35] neg_lo:[0,1] neg_hi:[0,1]
	v_mov_b32_e32 v37, v32
	v_pk_add_f32 v[32:33], v[38:39], v[36:37] neg_lo:[0,1] neg_hi:[0,1]
	s_nop 0
	v_add_f32_e32 v33, v41, v33
	v_add_f32_e32 v32, v32, v33
	;; [unrolled: 1-line block ×4, first 2 shown]
	v_sub_f32_e32 v34, v33, v45
	v_mul_f32_e32 v32, v43, v32
	v_sub_f32_e32 v34, v44, v34
	v_add_f32_e32 v34, v34, v32
	v_add_f32_e32 v36, v33, v34
	v_mul_f32_e32 v37, v36, v36
	v_fmamk_f32 v32, v37, 0x3e9b6dac, v136
	v_fmaak_f32 v89, v37, v32, 0x3f2aaada
	v_cvt_f32_i32_e32 v32, v40
	v_sub_f32_e32 v33, v36, v33
	v_sub_f32_e32 v33, v34, v33
	v_ldexp_f32 v38, v33, 1
	v_mul_f32_e32 v33, v36, v37
	v_ldexp_f32 v35, v36, 1
	v_pk_mul_f32 v[36:37], v[32:33], v[88:89]
	s_nop 0
	v_fma_f32 v34, v32, s0, -v36
	v_fmac_f32_e32 v34, 0xb102e308, v32
	v_pk_add_f32 v[32:33], v[36:37], v[34:35]
	s_mov_b32 s0, 0x7f800000
	v_sub_f32_e32 v35, v33, v35
	v_sub_f32_e32 v35, v37, v35
	v_add_f32_e32 v39, v38, v35
	v_mov_b32_e32 v38, v36
	v_pk_add_f32 v[36:37], v[32:33], v[36:37] neg_lo:[0,1] neg_hi:[0,1]
	v_pk_add_f32 v[40:41], v[32:33], v[38:39]
	v_mov_b32_e32 v35, v32
	v_mov_b32_e32 v37, v41
	v_pk_add_f32 v[42:43], v[34:35], v[36:37] neg_lo:[0,1] neg_hi:[0,1]
	v_pk_add_f32 v[34:35], v[34:35], v[36:37]
	v_mov_b32_e32 v38, v39
	v_mov_b32_e32 v36, v35
	v_pk_add_f32 v[44:45], v[36:37], v[32:33] neg_lo:[0,1] neg_hi:[0,1]
	v_mov_b32_e32 v34, v41
	v_mov_b32_e32 v37, v44
	v_pk_add_f32 v[46:47], v[40:41], v[36:37] neg_lo:[0,1] neg_hi:[0,1]
	v_mov_b32_e32 v40, v33
	v_mov_b32_e32 v41, v44
	;; [unrolled: 1-line block ×3, first 2 shown]
	v_pk_add_f32 v[34:35], v[34:35], v[40:41] neg_lo:[0,1] neg_hi:[0,1]
	v_mov_b32_e32 v39, v32
	v_pk_add_f32 v[32:33], v[38:39], v[34:35] neg_lo:[0,1] neg_hi:[0,1]
	v_mov_b32_e32 v46, v42
	v_pk_add_f32 v[34:35], v[46:47], v[32:33]
	v_cmp_eq_f32_e32 vcc, s0, v48
	v_mov_b32_e32 v38, v35
	v_pk_add_f32 v[38:39], v[34:35], v[38:39]
	s_mov_b32 s0, 0x33800000
	v_pk_add_f32 v[36:37], v[36:37], v[38:39]
	v_mov_b32_e32 v33, v38
	v_mov_b32_e32 v35, v36
	v_pk_add_f32 v[40:41], v[34:35], v[42:43] neg_lo:[0,1] neg_hi:[0,1]
	v_cmp_gt_f32_e64 s[2:3], s0, v48
	v_sub_f32_e32 v34, v34, v40
	v_pk_add_f32 v[32:33], v[32:33], v[40:41] neg_lo:[0,1] neg_hi:[0,1]
	v_sub_f32_e32 v34, v42, v34
	v_add_f32_e32 v32, v32, v34
	v_add_f32_e32 v32, v32, v33
	;; [unrolled: 1-line block ×3, first 2 shown]
	s_or_b64 vcc, s[2:3], vcc
	v_cndmask_b32_e32 v141, v32, v48, vcc
.LBB155_34:                             ;   in Loop: Header=BB155_14 Depth=1
	s_or_b64 exec, exec, s[36:37]
	v_add_f32_e32 v142, s33, v18
	s_mov_b32 s0, 0x41a00000
	v_cmp_ge_f32_e32 vcc, s0, v142
	s_and_b64 s[2:3], s[92:93], vcc
	s_and_saveexec_b64 s[36:37], s[2:3]
	s_cbranch_execz .LBB155_36
; %bb.35:                               ;   in Loop: Header=BB155_14 Depth=1
	v_mul_f32_e32 v32, 0x3fb8aa3b, v142
	v_rndne_f32_e32 v33, v32
	s_mov_b32 s0, 0x3fb8aa3b
	v_sub_f32_e32 v34, v32, v33
	v_fma_f32 v32, v142, s0, -v32
	v_fmac_f32_e32 v32, 0x32a5705f, v142
	v_add_f32_e32 v32, v34, v32
	v_cvt_i32_f32_e32 v33, v33
	v_exp_f32_e32 v32, v32
	s_mov_b32 s0, 0xc2ce8ed0
	v_cmp_ngt_f32_e32 vcc, s0, v142
	s_mov_b32 s0, 0x42b17218
	v_ldexp_f32 v32, v32, v33
	v_cndmask_b32_e32 v32, 0, v32, vcc
	v_cmp_nlt_f32_e32 vcc, s0, v142
	s_mov_b32 s0, 0x3f2aaaab
	s_nop 0
	v_cndmask_b32_e32 v48, v137, v32, vcc
	v_add_f32_e32 v34, 1.0, v48
	v_add_f32_e32 v32, -1.0, v34
	v_sub_f32_e32 v33, v32, v34
	v_add_f32_e32 v33, 1.0, v33
	v_sub_f32_e32 v32, v48, v32
	v_add_f32_e32 v35, v32, v33
	v_frexp_mant_f32_e32 v36, v34
	v_cvt_f64_f32_e32 v[32:33], v34
	v_frexp_exp_i32_f64_e32 v32, v[32:33]
	v_cmp_gt_f32_e32 vcc, s0, v36
	s_mov_b32 s0, 0x3f317218
	s_nop 0
	v_subbrev_co_u32_e32 v40, vcc, 0, v32, vcc
	v_sub_u32_e32 v32, 0, v40
	v_ldexp_f32 v33, v34, v32
	v_add_f32_e32 v34, -1.0, v33
	v_add_f32_e32 v36, 1.0, v33
	v_ldexp_f32 v32, v35, v32
	v_add_f32_e32 v35, 1.0, v34
	v_add_f32_e32 v37, -1.0, v36
	v_sub_f32_e32 v35, v33, v35
	v_sub_f32_e32 v33, v33, v37
	v_add_f32_e32 v35, v32, v35
	v_add_f32_e32 v32, v32, v33
	;; [unrolled: 1-line block ×3, first 2 shown]
	v_rcp_f32_e32 v43, v41
	v_sub_f32_e32 v33, v36, v41
	v_add_f32_e32 v42, v32, v33
	v_add_f32_e32 v33, v34, v35
	v_mul_f32_e32 v45, v33, v43
	v_sub_f32_e32 v32, v34, v33
	v_mul_f32_e32 v34, v41, v45
	v_fma_f32 v36, v45, v41, -v34
	v_fmac_f32_e32 v36, v45, v42
	v_add_f32_e32 v44, v35, v32
	v_add_f32_e32 v32, v34, v36
	v_sub_f32_e32 v35, v33, v32
	v_pk_add_f32 v[38:39], v[32:33], v[34:35] neg_lo:[0,1] neg_hi:[0,1]
	v_mov_b32_e32 v37, v32
	v_pk_add_f32 v[32:33], v[38:39], v[36:37] neg_lo:[0,1] neg_hi:[0,1]
	s_nop 0
	v_add_f32_e32 v33, v44, v33
	v_add_f32_e32 v32, v32, v33
	;; [unrolled: 1-line block ×3, first 2 shown]
	v_mul_f32_e32 v44, v43, v33
	v_mul_f32_e32 v34, v41, v44
	v_fma_f32 v36, v44, v41, -v34
	v_fmac_f32_e32 v36, v44, v42
	v_sub_f32_e32 v35, v35, v33
	v_add_f32_e32 v41, v32, v35
	v_add_f32_e32 v32, v34, v36
	v_sub_f32_e32 v35, v33, v32
	v_pk_add_f32 v[38:39], v[32:33], v[34:35] neg_lo:[0,1] neg_hi:[0,1]
	v_mov_b32_e32 v37, v32
	v_pk_add_f32 v[32:33], v[38:39], v[36:37] neg_lo:[0,1] neg_hi:[0,1]
	s_nop 0
	v_add_f32_e32 v33, v41, v33
	v_add_f32_e32 v32, v32, v33
	;; [unrolled: 1-line block ×4, first 2 shown]
	v_sub_f32_e32 v34, v33, v45
	v_mul_f32_e32 v32, v43, v32
	v_sub_f32_e32 v34, v44, v34
	v_add_f32_e32 v34, v34, v32
	v_add_f32_e32 v36, v33, v34
	v_mul_f32_e32 v37, v36, v36
	v_fmamk_f32 v32, v37, 0x3e9b6dac, v136
	v_fmaak_f32 v89, v37, v32, 0x3f2aaada
	v_cvt_f32_i32_e32 v32, v40
	v_sub_f32_e32 v33, v36, v33
	v_sub_f32_e32 v33, v34, v33
	v_ldexp_f32 v38, v33, 1
	v_mul_f32_e32 v33, v36, v37
	v_ldexp_f32 v35, v36, 1
	v_pk_mul_f32 v[36:37], v[32:33], v[88:89]
	s_nop 0
	v_fma_f32 v34, v32, s0, -v36
	v_fmac_f32_e32 v34, 0xb102e308, v32
	v_pk_add_f32 v[32:33], v[36:37], v[34:35]
	s_mov_b32 s0, 0x7f800000
	v_sub_f32_e32 v35, v33, v35
	v_sub_f32_e32 v35, v37, v35
	v_add_f32_e32 v39, v38, v35
	v_mov_b32_e32 v38, v36
	v_pk_add_f32 v[36:37], v[32:33], v[36:37] neg_lo:[0,1] neg_hi:[0,1]
	v_pk_add_f32 v[40:41], v[32:33], v[38:39]
	v_mov_b32_e32 v35, v32
	v_mov_b32_e32 v37, v41
	v_pk_add_f32 v[42:43], v[34:35], v[36:37] neg_lo:[0,1] neg_hi:[0,1]
	v_pk_add_f32 v[34:35], v[34:35], v[36:37]
	v_mov_b32_e32 v38, v39
	v_mov_b32_e32 v36, v35
	v_pk_add_f32 v[44:45], v[36:37], v[32:33] neg_lo:[0,1] neg_hi:[0,1]
	v_mov_b32_e32 v34, v41
	v_mov_b32_e32 v37, v44
	v_pk_add_f32 v[46:47], v[40:41], v[36:37] neg_lo:[0,1] neg_hi:[0,1]
	v_mov_b32_e32 v40, v33
	v_mov_b32_e32 v41, v44
	;; [unrolled: 1-line block ×3, first 2 shown]
	v_pk_add_f32 v[34:35], v[34:35], v[40:41] neg_lo:[0,1] neg_hi:[0,1]
	v_mov_b32_e32 v39, v32
	v_pk_add_f32 v[32:33], v[38:39], v[34:35] neg_lo:[0,1] neg_hi:[0,1]
	v_mov_b32_e32 v46, v42
	v_pk_add_f32 v[34:35], v[46:47], v[32:33]
	v_cmp_eq_f32_e32 vcc, s0, v48
	v_mov_b32_e32 v38, v35
	v_pk_add_f32 v[38:39], v[34:35], v[38:39]
	s_mov_b32 s0, 0x33800000
	v_pk_add_f32 v[36:37], v[36:37], v[38:39]
	v_mov_b32_e32 v33, v38
	v_mov_b32_e32 v35, v36
	v_pk_add_f32 v[40:41], v[34:35], v[42:43] neg_lo:[0,1] neg_hi:[0,1]
	v_cmp_gt_f32_e64 s[2:3], s0, v48
	v_sub_f32_e32 v34, v34, v40
	v_pk_add_f32 v[32:33], v[32:33], v[40:41] neg_lo:[0,1] neg_hi:[0,1]
	v_sub_f32_e32 v34, v42, v34
	v_add_f32_e32 v32, v32, v34
	v_add_f32_e32 v32, v32, v33
	;; [unrolled: 1-line block ×3, first 2 shown]
	s_or_b64 vcc, s[2:3], vcc
	v_cndmask_b32_e32 v142, v32, v48, vcc
.LBB155_36:                             ;   in Loop: Header=BB155_14 Depth=1
	s_or_b64 exec, exec, s[36:37]
	v_add_f32_e32 v143, s33, v19
	s_mov_b32 s0, 0x41a00000
	v_cmp_ge_f32_e32 vcc, s0, v143
	s_and_b64 s[2:3], s[92:93], vcc
	s_and_saveexec_b64 s[36:37], s[2:3]
	s_cbranch_execz .LBB155_38
; %bb.37:                               ;   in Loop: Header=BB155_14 Depth=1
	v_mul_f32_e32 v32, 0x3fb8aa3b, v143
	v_rndne_f32_e32 v33, v32
	s_mov_b32 s0, 0x3fb8aa3b
	v_sub_f32_e32 v34, v32, v33
	v_fma_f32 v32, v143, s0, -v32
	v_fmac_f32_e32 v32, 0x32a5705f, v143
	v_add_f32_e32 v32, v34, v32
	v_cvt_i32_f32_e32 v33, v33
	v_exp_f32_e32 v32, v32
	s_mov_b32 s0, 0xc2ce8ed0
	v_cmp_ngt_f32_e32 vcc, s0, v143
	s_mov_b32 s0, 0x42b17218
	v_ldexp_f32 v32, v32, v33
	v_cndmask_b32_e32 v32, 0, v32, vcc
	v_cmp_nlt_f32_e32 vcc, s0, v143
	s_mov_b32 s0, 0x3f2aaaab
	s_nop 0
	v_cndmask_b32_e32 v48, v137, v32, vcc
	v_add_f32_e32 v34, 1.0, v48
	v_add_f32_e32 v32, -1.0, v34
	v_sub_f32_e32 v33, v32, v34
	v_add_f32_e32 v33, 1.0, v33
	v_sub_f32_e32 v32, v48, v32
	v_add_f32_e32 v35, v32, v33
	v_frexp_mant_f32_e32 v36, v34
	v_cvt_f64_f32_e32 v[32:33], v34
	v_frexp_exp_i32_f64_e32 v32, v[32:33]
	v_cmp_gt_f32_e32 vcc, s0, v36
	s_mov_b32 s0, 0x3f317218
	s_nop 0
	v_subbrev_co_u32_e32 v40, vcc, 0, v32, vcc
	v_sub_u32_e32 v32, 0, v40
	v_ldexp_f32 v33, v34, v32
	v_add_f32_e32 v34, -1.0, v33
	v_add_f32_e32 v36, 1.0, v33
	v_ldexp_f32 v32, v35, v32
	v_add_f32_e32 v35, 1.0, v34
	v_add_f32_e32 v37, -1.0, v36
	v_sub_f32_e32 v35, v33, v35
	v_sub_f32_e32 v33, v33, v37
	v_add_f32_e32 v35, v32, v35
	v_add_f32_e32 v32, v32, v33
	;; [unrolled: 1-line block ×3, first 2 shown]
	v_rcp_f32_e32 v43, v41
	v_sub_f32_e32 v33, v36, v41
	v_add_f32_e32 v42, v32, v33
	v_add_f32_e32 v33, v34, v35
	v_mul_f32_e32 v45, v33, v43
	v_sub_f32_e32 v32, v34, v33
	v_mul_f32_e32 v34, v41, v45
	v_fma_f32 v36, v45, v41, -v34
	v_fmac_f32_e32 v36, v45, v42
	v_add_f32_e32 v44, v35, v32
	v_add_f32_e32 v32, v34, v36
	v_sub_f32_e32 v35, v33, v32
	v_pk_add_f32 v[38:39], v[32:33], v[34:35] neg_lo:[0,1] neg_hi:[0,1]
	v_mov_b32_e32 v37, v32
	v_pk_add_f32 v[32:33], v[38:39], v[36:37] neg_lo:[0,1] neg_hi:[0,1]
	s_nop 0
	v_add_f32_e32 v33, v44, v33
	v_add_f32_e32 v32, v32, v33
	;; [unrolled: 1-line block ×3, first 2 shown]
	v_mul_f32_e32 v44, v43, v33
	v_mul_f32_e32 v34, v41, v44
	v_fma_f32 v36, v44, v41, -v34
	v_fmac_f32_e32 v36, v44, v42
	v_sub_f32_e32 v35, v35, v33
	v_add_f32_e32 v41, v32, v35
	v_add_f32_e32 v32, v34, v36
	v_sub_f32_e32 v35, v33, v32
	v_pk_add_f32 v[38:39], v[32:33], v[34:35] neg_lo:[0,1] neg_hi:[0,1]
	v_mov_b32_e32 v37, v32
	v_pk_add_f32 v[32:33], v[38:39], v[36:37] neg_lo:[0,1] neg_hi:[0,1]
	s_nop 0
	v_add_f32_e32 v33, v41, v33
	v_add_f32_e32 v32, v32, v33
	;; [unrolled: 1-line block ×4, first 2 shown]
	v_sub_f32_e32 v34, v33, v45
	v_mul_f32_e32 v32, v43, v32
	v_sub_f32_e32 v34, v44, v34
	v_add_f32_e32 v34, v34, v32
	v_add_f32_e32 v36, v33, v34
	v_mul_f32_e32 v37, v36, v36
	v_fmamk_f32 v32, v37, 0x3e9b6dac, v136
	v_fmaak_f32 v89, v37, v32, 0x3f2aaada
	v_cvt_f32_i32_e32 v32, v40
	v_sub_f32_e32 v33, v36, v33
	v_sub_f32_e32 v33, v34, v33
	v_ldexp_f32 v38, v33, 1
	v_mul_f32_e32 v33, v36, v37
	v_ldexp_f32 v35, v36, 1
	v_pk_mul_f32 v[36:37], v[32:33], v[88:89]
	s_nop 0
	v_fma_f32 v34, v32, s0, -v36
	v_fmac_f32_e32 v34, 0xb102e308, v32
	v_pk_add_f32 v[32:33], v[36:37], v[34:35]
	s_mov_b32 s0, 0x7f800000
	v_sub_f32_e32 v35, v33, v35
	v_sub_f32_e32 v35, v37, v35
	v_add_f32_e32 v39, v38, v35
	v_mov_b32_e32 v38, v36
	v_pk_add_f32 v[36:37], v[32:33], v[36:37] neg_lo:[0,1] neg_hi:[0,1]
	v_pk_add_f32 v[40:41], v[32:33], v[38:39]
	v_mov_b32_e32 v35, v32
	v_mov_b32_e32 v37, v41
	v_pk_add_f32 v[42:43], v[34:35], v[36:37] neg_lo:[0,1] neg_hi:[0,1]
	v_pk_add_f32 v[34:35], v[34:35], v[36:37]
	v_mov_b32_e32 v38, v39
	v_mov_b32_e32 v36, v35
	v_pk_add_f32 v[44:45], v[36:37], v[32:33] neg_lo:[0,1] neg_hi:[0,1]
	v_mov_b32_e32 v34, v41
	v_mov_b32_e32 v37, v44
	v_pk_add_f32 v[46:47], v[40:41], v[36:37] neg_lo:[0,1] neg_hi:[0,1]
	v_mov_b32_e32 v40, v33
	v_mov_b32_e32 v41, v44
	;; [unrolled: 1-line block ×3, first 2 shown]
	v_pk_add_f32 v[34:35], v[34:35], v[40:41] neg_lo:[0,1] neg_hi:[0,1]
	v_mov_b32_e32 v39, v32
	v_pk_add_f32 v[32:33], v[38:39], v[34:35] neg_lo:[0,1] neg_hi:[0,1]
	v_mov_b32_e32 v46, v42
	v_pk_add_f32 v[34:35], v[46:47], v[32:33]
	v_cmp_eq_f32_e32 vcc, s0, v48
	v_mov_b32_e32 v38, v35
	v_pk_add_f32 v[38:39], v[34:35], v[38:39]
	s_mov_b32 s0, 0x33800000
	v_pk_add_f32 v[36:37], v[36:37], v[38:39]
	v_mov_b32_e32 v33, v38
	v_mov_b32_e32 v35, v36
	v_pk_add_f32 v[40:41], v[34:35], v[42:43] neg_lo:[0,1] neg_hi:[0,1]
	v_cmp_gt_f32_e64 s[2:3], s0, v48
	v_sub_f32_e32 v34, v34, v40
	v_pk_add_f32 v[32:33], v[32:33], v[40:41] neg_lo:[0,1] neg_hi:[0,1]
	v_sub_f32_e32 v34, v42, v34
	v_add_f32_e32 v32, v32, v34
	v_add_f32_e32 v32, v32, v33
	;; [unrolled: 1-line block ×3, first 2 shown]
	s_or_b64 vcc, s[2:3], vcc
	v_cndmask_b32_e32 v143, v32, v48, vcc
.LBB155_38:                             ;   in Loop: Header=BB155_14 Depth=1
	s_or_b64 exec, exec, s[36:37]
	s_waitcnt lgkmcnt(2)
	v_add_f32_e32 v144, s33, v8
	s_mov_b32 s0, 0x41a00000
	v_cmp_ge_f32_e32 vcc, s0, v144
	s_and_b64 s[2:3], s[92:93], vcc
	s_and_saveexec_b64 s[36:37], s[2:3]
	s_cbranch_execz .LBB155_40
; %bb.39:                               ;   in Loop: Header=BB155_14 Depth=1
	v_mul_f32_e32 v32, 0x3fb8aa3b, v144
	v_rndne_f32_e32 v33, v32
	s_mov_b32 s0, 0x3fb8aa3b
	v_sub_f32_e32 v34, v32, v33
	v_fma_f32 v32, v144, s0, -v32
	v_fmac_f32_e32 v32, 0x32a5705f, v144
	v_add_f32_e32 v32, v34, v32
	v_cvt_i32_f32_e32 v33, v33
	v_exp_f32_e32 v32, v32
	s_mov_b32 s0, 0xc2ce8ed0
	v_cmp_ngt_f32_e32 vcc, s0, v144
	s_mov_b32 s0, 0x42b17218
	v_ldexp_f32 v32, v32, v33
	v_cndmask_b32_e32 v32, 0, v32, vcc
	v_cmp_nlt_f32_e32 vcc, s0, v144
	s_mov_b32 s0, 0x3f2aaaab
	s_nop 0
	v_cndmask_b32_e32 v48, v137, v32, vcc
	v_add_f32_e32 v34, 1.0, v48
	v_add_f32_e32 v32, -1.0, v34
	v_sub_f32_e32 v33, v32, v34
	v_add_f32_e32 v33, 1.0, v33
	v_sub_f32_e32 v32, v48, v32
	v_add_f32_e32 v35, v32, v33
	v_frexp_mant_f32_e32 v36, v34
	v_cvt_f64_f32_e32 v[32:33], v34
	v_frexp_exp_i32_f64_e32 v32, v[32:33]
	v_cmp_gt_f32_e32 vcc, s0, v36
	s_mov_b32 s0, 0x3f317218
	s_nop 0
	v_subbrev_co_u32_e32 v40, vcc, 0, v32, vcc
	v_sub_u32_e32 v32, 0, v40
	v_ldexp_f32 v33, v34, v32
	v_add_f32_e32 v34, -1.0, v33
	v_add_f32_e32 v36, 1.0, v33
	v_ldexp_f32 v32, v35, v32
	v_add_f32_e32 v35, 1.0, v34
	v_add_f32_e32 v37, -1.0, v36
	v_sub_f32_e32 v35, v33, v35
	v_sub_f32_e32 v33, v33, v37
	v_add_f32_e32 v35, v32, v35
	v_add_f32_e32 v32, v32, v33
	;; [unrolled: 1-line block ×3, first 2 shown]
	v_rcp_f32_e32 v43, v41
	v_sub_f32_e32 v33, v36, v41
	v_add_f32_e32 v42, v32, v33
	v_add_f32_e32 v33, v34, v35
	v_mul_f32_e32 v45, v33, v43
	v_sub_f32_e32 v32, v34, v33
	v_mul_f32_e32 v34, v41, v45
	v_fma_f32 v36, v45, v41, -v34
	v_fmac_f32_e32 v36, v45, v42
	v_add_f32_e32 v44, v35, v32
	v_add_f32_e32 v32, v34, v36
	v_sub_f32_e32 v35, v33, v32
	v_pk_add_f32 v[38:39], v[32:33], v[34:35] neg_lo:[0,1] neg_hi:[0,1]
	v_mov_b32_e32 v37, v32
	v_pk_add_f32 v[32:33], v[38:39], v[36:37] neg_lo:[0,1] neg_hi:[0,1]
	s_nop 0
	v_add_f32_e32 v33, v44, v33
	v_add_f32_e32 v32, v32, v33
	v_add_f32_e32 v33, v35, v32
	v_mul_f32_e32 v44, v43, v33
	v_mul_f32_e32 v34, v41, v44
	v_fma_f32 v36, v44, v41, -v34
	v_fmac_f32_e32 v36, v44, v42
	v_sub_f32_e32 v35, v35, v33
	v_add_f32_e32 v41, v32, v35
	v_add_f32_e32 v32, v34, v36
	v_sub_f32_e32 v35, v33, v32
	v_pk_add_f32 v[38:39], v[32:33], v[34:35] neg_lo:[0,1] neg_hi:[0,1]
	v_mov_b32_e32 v37, v32
	v_pk_add_f32 v[32:33], v[38:39], v[36:37] neg_lo:[0,1] neg_hi:[0,1]
	s_nop 0
	v_add_f32_e32 v33, v41, v33
	v_add_f32_e32 v32, v32, v33
	;; [unrolled: 1-line block ×4, first 2 shown]
	v_sub_f32_e32 v34, v33, v45
	v_mul_f32_e32 v32, v43, v32
	v_sub_f32_e32 v34, v44, v34
	v_add_f32_e32 v34, v34, v32
	v_add_f32_e32 v36, v33, v34
	v_mul_f32_e32 v37, v36, v36
	v_fmamk_f32 v32, v37, 0x3e9b6dac, v136
	v_fmaak_f32 v89, v37, v32, 0x3f2aaada
	v_cvt_f32_i32_e32 v32, v40
	v_sub_f32_e32 v33, v36, v33
	v_sub_f32_e32 v33, v34, v33
	v_ldexp_f32 v38, v33, 1
	v_mul_f32_e32 v33, v36, v37
	v_ldexp_f32 v35, v36, 1
	v_pk_mul_f32 v[36:37], v[32:33], v[88:89]
	s_nop 0
	v_fma_f32 v34, v32, s0, -v36
	v_fmac_f32_e32 v34, 0xb102e308, v32
	v_pk_add_f32 v[32:33], v[36:37], v[34:35]
	s_mov_b32 s0, 0x7f800000
	v_sub_f32_e32 v35, v33, v35
	v_sub_f32_e32 v35, v37, v35
	v_add_f32_e32 v39, v38, v35
	v_mov_b32_e32 v38, v36
	v_pk_add_f32 v[36:37], v[32:33], v[36:37] neg_lo:[0,1] neg_hi:[0,1]
	v_pk_add_f32 v[40:41], v[32:33], v[38:39]
	v_mov_b32_e32 v35, v32
	v_mov_b32_e32 v37, v41
	v_pk_add_f32 v[42:43], v[34:35], v[36:37] neg_lo:[0,1] neg_hi:[0,1]
	v_pk_add_f32 v[34:35], v[34:35], v[36:37]
	v_mov_b32_e32 v38, v39
	v_mov_b32_e32 v36, v35
	v_pk_add_f32 v[44:45], v[36:37], v[32:33] neg_lo:[0,1] neg_hi:[0,1]
	v_mov_b32_e32 v34, v41
	v_mov_b32_e32 v37, v44
	v_pk_add_f32 v[46:47], v[40:41], v[36:37] neg_lo:[0,1] neg_hi:[0,1]
	v_mov_b32_e32 v40, v33
	v_mov_b32_e32 v41, v44
	;; [unrolled: 1-line block ×3, first 2 shown]
	v_pk_add_f32 v[34:35], v[34:35], v[40:41] neg_lo:[0,1] neg_hi:[0,1]
	v_mov_b32_e32 v39, v32
	v_pk_add_f32 v[32:33], v[38:39], v[34:35] neg_lo:[0,1] neg_hi:[0,1]
	v_mov_b32_e32 v46, v42
	v_pk_add_f32 v[34:35], v[46:47], v[32:33]
	v_cmp_eq_f32_e32 vcc, s0, v48
	v_mov_b32_e32 v38, v35
	v_pk_add_f32 v[38:39], v[34:35], v[38:39]
	s_mov_b32 s0, 0x33800000
	v_pk_add_f32 v[36:37], v[36:37], v[38:39]
	v_mov_b32_e32 v33, v38
	v_mov_b32_e32 v35, v36
	v_pk_add_f32 v[40:41], v[34:35], v[42:43] neg_lo:[0,1] neg_hi:[0,1]
	v_cmp_gt_f32_e64 s[2:3], s0, v48
	v_sub_f32_e32 v34, v34, v40
	v_pk_add_f32 v[32:33], v[32:33], v[40:41] neg_lo:[0,1] neg_hi:[0,1]
	v_sub_f32_e32 v34, v42, v34
	v_add_f32_e32 v32, v32, v34
	v_add_f32_e32 v32, v32, v33
	;; [unrolled: 1-line block ×3, first 2 shown]
	s_or_b64 vcc, s[2:3], vcc
	v_cndmask_b32_e32 v144, v32, v48, vcc
.LBB155_40:                             ;   in Loop: Header=BB155_14 Depth=1
	s_or_b64 exec, exec, s[36:37]
	v_add_f32_e32 v145, s33, v9
	s_mov_b32 s0, 0x41a00000
	v_cmp_ge_f32_e32 vcc, s0, v145
	s_and_b64 s[2:3], s[92:93], vcc
	s_and_saveexec_b64 s[36:37], s[2:3]
	s_cbranch_execz .LBB155_42
; %bb.41:                               ;   in Loop: Header=BB155_14 Depth=1
	v_mul_f32_e32 v32, 0x3fb8aa3b, v145
	v_rndne_f32_e32 v33, v32
	s_mov_b32 s0, 0x3fb8aa3b
	v_sub_f32_e32 v34, v32, v33
	v_fma_f32 v32, v145, s0, -v32
	v_fmac_f32_e32 v32, 0x32a5705f, v145
	v_add_f32_e32 v32, v34, v32
	v_cvt_i32_f32_e32 v33, v33
	v_exp_f32_e32 v32, v32
	s_mov_b32 s0, 0xc2ce8ed0
	v_cmp_ngt_f32_e32 vcc, s0, v145
	s_mov_b32 s0, 0x42b17218
	v_ldexp_f32 v32, v32, v33
	v_cndmask_b32_e32 v32, 0, v32, vcc
	v_cmp_nlt_f32_e32 vcc, s0, v145
	s_mov_b32 s0, 0x3f2aaaab
	s_nop 0
	v_cndmask_b32_e32 v48, v137, v32, vcc
	v_add_f32_e32 v34, 1.0, v48
	v_add_f32_e32 v32, -1.0, v34
	v_sub_f32_e32 v33, v32, v34
	v_add_f32_e32 v33, 1.0, v33
	v_sub_f32_e32 v32, v48, v32
	v_add_f32_e32 v35, v32, v33
	v_frexp_mant_f32_e32 v36, v34
	v_cvt_f64_f32_e32 v[32:33], v34
	v_frexp_exp_i32_f64_e32 v32, v[32:33]
	v_cmp_gt_f32_e32 vcc, s0, v36
	s_mov_b32 s0, 0x3f317218
	s_nop 0
	v_subbrev_co_u32_e32 v40, vcc, 0, v32, vcc
	v_sub_u32_e32 v32, 0, v40
	v_ldexp_f32 v33, v34, v32
	v_add_f32_e32 v34, -1.0, v33
	v_add_f32_e32 v36, 1.0, v33
	v_ldexp_f32 v32, v35, v32
	v_add_f32_e32 v35, 1.0, v34
	v_add_f32_e32 v37, -1.0, v36
	v_sub_f32_e32 v35, v33, v35
	v_sub_f32_e32 v33, v33, v37
	v_add_f32_e32 v35, v32, v35
	v_add_f32_e32 v32, v32, v33
	;; [unrolled: 1-line block ×3, first 2 shown]
	v_rcp_f32_e32 v43, v41
	v_sub_f32_e32 v33, v36, v41
	v_add_f32_e32 v42, v32, v33
	v_add_f32_e32 v33, v34, v35
	v_mul_f32_e32 v45, v33, v43
	v_sub_f32_e32 v32, v34, v33
	v_mul_f32_e32 v34, v41, v45
	v_fma_f32 v36, v45, v41, -v34
	v_fmac_f32_e32 v36, v45, v42
	v_add_f32_e32 v44, v35, v32
	v_add_f32_e32 v32, v34, v36
	v_sub_f32_e32 v35, v33, v32
	v_pk_add_f32 v[38:39], v[32:33], v[34:35] neg_lo:[0,1] neg_hi:[0,1]
	v_mov_b32_e32 v37, v32
	v_pk_add_f32 v[32:33], v[38:39], v[36:37] neg_lo:[0,1] neg_hi:[0,1]
	s_nop 0
	v_add_f32_e32 v33, v44, v33
	v_add_f32_e32 v32, v32, v33
	;; [unrolled: 1-line block ×3, first 2 shown]
	v_mul_f32_e32 v44, v43, v33
	v_mul_f32_e32 v34, v41, v44
	v_fma_f32 v36, v44, v41, -v34
	v_fmac_f32_e32 v36, v44, v42
	v_sub_f32_e32 v35, v35, v33
	v_add_f32_e32 v41, v32, v35
	v_add_f32_e32 v32, v34, v36
	v_sub_f32_e32 v35, v33, v32
	v_pk_add_f32 v[38:39], v[32:33], v[34:35] neg_lo:[0,1] neg_hi:[0,1]
	v_mov_b32_e32 v37, v32
	v_pk_add_f32 v[32:33], v[38:39], v[36:37] neg_lo:[0,1] neg_hi:[0,1]
	s_nop 0
	v_add_f32_e32 v33, v41, v33
	v_add_f32_e32 v32, v32, v33
	;; [unrolled: 1-line block ×4, first 2 shown]
	v_sub_f32_e32 v34, v33, v45
	v_mul_f32_e32 v32, v43, v32
	v_sub_f32_e32 v34, v44, v34
	v_add_f32_e32 v34, v34, v32
	v_add_f32_e32 v36, v33, v34
	v_mul_f32_e32 v37, v36, v36
	v_fmamk_f32 v32, v37, 0x3e9b6dac, v136
	v_fmaak_f32 v89, v37, v32, 0x3f2aaada
	v_cvt_f32_i32_e32 v32, v40
	v_sub_f32_e32 v33, v36, v33
	v_sub_f32_e32 v33, v34, v33
	v_ldexp_f32 v38, v33, 1
	v_mul_f32_e32 v33, v36, v37
	v_ldexp_f32 v35, v36, 1
	v_pk_mul_f32 v[36:37], v[32:33], v[88:89]
	s_nop 0
	v_fma_f32 v34, v32, s0, -v36
	v_fmac_f32_e32 v34, 0xb102e308, v32
	v_pk_add_f32 v[32:33], v[36:37], v[34:35]
	s_mov_b32 s0, 0x7f800000
	v_sub_f32_e32 v35, v33, v35
	v_sub_f32_e32 v35, v37, v35
	v_add_f32_e32 v39, v38, v35
	v_mov_b32_e32 v38, v36
	v_pk_add_f32 v[36:37], v[32:33], v[36:37] neg_lo:[0,1] neg_hi:[0,1]
	v_pk_add_f32 v[40:41], v[32:33], v[38:39]
	v_mov_b32_e32 v35, v32
	v_mov_b32_e32 v37, v41
	v_pk_add_f32 v[42:43], v[34:35], v[36:37] neg_lo:[0,1] neg_hi:[0,1]
	v_pk_add_f32 v[34:35], v[34:35], v[36:37]
	v_mov_b32_e32 v38, v39
	v_mov_b32_e32 v36, v35
	v_pk_add_f32 v[44:45], v[36:37], v[32:33] neg_lo:[0,1] neg_hi:[0,1]
	v_mov_b32_e32 v34, v41
	v_mov_b32_e32 v37, v44
	v_pk_add_f32 v[46:47], v[40:41], v[36:37] neg_lo:[0,1] neg_hi:[0,1]
	v_mov_b32_e32 v40, v33
	v_mov_b32_e32 v41, v44
	v_mov_b32_e32 v43, v35
	v_pk_add_f32 v[34:35], v[34:35], v[40:41] neg_lo:[0,1] neg_hi:[0,1]
	v_mov_b32_e32 v39, v32
	v_pk_add_f32 v[32:33], v[38:39], v[34:35] neg_lo:[0,1] neg_hi:[0,1]
	v_mov_b32_e32 v46, v42
	v_pk_add_f32 v[34:35], v[46:47], v[32:33]
	v_cmp_eq_f32_e32 vcc, s0, v48
	v_mov_b32_e32 v38, v35
	v_pk_add_f32 v[38:39], v[34:35], v[38:39]
	s_mov_b32 s0, 0x33800000
	v_pk_add_f32 v[36:37], v[36:37], v[38:39]
	v_mov_b32_e32 v33, v38
	v_mov_b32_e32 v35, v36
	v_pk_add_f32 v[40:41], v[34:35], v[42:43] neg_lo:[0,1] neg_hi:[0,1]
	v_cmp_gt_f32_e64 s[2:3], s0, v48
	v_sub_f32_e32 v34, v34, v40
	v_pk_add_f32 v[32:33], v[32:33], v[40:41] neg_lo:[0,1] neg_hi:[0,1]
	v_sub_f32_e32 v34, v42, v34
	v_add_f32_e32 v32, v32, v34
	v_add_f32_e32 v32, v32, v33
	v_add_f32_e32 v32, v36, v32
	s_or_b64 vcc, s[2:3], vcc
	v_cndmask_b32_e32 v145, v32, v48, vcc
.LBB155_42:                             ;   in Loop: Header=BB155_14 Depth=1
	s_or_b64 exec, exec, s[36:37]
	v_add_f32_e32 v146, s33, v10
	s_mov_b32 s0, 0x41a00000
	v_cmp_ge_f32_e32 vcc, s0, v146
	s_and_b64 s[2:3], s[92:93], vcc
	s_and_saveexec_b64 s[36:37], s[2:3]
	s_cbranch_execz .LBB155_44
; %bb.43:                               ;   in Loop: Header=BB155_14 Depth=1
	v_mul_f32_e32 v32, 0x3fb8aa3b, v146
	v_rndne_f32_e32 v33, v32
	s_mov_b32 s0, 0x3fb8aa3b
	v_sub_f32_e32 v34, v32, v33
	v_fma_f32 v32, v146, s0, -v32
	v_fmac_f32_e32 v32, 0x32a5705f, v146
	v_add_f32_e32 v32, v34, v32
	v_cvt_i32_f32_e32 v33, v33
	v_exp_f32_e32 v32, v32
	s_mov_b32 s0, 0xc2ce8ed0
	v_cmp_ngt_f32_e32 vcc, s0, v146
	s_mov_b32 s0, 0x42b17218
	v_ldexp_f32 v32, v32, v33
	v_cndmask_b32_e32 v32, 0, v32, vcc
	v_cmp_nlt_f32_e32 vcc, s0, v146
	s_mov_b32 s0, 0x3f2aaaab
	s_nop 0
	v_cndmask_b32_e32 v48, v137, v32, vcc
	v_add_f32_e32 v34, 1.0, v48
	v_add_f32_e32 v32, -1.0, v34
	v_sub_f32_e32 v33, v32, v34
	v_add_f32_e32 v33, 1.0, v33
	v_sub_f32_e32 v32, v48, v32
	v_add_f32_e32 v35, v32, v33
	v_frexp_mant_f32_e32 v36, v34
	v_cvt_f64_f32_e32 v[32:33], v34
	v_frexp_exp_i32_f64_e32 v32, v[32:33]
	v_cmp_gt_f32_e32 vcc, s0, v36
	s_mov_b32 s0, 0x3f317218
	s_nop 0
	v_subbrev_co_u32_e32 v40, vcc, 0, v32, vcc
	v_sub_u32_e32 v32, 0, v40
	v_ldexp_f32 v33, v34, v32
	v_add_f32_e32 v34, -1.0, v33
	v_add_f32_e32 v36, 1.0, v33
	v_ldexp_f32 v32, v35, v32
	v_add_f32_e32 v35, 1.0, v34
	v_add_f32_e32 v37, -1.0, v36
	v_sub_f32_e32 v35, v33, v35
	v_sub_f32_e32 v33, v33, v37
	v_add_f32_e32 v35, v32, v35
	v_add_f32_e32 v32, v32, v33
	;; [unrolled: 1-line block ×3, first 2 shown]
	v_rcp_f32_e32 v43, v41
	v_sub_f32_e32 v33, v36, v41
	v_add_f32_e32 v42, v32, v33
	v_add_f32_e32 v33, v34, v35
	v_mul_f32_e32 v45, v33, v43
	v_sub_f32_e32 v32, v34, v33
	v_mul_f32_e32 v34, v41, v45
	v_fma_f32 v36, v45, v41, -v34
	v_fmac_f32_e32 v36, v45, v42
	v_add_f32_e32 v44, v35, v32
	v_add_f32_e32 v32, v34, v36
	v_sub_f32_e32 v35, v33, v32
	v_pk_add_f32 v[38:39], v[32:33], v[34:35] neg_lo:[0,1] neg_hi:[0,1]
	v_mov_b32_e32 v37, v32
	v_pk_add_f32 v[32:33], v[38:39], v[36:37] neg_lo:[0,1] neg_hi:[0,1]
	s_nop 0
	v_add_f32_e32 v33, v44, v33
	v_add_f32_e32 v32, v32, v33
	;; [unrolled: 1-line block ×3, first 2 shown]
	v_mul_f32_e32 v44, v43, v33
	v_mul_f32_e32 v34, v41, v44
	v_fma_f32 v36, v44, v41, -v34
	v_fmac_f32_e32 v36, v44, v42
	v_sub_f32_e32 v35, v35, v33
	v_add_f32_e32 v41, v32, v35
	v_add_f32_e32 v32, v34, v36
	v_sub_f32_e32 v35, v33, v32
	v_pk_add_f32 v[38:39], v[32:33], v[34:35] neg_lo:[0,1] neg_hi:[0,1]
	v_mov_b32_e32 v37, v32
	v_pk_add_f32 v[32:33], v[38:39], v[36:37] neg_lo:[0,1] neg_hi:[0,1]
	s_nop 0
	v_add_f32_e32 v33, v41, v33
	v_add_f32_e32 v32, v32, v33
	;; [unrolled: 1-line block ×4, first 2 shown]
	v_sub_f32_e32 v34, v33, v45
	v_mul_f32_e32 v32, v43, v32
	v_sub_f32_e32 v34, v44, v34
	v_add_f32_e32 v34, v34, v32
	v_add_f32_e32 v36, v33, v34
	v_mul_f32_e32 v37, v36, v36
	v_fmamk_f32 v32, v37, 0x3e9b6dac, v136
	v_fmaak_f32 v89, v37, v32, 0x3f2aaada
	v_cvt_f32_i32_e32 v32, v40
	v_sub_f32_e32 v33, v36, v33
	v_sub_f32_e32 v33, v34, v33
	v_ldexp_f32 v38, v33, 1
	v_mul_f32_e32 v33, v36, v37
	v_ldexp_f32 v35, v36, 1
	v_pk_mul_f32 v[36:37], v[32:33], v[88:89]
	s_nop 0
	v_fma_f32 v34, v32, s0, -v36
	v_fmac_f32_e32 v34, 0xb102e308, v32
	v_pk_add_f32 v[32:33], v[36:37], v[34:35]
	s_mov_b32 s0, 0x7f800000
	v_sub_f32_e32 v35, v33, v35
	v_sub_f32_e32 v35, v37, v35
	v_add_f32_e32 v39, v38, v35
	v_mov_b32_e32 v38, v36
	v_pk_add_f32 v[36:37], v[32:33], v[36:37] neg_lo:[0,1] neg_hi:[0,1]
	v_pk_add_f32 v[40:41], v[32:33], v[38:39]
	v_mov_b32_e32 v35, v32
	v_mov_b32_e32 v37, v41
	v_pk_add_f32 v[42:43], v[34:35], v[36:37] neg_lo:[0,1] neg_hi:[0,1]
	v_pk_add_f32 v[34:35], v[34:35], v[36:37]
	v_mov_b32_e32 v38, v39
	v_mov_b32_e32 v36, v35
	v_pk_add_f32 v[44:45], v[36:37], v[32:33] neg_lo:[0,1] neg_hi:[0,1]
	v_mov_b32_e32 v34, v41
	v_mov_b32_e32 v37, v44
	v_pk_add_f32 v[46:47], v[40:41], v[36:37] neg_lo:[0,1] neg_hi:[0,1]
	v_mov_b32_e32 v40, v33
	v_mov_b32_e32 v41, v44
	;; [unrolled: 1-line block ×3, first 2 shown]
	v_pk_add_f32 v[34:35], v[34:35], v[40:41] neg_lo:[0,1] neg_hi:[0,1]
	v_mov_b32_e32 v39, v32
	v_pk_add_f32 v[32:33], v[38:39], v[34:35] neg_lo:[0,1] neg_hi:[0,1]
	v_mov_b32_e32 v46, v42
	v_pk_add_f32 v[34:35], v[46:47], v[32:33]
	v_cmp_eq_f32_e32 vcc, s0, v48
	v_mov_b32_e32 v38, v35
	v_pk_add_f32 v[38:39], v[34:35], v[38:39]
	s_mov_b32 s0, 0x33800000
	v_pk_add_f32 v[36:37], v[36:37], v[38:39]
	v_mov_b32_e32 v33, v38
	v_mov_b32_e32 v35, v36
	v_pk_add_f32 v[40:41], v[34:35], v[42:43] neg_lo:[0,1] neg_hi:[0,1]
	v_cmp_gt_f32_e64 s[2:3], s0, v48
	v_sub_f32_e32 v34, v34, v40
	v_pk_add_f32 v[32:33], v[32:33], v[40:41] neg_lo:[0,1] neg_hi:[0,1]
	v_sub_f32_e32 v34, v42, v34
	v_add_f32_e32 v32, v32, v34
	v_add_f32_e32 v32, v32, v33
	;; [unrolled: 1-line block ×3, first 2 shown]
	s_or_b64 vcc, s[2:3], vcc
	v_cndmask_b32_e32 v146, v32, v48, vcc
.LBB155_44:                             ;   in Loop: Header=BB155_14 Depth=1
	s_or_b64 exec, exec, s[36:37]
	v_add_f32_e32 v147, s33, v11
	s_mov_b32 s0, 0x41a00000
	v_cmp_ge_f32_e32 vcc, s0, v147
	s_and_b64 s[2:3], s[92:93], vcc
	s_and_saveexec_b64 s[36:37], s[2:3]
	s_cbranch_execz .LBB155_46
; %bb.45:                               ;   in Loop: Header=BB155_14 Depth=1
	v_mul_f32_e32 v32, 0x3fb8aa3b, v147
	v_rndne_f32_e32 v33, v32
	s_mov_b32 s0, 0x3fb8aa3b
	v_sub_f32_e32 v34, v32, v33
	v_fma_f32 v32, v147, s0, -v32
	v_fmac_f32_e32 v32, 0x32a5705f, v147
	v_add_f32_e32 v32, v34, v32
	v_cvt_i32_f32_e32 v33, v33
	v_exp_f32_e32 v32, v32
	s_mov_b32 s0, 0xc2ce8ed0
	v_cmp_ngt_f32_e32 vcc, s0, v147
	s_mov_b32 s0, 0x42b17218
	v_ldexp_f32 v32, v32, v33
	v_cndmask_b32_e32 v32, 0, v32, vcc
	v_cmp_nlt_f32_e32 vcc, s0, v147
	s_mov_b32 s0, 0x3f2aaaab
	s_nop 0
	v_cndmask_b32_e32 v48, v137, v32, vcc
	v_add_f32_e32 v34, 1.0, v48
	v_add_f32_e32 v32, -1.0, v34
	v_sub_f32_e32 v33, v32, v34
	v_add_f32_e32 v33, 1.0, v33
	v_sub_f32_e32 v32, v48, v32
	v_add_f32_e32 v35, v32, v33
	v_frexp_mant_f32_e32 v36, v34
	v_cvt_f64_f32_e32 v[32:33], v34
	v_frexp_exp_i32_f64_e32 v32, v[32:33]
	v_cmp_gt_f32_e32 vcc, s0, v36
	s_mov_b32 s0, 0x3f317218
	s_nop 0
	v_subbrev_co_u32_e32 v40, vcc, 0, v32, vcc
	v_sub_u32_e32 v32, 0, v40
	v_ldexp_f32 v33, v34, v32
	v_add_f32_e32 v34, -1.0, v33
	v_add_f32_e32 v36, 1.0, v33
	v_ldexp_f32 v32, v35, v32
	v_add_f32_e32 v35, 1.0, v34
	v_add_f32_e32 v37, -1.0, v36
	v_sub_f32_e32 v35, v33, v35
	v_sub_f32_e32 v33, v33, v37
	v_add_f32_e32 v35, v32, v35
	v_add_f32_e32 v32, v32, v33
	;; [unrolled: 1-line block ×3, first 2 shown]
	v_rcp_f32_e32 v43, v41
	v_sub_f32_e32 v33, v36, v41
	v_add_f32_e32 v42, v32, v33
	v_add_f32_e32 v33, v34, v35
	v_mul_f32_e32 v45, v33, v43
	v_sub_f32_e32 v32, v34, v33
	v_mul_f32_e32 v34, v41, v45
	v_fma_f32 v36, v45, v41, -v34
	v_fmac_f32_e32 v36, v45, v42
	v_add_f32_e32 v44, v35, v32
	v_add_f32_e32 v32, v34, v36
	v_sub_f32_e32 v35, v33, v32
	v_pk_add_f32 v[38:39], v[32:33], v[34:35] neg_lo:[0,1] neg_hi:[0,1]
	v_mov_b32_e32 v37, v32
	v_pk_add_f32 v[32:33], v[38:39], v[36:37] neg_lo:[0,1] neg_hi:[0,1]
	s_nop 0
	v_add_f32_e32 v33, v44, v33
	v_add_f32_e32 v32, v32, v33
	;; [unrolled: 1-line block ×3, first 2 shown]
	v_mul_f32_e32 v44, v43, v33
	v_mul_f32_e32 v34, v41, v44
	v_fma_f32 v36, v44, v41, -v34
	v_fmac_f32_e32 v36, v44, v42
	v_sub_f32_e32 v35, v35, v33
	v_add_f32_e32 v41, v32, v35
	v_add_f32_e32 v32, v34, v36
	v_sub_f32_e32 v35, v33, v32
	v_pk_add_f32 v[38:39], v[32:33], v[34:35] neg_lo:[0,1] neg_hi:[0,1]
	v_mov_b32_e32 v37, v32
	v_pk_add_f32 v[32:33], v[38:39], v[36:37] neg_lo:[0,1] neg_hi:[0,1]
	s_nop 0
	v_add_f32_e32 v33, v41, v33
	v_add_f32_e32 v32, v32, v33
	;; [unrolled: 1-line block ×4, first 2 shown]
	v_sub_f32_e32 v34, v33, v45
	v_mul_f32_e32 v32, v43, v32
	v_sub_f32_e32 v34, v44, v34
	v_add_f32_e32 v34, v34, v32
	v_add_f32_e32 v36, v33, v34
	v_mul_f32_e32 v37, v36, v36
	v_fmamk_f32 v32, v37, 0x3e9b6dac, v136
	v_fmaak_f32 v89, v37, v32, 0x3f2aaada
	v_cvt_f32_i32_e32 v32, v40
	v_sub_f32_e32 v33, v36, v33
	v_sub_f32_e32 v33, v34, v33
	v_ldexp_f32 v38, v33, 1
	v_mul_f32_e32 v33, v36, v37
	v_ldexp_f32 v35, v36, 1
	v_pk_mul_f32 v[36:37], v[32:33], v[88:89]
	s_nop 0
	v_fma_f32 v34, v32, s0, -v36
	v_fmac_f32_e32 v34, 0xb102e308, v32
	v_pk_add_f32 v[32:33], v[36:37], v[34:35]
	s_mov_b32 s0, 0x7f800000
	v_sub_f32_e32 v35, v33, v35
	v_sub_f32_e32 v35, v37, v35
	v_add_f32_e32 v39, v38, v35
	v_mov_b32_e32 v38, v36
	v_pk_add_f32 v[36:37], v[32:33], v[36:37] neg_lo:[0,1] neg_hi:[0,1]
	v_pk_add_f32 v[40:41], v[32:33], v[38:39]
	v_mov_b32_e32 v35, v32
	v_mov_b32_e32 v37, v41
	v_pk_add_f32 v[42:43], v[34:35], v[36:37] neg_lo:[0,1] neg_hi:[0,1]
	v_pk_add_f32 v[34:35], v[34:35], v[36:37]
	v_mov_b32_e32 v38, v39
	v_mov_b32_e32 v36, v35
	v_pk_add_f32 v[44:45], v[36:37], v[32:33] neg_lo:[0,1] neg_hi:[0,1]
	v_mov_b32_e32 v34, v41
	v_mov_b32_e32 v37, v44
	v_pk_add_f32 v[46:47], v[40:41], v[36:37] neg_lo:[0,1] neg_hi:[0,1]
	v_mov_b32_e32 v40, v33
	v_mov_b32_e32 v41, v44
	;; [unrolled: 1-line block ×3, first 2 shown]
	v_pk_add_f32 v[34:35], v[34:35], v[40:41] neg_lo:[0,1] neg_hi:[0,1]
	v_mov_b32_e32 v39, v32
	v_pk_add_f32 v[32:33], v[38:39], v[34:35] neg_lo:[0,1] neg_hi:[0,1]
	v_mov_b32_e32 v46, v42
	v_pk_add_f32 v[34:35], v[46:47], v[32:33]
	v_cmp_eq_f32_e32 vcc, s0, v48
	v_mov_b32_e32 v38, v35
	v_pk_add_f32 v[38:39], v[34:35], v[38:39]
	s_mov_b32 s0, 0x33800000
	v_pk_add_f32 v[36:37], v[36:37], v[38:39]
	v_mov_b32_e32 v33, v38
	v_mov_b32_e32 v35, v36
	v_pk_add_f32 v[40:41], v[34:35], v[42:43] neg_lo:[0,1] neg_hi:[0,1]
	v_cmp_gt_f32_e64 s[2:3], s0, v48
	v_sub_f32_e32 v34, v34, v40
	v_pk_add_f32 v[32:33], v[32:33], v[40:41] neg_lo:[0,1] neg_hi:[0,1]
	v_sub_f32_e32 v34, v42, v34
	v_add_f32_e32 v32, v32, v34
	v_add_f32_e32 v32, v32, v33
	v_add_f32_e32 v32, v36, v32
	s_or_b64 vcc, s[2:3], vcc
	v_cndmask_b32_e32 v147, v32, v48, vcc
.LBB155_46:                             ;   in Loop: Header=BB155_14 Depth=1
	s_or_b64 exec, exec, s[36:37]
	s_waitcnt lgkmcnt(1)
	v_add_f32_e32 v148, s33, v4
	s_mov_b32 s0, 0x41a00000
	v_cmp_ge_f32_e32 vcc, s0, v148
	s_and_b64 s[2:3], s[92:93], vcc
	s_and_saveexec_b64 s[36:37], s[2:3]
	s_cbranch_execz .LBB155_48
; %bb.47:                               ;   in Loop: Header=BB155_14 Depth=1
	v_mul_f32_e32 v32, 0x3fb8aa3b, v148
	v_rndne_f32_e32 v33, v32
	s_mov_b32 s0, 0x3fb8aa3b
	v_sub_f32_e32 v34, v32, v33
	v_fma_f32 v32, v148, s0, -v32
	v_fmac_f32_e32 v32, 0x32a5705f, v148
	v_add_f32_e32 v32, v34, v32
	v_cvt_i32_f32_e32 v33, v33
	v_exp_f32_e32 v32, v32
	s_mov_b32 s0, 0xc2ce8ed0
	v_cmp_ngt_f32_e32 vcc, s0, v148
	s_mov_b32 s0, 0x42b17218
	v_ldexp_f32 v32, v32, v33
	v_cndmask_b32_e32 v32, 0, v32, vcc
	v_cmp_nlt_f32_e32 vcc, s0, v148
	s_mov_b32 s0, 0x3f2aaaab
	s_nop 0
	v_cndmask_b32_e32 v48, v137, v32, vcc
	v_add_f32_e32 v34, 1.0, v48
	v_add_f32_e32 v32, -1.0, v34
	v_sub_f32_e32 v33, v32, v34
	v_add_f32_e32 v33, 1.0, v33
	v_sub_f32_e32 v32, v48, v32
	v_add_f32_e32 v35, v32, v33
	v_frexp_mant_f32_e32 v36, v34
	v_cvt_f64_f32_e32 v[32:33], v34
	v_frexp_exp_i32_f64_e32 v32, v[32:33]
	v_cmp_gt_f32_e32 vcc, s0, v36
	s_mov_b32 s0, 0x3f317218
	s_nop 0
	v_subbrev_co_u32_e32 v40, vcc, 0, v32, vcc
	v_sub_u32_e32 v32, 0, v40
	v_ldexp_f32 v33, v34, v32
	v_add_f32_e32 v34, -1.0, v33
	v_add_f32_e32 v36, 1.0, v33
	v_ldexp_f32 v32, v35, v32
	v_add_f32_e32 v35, 1.0, v34
	v_add_f32_e32 v37, -1.0, v36
	v_sub_f32_e32 v35, v33, v35
	v_sub_f32_e32 v33, v33, v37
	v_add_f32_e32 v35, v32, v35
	v_add_f32_e32 v32, v32, v33
	;; [unrolled: 1-line block ×3, first 2 shown]
	v_rcp_f32_e32 v43, v41
	v_sub_f32_e32 v33, v36, v41
	v_add_f32_e32 v42, v32, v33
	v_add_f32_e32 v33, v34, v35
	v_mul_f32_e32 v45, v33, v43
	v_sub_f32_e32 v32, v34, v33
	v_mul_f32_e32 v34, v41, v45
	v_fma_f32 v36, v45, v41, -v34
	v_fmac_f32_e32 v36, v45, v42
	v_add_f32_e32 v44, v35, v32
	v_add_f32_e32 v32, v34, v36
	v_sub_f32_e32 v35, v33, v32
	v_pk_add_f32 v[38:39], v[32:33], v[34:35] neg_lo:[0,1] neg_hi:[0,1]
	v_mov_b32_e32 v37, v32
	v_pk_add_f32 v[32:33], v[38:39], v[36:37] neg_lo:[0,1] neg_hi:[0,1]
	s_nop 0
	v_add_f32_e32 v33, v44, v33
	v_add_f32_e32 v32, v32, v33
	v_add_f32_e32 v33, v35, v32
	v_mul_f32_e32 v44, v43, v33
	v_mul_f32_e32 v34, v41, v44
	v_fma_f32 v36, v44, v41, -v34
	v_fmac_f32_e32 v36, v44, v42
	v_sub_f32_e32 v35, v35, v33
	v_add_f32_e32 v41, v32, v35
	v_add_f32_e32 v32, v34, v36
	v_sub_f32_e32 v35, v33, v32
	v_pk_add_f32 v[38:39], v[32:33], v[34:35] neg_lo:[0,1] neg_hi:[0,1]
	v_mov_b32_e32 v37, v32
	v_pk_add_f32 v[32:33], v[38:39], v[36:37] neg_lo:[0,1] neg_hi:[0,1]
	s_nop 0
	v_add_f32_e32 v33, v41, v33
	v_add_f32_e32 v32, v32, v33
	;; [unrolled: 1-line block ×4, first 2 shown]
	v_sub_f32_e32 v34, v33, v45
	v_mul_f32_e32 v32, v43, v32
	v_sub_f32_e32 v34, v44, v34
	v_add_f32_e32 v34, v34, v32
	v_add_f32_e32 v36, v33, v34
	v_mul_f32_e32 v37, v36, v36
	v_fmamk_f32 v32, v37, 0x3e9b6dac, v136
	v_fmaak_f32 v89, v37, v32, 0x3f2aaada
	v_cvt_f32_i32_e32 v32, v40
	v_sub_f32_e32 v33, v36, v33
	v_sub_f32_e32 v33, v34, v33
	v_ldexp_f32 v38, v33, 1
	v_mul_f32_e32 v33, v36, v37
	v_ldexp_f32 v35, v36, 1
	v_pk_mul_f32 v[36:37], v[32:33], v[88:89]
	s_nop 0
	v_fma_f32 v34, v32, s0, -v36
	v_fmac_f32_e32 v34, 0xb102e308, v32
	v_pk_add_f32 v[32:33], v[36:37], v[34:35]
	s_mov_b32 s0, 0x7f800000
	v_sub_f32_e32 v35, v33, v35
	v_sub_f32_e32 v35, v37, v35
	v_add_f32_e32 v39, v38, v35
	v_mov_b32_e32 v38, v36
	v_pk_add_f32 v[36:37], v[32:33], v[36:37] neg_lo:[0,1] neg_hi:[0,1]
	v_pk_add_f32 v[40:41], v[32:33], v[38:39]
	v_mov_b32_e32 v35, v32
	v_mov_b32_e32 v37, v41
	v_pk_add_f32 v[42:43], v[34:35], v[36:37] neg_lo:[0,1] neg_hi:[0,1]
	v_pk_add_f32 v[34:35], v[34:35], v[36:37]
	v_mov_b32_e32 v38, v39
	v_mov_b32_e32 v36, v35
	v_pk_add_f32 v[44:45], v[36:37], v[32:33] neg_lo:[0,1] neg_hi:[0,1]
	v_mov_b32_e32 v34, v41
	v_mov_b32_e32 v37, v44
	v_pk_add_f32 v[46:47], v[40:41], v[36:37] neg_lo:[0,1] neg_hi:[0,1]
	v_mov_b32_e32 v40, v33
	v_mov_b32_e32 v41, v44
	;; [unrolled: 1-line block ×3, first 2 shown]
	v_pk_add_f32 v[34:35], v[34:35], v[40:41] neg_lo:[0,1] neg_hi:[0,1]
	v_mov_b32_e32 v39, v32
	v_pk_add_f32 v[32:33], v[38:39], v[34:35] neg_lo:[0,1] neg_hi:[0,1]
	v_mov_b32_e32 v46, v42
	v_pk_add_f32 v[34:35], v[46:47], v[32:33]
	v_cmp_eq_f32_e32 vcc, s0, v48
	v_mov_b32_e32 v38, v35
	v_pk_add_f32 v[38:39], v[34:35], v[38:39]
	s_mov_b32 s0, 0x33800000
	v_pk_add_f32 v[36:37], v[36:37], v[38:39]
	v_mov_b32_e32 v33, v38
	v_mov_b32_e32 v35, v36
	v_pk_add_f32 v[40:41], v[34:35], v[42:43] neg_lo:[0,1] neg_hi:[0,1]
	v_cmp_gt_f32_e64 s[2:3], s0, v48
	v_sub_f32_e32 v34, v34, v40
	v_pk_add_f32 v[32:33], v[32:33], v[40:41] neg_lo:[0,1] neg_hi:[0,1]
	v_sub_f32_e32 v34, v42, v34
	v_add_f32_e32 v32, v32, v34
	v_add_f32_e32 v32, v32, v33
	;; [unrolled: 1-line block ×3, first 2 shown]
	s_or_b64 vcc, s[2:3], vcc
	v_cndmask_b32_e32 v148, v32, v48, vcc
.LBB155_48:                             ;   in Loop: Header=BB155_14 Depth=1
	s_or_b64 exec, exec, s[36:37]
	v_add_f32_e32 v149, s33, v5
	s_mov_b32 s0, 0x41a00000
	v_cmp_ge_f32_e32 vcc, s0, v149
	s_and_b64 s[2:3], s[92:93], vcc
	s_and_saveexec_b64 s[36:37], s[2:3]
	s_cbranch_execz .LBB155_50
; %bb.49:                               ;   in Loop: Header=BB155_14 Depth=1
	v_mul_f32_e32 v32, 0x3fb8aa3b, v149
	v_rndne_f32_e32 v33, v32
	s_mov_b32 s0, 0x3fb8aa3b
	v_sub_f32_e32 v34, v32, v33
	v_fma_f32 v32, v149, s0, -v32
	v_fmac_f32_e32 v32, 0x32a5705f, v149
	v_add_f32_e32 v32, v34, v32
	v_cvt_i32_f32_e32 v33, v33
	v_exp_f32_e32 v32, v32
	s_mov_b32 s0, 0xc2ce8ed0
	v_cmp_ngt_f32_e32 vcc, s0, v149
	s_mov_b32 s0, 0x42b17218
	v_ldexp_f32 v32, v32, v33
	v_cndmask_b32_e32 v32, 0, v32, vcc
	v_cmp_nlt_f32_e32 vcc, s0, v149
	s_mov_b32 s0, 0x3f2aaaab
	s_nop 0
	v_cndmask_b32_e32 v48, v137, v32, vcc
	v_add_f32_e32 v34, 1.0, v48
	v_add_f32_e32 v32, -1.0, v34
	v_sub_f32_e32 v33, v32, v34
	v_add_f32_e32 v33, 1.0, v33
	v_sub_f32_e32 v32, v48, v32
	v_add_f32_e32 v35, v32, v33
	v_frexp_mant_f32_e32 v36, v34
	v_cvt_f64_f32_e32 v[32:33], v34
	v_frexp_exp_i32_f64_e32 v32, v[32:33]
	v_cmp_gt_f32_e32 vcc, s0, v36
	s_mov_b32 s0, 0x3f317218
	s_nop 0
	v_subbrev_co_u32_e32 v40, vcc, 0, v32, vcc
	v_sub_u32_e32 v32, 0, v40
	v_ldexp_f32 v33, v34, v32
	v_add_f32_e32 v34, -1.0, v33
	v_add_f32_e32 v36, 1.0, v33
	v_ldexp_f32 v32, v35, v32
	v_add_f32_e32 v35, 1.0, v34
	v_add_f32_e32 v37, -1.0, v36
	v_sub_f32_e32 v35, v33, v35
	v_sub_f32_e32 v33, v33, v37
	v_add_f32_e32 v35, v32, v35
	v_add_f32_e32 v32, v32, v33
	;; [unrolled: 1-line block ×3, first 2 shown]
	v_rcp_f32_e32 v43, v41
	v_sub_f32_e32 v33, v36, v41
	v_add_f32_e32 v42, v32, v33
	v_add_f32_e32 v33, v34, v35
	v_mul_f32_e32 v45, v33, v43
	v_sub_f32_e32 v32, v34, v33
	v_mul_f32_e32 v34, v41, v45
	v_fma_f32 v36, v45, v41, -v34
	v_fmac_f32_e32 v36, v45, v42
	v_add_f32_e32 v44, v35, v32
	v_add_f32_e32 v32, v34, v36
	v_sub_f32_e32 v35, v33, v32
	v_pk_add_f32 v[38:39], v[32:33], v[34:35] neg_lo:[0,1] neg_hi:[0,1]
	v_mov_b32_e32 v37, v32
	v_pk_add_f32 v[32:33], v[38:39], v[36:37] neg_lo:[0,1] neg_hi:[0,1]
	s_nop 0
	v_add_f32_e32 v33, v44, v33
	v_add_f32_e32 v32, v32, v33
	;; [unrolled: 1-line block ×3, first 2 shown]
	v_mul_f32_e32 v44, v43, v33
	v_mul_f32_e32 v34, v41, v44
	v_fma_f32 v36, v44, v41, -v34
	v_fmac_f32_e32 v36, v44, v42
	v_sub_f32_e32 v35, v35, v33
	v_add_f32_e32 v41, v32, v35
	v_add_f32_e32 v32, v34, v36
	v_sub_f32_e32 v35, v33, v32
	v_pk_add_f32 v[38:39], v[32:33], v[34:35] neg_lo:[0,1] neg_hi:[0,1]
	v_mov_b32_e32 v37, v32
	v_pk_add_f32 v[32:33], v[38:39], v[36:37] neg_lo:[0,1] neg_hi:[0,1]
	s_nop 0
	v_add_f32_e32 v33, v41, v33
	v_add_f32_e32 v32, v32, v33
	v_add_f32_e32 v33, v45, v44
	v_add_f32_e32 v32, v35, v32
	v_sub_f32_e32 v34, v33, v45
	v_mul_f32_e32 v32, v43, v32
	v_sub_f32_e32 v34, v44, v34
	v_add_f32_e32 v34, v34, v32
	v_add_f32_e32 v36, v33, v34
	v_mul_f32_e32 v37, v36, v36
	v_fmamk_f32 v32, v37, 0x3e9b6dac, v136
	v_fmaak_f32 v89, v37, v32, 0x3f2aaada
	v_cvt_f32_i32_e32 v32, v40
	v_sub_f32_e32 v33, v36, v33
	v_sub_f32_e32 v33, v34, v33
	v_ldexp_f32 v38, v33, 1
	v_mul_f32_e32 v33, v36, v37
	v_ldexp_f32 v35, v36, 1
	v_pk_mul_f32 v[36:37], v[32:33], v[88:89]
	s_nop 0
	v_fma_f32 v34, v32, s0, -v36
	v_fmac_f32_e32 v34, 0xb102e308, v32
	v_pk_add_f32 v[32:33], v[36:37], v[34:35]
	s_mov_b32 s0, 0x7f800000
	v_sub_f32_e32 v35, v33, v35
	v_sub_f32_e32 v35, v37, v35
	v_add_f32_e32 v39, v38, v35
	v_mov_b32_e32 v38, v36
	v_pk_add_f32 v[36:37], v[32:33], v[36:37] neg_lo:[0,1] neg_hi:[0,1]
	v_pk_add_f32 v[40:41], v[32:33], v[38:39]
	v_mov_b32_e32 v35, v32
	v_mov_b32_e32 v37, v41
	v_pk_add_f32 v[42:43], v[34:35], v[36:37] neg_lo:[0,1] neg_hi:[0,1]
	v_pk_add_f32 v[34:35], v[34:35], v[36:37]
	v_mov_b32_e32 v38, v39
	v_mov_b32_e32 v36, v35
	v_pk_add_f32 v[44:45], v[36:37], v[32:33] neg_lo:[0,1] neg_hi:[0,1]
	v_mov_b32_e32 v34, v41
	v_mov_b32_e32 v37, v44
	v_pk_add_f32 v[46:47], v[40:41], v[36:37] neg_lo:[0,1] neg_hi:[0,1]
	v_mov_b32_e32 v40, v33
	v_mov_b32_e32 v41, v44
	;; [unrolled: 1-line block ×3, first 2 shown]
	v_pk_add_f32 v[34:35], v[34:35], v[40:41] neg_lo:[0,1] neg_hi:[0,1]
	v_mov_b32_e32 v39, v32
	v_pk_add_f32 v[32:33], v[38:39], v[34:35] neg_lo:[0,1] neg_hi:[0,1]
	v_mov_b32_e32 v46, v42
	v_pk_add_f32 v[34:35], v[46:47], v[32:33]
	v_cmp_eq_f32_e32 vcc, s0, v48
	v_mov_b32_e32 v38, v35
	v_pk_add_f32 v[38:39], v[34:35], v[38:39]
	s_mov_b32 s0, 0x33800000
	v_pk_add_f32 v[36:37], v[36:37], v[38:39]
	v_mov_b32_e32 v33, v38
	v_mov_b32_e32 v35, v36
	v_pk_add_f32 v[40:41], v[34:35], v[42:43] neg_lo:[0,1] neg_hi:[0,1]
	v_cmp_gt_f32_e64 s[2:3], s0, v48
	v_sub_f32_e32 v34, v34, v40
	v_pk_add_f32 v[32:33], v[32:33], v[40:41] neg_lo:[0,1] neg_hi:[0,1]
	v_sub_f32_e32 v34, v42, v34
	v_add_f32_e32 v32, v32, v34
	v_add_f32_e32 v32, v32, v33
	;; [unrolled: 1-line block ×3, first 2 shown]
	s_or_b64 vcc, s[2:3], vcc
	v_cndmask_b32_e32 v149, v32, v48, vcc
.LBB155_50:                             ;   in Loop: Header=BB155_14 Depth=1
	s_or_b64 exec, exec, s[36:37]
	v_add_f32_e32 v150, s33, v6
	s_mov_b32 s0, 0x41a00000
	v_cmp_ge_f32_e32 vcc, s0, v150
	s_and_b64 s[2:3], s[92:93], vcc
	s_and_saveexec_b64 s[36:37], s[2:3]
	s_cbranch_execz .LBB155_52
; %bb.51:                               ;   in Loop: Header=BB155_14 Depth=1
	v_mul_f32_e32 v32, 0x3fb8aa3b, v150
	v_rndne_f32_e32 v33, v32
	s_mov_b32 s0, 0x3fb8aa3b
	v_sub_f32_e32 v34, v32, v33
	v_fma_f32 v32, v150, s0, -v32
	v_fmac_f32_e32 v32, 0x32a5705f, v150
	v_add_f32_e32 v32, v34, v32
	v_cvt_i32_f32_e32 v33, v33
	v_exp_f32_e32 v32, v32
	s_mov_b32 s0, 0xc2ce8ed0
	v_cmp_ngt_f32_e32 vcc, s0, v150
	s_mov_b32 s0, 0x42b17218
	v_ldexp_f32 v32, v32, v33
	v_cndmask_b32_e32 v32, 0, v32, vcc
	v_cmp_nlt_f32_e32 vcc, s0, v150
	s_mov_b32 s0, 0x3f2aaaab
	s_nop 0
	v_cndmask_b32_e32 v48, v137, v32, vcc
	v_add_f32_e32 v34, 1.0, v48
	v_add_f32_e32 v32, -1.0, v34
	v_sub_f32_e32 v33, v32, v34
	v_add_f32_e32 v33, 1.0, v33
	v_sub_f32_e32 v32, v48, v32
	v_add_f32_e32 v35, v32, v33
	v_frexp_mant_f32_e32 v36, v34
	v_cvt_f64_f32_e32 v[32:33], v34
	v_frexp_exp_i32_f64_e32 v32, v[32:33]
	v_cmp_gt_f32_e32 vcc, s0, v36
	s_mov_b32 s0, 0x3f317218
	s_nop 0
	v_subbrev_co_u32_e32 v40, vcc, 0, v32, vcc
	v_sub_u32_e32 v32, 0, v40
	v_ldexp_f32 v33, v34, v32
	v_add_f32_e32 v34, -1.0, v33
	v_add_f32_e32 v36, 1.0, v33
	v_ldexp_f32 v32, v35, v32
	v_add_f32_e32 v35, 1.0, v34
	v_add_f32_e32 v37, -1.0, v36
	v_sub_f32_e32 v35, v33, v35
	v_sub_f32_e32 v33, v33, v37
	v_add_f32_e32 v35, v32, v35
	v_add_f32_e32 v32, v32, v33
	;; [unrolled: 1-line block ×3, first 2 shown]
	v_rcp_f32_e32 v43, v41
	v_sub_f32_e32 v33, v36, v41
	v_add_f32_e32 v42, v32, v33
	v_add_f32_e32 v33, v34, v35
	v_mul_f32_e32 v45, v33, v43
	v_sub_f32_e32 v32, v34, v33
	v_mul_f32_e32 v34, v41, v45
	v_fma_f32 v36, v45, v41, -v34
	v_fmac_f32_e32 v36, v45, v42
	v_add_f32_e32 v44, v35, v32
	v_add_f32_e32 v32, v34, v36
	v_sub_f32_e32 v35, v33, v32
	v_pk_add_f32 v[38:39], v[32:33], v[34:35] neg_lo:[0,1] neg_hi:[0,1]
	v_mov_b32_e32 v37, v32
	v_pk_add_f32 v[32:33], v[38:39], v[36:37] neg_lo:[0,1] neg_hi:[0,1]
	s_nop 0
	v_add_f32_e32 v33, v44, v33
	v_add_f32_e32 v32, v32, v33
	;; [unrolled: 1-line block ×3, first 2 shown]
	v_mul_f32_e32 v44, v43, v33
	v_mul_f32_e32 v34, v41, v44
	v_fma_f32 v36, v44, v41, -v34
	v_fmac_f32_e32 v36, v44, v42
	v_sub_f32_e32 v35, v35, v33
	v_add_f32_e32 v41, v32, v35
	v_add_f32_e32 v32, v34, v36
	v_sub_f32_e32 v35, v33, v32
	v_pk_add_f32 v[38:39], v[32:33], v[34:35] neg_lo:[0,1] neg_hi:[0,1]
	v_mov_b32_e32 v37, v32
	v_pk_add_f32 v[32:33], v[38:39], v[36:37] neg_lo:[0,1] neg_hi:[0,1]
	s_nop 0
	v_add_f32_e32 v33, v41, v33
	v_add_f32_e32 v32, v32, v33
	;; [unrolled: 1-line block ×4, first 2 shown]
	v_sub_f32_e32 v34, v33, v45
	v_mul_f32_e32 v32, v43, v32
	v_sub_f32_e32 v34, v44, v34
	v_add_f32_e32 v34, v34, v32
	v_add_f32_e32 v36, v33, v34
	v_mul_f32_e32 v37, v36, v36
	v_fmamk_f32 v32, v37, 0x3e9b6dac, v136
	v_fmaak_f32 v89, v37, v32, 0x3f2aaada
	v_cvt_f32_i32_e32 v32, v40
	v_sub_f32_e32 v33, v36, v33
	v_sub_f32_e32 v33, v34, v33
	v_ldexp_f32 v38, v33, 1
	v_mul_f32_e32 v33, v36, v37
	v_ldexp_f32 v35, v36, 1
	v_pk_mul_f32 v[36:37], v[32:33], v[88:89]
	s_nop 0
	v_fma_f32 v34, v32, s0, -v36
	v_fmac_f32_e32 v34, 0xb102e308, v32
	v_pk_add_f32 v[32:33], v[36:37], v[34:35]
	s_mov_b32 s0, 0x7f800000
	v_sub_f32_e32 v35, v33, v35
	v_sub_f32_e32 v35, v37, v35
	v_add_f32_e32 v39, v38, v35
	v_mov_b32_e32 v38, v36
	v_pk_add_f32 v[36:37], v[32:33], v[36:37] neg_lo:[0,1] neg_hi:[0,1]
	v_pk_add_f32 v[40:41], v[32:33], v[38:39]
	v_mov_b32_e32 v35, v32
	v_mov_b32_e32 v37, v41
	v_pk_add_f32 v[42:43], v[34:35], v[36:37] neg_lo:[0,1] neg_hi:[0,1]
	v_pk_add_f32 v[34:35], v[34:35], v[36:37]
	v_mov_b32_e32 v38, v39
	v_mov_b32_e32 v36, v35
	v_pk_add_f32 v[44:45], v[36:37], v[32:33] neg_lo:[0,1] neg_hi:[0,1]
	v_mov_b32_e32 v34, v41
	v_mov_b32_e32 v37, v44
	v_pk_add_f32 v[46:47], v[40:41], v[36:37] neg_lo:[0,1] neg_hi:[0,1]
	v_mov_b32_e32 v40, v33
	v_mov_b32_e32 v41, v44
	;; [unrolled: 1-line block ×3, first 2 shown]
	v_pk_add_f32 v[34:35], v[34:35], v[40:41] neg_lo:[0,1] neg_hi:[0,1]
	v_mov_b32_e32 v39, v32
	v_pk_add_f32 v[32:33], v[38:39], v[34:35] neg_lo:[0,1] neg_hi:[0,1]
	v_mov_b32_e32 v46, v42
	v_pk_add_f32 v[34:35], v[46:47], v[32:33]
	v_cmp_eq_f32_e32 vcc, s0, v48
	v_mov_b32_e32 v38, v35
	v_pk_add_f32 v[38:39], v[34:35], v[38:39]
	s_mov_b32 s0, 0x33800000
	v_pk_add_f32 v[36:37], v[36:37], v[38:39]
	v_mov_b32_e32 v33, v38
	v_mov_b32_e32 v35, v36
	v_pk_add_f32 v[40:41], v[34:35], v[42:43] neg_lo:[0,1] neg_hi:[0,1]
	v_cmp_gt_f32_e64 s[2:3], s0, v48
	v_sub_f32_e32 v34, v34, v40
	v_pk_add_f32 v[32:33], v[32:33], v[40:41] neg_lo:[0,1] neg_hi:[0,1]
	v_sub_f32_e32 v34, v42, v34
	v_add_f32_e32 v32, v32, v34
	v_add_f32_e32 v32, v32, v33
	;; [unrolled: 1-line block ×3, first 2 shown]
	s_or_b64 vcc, s[2:3], vcc
	v_cndmask_b32_e32 v150, v32, v48, vcc
.LBB155_52:                             ;   in Loop: Header=BB155_14 Depth=1
	s_or_b64 exec, exec, s[36:37]
	v_add_f32_e32 v151, s33, v7
	s_mov_b32 s0, 0x41a00000
	v_cmp_ge_f32_e32 vcc, s0, v151
	s_and_b64 s[2:3], s[92:93], vcc
	s_and_saveexec_b64 s[36:37], s[2:3]
	s_cbranch_execz .LBB155_54
; %bb.53:                               ;   in Loop: Header=BB155_14 Depth=1
	v_mul_f32_e32 v32, 0x3fb8aa3b, v151
	v_rndne_f32_e32 v33, v32
	s_mov_b32 s0, 0x3fb8aa3b
	v_sub_f32_e32 v34, v32, v33
	v_fma_f32 v32, v151, s0, -v32
	v_fmac_f32_e32 v32, 0x32a5705f, v151
	v_add_f32_e32 v32, v34, v32
	v_cvt_i32_f32_e32 v33, v33
	v_exp_f32_e32 v32, v32
	s_mov_b32 s0, 0xc2ce8ed0
	v_cmp_ngt_f32_e32 vcc, s0, v151
	s_mov_b32 s0, 0x42b17218
	v_ldexp_f32 v32, v32, v33
	v_cndmask_b32_e32 v32, 0, v32, vcc
	v_cmp_nlt_f32_e32 vcc, s0, v151
	s_mov_b32 s0, 0x3f2aaaab
	s_nop 0
	v_cndmask_b32_e32 v48, v137, v32, vcc
	v_add_f32_e32 v34, 1.0, v48
	v_add_f32_e32 v32, -1.0, v34
	v_sub_f32_e32 v33, v32, v34
	v_add_f32_e32 v33, 1.0, v33
	v_sub_f32_e32 v32, v48, v32
	v_add_f32_e32 v35, v32, v33
	v_frexp_mant_f32_e32 v36, v34
	v_cvt_f64_f32_e32 v[32:33], v34
	v_frexp_exp_i32_f64_e32 v32, v[32:33]
	v_cmp_gt_f32_e32 vcc, s0, v36
	s_mov_b32 s0, 0x3f317218
	s_nop 0
	v_subbrev_co_u32_e32 v40, vcc, 0, v32, vcc
	v_sub_u32_e32 v32, 0, v40
	v_ldexp_f32 v33, v34, v32
	v_add_f32_e32 v34, -1.0, v33
	v_add_f32_e32 v36, 1.0, v33
	v_ldexp_f32 v32, v35, v32
	v_add_f32_e32 v35, 1.0, v34
	v_add_f32_e32 v37, -1.0, v36
	v_sub_f32_e32 v35, v33, v35
	v_sub_f32_e32 v33, v33, v37
	v_add_f32_e32 v35, v32, v35
	v_add_f32_e32 v32, v32, v33
	;; [unrolled: 1-line block ×3, first 2 shown]
	v_rcp_f32_e32 v43, v41
	v_sub_f32_e32 v33, v36, v41
	v_add_f32_e32 v42, v32, v33
	v_add_f32_e32 v33, v34, v35
	v_mul_f32_e32 v45, v33, v43
	v_sub_f32_e32 v32, v34, v33
	v_mul_f32_e32 v34, v41, v45
	v_fma_f32 v36, v45, v41, -v34
	v_fmac_f32_e32 v36, v45, v42
	v_add_f32_e32 v44, v35, v32
	v_add_f32_e32 v32, v34, v36
	v_sub_f32_e32 v35, v33, v32
	v_pk_add_f32 v[38:39], v[32:33], v[34:35] neg_lo:[0,1] neg_hi:[0,1]
	v_mov_b32_e32 v37, v32
	v_pk_add_f32 v[32:33], v[38:39], v[36:37] neg_lo:[0,1] neg_hi:[0,1]
	s_nop 0
	v_add_f32_e32 v33, v44, v33
	v_add_f32_e32 v32, v32, v33
	;; [unrolled: 1-line block ×3, first 2 shown]
	v_mul_f32_e32 v44, v43, v33
	v_mul_f32_e32 v34, v41, v44
	v_fma_f32 v36, v44, v41, -v34
	v_fmac_f32_e32 v36, v44, v42
	v_sub_f32_e32 v35, v35, v33
	v_add_f32_e32 v41, v32, v35
	v_add_f32_e32 v32, v34, v36
	v_sub_f32_e32 v35, v33, v32
	v_pk_add_f32 v[38:39], v[32:33], v[34:35] neg_lo:[0,1] neg_hi:[0,1]
	v_mov_b32_e32 v37, v32
	v_pk_add_f32 v[32:33], v[38:39], v[36:37] neg_lo:[0,1] neg_hi:[0,1]
	s_nop 0
	v_add_f32_e32 v33, v41, v33
	v_add_f32_e32 v32, v32, v33
	;; [unrolled: 1-line block ×4, first 2 shown]
	v_sub_f32_e32 v34, v33, v45
	v_mul_f32_e32 v32, v43, v32
	v_sub_f32_e32 v34, v44, v34
	v_add_f32_e32 v34, v34, v32
	v_add_f32_e32 v36, v33, v34
	v_mul_f32_e32 v37, v36, v36
	v_fmamk_f32 v32, v37, 0x3e9b6dac, v136
	v_fmaak_f32 v89, v37, v32, 0x3f2aaada
	v_cvt_f32_i32_e32 v32, v40
	v_sub_f32_e32 v33, v36, v33
	v_sub_f32_e32 v33, v34, v33
	v_ldexp_f32 v38, v33, 1
	v_mul_f32_e32 v33, v36, v37
	v_ldexp_f32 v35, v36, 1
	v_pk_mul_f32 v[36:37], v[32:33], v[88:89]
	s_nop 0
	v_fma_f32 v34, v32, s0, -v36
	v_fmac_f32_e32 v34, 0xb102e308, v32
	v_pk_add_f32 v[32:33], v[36:37], v[34:35]
	s_mov_b32 s0, 0x7f800000
	v_sub_f32_e32 v35, v33, v35
	v_sub_f32_e32 v35, v37, v35
	v_add_f32_e32 v39, v38, v35
	v_mov_b32_e32 v38, v36
	v_pk_add_f32 v[36:37], v[32:33], v[36:37] neg_lo:[0,1] neg_hi:[0,1]
	v_pk_add_f32 v[40:41], v[32:33], v[38:39]
	v_mov_b32_e32 v35, v32
	v_mov_b32_e32 v37, v41
	v_pk_add_f32 v[42:43], v[34:35], v[36:37] neg_lo:[0,1] neg_hi:[0,1]
	v_pk_add_f32 v[34:35], v[34:35], v[36:37]
	v_mov_b32_e32 v38, v39
	v_mov_b32_e32 v36, v35
	v_pk_add_f32 v[44:45], v[36:37], v[32:33] neg_lo:[0,1] neg_hi:[0,1]
	v_mov_b32_e32 v34, v41
	v_mov_b32_e32 v37, v44
	v_pk_add_f32 v[46:47], v[40:41], v[36:37] neg_lo:[0,1] neg_hi:[0,1]
	v_mov_b32_e32 v40, v33
	v_mov_b32_e32 v41, v44
	;; [unrolled: 1-line block ×3, first 2 shown]
	v_pk_add_f32 v[34:35], v[34:35], v[40:41] neg_lo:[0,1] neg_hi:[0,1]
	v_mov_b32_e32 v39, v32
	v_pk_add_f32 v[32:33], v[38:39], v[34:35] neg_lo:[0,1] neg_hi:[0,1]
	v_mov_b32_e32 v46, v42
	v_pk_add_f32 v[34:35], v[46:47], v[32:33]
	v_cmp_eq_f32_e32 vcc, s0, v48
	v_mov_b32_e32 v38, v35
	v_pk_add_f32 v[38:39], v[34:35], v[38:39]
	s_mov_b32 s0, 0x33800000
	v_pk_add_f32 v[36:37], v[36:37], v[38:39]
	v_mov_b32_e32 v33, v38
	v_mov_b32_e32 v35, v36
	v_pk_add_f32 v[40:41], v[34:35], v[42:43] neg_lo:[0,1] neg_hi:[0,1]
	v_cmp_gt_f32_e64 s[2:3], s0, v48
	v_sub_f32_e32 v34, v34, v40
	v_pk_add_f32 v[32:33], v[32:33], v[40:41] neg_lo:[0,1] neg_hi:[0,1]
	v_sub_f32_e32 v34, v42, v34
	v_add_f32_e32 v32, v32, v34
	v_add_f32_e32 v32, v32, v33
	;; [unrolled: 1-line block ×3, first 2 shown]
	s_or_b64 vcc, s[2:3], vcc
	v_cndmask_b32_e32 v151, v32, v48, vcc
.LBB155_54:                             ;   in Loop: Header=BB155_14 Depth=1
	s_or_b64 exec, exec, s[36:37]
	s_waitcnt lgkmcnt(0)
	v_add_f32_e32 v152, s33, v0
	s_mov_b32 s0, 0x41a00000
	v_cmp_ge_f32_e32 vcc, s0, v152
	s_and_b64 s[2:3], s[92:93], vcc
	s_and_saveexec_b64 s[36:37], s[2:3]
	s_cbranch_execz .LBB155_56
; %bb.55:                               ;   in Loop: Header=BB155_14 Depth=1
	v_mul_f32_e32 v32, 0x3fb8aa3b, v152
	v_rndne_f32_e32 v33, v32
	s_mov_b32 s0, 0x3fb8aa3b
	v_sub_f32_e32 v34, v32, v33
	v_fma_f32 v32, v152, s0, -v32
	v_fmac_f32_e32 v32, 0x32a5705f, v152
	v_add_f32_e32 v32, v34, v32
	v_cvt_i32_f32_e32 v33, v33
	v_exp_f32_e32 v32, v32
	s_mov_b32 s0, 0xc2ce8ed0
	v_cmp_ngt_f32_e32 vcc, s0, v152
	s_mov_b32 s0, 0x42b17218
	v_ldexp_f32 v32, v32, v33
	v_cndmask_b32_e32 v32, 0, v32, vcc
	v_cmp_nlt_f32_e32 vcc, s0, v152
	s_mov_b32 s0, 0x3f2aaaab
	s_nop 0
	v_cndmask_b32_e32 v48, v137, v32, vcc
	v_add_f32_e32 v34, 1.0, v48
	v_add_f32_e32 v32, -1.0, v34
	v_sub_f32_e32 v33, v32, v34
	v_add_f32_e32 v33, 1.0, v33
	v_sub_f32_e32 v32, v48, v32
	v_add_f32_e32 v35, v32, v33
	v_frexp_mant_f32_e32 v36, v34
	v_cvt_f64_f32_e32 v[32:33], v34
	v_frexp_exp_i32_f64_e32 v32, v[32:33]
	v_cmp_gt_f32_e32 vcc, s0, v36
	s_mov_b32 s0, 0x3f317218
	s_nop 0
	v_subbrev_co_u32_e32 v40, vcc, 0, v32, vcc
	v_sub_u32_e32 v32, 0, v40
	v_ldexp_f32 v33, v34, v32
	v_add_f32_e32 v34, -1.0, v33
	v_add_f32_e32 v36, 1.0, v33
	v_ldexp_f32 v32, v35, v32
	v_add_f32_e32 v35, 1.0, v34
	v_add_f32_e32 v37, -1.0, v36
	v_sub_f32_e32 v35, v33, v35
	v_sub_f32_e32 v33, v33, v37
	v_add_f32_e32 v35, v32, v35
	v_add_f32_e32 v32, v32, v33
	v_add_f32_e32 v41, v36, v32
	v_rcp_f32_e32 v43, v41
	v_sub_f32_e32 v33, v36, v41
	v_add_f32_e32 v42, v32, v33
	v_add_f32_e32 v33, v34, v35
	v_mul_f32_e32 v45, v33, v43
	v_sub_f32_e32 v32, v34, v33
	v_mul_f32_e32 v34, v41, v45
	v_fma_f32 v36, v45, v41, -v34
	v_fmac_f32_e32 v36, v45, v42
	v_add_f32_e32 v44, v35, v32
	v_add_f32_e32 v32, v34, v36
	v_sub_f32_e32 v35, v33, v32
	v_pk_add_f32 v[38:39], v[32:33], v[34:35] neg_lo:[0,1] neg_hi:[0,1]
	v_mov_b32_e32 v37, v32
	v_pk_add_f32 v[32:33], v[38:39], v[36:37] neg_lo:[0,1] neg_hi:[0,1]
	s_nop 0
	v_add_f32_e32 v33, v44, v33
	v_add_f32_e32 v32, v32, v33
	;; [unrolled: 1-line block ×3, first 2 shown]
	v_mul_f32_e32 v44, v43, v33
	v_mul_f32_e32 v34, v41, v44
	v_fma_f32 v36, v44, v41, -v34
	v_fmac_f32_e32 v36, v44, v42
	v_sub_f32_e32 v35, v35, v33
	v_add_f32_e32 v41, v32, v35
	v_add_f32_e32 v32, v34, v36
	v_sub_f32_e32 v35, v33, v32
	v_pk_add_f32 v[38:39], v[32:33], v[34:35] neg_lo:[0,1] neg_hi:[0,1]
	v_mov_b32_e32 v37, v32
	v_pk_add_f32 v[32:33], v[38:39], v[36:37] neg_lo:[0,1] neg_hi:[0,1]
	s_nop 0
	v_add_f32_e32 v33, v41, v33
	v_add_f32_e32 v32, v32, v33
	;; [unrolled: 1-line block ×4, first 2 shown]
	v_sub_f32_e32 v34, v33, v45
	v_mul_f32_e32 v32, v43, v32
	v_sub_f32_e32 v34, v44, v34
	v_add_f32_e32 v34, v34, v32
	v_add_f32_e32 v36, v33, v34
	v_mul_f32_e32 v37, v36, v36
	v_fmamk_f32 v32, v37, 0x3e9b6dac, v136
	v_fmaak_f32 v89, v37, v32, 0x3f2aaada
	v_cvt_f32_i32_e32 v32, v40
	v_sub_f32_e32 v33, v36, v33
	v_sub_f32_e32 v33, v34, v33
	v_ldexp_f32 v38, v33, 1
	v_mul_f32_e32 v33, v36, v37
	v_ldexp_f32 v35, v36, 1
	v_pk_mul_f32 v[36:37], v[32:33], v[88:89]
	s_nop 0
	v_fma_f32 v34, v32, s0, -v36
	v_fmac_f32_e32 v34, 0xb102e308, v32
	v_pk_add_f32 v[32:33], v[36:37], v[34:35]
	s_mov_b32 s0, 0x7f800000
	v_sub_f32_e32 v35, v33, v35
	v_sub_f32_e32 v35, v37, v35
	v_add_f32_e32 v39, v38, v35
	v_mov_b32_e32 v38, v36
	v_pk_add_f32 v[36:37], v[32:33], v[36:37] neg_lo:[0,1] neg_hi:[0,1]
	v_pk_add_f32 v[40:41], v[32:33], v[38:39]
	v_mov_b32_e32 v35, v32
	v_mov_b32_e32 v37, v41
	v_pk_add_f32 v[42:43], v[34:35], v[36:37] neg_lo:[0,1] neg_hi:[0,1]
	v_pk_add_f32 v[34:35], v[34:35], v[36:37]
	v_mov_b32_e32 v38, v39
	v_mov_b32_e32 v36, v35
	v_pk_add_f32 v[44:45], v[36:37], v[32:33] neg_lo:[0,1] neg_hi:[0,1]
	v_mov_b32_e32 v34, v41
	v_mov_b32_e32 v37, v44
	v_pk_add_f32 v[46:47], v[40:41], v[36:37] neg_lo:[0,1] neg_hi:[0,1]
	v_mov_b32_e32 v40, v33
	v_mov_b32_e32 v41, v44
	v_mov_b32_e32 v43, v35
	v_pk_add_f32 v[34:35], v[34:35], v[40:41] neg_lo:[0,1] neg_hi:[0,1]
	v_mov_b32_e32 v39, v32
	v_pk_add_f32 v[32:33], v[38:39], v[34:35] neg_lo:[0,1] neg_hi:[0,1]
	v_mov_b32_e32 v46, v42
	v_pk_add_f32 v[34:35], v[46:47], v[32:33]
	v_cmp_eq_f32_e32 vcc, s0, v48
	v_mov_b32_e32 v38, v35
	v_pk_add_f32 v[38:39], v[34:35], v[38:39]
	s_mov_b32 s0, 0x33800000
	v_pk_add_f32 v[36:37], v[36:37], v[38:39]
	v_mov_b32_e32 v33, v38
	v_mov_b32_e32 v35, v36
	v_pk_add_f32 v[40:41], v[34:35], v[42:43] neg_lo:[0,1] neg_hi:[0,1]
	v_cmp_gt_f32_e64 s[2:3], s0, v48
	v_sub_f32_e32 v34, v34, v40
	v_pk_add_f32 v[32:33], v[32:33], v[40:41] neg_lo:[0,1] neg_hi:[0,1]
	v_sub_f32_e32 v34, v42, v34
	v_add_f32_e32 v32, v32, v34
	v_add_f32_e32 v32, v32, v33
	;; [unrolled: 1-line block ×3, first 2 shown]
	s_or_b64 vcc, s[2:3], vcc
	v_cndmask_b32_e32 v152, v32, v48, vcc
.LBB155_56:                             ;   in Loop: Header=BB155_14 Depth=1
	s_or_b64 exec, exec, s[36:37]
	v_add_f32_e32 v153, s33, v1
	s_mov_b32 s0, 0x41a00000
	v_cmp_ge_f32_e32 vcc, s0, v153
	s_and_b64 s[2:3], s[92:93], vcc
	s_and_saveexec_b64 s[36:37], s[2:3]
	s_cbranch_execz .LBB155_58
; %bb.57:                               ;   in Loop: Header=BB155_14 Depth=1
	v_mul_f32_e32 v32, 0x3fb8aa3b, v153
	v_rndne_f32_e32 v33, v32
	s_mov_b32 s0, 0x3fb8aa3b
	v_sub_f32_e32 v34, v32, v33
	v_fma_f32 v32, v153, s0, -v32
	v_fmac_f32_e32 v32, 0x32a5705f, v153
	v_add_f32_e32 v32, v34, v32
	v_cvt_i32_f32_e32 v33, v33
	v_exp_f32_e32 v32, v32
	s_mov_b32 s0, 0xc2ce8ed0
	v_cmp_ngt_f32_e32 vcc, s0, v153
	s_mov_b32 s0, 0x42b17218
	v_ldexp_f32 v32, v32, v33
	v_cndmask_b32_e32 v32, 0, v32, vcc
	v_cmp_nlt_f32_e32 vcc, s0, v153
	s_mov_b32 s0, 0x3f2aaaab
	s_nop 0
	v_cndmask_b32_e32 v48, v137, v32, vcc
	v_add_f32_e32 v34, 1.0, v48
	v_add_f32_e32 v32, -1.0, v34
	v_sub_f32_e32 v33, v32, v34
	v_add_f32_e32 v33, 1.0, v33
	v_sub_f32_e32 v32, v48, v32
	v_add_f32_e32 v35, v32, v33
	v_frexp_mant_f32_e32 v36, v34
	v_cvt_f64_f32_e32 v[32:33], v34
	v_frexp_exp_i32_f64_e32 v32, v[32:33]
	v_cmp_gt_f32_e32 vcc, s0, v36
	s_mov_b32 s0, 0x3f317218
	s_nop 0
	v_subbrev_co_u32_e32 v40, vcc, 0, v32, vcc
	v_sub_u32_e32 v32, 0, v40
	v_ldexp_f32 v33, v34, v32
	v_add_f32_e32 v34, -1.0, v33
	v_add_f32_e32 v36, 1.0, v33
	v_ldexp_f32 v32, v35, v32
	v_add_f32_e32 v35, 1.0, v34
	v_add_f32_e32 v37, -1.0, v36
	v_sub_f32_e32 v35, v33, v35
	v_sub_f32_e32 v33, v33, v37
	v_add_f32_e32 v35, v32, v35
	v_add_f32_e32 v32, v32, v33
	;; [unrolled: 1-line block ×3, first 2 shown]
	v_rcp_f32_e32 v43, v41
	v_sub_f32_e32 v33, v36, v41
	v_add_f32_e32 v42, v32, v33
	v_add_f32_e32 v33, v34, v35
	v_mul_f32_e32 v45, v33, v43
	v_sub_f32_e32 v32, v34, v33
	v_mul_f32_e32 v34, v41, v45
	v_fma_f32 v36, v45, v41, -v34
	v_fmac_f32_e32 v36, v45, v42
	v_add_f32_e32 v44, v35, v32
	v_add_f32_e32 v32, v34, v36
	v_sub_f32_e32 v35, v33, v32
	v_pk_add_f32 v[38:39], v[32:33], v[34:35] neg_lo:[0,1] neg_hi:[0,1]
	v_mov_b32_e32 v37, v32
	v_pk_add_f32 v[32:33], v[38:39], v[36:37] neg_lo:[0,1] neg_hi:[0,1]
	s_nop 0
	v_add_f32_e32 v33, v44, v33
	v_add_f32_e32 v32, v32, v33
	;; [unrolled: 1-line block ×3, first 2 shown]
	v_mul_f32_e32 v44, v43, v33
	v_mul_f32_e32 v34, v41, v44
	v_fma_f32 v36, v44, v41, -v34
	v_fmac_f32_e32 v36, v44, v42
	v_sub_f32_e32 v35, v35, v33
	v_add_f32_e32 v41, v32, v35
	v_add_f32_e32 v32, v34, v36
	v_sub_f32_e32 v35, v33, v32
	v_pk_add_f32 v[38:39], v[32:33], v[34:35] neg_lo:[0,1] neg_hi:[0,1]
	v_mov_b32_e32 v37, v32
	v_pk_add_f32 v[32:33], v[38:39], v[36:37] neg_lo:[0,1] neg_hi:[0,1]
	s_nop 0
	v_add_f32_e32 v33, v41, v33
	v_add_f32_e32 v32, v32, v33
	;; [unrolled: 1-line block ×4, first 2 shown]
	v_sub_f32_e32 v34, v33, v45
	v_mul_f32_e32 v32, v43, v32
	v_sub_f32_e32 v34, v44, v34
	v_add_f32_e32 v34, v34, v32
	v_add_f32_e32 v36, v33, v34
	v_mul_f32_e32 v37, v36, v36
	v_fmamk_f32 v32, v37, 0x3e9b6dac, v136
	v_fmaak_f32 v89, v37, v32, 0x3f2aaada
	v_cvt_f32_i32_e32 v32, v40
	v_sub_f32_e32 v33, v36, v33
	v_sub_f32_e32 v33, v34, v33
	v_ldexp_f32 v38, v33, 1
	v_mul_f32_e32 v33, v36, v37
	v_ldexp_f32 v35, v36, 1
	v_pk_mul_f32 v[36:37], v[32:33], v[88:89]
	s_nop 0
	v_fma_f32 v34, v32, s0, -v36
	v_fmac_f32_e32 v34, 0xb102e308, v32
	v_pk_add_f32 v[32:33], v[36:37], v[34:35]
	s_mov_b32 s0, 0x7f800000
	v_sub_f32_e32 v35, v33, v35
	v_sub_f32_e32 v35, v37, v35
	v_add_f32_e32 v39, v38, v35
	v_mov_b32_e32 v38, v36
	v_pk_add_f32 v[36:37], v[32:33], v[36:37] neg_lo:[0,1] neg_hi:[0,1]
	v_pk_add_f32 v[40:41], v[32:33], v[38:39]
	v_mov_b32_e32 v35, v32
	v_mov_b32_e32 v37, v41
	v_pk_add_f32 v[42:43], v[34:35], v[36:37] neg_lo:[0,1] neg_hi:[0,1]
	v_pk_add_f32 v[34:35], v[34:35], v[36:37]
	v_mov_b32_e32 v38, v39
	v_mov_b32_e32 v36, v35
	v_pk_add_f32 v[44:45], v[36:37], v[32:33] neg_lo:[0,1] neg_hi:[0,1]
	v_mov_b32_e32 v34, v41
	v_mov_b32_e32 v37, v44
	v_pk_add_f32 v[46:47], v[40:41], v[36:37] neg_lo:[0,1] neg_hi:[0,1]
	v_mov_b32_e32 v40, v33
	v_mov_b32_e32 v41, v44
	v_mov_b32_e32 v43, v35
	v_pk_add_f32 v[34:35], v[34:35], v[40:41] neg_lo:[0,1] neg_hi:[0,1]
	v_mov_b32_e32 v39, v32
	v_pk_add_f32 v[32:33], v[38:39], v[34:35] neg_lo:[0,1] neg_hi:[0,1]
	v_mov_b32_e32 v46, v42
	v_pk_add_f32 v[34:35], v[46:47], v[32:33]
	v_cmp_eq_f32_e32 vcc, s0, v48
	v_mov_b32_e32 v38, v35
	v_pk_add_f32 v[38:39], v[34:35], v[38:39]
	s_mov_b32 s0, 0x33800000
	v_pk_add_f32 v[36:37], v[36:37], v[38:39]
	v_mov_b32_e32 v33, v38
	v_mov_b32_e32 v35, v36
	v_pk_add_f32 v[40:41], v[34:35], v[42:43] neg_lo:[0,1] neg_hi:[0,1]
	v_cmp_gt_f32_e64 s[2:3], s0, v48
	v_sub_f32_e32 v34, v34, v40
	v_pk_add_f32 v[32:33], v[32:33], v[40:41] neg_lo:[0,1] neg_hi:[0,1]
	v_sub_f32_e32 v34, v42, v34
	v_add_f32_e32 v32, v32, v34
	v_add_f32_e32 v32, v32, v33
	;; [unrolled: 1-line block ×3, first 2 shown]
	s_or_b64 vcc, s[2:3], vcc
	v_cndmask_b32_e32 v153, v32, v48, vcc
.LBB155_58:                             ;   in Loop: Header=BB155_14 Depth=1
	s_or_b64 exec, exec, s[36:37]
	v_add_f32_e32 v90, s33, v2
	s_mov_b32 s0, 0x41a00000
	v_cmp_ge_f32_e32 vcc, s0, v90
	s_and_b64 s[2:3], s[92:93], vcc
	s_and_saveexec_b64 s[36:37], s[2:3]
	s_cbranch_execz .LBB155_60
; %bb.59:                               ;   in Loop: Header=BB155_14 Depth=1
	v_mul_f32_e32 v32, 0x3fb8aa3b, v90
	v_rndne_f32_e32 v33, v32
	s_mov_b32 s0, 0x3fb8aa3b
	v_sub_f32_e32 v34, v32, v33
	v_fma_f32 v32, v90, s0, -v32
	v_fmac_f32_e32 v32, 0x32a5705f, v90
	v_add_f32_e32 v32, v34, v32
	v_cvt_i32_f32_e32 v33, v33
	v_exp_f32_e32 v32, v32
	s_mov_b32 s0, 0xc2ce8ed0
	v_cmp_ngt_f32_e32 vcc, s0, v90
	s_mov_b32 s0, 0x42b17218
	v_ldexp_f32 v32, v32, v33
	v_cndmask_b32_e32 v32, 0, v32, vcc
	v_cmp_nlt_f32_e32 vcc, s0, v90
	s_mov_b32 s0, 0x3f2aaaab
	s_nop 0
	v_cndmask_b32_e32 v48, v137, v32, vcc
	v_add_f32_e32 v34, 1.0, v48
	v_add_f32_e32 v32, -1.0, v34
	v_sub_f32_e32 v33, v32, v34
	v_add_f32_e32 v33, 1.0, v33
	v_sub_f32_e32 v32, v48, v32
	v_add_f32_e32 v35, v32, v33
	v_frexp_mant_f32_e32 v36, v34
	v_cvt_f64_f32_e32 v[32:33], v34
	v_frexp_exp_i32_f64_e32 v32, v[32:33]
	v_cmp_gt_f32_e32 vcc, s0, v36
	s_mov_b32 s0, 0x3f317218
	s_nop 0
	v_subbrev_co_u32_e32 v40, vcc, 0, v32, vcc
	v_sub_u32_e32 v32, 0, v40
	v_ldexp_f32 v33, v34, v32
	v_add_f32_e32 v34, -1.0, v33
	v_add_f32_e32 v36, 1.0, v33
	v_ldexp_f32 v32, v35, v32
	v_add_f32_e32 v35, 1.0, v34
	v_add_f32_e32 v37, -1.0, v36
	v_sub_f32_e32 v35, v33, v35
	v_sub_f32_e32 v33, v33, v37
	v_add_f32_e32 v35, v32, v35
	v_add_f32_e32 v32, v32, v33
	;; [unrolled: 1-line block ×3, first 2 shown]
	v_rcp_f32_e32 v43, v41
	v_sub_f32_e32 v33, v36, v41
	v_add_f32_e32 v42, v32, v33
	v_add_f32_e32 v33, v34, v35
	v_mul_f32_e32 v45, v33, v43
	v_sub_f32_e32 v32, v34, v33
	v_mul_f32_e32 v34, v41, v45
	v_fma_f32 v36, v45, v41, -v34
	v_fmac_f32_e32 v36, v45, v42
	v_add_f32_e32 v44, v35, v32
	v_add_f32_e32 v32, v34, v36
	v_sub_f32_e32 v35, v33, v32
	v_pk_add_f32 v[38:39], v[32:33], v[34:35] neg_lo:[0,1] neg_hi:[0,1]
	v_mov_b32_e32 v37, v32
	v_pk_add_f32 v[32:33], v[38:39], v[36:37] neg_lo:[0,1] neg_hi:[0,1]
	s_nop 0
	v_add_f32_e32 v33, v44, v33
	v_add_f32_e32 v32, v32, v33
	;; [unrolled: 1-line block ×3, first 2 shown]
	v_mul_f32_e32 v44, v43, v33
	v_mul_f32_e32 v34, v41, v44
	v_fma_f32 v36, v44, v41, -v34
	v_fmac_f32_e32 v36, v44, v42
	v_sub_f32_e32 v35, v35, v33
	v_add_f32_e32 v41, v32, v35
	v_add_f32_e32 v32, v34, v36
	v_sub_f32_e32 v35, v33, v32
	v_pk_add_f32 v[38:39], v[32:33], v[34:35] neg_lo:[0,1] neg_hi:[0,1]
	v_mov_b32_e32 v37, v32
	v_pk_add_f32 v[32:33], v[38:39], v[36:37] neg_lo:[0,1] neg_hi:[0,1]
	s_nop 0
	v_add_f32_e32 v33, v41, v33
	v_add_f32_e32 v32, v32, v33
	;; [unrolled: 1-line block ×4, first 2 shown]
	v_sub_f32_e32 v34, v33, v45
	v_mul_f32_e32 v32, v43, v32
	v_sub_f32_e32 v34, v44, v34
	v_add_f32_e32 v34, v34, v32
	v_add_f32_e32 v36, v33, v34
	v_mul_f32_e32 v37, v36, v36
	v_fmamk_f32 v32, v37, 0x3e9b6dac, v136
	v_fmaak_f32 v89, v37, v32, 0x3f2aaada
	v_cvt_f32_i32_e32 v32, v40
	v_sub_f32_e32 v33, v36, v33
	v_sub_f32_e32 v33, v34, v33
	v_ldexp_f32 v38, v33, 1
	v_mul_f32_e32 v33, v36, v37
	v_ldexp_f32 v35, v36, 1
	v_pk_mul_f32 v[36:37], v[32:33], v[88:89]
	s_nop 0
	v_fma_f32 v34, v32, s0, -v36
	v_fmac_f32_e32 v34, 0xb102e308, v32
	v_pk_add_f32 v[32:33], v[36:37], v[34:35]
	s_mov_b32 s0, 0x7f800000
	v_sub_f32_e32 v35, v33, v35
	v_sub_f32_e32 v35, v37, v35
	v_add_f32_e32 v39, v38, v35
	v_mov_b32_e32 v38, v36
	v_pk_add_f32 v[36:37], v[32:33], v[36:37] neg_lo:[0,1] neg_hi:[0,1]
	v_pk_add_f32 v[40:41], v[32:33], v[38:39]
	v_mov_b32_e32 v35, v32
	v_mov_b32_e32 v37, v41
	v_pk_add_f32 v[42:43], v[34:35], v[36:37] neg_lo:[0,1] neg_hi:[0,1]
	v_pk_add_f32 v[34:35], v[34:35], v[36:37]
	v_mov_b32_e32 v38, v39
	v_mov_b32_e32 v36, v35
	v_pk_add_f32 v[44:45], v[36:37], v[32:33] neg_lo:[0,1] neg_hi:[0,1]
	v_mov_b32_e32 v34, v41
	v_mov_b32_e32 v37, v44
	v_pk_add_f32 v[46:47], v[40:41], v[36:37] neg_lo:[0,1] neg_hi:[0,1]
	v_mov_b32_e32 v40, v33
	v_mov_b32_e32 v41, v44
	v_mov_b32_e32 v43, v35
	v_pk_add_f32 v[34:35], v[34:35], v[40:41] neg_lo:[0,1] neg_hi:[0,1]
	v_mov_b32_e32 v39, v32
	v_pk_add_f32 v[32:33], v[38:39], v[34:35] neg_lo:[0,1] neg_hi:[0,1]
	v_mov_b32_e32 v46, v42
	v_pk_add_f32 v[34:35], v[46:47], v[32:33]
	v_cmp_eq_f32_e32 vcc, s0, v48
	v_mov_b32_e32 v38, v35
	v_pk_add_f32 v[38:39], v[34:35], v[38:39]
	s_mov_b32 s0, 0x33800000
	v_pk_add_f32 v[36:37], v[36:37], v[38:39]
	v_mov_b32_e32 v33, v38
	v_mov_b32_e32 v35, v36
	v_pk_add_f32 v[40:41], v[34:35], v[42:43] neg_lo:[0,1] neg_hi:[0,1]
	v_cmp_gt_f32_e64 s[2:3], s0, v48
	v_sub_f32_e32 v34, v34, v40
	v_pk_add_f32 v[32:33], v[32:33], v[40:41] neg_lo:[0,1] neg_hi:[0,1]
	v_sub_f32_e32 v34, v42, v34
	v_add_f32_e32 v32, v32, v34
	v_add_f32_e32 v32, v32, v33
	;; [unrolled: 1-line block ×3, first 2 shown]
	s_or_b64 vcc, s[2:3], vcc
	v_cndmask_b32_e32 v90, v32, v48, vcc
.LBB155_60:                             ;   in Loop: Header=BB155_14 Depth=1
	s_or_b64 exec, exec, s[36:37]
	v_add_f32_e32 v91, s33, v3
	s_mov_b32 s0, 0x41a00000
	v_cmp_ge_f32_e32 vcc, s0, v91
	s_and_b64 s[2:3], s[92:93], vcc
	s_and_saveexec_b64 s[36:37], s[2:3]
	s_cbranch_execz .LBB155_62
; %bb.61:                               ;   in Loop: Header=BB155_14 Depth=1
	v_mul_f32_e32 v32, 0x3fb8aa3b, v91
	v_rndne_f32_e32 v33, v32
	s_mov_b32 s0, 0x3fb8aa3b
	v_sub_f32_e32 v34, v32, v33
	v_fma_f32 v32, v91, s0, -v32
	v_fmac_f32_e32 v32, 0x32a5705f, v91
	v_add_f32_e32 v32, v34, v32
	v_cvt_i32_f32_e32 v33, v33
	v_exp_f32_e32 v32, v32
	s_mov_b32 s0, 0xc2ce8ed0
	v_cmp_ngt_f32_e32 vcc, s0, v91
	s_mov_b32 s0, 0x42b17218
	v_ldexp_f32 v32, v32, v33
	v_cndmask_b32_e32 v32, 0, v32, vcc
	v_cmp_nlt_f32_e32 vcc, s0, v91
	s_mov_b32 s0, 0x3f2aaaab
	s_nop 0
	v_cndmask_b32_e32 v48, v137, v32, vcc
	v_add_f32_e32 v34, 1.0, v48
	v_add_f32_e32 v32, -1.0, v34
	v_sub_f32_e32 v33, v32, v34
	v_add_f32_e32 v33, 1.0, v33
	v_sub_f32_e32 v32, v48, v32
	v_add_f32_e32 v35, v32, v33
	v_frexp_mant_f32_e32 v36, v34
	v_cvt_f64_f32_e32 v[32:33], v34
	v_frexp_exp_i32_f64_e32 v32, v[32:33]
	v_cmp_gt_f32_e32 vcc, s0, v36
	s_mov_b32 s0, 0x3f317218
	s_nop 0
	v_subbrev_co_u32_e32 v40, vcc, 0, v32, vcc
	v_sub_u32_e32 v32, 0, v40
	v_ldexp_f32 v33, v34, v32
	v_add_f32_e32 v34, -1.0, v33
	v_add_f32_e32 v36, 1.0, v33
	v_ldexp_f32 v32, v35, v32
	v_add_f32_e32 v35, 1.0, v34
	v_add_f32_e32 v37, -1.0, v36
	v_sub_f32_e32 v35, v33, v35
	v_sub_f32_e32 v33, v33, v37
	v_add_f32_e32 v35, v32, v35
	v_add_f32_e32 v32, v32, v33
	;; [unrolled: 1-line block ×3, first 2 shown]
	v_rcp_f32_e32 v43, v41
	v_sub_f32_e32 v33, v36, v41
	v_add_f32_e32 v42, v32, v33
	v_add_f32_e32 v33, v34, v35
	v_mul_f32_e32 v45, v33, v43
	v_sub_f32_e32 v32, v34, v33
	v_mul_f32_e32 v34, v41, v45
	v_fma_f32 v36, v45, v41, -v34
	v_fmac_f32_e32 v36, v45, v42
	v_add_f32_e32 v44, v35, v32
	v_add_f32_e32 v32, v34, v36
	v_sub_f32_e32 v35, v33, v32
	v_pk_add_f32 v[38:39], v[32:33], v[34:35] neg_lo:[0,1] neg_hi:[0,1]
	v_mov_b32_e32 v37, v32
	v_pk_add_f32 v[32:33], v[38:39], v[36:37] neg_lo:[0,1] neg_hi:[0,1]
	s_nop 0
	v_add_f32_e32 v33, v44, v33
	v_add_f32_e32 v32, v32, v33
	v_add_f32_e32 v33, v35, v32
	v_mul_f32_e32 v44, v43, v33
	v_mul_f32_e32 v34, v41, v44
	v_fma_f32 v36, v44, v41, -v34
	v_fmac_f32_e32 v36, v44, v42
	v_sub_f32_e32 v35, v35, v33
	v_add_f32_e32 v41, v32, v35
	v_add_f32_e32 v32, v34, v36
	v_sub_f32_e32 v35, v33, v32
	v_pk_add_f32 v[38:39], v[32:33], v[34:35] neg_lo:[0,1] neg_hi:[0,1]
	v_mov_b32_e32 v37, v32
	v_pk_add_f32 v[32:33], v[38:39], v[36:37] neg_lo:[0,1] neg_hi:[0,1]
	s_nop 0
	v_add_f32_e32 v33, v41, v33
	v_add_f32_e32 v32, v32, v33
	;; [unrolled: 1-line block ×4, first 2 shown]
	v_sub_f32_e32 v34, v33, v45
	v_mul_f32_e32 v32, v43, v32
	v_sub_f32_e32 v34, v44, v34
	v_add_f32_e32 v34, v34, v32
	v_add_f32_e32 v36, v33, v34
	v_mul_f32_e32 v37, v36, v36
	v_fmamk_f32 v32, v37, 0x3e9b6dac, v136
	v_fmaak_f32 v89, v37, v32, 0x3f2aaada
	v_cvt_f32_i32_e32 v32, v40
	v_sub_f32_e32 v33, v36, v33
	v_sub_f32_e32 v33, v34, v33
	v_ldexp_f32 v38, v33, 1
	v_mul_f32_e32 v33, v36, v37
	v_ldexp_f32 v35, v36, 1
	v_pk_mul_f32 v[36:37], v[32:33], v[88:89]
	s_nop 0
	v_fma_f32 v34, v32, s0, -v36
	v_fmac_f32_e32 v34, 0xb102e308, v32
	v_pk_add_f32 v[32:33], v[36:37], v[34:35]
	s_mov_b32 s0, 0x7f800000
	v_sub_f32_e32 v35, v33, v35
	v_sub_f32_e32 v35, v37, v35
	v_add_f32_e32 v39, v38, v35
	v_mov_b32_e32 v38, v36
	v_pk_add_f32 v[36:37], v[32:33], v[36:37] neg_lo:[0,1] neg_hi:[0,1]
	v_pk_add_f32 v[40:41], v[32:33], v[38:39]
	v_mov_b32_e32 v35, v32
	v_mov_b32_e32 v37, v41
	v_pk_add_f32 v[42:43], v[34:35], v[36:37] neg_lo:[0,1] neg_hi:[0,1]
	v_pk_add_f32 v[34:35], v[34:35], v[36:37]
	v_mov_b32_e32 v38, v39
	v_mov_b32_e32 v36, v35
	v_pk_add_f32 v[44:45], v[36:37], v[32:33] neg_lo:[0,1] neg_hi:[0,1]
	v_mov_b32_e32 v34, v41
	v_mov_b32_e32 v37, v44
	v_pk_add_f32 v[46:47], v[40:41], v[36:37] neg_lo:[0,1] neg_hi:[0,1]
	v_mov_b32_e32 v40, v33
	v_mov_b32_e32 v41, v44
	;; [unrolled: 1-line block ×3, first 2 shown]
	v_pk_add_f32 v[34:35], v[34:35], v[40:41] neg_lo:[0,1] neg_hi:[0,1]
	v_mov_b32_e32 v39, v32
	v_pk_add_f32 v[32:33], v[38:39], v[34:35] neg_lo:[0,1] neg_hi:[0,1]
	v_mov_b32_e32 v46, v42
	v_pk_add_f32 v[34:35], v[46:47], v[32:33]
	v_cmp_eq_f32_e32 vcc, s0, v48
	v_mov_b32_e32 v38, v35
	v_pk_add_f32 v[38:39], v[34:35], v[38:39]
	s_mov_b32 s0, 0x33800000
	v_pk_add_f32 v[36:37], v[36:37], v[38:39]
	v_mov_b32_e32 v33, v38
	v_mov_b32_e32 v35, v36
	v_pk_add_f32 v[40:41], v[34:35], v[42:43] neg_lo:[0,1] neg_hi:[0,1]
	v_cmp_gt_f32_e64 s[2:3], s0, v48
	v_sub_f32_e32 v34, v34, v40
	v_pk_add_f32 v[32:33], v[32:33], v[40:41] neg_lo:[0,1] neg_hi:[0,1]
	v_sub_f32_e32 v34, v42, v34
	v_add_f32_e32 v32, v32, v34
	v_add_f32_e32 v32, v32, v33
	;; [unrolled: 1-line block ×3, first 2 shown]
	s_or_b64 vcc, s[2:3], vcc
	v_cndmask_b32_e32 v91, v32, v48, vcc
.LBB155_62:                             ;   in Loop: Header=BB155_14 Depth=1
	s_or_b64 exec, exec, s[36:37]
	v_readlane_b32 s2, v167, 8
	v_readlane_b32 s3, v167, 9
	v_mul_f32_e32 v34, s6, v30
	v_mul_f32_e32 v33, s6, v29
	;; [unrolled: 1-line block ×15, first 2 shown]
	s_lshl_b32 s68, s40, 11
	v_mul_f32_e32 v35, s6, v31
	s_and_b64 vcc, exec, s[2:3]
	s_barrier
	s_cbranch_vccz .LBB155_13
; %bb.63:                               ;   in Loop: Header=BB155_14 Depth=1
	v_lshl_add_u64 v[48:49], s[74:75], 0, v[80:81]
	v_mov_b32_e32 v85, v81
	s_sub_i32 s2, s96, s68
	v_lshl_add_u64 v[92:93], v[48:49], 0, v[84:85]
	v_lshl_add_u64 v[48:49], s[78:79], 0, v[80:81]
	s_cmp_lg_u32 s40, 0
	v_readlane_b32 s3, v167, 11
	v_readlane_b32 s4, v167, 12
	v_lshl_add_u64 v[94:95], v[48:49], 0, v[84:85]
	s_cselect_b64 s[86:87], -1, 0
	s_cmp_eq_u32 s40, s3
	v_cmp_gt_u32_e32 vcc, s2, v117
	v_readlane_b32 s5, v167, 13
	v_or_b32_e32 v48, 1, v117
	s_cselect_b64 s[94:95], -1, 0
	s_or_b64 s[36:37], s[4:5], vcc
	v_cmp_gt_u32_e32 vcc, s2, v48
	v_or_b32_e32 v48, 2, v117
	s_or_b64 s[38:39], s[4:5], vcc
	v_cmp_gt_u32_e32 vcc, s2, v48
	v_or_b32_e32 v48, 3, v117
	s_mov_b32 s85, s40
	s_or_b64 s[40:41], s[4:5], vcc
	v_cmp_gt_u32_e32 vcc, s2, v48
	v_or_b32_e32 v48, 4, v117
	s_or_b64 s[42:43], s[4:5], vcc
	v_cmp_gt_u32_e32 vcc, s2, v48
	v_or_b32_e32 v48, 5, v117
	;; [unrolled: 3-line block ×12, first 2 shown]
	s_mov_b32 s0, 0
	v_cmp_gt_u32_e64 s[2:3], s2, v48
	v_mul_f32_e32 v89, v31, v91
	v_mul_f32_e32 v85, v30, v90
	;; [unrolled: 1-line block ×16, first 2 shown]
	s_or_b64 s[64:65], s[4:5], s[2:3]
	s_or_b64 s[66:67], s[4:5], vcc
	s_mov_b32 s2, s0
	s_mov_b32 s88, s0
	;; [unrolled: 1-line block ×4, first 2 shown]
	v_readlane_b32 s84, v167, 14
	s_branch .LBB155_65
.LBB155_64:                             ;   in Loop: Header=BB155_65 Depth=2
	s_or_b64 exec, exec, s[4:5]
	v_cndmask_b32_e64 v66, v66, v107, s[34:35]
	v_cndmask_b32_e64 v96, v101, v106, s[34:35]
	v_mul_f32_e32 v96, v96, v122
	v_fma_f32 v66, v66, v122, v76
	v_cndmask_b32_e64 v76, v66, v76, s[30:31]
	v_cndmask_b32_e64 v66, v96, v122, s[30:31]
	s_waitcnt lgkmcnt(0)
	v_fmac_f32_e32 v76, v104, v66
	v_fmac_f32_e32 v77, v76, v123
	;; [unrolled: 1-line block ×16, first 2 shown]
	v_mov_b32_e32 v66, v99
	s_add_i32 s84, s84, 8
	s_add_i32 s69, s69, -1
	s_add_i32 s98, s98, s70
	s_add_i32 s88, s88, s80
	;; [unrolled: 1-line block ×4, first 2 shown]
	v_pk_fma_f32 v[44:45], v[60:61], v[76:77], v[44:45]
	v_pk_fma_f32 v[46:47], v[62:63], v[78:79], v[46:47]
	;; [unrolled: 1-line block ×7, first 2 shown]
	s_cmp_eq_u32 s69, 0
	v_pk_fma_f32 v[34:35], v[50:51], v[66:67], v[34:35]
	s_cbranch_scc1 .LBB155_12
.LBB155_65:                             ;   Parent Loop BB155_14 Depth=1
                                        ; =>  This Inner Loop Header: Depth=2
	s_mov_b32 s3, s1
	v_lshl_add_u64 v[52:53], s[2:3], 2, v[92:93]
	global_load_dwordx4 v[48:51], v[52:53], off
	s_lshl_b64 s[4:5], s[0:1], 2
	s_add_u32 s4, s7, s4
	s_mov_b32 s89, s1
	s_addc_u32 s5, s71, s5
	global_load_dword v98, v81, s[4:5]
	s_andn2_b64 vcc, exec, s[86:87]
	s_waitcnt vmcnt(1)
	ds_write_b128 v108, v[48:51]
	global_load_dwordx4 v[48:51], v[52:53], off offset:1024
	s_waitcnt vmcnt(0)
	ds_write_b128 v109, v[48:51] offset:1024
	global_load_dwordx4 v[48:51], v[52:53], off offset:2048
	s_waitcnt vmcnt(0)
	ds_write_b128 v110, v[48:51] offset:2048
	global_load_dwordx4 v[48:51], v[52:53], off offset:3072
	v_lshl_add_u64 v[52:53], s[88:89], 2, v[94:95]
	s_waitcnt vmcnt(0)
	ds_write_b128 v111, v[48:51] offset:3072
	; wave barrier
	ds_read_b128 v[76:79], v112
	ds_read_b128 v[72:75], v112 offset:16
	ds_read_b128 v[68:71], v112 offset:32
	;; [unrolled: 1-line block ×3, first 2 shown]
	global_load_dwordx4 v[48:51], v[52:53], off
	s_waitcnt vmcnt(0)
	ds_write_b128 v108, v[48:51] offset:8448
	global_load_dwordx4 v[48:51], v[52:53], off offset:1024
	s_waitcnt vmcnt(0)
	ds_write_b128 v113, v[48:51] offset:1024
	global_load_dwordx4 v[48:51], v[52:53], off offset:2048
	;; [unrolled: 3-line block ×3, first 2 shown]
	s_waitcnt vmcnt(0)
	ds_write_b128 v115, v[48:51] offset:3072
	; wave barrier
	ds_read_b128 v[60:63], v112 offset:8448
	ds_read_b128 v[56:59], v116 offset:16
	;; [unrolled: 1-line block ×4, first 2 shown]
	s_cbranch_vccnz .LBB155_67
; %bb.66:                               ;   in Loop: Header=BB155_65 Depth=2
	v_mov_b32_e32 v96, s84
	ds_read_b64 v[96:97], v96
	s_cbranch_execz .LBB155_68
	s_branch .LBB155_71
.LBB155_67:                             ;   in Loop: Header=BB155_65 Depth=2
                                        ; implicit-def: $vgpr97
.LBB155_68:                             ;   in Loop: Header=BB155_65 Depth=2
	v_readlane_b32 s4, v167, 0
	v_readlane_b32 s5, v167, 1
	s_andn2_b64 vcc, exec, s[4:5]
	s_waitcnt lgkmcnt(0)
	v_mov_b32_e32 v97, 0
	s_cbranch_vccnz .LBB155_70
; %bb.69:                               ;   in Loop: Header=BB155_65 Depth=2
	s_mov_b32 s99, s1
	s_lshl_b64 s[4:5], s[98:99], 2
	s_add_u32 s4, s72, s4
	s_addc_u32 s5, s77, s5
	global_load_dword v97, v81, s[4:5]
.LBB155_70:                             ;   in Loop: Header=BB155_65 Depth=2
	v_mov_b32_e32 v96, 1.0
.LBB155_71:                             ;   in Loop: Header=BB155_65 Depth=2
	v_mul_f32_e32 v102, 0x3fb8aa3b, v98
	v_mul_f32_e32 v98, v102, v140
	v_cmp_gt_f32_e32 vcc, s81, v98
	s_waitcnt lgkmcnt(8)
	v_mul_f32_e32 v66, v66, v85
	v_mul_f32_e32 v76, v76, v121
	v_cndmask_b32_e32 v98, 0, v138, vcc
	v_fmac_f32_e32 v98, v102, v140
	v_exp_f32_e32 v98, v98
	v_cndmask_b32_e32 v99, 1.0, v139, vcc
	v_mul_f32_e32 v77, v77, v166
	v_cndmask_b32_e64 v76, 0, v76, s[36:37]
	v_mul_f32_e32 v98, v98, v99
	v_cndmask_b32_e64 v122, 1.0, v98, s[36:37]
	v_mul_f32_e32 v98, v102, v141
	v_cmp_gt_f32_e32 vcc, s81, v98
	v_cndmask_b32_e64 v77, 0, v77, s[38:39]
	v_mul_f32_e32 v78, v78, v165
	v_cndmask_b32_e32 v98, 0, v138, vcc
	v_fmac_f32_e32 v98, v102, v141
	v_exp_f32_e32 v98, v98
	v_cndmask_b32_e32 v99, 1.0, v139, vcc
	v_cndmask_b32_e64 v78, 0, v78, s[40:41]
	v_mul_f32_e32 v79, v79, v164
	v_mul_f32_e32 v98, v98, v99
	v_cndmask_b32_e64 v123, 1.0, v98, s[38:39]
	v_mul_f32_e32 v98, v102, v142
	v_cmp_gt_f32_e32 vcc, s81, v98
	v_cndmask_b32_e64 v79, 0, v79, s[42:43]
	v_mul_f32_e32 v72, v72, v163
	v_cndmask_b32_e32 v98, 0, v138, vcc
	v_fmac_f32_e32 v98, v102, v142
	v_exp_f32_e32 v98, v98
	v_cndmask_b32_e32 v99, 1.0, v139, vcc
	v_cndmask_b32_e64 v72, 0, v72, s[44:45]
	v_mul_f32_e32 v73, v73, v162
	;; [unrolled: 12-line block ×7, first 2 shown]
	v_cndmask_b32_e64 v129, 1.0, v98, s[50:51]
	v_mul_f32_e32 v98, v102, v148
	v_cmp_gt_f32_e32 vcc, s81, v98
	s_nop 1
	v_cndmask_b32_e32 v98, 0, v138, vcc
	v_fmac_f32_e32 v98, v102, v148
	v_exp_f32_e32 v98, v98
	v_cndmask_b32_e32 v99, 1.0, v139, vcc
	v_mul_f32_e32 v98, v98, v99
	v_cndmask_b32_e64 v130, 1.0, v98, s[52:53]
	v_mul_f32_e32 v98, v102, v149
	v_cmp_gt_f32_e32 vcc, s81, v98
	s_nop 1
	v_cndmask_b32_e32 v98, 0, v138, vcc
	v_fmac_f32_e32 v98, v102, v149
	v_exp_f32_e32 v98, v98
	v_cndmask_b32_e32 v99, 1.0, v139, vcc
	v_mul_f32_e32 v98, v98, v99
	;; [unrolled: 9-line block ×5, first 2 shown]
	v_cndmask_b32_e64 v100, 1.0, v98, s[60:61]
	v_mul_f32_e32 v98, v102, v153
	v_cmp_gt_f32_e32 vcc, s81, v98
	s_nop 1
	v_cndmask_b32_e32 v98, 0, v138, vcc
	v_fmac_f32_e32 v98, v102, v153
	v_exp_f32_e32 v98, v98
	v_pk_mul_f32 v[102:103], v[102:103], v[90:91] op_sel_hi:[0,1]
	v_cndmask_b32_e32 v99, 1.0, v139, vcc
	v_cmp_gt_f32_e32 vcc, s81, v102
	v_mul_f32_e32 v98, v98, v99
	v_cndmask_b32_e64 v99, 0, v66, s[66:67]
	v_cndmask_b32_e32 v66, 0, v138, vcc
	v_add_f32_e32 v66, v102, v66
	v_exp_f32_e32 v66, v66
	v_cndmask_b32_e32 v101, 1.0, v139, vcc
	v_cmp_gt_f32_e32 vcc, s81, v103
	v_cndmask_b32_e64 v98, 1.0, v98, s[62:63]
	v_mul_f32_e32 v66, v66, v101
	v_cndmask_b32_e32 v101, 0, v138, vcc
	v_add_f32_e32 v101, v103, v101
	v_exp_f32_e32 v101, v101
	v_cndmask_b32_e32 v102, 1.0, v139, vcc
	v_mul_f32_e32 v101, v101, v102
	v_cndmask_b32_e64 v103, 1.0, v101, s[64:65]
	v_cndmask_b32_e64 v102, 1.0, v66, s[66:67]
	v_mul_f32_e32 v66, v123, v122
	v_fma_f32 v101, v123, v76, v77
	v_mul_f32_e32 v66, v66, v124
	v_fma_f32 v101, v101, v124, v78
	;; [unrolled: 2-line block ×11, first 2 shown]
	v_fma_f32 v66, v66, v100, v64
	v_fma_f32 v105, v66, v98, v65
	v_mov_b32_e32 v101, v102
	v_pk_mul_f32 v[134:135], v[104:105], v[100:101]
	v_pk_fma_f32 v[104:105], v[104:105], v[100:101], v[98:99]
	v_pk_mul_f32 v[134:135], v[134:135], v[98:99]
	v_mov_b32_e32 v106, v103
	v_mov_b32_e32 v135, v105
	;; [unrolled: 1-line block ×3, first 2 shown]
	v_pk_mul_f32 v[104:105], v[134:135], v[102:103]
	v_mov_b32_e32 v66, v103
	v_pk_mul_f32 v[106:107], v[104:105], v[106:107]
	v_pk_fma_f32 v[104:105], v[134:135], v[102:103], v[66:67]
	s_nop 0
	v_mov_b32_dpp v66, v106 row_shr:1 row_mask:0xf bank_mask:0xf
	v_mov_b32_dpp v101, v105 row_shr:1 row_mask:0xf bank_mask:0xf
	v_mul_f32_e32 v134, v106, v66
	v_fma_f32 v101, v106, v101, v105
	v_cndmask_b32_e64 v104, v134, v106, s[8:9]
	v_cndmask_b32_e64 v107, v101, v105, s[8:9]
	;; [unrolled: 1-line block ×4, first 2 shown]
	v_mov_b32_dpp v105, v107 row_shr:2 row_mask:0xf bank_mask:0xf
	v_mov_b32_dpp v101, v106 row_shr:2 row_mask:0xf bank_mask:0xf
	s_and_saveexec_b64 s[4:5], s[10:11]
; %bb.72:                               ;   in Loop: Header=BB155_65 Depth=2
	v_fmac_f32_e32 v107, v106, v105
	v_mul_f32_e32 v106, v106, v101
	v_mov_b32_e32 v104, v106
	v_mov_b32_e32 v66, v107
; %bb.73:                               ;   in Loop: Header=BB155_65 Depth=2
	s_or_b64 exec, exec, s[4:5]
	v_mov_b32_dpp v101, v106 row_shr:4 row_mask:0xf bank_mask:0xf
	v_mov_b32_dpp v105, v107 row_shr:4 row_mask:0xf bank_mask:0xf
	s_and_saveexec_b64 s[4:5], s[12:13]
; %bb.74:                               ;   in Loop: Header=BB155_65 Depth=2
	v_fmac_f32_e32 v107, v106, v105
	v_mul_f32_e32 v106, v106, v101
	v_mov_b32_e32 v104, v106
	v_mov_b32_e32 v66, v107
; %bb.75:                               ;   in Loop: Header=BB155_65 Depth=2
	s_or_b64 exec, exec, s[4:5]
	;; [unrolled: 10-line block ×3, first 2 shown]
	v_mov_b32_dpp v101, v106 row_bcast:15 row_mask:0xf bank_mask:0xf
	v_mov_b32_dpp v105, v107 row_bcast:15 row_mask:0xf bank_mask:0xf
	s_and_saveexec_b64 s[4:5], s[16:17]
; %bb.78:                               ;   in Loop: Header=BB155_65 Depth=2
	v_fmac_f32_e32 v107, v106, v105
	v_mul_f32_e32 v106, v106, v101
	v_mov_b32_e32 v104, v106
	v_mov_b32_e32 v66, v107
; %bb.79:                               ;   in Loop: Header=BB155_65 Depth=2
	s_or_b64 exec, exec, s[4:5]
	v_mov_b32_dpp v105, v106 row_bcast:31 row_mask:0xf bank_mask:0xf
	v_mov_b32_dpp v101, v107 row_bcast:31 row_mask:0xf bank_mask:0xf
	s_and_saveexec_b64 s[4:5], s[18:19]
; %bb.80:                               ;   in Loop: Header=BB155_65 Depth=2
	v_fmac_f32_e32 v107, v106, v101
	v_mul_f32_e32 v104, v106, v105
	v_mov_b32_e32 v105, v107
	v_mov_b32_e32 v66, v107
	v_mov_b64_e32 v[106:107], v[104:105]
; %bb.81:                               ;   in Loop: Header=BB155_65 Depth=2
	s_or_b64 exec, exec, s[4:5]
	s_and_saveexec_b64 s[4:5], s[20:21]
	s_cbranch_execz .LBB155_83
; %bb.82:                               ;   in Loop: Header=BB155_65 Depth=2
	ds_write_b64 v118, v[106:107] offset:16896
.LBB155_83:                             ;   in Loop: Header=BB155_65 Depth=2
	s_or_b64 exec, exec, s[4:5]
	s_waitcnt lgkmcnt(0)
	s_barrier
	s_and_saveexec_b64 s[4:5], s[22:23]
	s_cbranch_execz .LBB155_85
; %bb.84:                               ;   in Loop: Header=BB155_65 Depth=2
	ds_read_b64 v[106:107], v119 offset:16896
	s_waitcnt lgkmcnt(0)
	s_nop 0
	v_mov_b32_dpp v101, v106 row_shr:1 row_mask:0xf bank_mask:0xf
	v_mov_b32_dpp v105, v107 row_shr:1 row_mask:0xf bank_mask:0xf
	v_fma_f32 v105, v106, v105, v107
	v_mul_f32_e32 v101, v106, v101
	v_cndmask_b32_e64 v106, v101, v106, s[24:25]
	v_cndmask_b32_e64 v107, v105, v107, s[24:25]
	ds_write_b64 v119, v[106:107] offset:16896
.LBB155_85:                             ;   in Loop: Header=BB155_65 Depth=2
	s_or_b64 exec, exec, s[4:5]
	s_waitcnt lgkmcnt(0)
	s_barrier
	s_waitcnt lgkmcnt(0)
                                        ; implicit-def: $vgpr106
	s_and_saveexec_b64 s[4:5], s[28:29]
	s_cbranch_execz .LBB155_87
; %bb.86:                               ;   in Loop: Header=BB155_65 Depth=2
	ds_read_b64 v[106:107], v118 offset:16888
	s_waitcnt lgkmcnt(0)
	v_mul_f32_e32 v101, v104, v106
	v_fmac_f32_e32 v66, v104, v107
	v_mov_b32_e32 v104, v101
.LBB155_87:                             ;   in Loop: Header=BB155_65 Depth=2
	s_or_b64 exec, exec, s[4:5]
	ds_bpermute_b32 v101, v120, v104
	ds_bpermute_b32 v66, v120, v66
	s_waitcnt vmcnt(0)
	v_mov_b32_e32 v105, v97
	s_and_saveexec_b64 s[4:5], s[26:27]
	s_cbranch_execz .LBB155_91
; %bb.88:                               ;   in Loop: Header=BB155_65 Depth=2
	ds_read_b64 v[104:105], v81 offset:16904
	s_and_saveexec_b64 vcc, s[30:31]
	s_cbranch_execz .LBB155_90
; %bb.89:                               ;   in Loop: Header=BB155_65 Depth=2
	ds_write_b64 v81, v[96:97] offset:16904
.LBB155_90:                             ;   in Loop: Header=BB155_65 Depth=2
	s_or_b64 exec, exec, vcc
	s_waitcnt lgkmcnt(0)
	v_fmac_f32_e32 v105, v97, v104
	v_mul_f32_e32 v96, v96, v104
	v_mov_b32_e32 v97, v105
.LBB155_91:                             ;   in Loop: Header=BB155_65 Depth=2
	s_or_b64 exec, exec, s[4:5]
	s_waitcnt lgkmcnt(0)
	s_barrier
	ds_read_b32 v104, v81 offset:16908
	s_and_saveexec_b64 s[4:5], s[30:31]
	s_cbranch_execz .LBB155_64
; %bb.92:                               ;   in Loop: Header=BB155_65 Depth=2
	v_mov_b32_e32 v134, s84
	s_andn2_b64 vcc, exec, s[94:95]
	ds_write_b64 v134, v[96:97]
	s_cbranch_vccnz .LBB155_64
; %bb.93:                               ;   in Loop: Header=BB155_65 Depth=2
	s_mov_b32 s99, s1
	s_lshl_b64 s[96:97], s[98:99], 2
	s_add_u32 s96, s72, s96
	s_addc_u32 s97, s77, s97
	global_store_dword v81, v105, s[96:97]
	s_branch .LBB155_64
.LBB155_94:
	s_endpgm
	.section	.rodata,"a",@progbits
	.p2align	6, 0x0
	.amdhsa_kernel _Z25selective_scan_fwd_kernelI32Selective_Scan_fwd_kernel_traitsILi128ELi16ELi1ELb1ELb1ELb1ELb0ELb0EfffEEv13SSMParamsBase
		.amdhsa_group_segment_fixed_size 0
		.amdhsa_private_segment_fixed_size 0
		.amdhsa_kernarg_size 248
		.amdhsa_user_sgpr_count 2
		.amdhsa_user_sgpr_dispatch_ptr 0
		.amdhsa_user_sgpr_queue_ptr 0
		.amdhsa_user_sgpr_kernarg_segment_ptr 1
		.amdhsa_user_sgpr_dispatch_id 0
		.amdhsa_user_sgpr_kernarg_preload_length 0
		.amdhsa_user_sgpr_kernarg_preload_offset 0
		.amdhsa_user_sgpr_private_segment_size 0
		.amdhsa_uses_dynamic_stack 0
		.amdhsa_enable_private_segment 0
		.amdhsa_system_sgpr_workgroup_id_x 1
		.amdhsa_system_sgpr_workgroup_id_y 1
		.amdhsa_system_sgpr_workgroup_id_z 0
		.amdhsa_system_sgpr_workgroup_info 0
		.amdhsa_system_vgpr_workitem_id 0
		.amdhsa_next_free_vgpr 168
		.amdhsa_next_free_sgpr 100
		.amdhsa_accum_offset 168
		.amdhsa_reserve_vcc 1
		.amdhsa_float_round_mode_32 0
		.amdhsa_float_round_mode_16_64 0
		.amdhsa_float_denorm_mode_32 3
		.amdhsa_float_denorm_mode_16_64 3
		.amdhsa_dx10_clamp 1
		.amdhsa_ieee_mode 1
		.amdhsa_fp16_overflow 0
		.amdhsa_tg_split 0
		.amdhsa_exception_fp_ieee_invalid_op 0
		.amdhsa_exception_fp_denorm_src 0
		.amdhsa_exception_fp_ieee_div_zero 0
		.amdhsa_exception_fp_ieee_overflow 0
		.amdhsa_exception_fp_ieee_underflow 0
		.amdhsa_exception_fp_ieee_inexact 0
		.amdhsa_exception_int_div_zero 0
	.end_amdhsa_kernel
	.section	.text._Z25selective_scan_fwd_kernelI32Selective_Scan_fwd_kernel_traitsILi128ELi16ELi1ELb1ELb1ELb1ELb0ELb0EfffEEv13SSMParamsBase,"axG",@progbits,_Z25selective_scan_fwd_kernelI32Selective_Scan_fwd_kernel_traitsILi128ELi16ELi1ELb1ELb1ELb1ELb0ELb0EfffEEv13SSMParamsBase,comdat
.Lfunc_end155:
	.size	_Z25selective_scan_fwd_kernelI32Selective_Scan_fwd_kernel_traitsILi128ELi16ELi1ELb1ELb1ELb1ELb0ELb0EfffEEv13SSMParamsBase, .Lfunc_end155-_Z25selective_scan_fwd_kernelI32Selective_Scan_fwd_kernel_traitsILi128ELi16ELi1ELb1ELb1ELb1ELb0ELb0EfffEEv13SSMParamsBase
                                        ; -- End function
	.section	.AMDGPU.csdata,"",@progbits
; Kernel info:
; codeLenInByte = 16776
; NumSgprs: 106
; NumVgprs: 168
; NumAgprs: 0
; TotalNumVgprs: 168
; ScratchSize: 0
; MemoryBound: 1
; FloatMode: 240
; IeeeMode: 1
; LDSByteSize: 0 bytes/workgroup (compile time only)
; SGPRBlocks: 13
; VGPRBlocks: 20
; NumSGPRsForWavesPerEU: 106
; NumVGPRsForWavesPerEU: 168
; AccumOffset: 168
; Occupancy: 3
; WaveLimiterHint : 1
; COMPUTE_PGM_RSRC2:SCRATCH_EN: 0
; COMPUTE_PGM_RSRC2:USER_SGPR: 2
; COMPUTE_PGM_RSRC2:TRAP_HANDLER: 0
; COMPUTE_PGM_RSRC2:TGID_X_EN: 1
; COMPUTE_PGM_RSRC2:TGID_Y_EN: 1
; COMPUTE_PGM_RSRC2:TGID_Z_EN: 0
; COMPUTE_PGM_RSRC2:TIDIG_COMP_CNT: 0
; COMPUTE_PGM_RSRC3_GFX90A:ACCUM_OFFSET: 41
; COMPUTE_PGM_RSRC3_GFX90A:TG_SPLIT: 0
	.section	.text._Z25selective_scan_fwd_kernelI32Selective_Scan_fwd_kernel_traitsILi128ELi16ELi1ELb0ELb1ELb1ELb1ELb1EfffEEv13SSMParamsBase,"axG",@progbits,_Z25selective_scan_fwd_kernelI32Selective_Scan_fwd_kernel_traitsILi128ELi16ELi1ELb0ELb1ELb1ELb1ELb1EfffEEv13SSMParamsBase,comdat
	.protected	_Z25selective_scan_fwd_kernelI32Selective_Scan_fwd_kernel_traitsILi128ELi16ELi1ELb0ELb1ELb1ELb1ELb1EfffEEv13SSMParamsBase ; -- Begin function _Z25selective_scan_fwd_kernelI32Selective_Scan_fwd_kernel_traitsILi128ELi16ELi1ELb0ELb1ELb1ELb1ELb1EfffEEv13SSMParamsBase
	.globl	_Z25selective_scan_fwd_kernelI32Selective_Scan_fwd_kernel_traitsILi128ELi16ELi1ELb0ELb1ELb1ELb1ELb1EfffEEv13SSMParamsBase
	.p2align	8
	.type	_Z25selective_scan_fwd_kernelI32Selective_Scan_fwd_kernel_traitsILi128ELi16ELi1ELb0ELb1ELb1ELb1ELb1EfffEEv13SSMParamsBase,@function
_Z25selective_scan_fwd_kernelI32Selective_Scan_fwd_kernel_traitsILi128ELi16ELi1ELb0ELb1ELb1ELb1ELb1EfffEEv13SSMParamsBase: ; @_Z25selective_scan_fwd_kernelI32Selective_Scan_fwd_kernel_traitsILi128ELi16ELi1ELb0ELb1ELb1ELb1ELb1EfffEEv13SSMParamsBase
; %bb.0:
	s_load_dword s36, s[0:1], 0x18
	s_load_dwordx4 s[4:7], s[0:1], 0xe8
	s_load_dwordx8 s[24:31], s[0:1], 0xc8
	s_mov_b32 s34, s3
	s_ashr_i32 s3, s2, 31
	s_lshl_b64 s[8:9], s[2:3], 2
	s_waitcnt lgkmcnt(0)
	s_abs_i32 s33, s36
	v_cvt_f32_u32_e32 v1, s33
	s_add_u32 s30, s30, s8
	s_addc_u32 s31, s31, s9
	s_cmp_eq_u64 s[6:7], 0
	v_rcp_iflag_f32_e32 v1, v1
                                        ; implicit-def: $vgpr166 : SGPR spill to VGPR lane
	s_nop 0
	v_mul_f32_e32 v1, 0x4f7ffffe, v1
	v_cvt_u32_f32_e32 v1, v1
	s_nop 0
	v_readfirstlane_b32 s37, v1
	s_cbranch_scc1 .LBB156_2
; %bb.1:
	s_add_u32 s6, s6, s2
	s_addc_u32 s7, s7, s3
	v_mov_b32_e32 v1, 0
	global_load_ubyte v1, v1, s[6:7]
	s_waitcnt vmcnt(0)
	v_and_b32_e32 v1, 1, v1
	v_cmp_eq_u32_e64 s[6:7], 1, v1
	s_branch .LBB156_3
.LBB156_2:
	s_mov_b64 s[6:7], 0
.LBB156_3:
	s_nop 0
	v_writelane_b32 v166, s6, 0
	s_cmp_eq_u64 s[4:5], 0
	s_nop 0
	v_writelane_b32 v166, s7, 1
	s_load_dwordx2 s[6:7], s[0:1], 0x20
	s_cbranch_scc1 .LBB156_5
; %bb.4:
	s_add_u32 s2, s4, s8
	s_addc_u32 s3, s5, s9
	s_load_dword s2, s[2:3], 0x0
	s_waitcnt lgkmcnt(0)
	s_ashr_i32 s3, s2, 31
.LBB156_5:
	s_waitcnt lgkmcnt(0)
	s_cmp_eq_u64 s[6:7], s[2:3]
	s_cbranch_scc1 .LBB156_302
; %bb.6:
	s_load_dwordx16 s[8:23], s[0:1], 0x88
	s_load_dwordx2 s[6:7], s[30:31], 0x0
	s_mov_b32 s3, 0
	s_mov_b32 s62, 0
	v_writelane_b32 v166, s3, 2
	s_waitcnt lgkmcnt(0)
	s_cmp_eq_u64 s[14:15], 0
	s_cbranch_scc1 .LBB156_8
; %bb.7:
	s_ashr_i32 s35, s34, 31
	s_lshl_b64 s[4:5], s[34:35], 2
	s_add_u32 s4, s14, s4
	s_addc_u32 s5, s15, s5
	s_load_dword s3, s[4:5], 0x0
	s_waitcnt lgkmcnt(0)
	v_writelane_b32 v166, s3, 2
.LBB156_8:
	s_cmp_eq_u64 s[20:21], 0
	s_cbranch_scc1 .LBB156_10
; %bb.9:
	s_ashr_i32 s35, s34, 31
	s_lshl_b64 s[4:5], s[34:35], 2
	s_add_u32 s4, s20, s4
	s_addc_u32 s5, s21, s5
	s_load_dword s62, s[4:5], 0x0
.LBB156_10:
	s_sub_i32 s20, s7, s6
	s_cmp_lt_i32 s20, 1
	s_cbranch_scc1 .LBB156_302
; %bb.11:
	s_sub_i32 s3, 0, s33
	s_mul_i32 s3, s3, s37
	s_mul_hi_u32 s3, s37, s3
	s_abs_i32 s4, s34
	s_add_i32 s37, s37, s3
	s_mul_hi_u32 s3, s4, s37
	s_ashr_i32 s5, s34, 31
	s_ashr_i32 s7, s36, 31
	s_xor_b32 s5, s5, s7
	s_mul_i32 s7, s3, s33
	s_sub_i32 s4, s4, s7
	s_add_i32 s7, s3, 1
	s_sub_i32 s14, s4, s33
	s_cmp_ge_u32 s4, s33
	s_load_dwordx8 s[40:47], s[0:1], 0x2c
	s_load_dwordx8 s[48:55], s[0:1], 0x4c
	s_cselect_b32 s3, s7, s3
	s_cselect_b32 s4, s14, s4
	s_add_i32 s7, s3, 1
	s_cmp_ge_u32 s4, s33
	s_cselect_b32 s3, s7, s3
	s_xor_b32 s3, s3, s5
	s_sub_i32 s3, s3, s5
	s_waitcnt lgkmcnt(0)
	s_mul_i32 s4, s6, s50
	s_mov_b32 s5, 0
	s_lshl_b64 s[14:15], s[4:5], 2
	s_add_u32 s7, s16, s14
	s_mul_i32 s4, s51, s34
	s_addc_u32 s16, s17, s15
	s_lshl_b64 s[14:15], s[4:5], 2
	s_add_u32 s30, s7, s14
	s_mul_i32 s4, s6, s52
	s_addc_u32 s31, s16, s15
	;; [unrolled: 4-line block ×3, first 2 shown]
	s_lshl_b64 s[14:15], s[4:5], 2
	s_add_u32 s14, s7, s14
	s_addc_u32 s15, s16, s15
	v_writelane_b32 v166, s14, 3
	s_mul_i32 s4, s40, s34
	v_mbcnt_lo_u32_b32 v1, -1, 0
	v_writelane_b32 v166, s15, 4
	s_lshl_b64 s[14:15], s[4:5], 2
	s_add_u32 s4, s8, s14
	v_writelane_b32 v166, s4, 5
	s_addc_u32 s4, s9, s15
	v_writelane_b32 v166, s4, 6
	s_mul_i32 s4, s6, s42
	s_lshl_b64 s[8:9], s[4:5], 2
	s_add_u32 s7, s10, s8
	s_mul_i32 s4, s3, s45
	s_addc_u32 s10, s11, s9
	s_lshl_b64 s[8:9], s[4:5], 2
	s_add_u32 s64, s7, s8
	v_writelane_b32 v166, s40, 7
	s_mul_i32 s4, s6, s46
	s_addc_u32 s65, s10, s9
	s_lshl_b64 s[8:9], s[4:5], 2
	s_add_u32 s7, s12, s8
	s_addc_u32 s10, s13, s9
	s_load_dwordx2 s[12:13], s[0:1], 0x7c
	s_mul_i32 s4, s3, s49
	v_writelane_b32 v166, s41, 8
	s_lshl_b64 s[8:9], s[4:5], 2
	v_writelane_b32 v166, s42, 9
	s_add_u32 s66, s7, s8
	v_writelane_b32 v166, s43, 10
	s_addc_u32 s67, s10, s9
	s_load_dwordx4 s[8:11], s[0:1], 0x6c
	s_waitcnt lgkmcnt(0)
	s_mul_i32 s4, s2, s12
	v_writelane_b32 v166, s44, 11
	s_lshl_b64 s[2:3], s[4:5], 2
	v_writelane_b32 v166, s45, 12
	s_mul_i32 s4, s13, s34
	s_add_u32 s7, s24, s2
	v_writelane_b32 v166, s46, 13
	s_addc_u32 s12, s25, s3
	s_lshl_b64 s[2:3], s[4:5], 2
	v_writelane_b32 v166, s47, 14
	s_add_u32 s2, s7, s2
	v_writelane_b32 v166, s2, 15
	s_load_dword s2, s[0:1], 0x28
	s_load_dword s4, s[0:1], 0xc
	s_addc_u32 s3, s12, s3
	v_writelane_b32 v166, s3, 16
	s_add_i32 s3, s20, 0x7ff
	s_lshr_b32 s3, s3, 11
	s_waitcnt lgkmcnt(0)
	s_bitcmp1_b32 s2, 0
	s_cselect_b64 s[12:13], -1, 0
	v_writelane_b32 v166, s12, 17
	v_lshlrev_b32_e32 v21, 4, v0
	s_cmp_gt_i32 s4, 0
	v_writelane_b32 v166, s13, 18
	v_mbcnt_hi_u32_b32 v20, -1, v1
	v_and_b32_e32 v4, 0x400, v21
	v_writelane_b32 v166, s4, 19
	s_cselect_b64 s[12:13], -1, 0
	v_or_b32_e32 v80, v20, v4
	v_writelane_b32 v166, s12, 20
	v_lshrrev_b32_e32 v1, 5, v80
	v_add_u32_e32 v2, 64, v80
	v_writelane_b32 v166, s13, 21
	v_or_b32_e32 v5, 0x80, v80
	v_add_u32_e32 v1, v1, v80
	v_writelane_b32 v166, s20, 22
	v_add_u32_e32 v6, 0xc0, v80
	v_lshl_add_u32 v95, v1, 2, 0
	v_lshrrev_b32_e32 v1, 5, v2
	v_lshrrev_b32_e32 v2, 5, v5
	s_mul_i32 s4, s6, s8
	v_writelane_b32 v166, s3, 23
	s_add_i32 s2, s3, -1
	v_or_b32_e32 v7, 0x100, v80
	v_add_lshl_u32 v5, v2, v80, 2
	v_lshrrev_b32_e32 v2, 5, v6
	s_add_i32 s14, 0, 0x2100
	s_and_b32 s15, s20, 0x7ff
	v_writelane_b32 v166, s2, 24
	s_lshl_b64 s[2:3], s[4:5], 2
	v_add_u32_e32 v8, 0x140, v80
	v_add_lshl_u32 v10, v2, v80, 2
	v_lshrrev_b32_e32 v2, 5, v7
	s_add_u32 s7, s22, s2
	s_mul_i32 s4, s9, s34
	v_or_b32_e32 v9, 0x180, v80
	v_add_lshl_u32 v11, v2, v80, 2
	v_lshrrev_b32_e32 v2, 5, v8
	s_addc_u32 s12, s23, s3
	s_lshl_b64 s[2:3], s[4:5], 2
	s_mul_i32 s4, s6, s54
	v_writelane_b32 v166, s48, 25
	v_add_u32_e32 v14, 0x1c0, v80
	v_add_lshl_u32 v12, v2, v80, 2
	v_lshrrev_b32_e32 v2, 5, v9
	v_writelane_b32 v166, s49, 26
	v_or_b32_e32 v15, 0x200, v80
	v_add_lshl_u32 v13, v2, v80, 2
	v_lshrrev_b32_e32 v2, 5, v14
	v_writelane_b32 v166, s50, 27
	v_add_u32_e32 v16, 0x240, v80
	v_add_lshl_u32 v14, v2, v80, 2
	v_lshrrev_b32_e32 v2, 5, v15
	s_add_u32 s8, s7, s2
	v_writelane_b32 v166, s51, 28
	s_load_dword s0, s[0:1], 0x84
	v_or_b32_e32 v17, 0x280, v80
	v_add_lshl_u32 v15, v2, v80, 2
	v_lshrrev_b32_e32 v2, 5, v16
	s_addc_u32 s9, s12, s3
	s_lshl_b64 s[2:3], s[4:5], 2
	v_writelane_b32 v166, s52, 29
	v_add_u32_e32 v18, 0x2c0, v80
	v_add_lshl_u32 v16, v2, v80, 2
	v_lshrrev_b32_e32 v2, 5, v17
	s_add_u32 s7, s26, s2
	v_writelane_b32 v166, s53, 30
	s_mul_i32 s4, s55, s34
	v_or_b32_e32 v91, 0x300, v80
	v_add_lshl_u32 v17, v2, v80, 2
	v_lshrrev_b32_e32 v2, 5, v18
	s_addc_u32 s13, s27, s3
	v_writelane_b32 v166, s54, 31
	s_lshl_b64 s[2:3], s[4:5], 2
	v_add_u32_e32 v22, 0x340, v80
	v_add_lshl_u32 v18, v2, v80, 2
	v_lshrrev_b32_e32 v2, 5, v91
	v_writelane_b32 v166, s55, 32
	s_add_u32 s12, s7, s2
	v_add_lshl_u32 v19, v2, v80, 2
	v_lshrrev_b32_e32 v2, 5, v22
	s_mul_i32 s4, s6, s10
	s_addc_u32 s13, s13, s3
	s_waitcnt lgkmcnt(0)
	v_writelane_b32 v166, s0, 33
	v_add_lshl_u32 v28, v2, v80, 2
	v_and_b32_e32 v2, 64, v0
	s_lshl_b64 s[0:1], s[4:5], 2
	v_add_u32_e32 v6, v20, v2
	s_add_u32 s2, s28, s0
	s_mul_i32 s4, s11, s34
	v_lshlrev_b32_e32 v7, 4, v6
	v_bfe_u32 v6, v6, 1, 27
	s_addc_u32 s3, s29, s1
	s_lshl_b64 s[0:1], s[4:5], 2
	v_add_lshl_u32 v29, v6, v7, 2
	s_add_u32 s6, s2, s0
	v_and_b32_e32 v6, 15, v20
	s_addc_u32 s7, s3, s1
	v_cmp_lt_u32_e64 s[2:3], 1, v6
	v_cmp_eq_u32_e64 s[0:1], 0, v6
	v_or_b32_e32 v2, 63, v2
	v_writelane_b32 v166, s2, 34
	s_cmp_eq_u32 s15, 0
	v_mov_b32_e32 v3, 0
	v_writelane_b32 v166, s3, 35
	v_cmp_lt_u32_e64 s[2:3], 3, v6
	v_lshlrev_b32_e32 v8, 2, v4
	v_mov_b32_e32 v9, v3
	v_writelane_b32 v166, s2, 36
	v_or_b32_e32 v94, 0x380, v80
	v_add_lshl_u32 v1, v1, v80, 2
	v_writelane_b32 v166, s3, 37
	v_cmp_lt_u32_e64 s[2:3], 7, v6
	v_and_b32_e32 v6, 16, v20
	v_add_u32_e32 v96, 0x3c0, v80
	v_writelane_b32 v166, s2, 38
	v_add_u32_e32 v97, 0, v1
	v_add_u32_e32 v98, s14, v1
	v_writelane_b32 v166, s3, 39
	v_cmp_ne_u32_e64 s[2:3], 0, v6
	v_lshrrev_b32_e32 v1, 3, v0
	v_and_b32_e32 v1, 8, v1
	v_writelane_b32 v166, s2, 40
	v_cmp_lt_u32_e64 s[20:21], 63, v0
	v_cmp_eq_u32_e64 s[22:23], 0, v0
	v_writelane_b32 v166, s3, 41
	v_cmp_eq_u32_e64 s[2:3], v2, v0
	v_and_b32_e32 v2, 1, v20
	v_lshl_add_u32 v130, v0, 3, 0
	v_writelane_b32 v166, s2, 42
	v_add_u32_e32 v99, 0, v5
	v_add_u32_e32 v100, s14, v5
	v_writelane_b32 v166, s3, 43
	v_cmp_eq_u32_e64 s[2:3], 0, v2
	v_lshlrev_b32_e32 v2, 2, v20
	v_lshl_add_u64 v[6:7], s[8:9], 0, v[2:3]
	v_writelane_b32 v166, s2, 44
	v_lshl_add_u64 v[22:23], v[6:7], 0, v[8:9]
	v_lshl_add_u64 v[6:7], s[12:13], 0, v[2:3]
	v_writelane_b32 v166, s3, 45
	s_cselect_b64 s[2:3], -1, 0
	v_writelane_b32 v166, s2, 46
	v_lshl_add_u64 v[24:25], v[6:7], 0, v[8:9]
	v_lshl_add_u64 v[6:7], s[6:7], 0, v[2:3]
	v_writelane_b32 v166, s3, 47
	v_cmp_lt_u32_e64 s[2:3], 31, v20
	v_lshl_add_u64 v[26:27], v[6:7], 0, v[8:9]
	v_add_u32_e32 v2, -1, v20
	v_writelane_b32 v166, s2, 48
	v_and_b32_e32 v6, 64, v20
	v_lshrrev_b32_e32 v7, 5, v94
	v_writelane_b32 v166, s3, 49
	v_cmp_gt_u32_e64 s[2:3], 2, v0
	v_lshrrev_b32_e32 v8, 5, v96
	v_cmp_lt_i32_e32 vcc, v2, v6
	v_writelane_b32 v166, s2, 50
	v_add_lshl_u32 v7, v7, v80, 2
	v_add_lshl_u32 v8, v8, v80, 2
	v_writelane_b32 v166, s3, 51
	v_cmp_gt_u32_e64 s[2:3], 64, v0
	v_cndmask_b32_e32 v0, v2, v20, vcc
	v_add_u32_e32 v101, 0, v10
	v_writelane_b32 v166, s2, 52
	v_add_u32_e32 v102, s14, v10
	v_add_u32_e32 v103, 0, v11
	v_writelane_b32 v166, s3, 53
	s_add_i32 s2, 0, 0x4210
	v_writelane_b32 v166, s2, 54
	v_add_u32_e32 v104, s14, v11
	v_add_u32_e32 v105, 0, v12
	;; [unrolled: 1-line block ×26, first 2 shown]
	v_lshlrev_b32_e32 v131, 2, v0
	v_cmp_eq_u32_e64 s[94:95], 0, v20
	v_lshlrev_b32_e32 v0, 2, v4
	s_mov_b32 s33, 0xc2fc0000
	s_mov_b32 s24, 0
	v_mov_b32_e32 v147, 0x3ecc95a3
	v_mov_b32_e32 v148, 0x7f800000
	;; [unrolled: 1-line block ×5, first 2 shown]
	v_writelane_b32 v166, s62, 55
                                        ; implicit-def: $vgpr1
	s_branch .LBB156_13
.LBB156_12:                             ;   in Loop: Header=BB156_13 Depth=1
	s_or_b64 exec, exec, s[6:7]
	v_readlane_b32 s2, v166, 3
	v_readlane_b32 s3, v166, 4
	s_add_u32 s2, s2, 0x2000
	s_addc_u32 s3, s3, 0
	v_writelane_b32 v166, s2, 3
	s_nop 1
	v_writelane_b32 v166, s3, 4
	s_nop 0
	v_readlane_b32 s30, v166, 58
	v_readlane_b32 s31, v166, 59
	s_add_u32 s30, s30, 0x2000
	s_addc_u32 s31, s31, 0
	s_add_u32 s64, s64, 0x2000
	s_addc_u32 s65, s65, 0
	;; [unrolled: 2-line block ×3, first 2 shown]
	s_add_i32 s24, s24, 1
	v_readlane_b32 s2, v166, 23
	s_cmp_lg_u32 s24, s2
	s_cbranch_scc0 .LBB156_302
.LBB156_13:                             ; =>This Loop Header: Depth=1
                                        ;     Child Loop BB156_110 Depth 2
	s_lshl_b32 s6, s24, 11
	s_mov_b32 s2, s6
	v_readlane_b32 s4, v166, 22
	v_writelane_b32 v166, s2, 56
	s_waitcnt lgkmcnt(1)
	v_lshlrev_b32_e32 v2, 2, v20
	s_sub_i32 s10, s4, s6
	v_writelane_b32 v166, s3, 57
	v_writelane_b32 v166, s30, 58
	s_waitcnt lgkmcnt(0)
	v_mov_b32_e32 v1, v3
	v_cmp_gt_u32_e64 s[96:97], s10, v80
	v_lshl_add_u64 v[4:5], s[30:31], 0, v[2:3]
	v_writelane_b32 v166, s31, 59
	v_lshl_add_u64 v[4:5], v[4:5], 0, v[0:1]
	v_mov_b32_e32 v1, 0
	s_barrier
	s_and_saveexec_b64 s[6:7], s[96:97]
	s_cbranch_execz .LBB156_15
; %bb.14:                               ;   in Loop: Header=BB156_13 Depth=1
	global_load_dword v1, v[4:5], off
.LBB156_15:                             ;   in Loop: Header=BB156_13 Depth=1
	s_or_b64 exec, exec, s[6:7]
	v_add_u32_e32 v6, 64, v80
	v_cmp_gt_u32_e64 s[98:99], s10, v6
	v_mov_b32_e32 v6, 0
	v_mov_b32_e32 v7, 0
	s_and_saveexec_b64 s[6:7], s[98:99]
	s_cbranch_execz .LBB156_17
; %bb.16:                               ;   in Loop: Header=BB156_13 Depth=1
	global_load_dword v7, v[4:5], off offset:256
.LBB156_17:                             ;   in Loop: Header=BB156_13 Depth=1
	s_or_b64 exec, exec, s[6:7]
	v_or_b32_e32 v8, 0x80, v80
	v_cmp_gt_u32_e64 s[2:3], s10, v8
	s_and_saveexec_b64 s[6:7], s[2:3]
	s_cbranch_execz .LBB156_19
; %bb.18:                               ;   in Loop: Header=BB156_13 Depth=1
	global_load_dword v6, v[4:5], off offset:512
.LBB156_19:                             ;   in Loop: Header=BB156_13 Depth=1
	s_or_b64 exec, exec, s[6:7]
	v_add_u32_e32 v8, 0xc0, v80
	v_cmp_gt_u32_e64 s[34:35], s10, v8
	v_mov_b32_e32 v8, 0
	v_mov_b32_e32 v9, 0
	s_and_saveexec_b64 s[6:7], s[34:35]
	s_cbranch_execz .LBB156_21
; %bb.20:                               ;   in Loop: Header=BB156_13 Depth=1
	global_load_dword v9, v[4:5], off offset:768
.LBB156_21:                             ;   in Loop: Header=BB156_13 Depth=1
	s_or_b64 exec, exec, s[6:7]
	v_or_b32_e32 v10, 0x100, v80
	v_cmp_gt_u32_e64 s[36:37], s10, v10
	s_and_saveexec_b64 s[6:7], s[36:37]
	s_cbranch_execz .LBB156_23
; %bb.22:                               ;   in Loop: Header=BB156_13 Depth=1
	global_load_dword v8, v[4:5], off offset:1024
.LBB156_23:                             ;   in Loop: Header=BB156_13 Depth=1
	;; [unrolled: 18-line block ×5, first 2 shown]
	s_or_b64 exec, exec, s[6:7]
	v_add_u32_e32 v16, 0x2c0, v80
	v_cmp_gt_u32_e64 s[50:51], s10, v16
	v_mov_b32_e32 v16, 0
	v_mov_b32_e32 v17, 0
	s_and_saveexec_b64 s[6:7], s[50:51]
	s_cbranch_execz .LBB156_37
; %bb.36:                               ;   in Loop: Header=BB156_13 Depth=1
	global_load_dword v17, v[4:5], off offset:2816
.LBB156_37:                             ;   in Loop: Header=BB156_13 Depth=1
	s_or_b64 exec, exec, s[6:7]
	v_cmp_gt_u32_e64 s[52:53], s10, v91
	s_and_saveexec_b64 s[6:7], s[52:53]
	s_cbranch_execz .LBB156_39
; %bb.38:                               ;   in Loop: Header=BB156_13 Depth=1
	global_load_dword v16, v[4:5], off offset:3072
.LBB156_39:                             ;   in Loop: Header=BB156_13 Depth=1
	s_or_b64 exec, exec, s[6:7]
	v_add_u32_e32 v18, 0x340, v80
	v_cmp_gt_u32_e64 s[54:55], s10, v18
	v_mov_b32_e32 v18, 0
	v_mov_b32_e32 v19, 0
	s_and_saveexec_b64 s[6:7], s[54:55]
	s_cbranch_execz .LBB156_41
; %bb.40:                               ;   in Loop: Header=BB156_13 Depth=1
	global_load_dword v19, v[4:5], off offset:3328
.LBB156_41:                             ;   in Loop: Header=BB156_13 Depth=1
	s_or_b64 exec, exec, s[6:7]
	v_cmp_gt_u32_e64 s[56:57], s10, v94
	s_and_saveexec_b64 s[6:7], s[56:57]
	s_cbranch_execz .LBB156_43
; %bb.42:                               ;   in Loop: Header=BB156_13 Depth=1
	global_load_dword v18, v[4:5], off offset:3584
.LBB156_43:                             ;   in Loop: Header=BB156_13 Depth=1
	s_or_b64 exec, exec, s[6:7]
	v_cmp_gt_u32_e64 s[58:59], s10, v96
	v_mov_b32_e32 v29, 0
	v_mov_b32_e32 v30, 0
	s_and_saveexec_b64 s[6:7], s[58:59]
	s_cbranch_execz .LBB156_45
; %bb.44:                               ;   in Loop: Header=BB156_13 Depth=1
	global_load_dword v30, v[4:5], off offset:3840
.LBB156_45:                             ;   in Loop: Header=BB156_13 Depth=1
	s_or_b64 exec, exec, s[6:7]
	s_waitcnt vmcnt(0)
	ds_write_b32 v95, v1
	ds_write_b32 v97, v7 offset:256
	ds_write_b32 v99, v6 offset:512
	;; [unrolled: 1-line block ×15, first 2 shown]
	; wave barrier
	ds_read2_b32 v[4:5], v127 offset1:1
	ds_read2_b32 v[6:7], v127 offset0:2 offset1:3
	ds_read2_b32 v[8:9], v127 offset0:4 offset1:5
	;; [unrolled: 1-line block ×7, first 2 shown]
	v_readlane_b32 s6, v166, 3
	v_readlane_b32 s7, v166, 4
	v_mov_b32_e32 v1, v3
	s_waitcnt lgkmcnt(0)
	v_lshl_add_u64 v[30:31], s[6:7], 0, v[2:3]
	v_lshl_add_u64 v[30:31], v[30:31], 0, v[0:1]
	s_barrier
	s_and_saveexec_b64 s[6:7], s[96:97]
	s_cbranch_execz .LBB156_47
; %bb.46:                               ;   in Loop: Header=BB156_13 Depth=1
	global_load_dword v29, v[30:31], off
.LBB156_47:                             ;   in Loop: Header=BB156_13 Depth=1
	s_or_b64 exec, exec, s[6:7]
	v_mov_b32_e32 v1, 0
	v_mov_b32_e32 v32, 0
	s_and_saveexec_b64 s[6:7], s[98:99]
	s_cbranch_execz .LBB156_49
; %bb.48:                               ;   in Loop: Header=BB156_13 Depth=1
	global_load_dword v32, v[30:31], off offset:256
.LBB156_49:                             ;   in Loop: Header=BB156_13 Depth=1
	s_or_b64 exec, exec, s[6:7]
	s_and_saveexec_b64 s[6:7], s[2:3]
	s_cbranch_execz .LBB156_51
; %bb.50:                               ;   in Loop: Header=BB156_13 Depth=1
	global_load_dword v1, v[30:31], off offset:512
.LBB156_51:                             ;   in Loop: Header=BB156_13 Depth=1
	s_or_b64 exec, exec, s[6:7]
	v_mov_b32_e32 v33, 0
	v_mov_b32_e32 v34, 0
	s_and_saveexec_b64 s[6:7], s[34:35]
	s_cbranch_execz .LBB156_53
; %bb.52:                               ;   in Loop: Header=BB156_13 Depth=1
	global_load_dword v34, v[30:31], off offset:768
.LBB156_53:                             ;   in Loop: Header=BB156_13 Depth=1
	s_or_b64 exec, exec, s[6:7]
	s_and_saveexec_b64 s[6:7], s[36:37]
	s_cbranch_execz .LBB156_55
; %bb.54:                               ;   in Loop: Header=BB156_13 Depth=1
	global_load_dword v33, v[30:31], off offset:1024
.LBB156_55:                             ;   in Loop: Header=BB156_13 Depth=1
	s_or_b64 exec, exec, s[6:7]
	v_mov_b32_e32 v35, 0
	v_mov_b32_e32 v36, 0
	s_and_saveexec_b64 s[6:7], s[38:39]
	s_cbranch_execz .LBB156_57
; %bb.56:                               ;   in Loop: Header=BB156_13 Depth=1
	global_load_dword v36, v[30:31], off offset:1280
.LBB156_57:                             ;   in Loop: Header=BB156_13 Depth=1
	s_or_b64 exec, exec, s[6:7]
	s_and_saveexec_b64 s[6:7], s[40:41]
	s_cbranch_execz .LBB156_59
; %bb.58:                               ;   in Loop: Header=BB156_13 Depth=1
	global_load_dword v35, v[30:31], off offset:1536
.LBB156_59:                             ;   in Loop: Header=BB156_13 Depth=1
	s_or_b64 exec, exec, s[6:7]
	v_mov_b32_e32 v37, 0
	v_mov_b32_e32 v38, 0
	s_and_saveexec_b64 s[6:7], s[42:43]
	s_cbranch_execz .LBB156_61
; %bb.60:                               ;   in Loop: Header=BB156_13 Depth=1
	global_load_dword v38, v[30:31], off offset:1792
.LBB156_61:                             ;   in Loop: Header=BB156_13 Depth=1
	s_or_b64 exec, exec, s[6:7]
	s_and_saveexec_b64 s[6:7], s[44:45]
	s_cbranch_execz .LBB156_63
; %bb.62:                               ;   in Loop: Header=BB156_13 Depth=1
	global_load_dword v37, v[30:31], off offset:2048
.LBB156_63:                             ;   in Loop: Header=BB156_13 Depth=1
	s_or_b64 exec, exec, s[6:7]
	v_mov_b32_e32 v39, 0
	v_mov_b32_e32 v40, 0
	s_and_saveexec_b64 s[6:7], s[46:47]
	s_cbranch_execz .LBB156_65
; %bb.64:                               ;   in Loop: Header=BB156_13 Depth=1
	global_load_dword v40, v[30:31], off offset:2304
.LBB156_65:                             ;   in Loop: Header=BB156_13 Depth=1
	s_or_b64 exec, exec, s[6:7]
	s_and_saveexec_b64 s[6:7], s[48:49]
	s_cbranch_execz .LBB156_67
; %bb.66:                               ;   in Loop: Header=BB156_13 Depth=1
	global_load_dword v39, v[30:31], off offset:2560
.LBB156_67:                             ;   in Loop: Header=BB156_13 Depth=1
	s_or_b64 exec, exec, s[6:7]
	v_mov_b32_e32 v41, 0
	v_mov_b32_e32 v42, 0
	s_and_saveexec_b64 s[6:7], s[50:51]
	s_cbranch_execz .LBB156_69
; %bb.68:                               ;   in Loop: Header=BB156_13 Depth=1
	global_load_dword v42, v[30:31], off offset:2816
.LBB156_69:                             ;   in Loop: Header=BB156_13 Depth=1
	s_or_b64 exec, exec, s[6:7]
	s_and_saveexec_b64 s[6:7], s[52:53]
	s_cbranch_execz .LBB156_71
; %bb.70:                               ;   in Loop: Header=BB156_13 Depth=1
	global_load_dword v41, v[30:31], off offset:3072
.LBB156_71:                             ;   in Loop: Header=BB156_13 Depth=1
	s_or_b64 exec, exec, s[6:7]
	v_mov_b32_e32 v43, 0
	v_mov_b32_e32 v44, 0
	s_and_saveexec_b64 s[6:7], s[54:55]
	s_cbranch_execnz .LBB156_254
; %bb.72:                               ;   in Loop: Header=BB156_13 Depth=1
	s_or_b64 exec, exec, s[6:7]
	s_and_saveexec_b64 s[6:7], s[56:57]
	s_cbranch_execnz .LBB156_255
.LBB156_73:                             ;   in Loop: Header=BB156_13 Depth=1
	s_or_b64 exec, exec, s[6:7]
	v_mov_b32_e32 v45, 0
	s_and_saveexec_b64 s[6:7], s[58:59]
	s_cbranch_execz .LBB156_75
.LBB156_74:                             ;   in Loop: Header=BB156_13 Depth=1
	global_load_dword v45, v[30:31], off offset:3840
.LBB156_75:                             ;   in Loop: Header=BB156_13 Depth=1
	s_or_b64 exec, exec, s[6:7]
	s_waitcnt vmcnt(0)
	ds_write_b32 v95, v29
	ds_write_b32 v97, v32 offset:256
	ds_write_b32 v99, v1 offset:512
	ds_write_b32 v101, v34 offset:768
	ds_write_b32 v103, v33 offset:1024
	ds_write_b32 v105, v36 offset:1280
	ds_write_b32 v107, v35 offset:1536
	ds_write_b32 v109, v38 offset:1792
	ds_write_b32 v111, v37 offset:2048
	ds_write_b32 v113, v40 offset:2304
	ds_write_b32 v115, v39 offset:2560
	ds_write_b32 v117, v42 offset:2816
	ds_write_b32 v119, v41 offset:3072
	ds_write_b32 v121, v44 offset:3328
	ds_write_b32 v123, v43 offset:3584
	ds_write_b32 v125, v45 offset:3840
	; wave barrier
	ds_read2_b32 v[44:45], v127 offset1:1
	ds_read2_b32 v[42:43], v127 offset0:2 offset1:3
	ds_read2_b32 v[40:41], v127 offset0:4 offset1:5
	;; [unrolled: 1-line block ×7, first 2 shown]
	s_waitcnt lgkmcnt(7)
	v_add_f32_e32 v151, s62, v44
	s_mov_b32 s4, 0x41a00000
	v_readlane_b32 s6, v166, 17
	v_cmp_ge_f32_e32 vcc, s4, v151
	v_readlane_b32 s7, v166, 18
	s_and_b64 s[8:9], s[6:7], vcc
	s_and_saveexec_b64 s[6:7], s[8:9]
	s_cbranch_execz .LBB156_77
; %bb.76:                               ;   in Loop: Header=BB156_13 Depth=1
	v_mul_f32_e32 v1, 0x3fb8aa3b, v151
	v_rndne_f32_e32 v29, v1
	s_mov_b32 s4, 0x3fb8aa3b
	v_sub_f32_e32 v44, v1, v29
	v_fma_f32 v1, v151, s4, -v1
	v_fmac_f32_e32 v1, 0x32a5705f, v151
	v_add_f32_e32 v1, v44, v1
	v_cvt_i32_f32_e32 v29, v29
	v_exp_f32_e32 v1, v1
	s_mov_b32 s4, 0xc2ce8ed0
	v_cmp_ngt_f32_e32 vcc, s4, v151
	s_mov_b32 s4, 0x42b17218
	v_ldexp_f32 v1, v1, v29
	v_cndmask_b32_e32 v1, 0, v1, vcc
	v_cmp_nlt_f32_e32 vcc, s4, v151
	s_mov_b32 s4, 0x3f2aaaab
	s_nop 0
	v_cndmask_b32_e32 v60, v148, v1, vcc
	v_add_f32_e32 v1, 1.0, v60
	v_add_f32_e32 v29, -1.0, v1
	v_sub_f32_e32 v44, v29, v1
	v_add_f32_e32 v44, 1.0, v44
	v_sub_f32_e32 v29, v60, v29
	v_add_f32_e32 v29, v29, v44
	v_frexp_mant_f32_e32 v44, v1
	v_cvt_f64_f32_e32 v[46:47], v1
	v_frexp_exp_i32_f64_e32 v46, v[46:47]
	v_cmp_gt_f32_e32 vcc, s4, v44
	s_mov_b32 s4, 0x3f317218
	s_nop 0
	v_subbrev_co_u32_e32 v44, vcc, 0, v46, vcc
	v_sub_u32_e32 v46, 0, v44
	v_ldexp_f32 v1, v1, v46
	v_ldexp_f32 v29, v29, v46
	v_add_f32_e32 v46, -1.0, v1
	v_add_f32_e32 v47, 1.0, v46
	v_sub_f32_e32 v47, v1, v47
	v_add_f32_e32 v48, v29, v47
	v_add_f32_e32 v47, 1.0, v1
	v_add_f32_e32 v49, -1.0, v47
	v_sub_f32_e32 v1, v1, v49
	v_add_f32_e32 v1, v29, v1
	v_add_f32_e32 v29, v47, v1
	v_rcp_f32_e32 v54, v29
	v_sub_f32_e32 v47, v47, v29
	v_add_f32_e32 v1, v1, v47
	v_add_f32_e32 v47, v46, v48
	v_sub_f32_e32 v46, v46, v47
	v_mul_f32_e32 v56, v47, v54
	v_add_f32_e32 v55, v48, v46
	v_mul_f32_e32 v48, v29, v56
	v_fma_f32 v50, v56, v29, -v48
	v_fmac_f32_e32 v50, v56, v1
	v_add_f32_e32 v46, v48, v50
	v_sub_f32_e32 v49, v47, v46
	v_pk_add_f32 v[52:53], v[46:47], v[48:49] neg_lo:[0,1] neg_hi:[0,1]
	v_mov_b32_e32 v51, v46
	v_pk_add_f32 v[46:47], v[52:53], v[50:51] neg_lo:[0,1] neg_hi:[0,1]
	s_nop 0
	v_add_f32_e32 v47, v55, v47
	v_add_f32_e32 v46, v46, v47
	;; [unrolled: 1-line block ×3, first 2 shown]
	v_mul_f32_e32 v55, v54, v47
	v_mul_f32_e32 v48, v29, v55
	v_fma_f32 v50, v55, v29, -v48
	v_fmac_f32_e32 v50, v55, v1
	v_sub_f32_e32 v1, v49, v47
	v_add_f32_e32 v1, v46, v1
	v_add_f32_e32 v46, v48, v50
	v_sub_f32_e32 v49, v47, v46
	v_pk_add_f32 v[52:53], v[46:47], v[48:49] neg_lo:[0,1] neg_hi:[0,1]
	v_mov_b32_e32 v51, v46
	v_pk_add_f32 v[46:47], v[52:53], v[50:51] neg_lo:[0,1] neg_hi:[0,1]
	s_nop 0
	v_add_f32_e32 v1, v1, v47
	v_add_f32_e32 v1, v46, v1
	;; [unrolled: 1-line block ×4, first 2 shown]
	v_sub_f32_e32 v29, v47, v56
	v_mul_f32_e32 v1, v54, v1
	v_sub_f32_e32 v29, v55, v29
	v_add_f32_e32 v1, v29, v1
	v_add_f32_e32 v48, v47, v1
	v_cvt_f32_i32_e32 v46, v44
	v_mul_f32_e32 v50, v48, v48
	v_fmamk_f32 v29, v50, 0x3e9b6dac, v147
	v_fmaak_f32 v29, v50, v29, 0x3f2aaada
	v_sub_f32_e32 v44, v48, v47
	v_mul_f32_e32 v47, v48, v50
	v_pk_mul_f32 v[50:51], v[46:47], v[28:29]
	v_ldexp_f32 v49, v48, 1
	v_fma_f32 v48, v46, s4, -v50
	v_fmac_f32_e32 v48, 0xb102e308, v46
	v_pk_add_f32 v[46:47], v[50:51], v[48:49]
	v_sub_f32_e32 v1, v1, v44
	v_sub_f32_e32 v29, v47, v49
	v_ldexp_f32 v1, v1, 1
	v_sub_f32_e32 v29, v51, v29
	v_add_f32_e32 v53, v1, v29
	v_mov_b32_e32 v52, v50
	v_pk_add_f32 v[50:51], v[46:47], v[50:51] neg_lo:[0,1] neg_hi:[0,1]
	v_pk_add_f32 v[54:55], v[46:47], v[52:53]
	v_mov_b32_e32 v49, v46
	v_mov_b32_e32 v51, v55
	v_pk_add_f32 v[56:57], v[48:49], v[50:51] neg_lo:[0,1] neg_hi:[0,1]
	v_pk_add_f32 v[48:49], v[48:49], v[50:51]
	s_mov_b32 s4, 0x7f800000
	v_mov_b32_e32 v44, v49
	v_pk_add_f32 v[50:51], v[44:45], v[46:47] neg_lo:[0,1] neg_hi:[0,1]
	v_mov_b32_e32 v48, v55
	v_mov_b32_e32 v1, v50
	v_pk_add_f32 v[58:59], v[54:55], v[0:1] neg_lo:[0,1] neg_hi:[0,1]
	v_mov_b32_e32 v54, v47
	v_mov_b32_e32 v55, v50
	v_mov_b32_e32 v57, v49
	v_pk_add_f32 v[48:49], v[48:49], v[54:55] neg_lo:[0,1] neg_hi:[0,1]
	v_mov_b32_e32 v50, v53
	v_mov_b32_e32 v51, v46
	v_pk_add_f32 v[46:47], v[50:51], v[48:49] neg_lo:[0,1] neg_hi:[0,1]
	v_mov_b32_e32 v58, v56
	v_pk_add_f32 v[48:49], v[58:59], v[46:47]
	v_cmp_eq_f32_e32 vcc, s4, v60
	v_mov_b32_e32 v50, v49
	v_pk_add_f32 v[50:51], v[48:49], v[50:51]
	s_mov_b32 s4, 0x33800000
	v_pk_add_f32 v[52:53], v[44:45], v[50:51]
	v_mov_b32_e32 v47, v50
	v_mov_b32_e32 v49, v52
	v_pk_add_f32 v[54:55], v[48:49], v[56:57] neg_lo:[0,1] neg_hi:[0,1]
	v_cmp_gt_f32_e64 s[60:61], s4, v60
	v_sub_f32_e32 v1, v48, v54
	v_pk_add_f32 v[46:47], v[46:47], v[54:55] neg_lo:[0,1] neg_hi:[0,1]
	v_sub_f32_e32 v1, v56, v1
	v_add_f32_e32 v1, v46, v1
	v_add_f32_e32 v1, v1, v47
	;; [unrolled: 1-line block ×3, first 2 shown]
	s_or_b64 vcc, s[60:61], vcc
	v_cndmask_b32_e32 v151, v1, v60, vcc
.LBB156_77:                             ;   in Loop: Header=BB156_13 Depth=1
	s_or_b64 exec, exec, s[6:7]
	v_add_f32_e32 v152, s62, v45
	s_mov_b32 s4, 0x41a00000
	v_readlane_b32 s6, v166, 17
	v_cmp_ge_f32_e32 vcc, s4, v152
	v_readlane_b32 s7, v166, 18
	s_and_b64 s[8:9], s[6:7], vcc
	s_and_saveexec_b64 s[6:7], s[8:9]
	s_cbranch_execz .LBB156_79
; %bb.78:                               ;   in Loop: Header=BB156_13 Depth=1
	v_mul_f32_e32 v1, 0x3fb8aa3b, v152
	v_rndne_f32_e32 v29, v1
	s_mov_b32 s4, 0x3fb8aa3b
	v_sub_f32_e32 v44, v1, v29
	v_fma_f32 v1, v152, s4, -v1
	v_fmac_f32_e32 v1, 0x32a5705f, v152
	v_add_f32_e32 v1, v44, v1
	v_cvt_i32_f32_e32 v29, v29
	v_exp_f32_e32 v1, v1
	s_mov_b32 s4, 0xc2ce8ed0
	v_cmp_ngt_f32_e32 vcc, s4, v152
	s_mov_b32 s4, 0x42b17218
	v_ldexp_f32 v1, v1, v29
	v_cndmask_b32_e32 v1, 0, v1, vcc
	v_cmp_nlt_f32_e32 vcc, s4, v152
	s_mov_b32 s4, 0x3f2aaaab
	s_nop 0
	v_cndmask_b32_e32 v60, v148, v1, vcc
	v_add_f32_e32 v1, 1.0, v60
	v_add_f32_e32 v29, -1.0, v1
	v_sub_f32_e32 v44, v29, v1
	v_add_f32_e32 v44, 1.0, v44
	v_sub_f32_e32 v29, v60, v29
	v_add_f32_e32 v29, v29, v44
	v_frexp_mant_f32_e32 v46, v1
	v_cvt_f64_f32_e32 v[44:45], v1
	v_frexp_exp_i32_f64_e32 v44, v[44:45]
	v_cmp_gt_f32_e32 vcc, s4, v46
	s_mov_b32 s4, 0x3f317218
	s_nop 0
	v_subbrev_co_u32_e32 v52, vcc, 0, v44, vcc
	v_sub_u32_e32 v44, 0, v52
	v_ldexp_f32 v1, v1, v44
	v_ldexp_f32 v29, v29, v44
	v_add_f32_e32 v44, -1.0, v1
	v_add_f32_e32 v45, 1.0, v44
	v_sub_f32_e32 v45, v1, v45
	v_add_f32_e32 v46, v29, v45
	v_add_f32_e32 v45, 1.0, v1
	v_add_f32_e32 v47, -1.0, v45
	v_sub_f32_e32 v1, v1, v47
	v_add_f32_e32 v1, v29, v1
	v_add_f32_e32 v29, v45, v1
	v_rcp_f32_e32 v53, v29
	v_sub_f32_e32 v45, v45, v29
	v_add_f32_e32 v1, v1, v45
	v_add_f32_e32 v45, v44, v46
	v_sub_f32_e32 v44, v44, v45
	v_mul_f32_e32 v55, v45, v53
	v_add_f32_e32 v54, v46, v44
	v_mul_f32_e32 v46, v29, v55
	v_fma_f32 v48, v55, v29, -v46
	v_fmac_f32_e32 v48, v55, v1
	v_add_f32_e32 v44, v46, v48
	v_sub_f32_e32 v47, v45, v44
	v_pk_add_f32 v[50:51], v[44:45], v[46:47] neg_lo:[0,1] neg_hi:[0,1]
	v_mov_b32_e32 v49, v44
	v_pk_add_f32 v[44:45], v[50:51], v[48:49] neg_lo:[0,1] neg_hi:[0,1]
	s_nop 0
	v_add_f32_e32 v45, v54, v45
	v_add_f32_e32 v44, v44, v45
	;; [unrolled: 1-line block ×3, first 2 shown]
	v_mul_f32_e32 v54, v53, v45
	v_mul_f32_e32 v46, v29, v54
	v_fma_f32 v48, v54, v29, -v46
	v_fmac_f32_e32 v48, v54, v1
	v_sub_f32_e32 v1, v47, v45
	v_add_f32_e32 v1, v44, v1
	v_add_f32_e32 v44, v46, v48
	v_sub_f32_e32 v47, v45, v44
	v_pk_add_f32 v[50:51], v[44:45], v[46:47] neg_lo:[0,1] neg_hi:[0,1]
	v_mov_b32_e32 v49, v44
	v_pk_add_f32 v[44:45], v[50:51], v[48:49] neg_lo:[0,1] neg_hi:[0,1]
	s_nop 0
	v_add_f32_e32 v1, v1, v45
	v_add_f32_e32 v1, v44, v1
	;; [unrolled: 1-line block ×4, first 2 shown]
	v_sub_f32_e32 v29, v45, v55
	v_mul_f32_e32 v1, v53, v1
	v_sub_f32_e32 v29, v54, v29
	v_add_f32_e32 v1, v29, v1
	v_add_f32_e32 v46, v45, v1
	v_cvt_f32_i32_e32 v44, v52
	v_mul_f32_e32 v48, v46, v46
	v_fmamk_f32 v29, v48, 0x3e9b6dac, v147
	v_sub_f32_e32 v45, v46, v45
	v_fmaak_f32 v29, v48, v29, 0x3f2aaada
	v_sub_f32_e32 v1, v1, v45
	v_mul_f32_e32 v45, v46, v48
	v_pk_mul_f32 v[48:49], v[44:45], v[28:29]
	v_ldexp_f32 v47, v46, 1
	v_fma_f32 v46, v44, s4, -v48
	v_fmac_f32_e32 v46, 0xb102e308, v44
	v_pk_add_f32 v[44:45], v[48:49], v[46:47]
	v_ldexp_f32 v1, v1, 1
	v_sub_f32_e32 v29, v45, v47
	v_sub_f32_e32 v29, v49, v29
	v_add_f32_e32 v51, v1, v29
	v_mov_b32_e32 v50, v48
	v_pk_add_f32 v[48:49], v[44:45], v[48:49] neg_lo:[0,1] neg_hi:[0,1]
	v_pk_add_f32 v[52:53], v[44:45], v[50:51]
	v_mov_b32_e32 v47, v44
	v_mov_b32_e32 v49, v53
	v_pk_add_f32 v[54:55], v[46:47], v[48:49] neg_lo:[0,1] neg_hi:[0,1]
	v_pk_add_f32 v[46:47], v[46:47], v[48:49]
	v_mov_b32_e32 v50, v51
	v_mov_b32_e32 v48, v47
	v_pk_add_f32 v[56:57], v[48:49], v[44:45] neg_lo:[0,1] neg_hi:[0,1]
	v_mov_b32_e32 v46, v53
	v_mov_b32_e32 v1, v56
	v_pk_add_f32 v[58:59], v[52:53], v[0:1] neg_lo:[0,1] neg_hi:[0,1]
	v_mov_b32_e32 v52, v45
	v_mov_b32_e32 v53, v56
	;; [unrolled: 1-line block ×3, first 2 shown]
	v_pk_add_f32 v[46:47], v[46:47], v[52:53] neg_lo:[0,1] neg_hi:[0,1]
	v_mov_b32_e32 v51, v44
	v_pk_add_f32 v[44:45], v[50:51], v[46:47] neg_lo:[0,1] neg_hi:[0,1]
	v_mov_b32_e32 v58, v54
	v_pk_add_f32 v[46:47], v[58:59], v[44:45]
	s_mov_b32 s4, 0x7f800000
	v_mov_b32_e32 v50, v47
	v_pk_add_f32 v[50:51], v[46:47], v[50:51]
	v_cmp_eq_f32_e32 vcc, s4, v60
	v_pk_add_f32 v[48:49], v[48:49], v[50:51]
	v_mov_b32_e32 v45, v50
	v_mov_b32_e32 v47, v48
	v_pk_add_f32 v[52:53], v[46:47], v[54:55] neg_lo:[0,1] neg_hi:[0,1]
	s_mov_b32 s4, 0x33800000
	v_sub_f32_e32 v1, v46, v52
	v_pk_add_f32 v[44:45], v[44:45], v[52:53] neg_lo:[0,1] neg_hi:[0,1]
	v_sub_f32_e32 v1, v54, v1
	v_add_f32_e32 v1, v44, v1
	v_add_f32_e32 v1, v1, v45
	v_cmp_gt_f32_e64 s[60:61], s4, v60
	v_add_f32_e32 v1, v48, v1
	s_or_b64 vcc, s[60:61], vcc
	v_cndmask_b32_e32 v152, v1, v60, vcc
.LBB156_79:                             ;   in Loop: Header=BB156_13 Depth=1
	s_or_b64 exec, exec, s[6:7]
	s_waitcnt lgkmcnt(6)
	v_add_f32_e32 v153, s62, v42
	s_mov_b32 s4, 0x41a00000
	v_readlane_b32 s6, v166, 17
	v_cmp_ge_f32_e32 vcc, s4, v153
	v_readlane_b32 s7, v166, 18
	s_and_b64 s[8:9], s[6:7], vcc
	s_and_saveexec_b64 s[6:7], s[8:9]
	s_cbranch_execz .LBB156_81
; %bb.80:                               ;   in Loop: Header=BB156_13 Depth=1
	v_mul_f32_e32 v1, 0x3fb8aa3b, v153
	v_rndne_f32_e32 v29, v1
	s_mov_b32 s4, 0x3fb8aa3b
	v_sub_f32_e32 v42, v1, v29
	v_fma_f32 v1, v153, s4, -v1
	v_fmac_f32_e32 v1, 0x32a5705f, v153
	v_add_f32_e32 v1, v42, v1
	v_cvt_i32_f32_e32 v29, v29
	v_exp_f32_e32 v1, v1
	s_mov_b32 s4, 0xc2ce8ed0
	v_cmp_ngt_f32_e32 vcc, s4, v153
	s_mov_b32 s4, 0x42b17218
	v_ldexp_f32 v1, v1, v29
	v_cndmask_b32_e32 v1, 0, v1, vcc
	v_cmp_nlt_f32_e32 vcc, s4, v153
	s_mov_b32 s4, 0x3f2aaaab
	s_nop 0
	v_cndmask_b32_e32 v58, v148, v1, vcc
	v_add_f32_e32 v1, 1.0, v58
	v_add_f32_e32 v29, -1.0, v1
	v_sub_f32_e32 v42, v29, v1
	v_add_f32_e32 v42, 1.0, v42
	v_sub_f32_e32 v29, v58, v29
	v_add_f32_e32 v29, v29, v42
	v_frexp_mant_f32_e32 v42, v1
	v_cvt_f64_f32_e32 v[44:45], v1
	v_frexp_exp_i32_f64_e32 v44, v[44:45]
	v_cmp_gt_f32_e32 vcc, s4, v42
	s_mov_b32 s4, 0x3f317218
	s_nop 0
	v_subbrev_co_u32_e32 v42, vcc, 0, v44, vcc
	v_sub_u32_e32 v44, 0, v42
	v_ldexp_f32 v1, v1, v44
	v_ldexp_f32 v29, v29, v44
	v_add_f32_e32 v44, -1.0, v1
	v_add_f32_e32 v45, 1.0, v44
	v_sub_f32_e32 v45, v1, v45
	v_add_f32_e32 v46, v29, v45
	v_add_f32_e32 v45, 1.0, v1
	v_add_f32_e32 v47, -1.0, v45
	v_sub_f32_e32 v1, v1, v47
	v_add_f32_e32 v1, v29, v1
	v_add_f32_e32 v29, v45, v1
	v_rcp_f32_e32 v52, v29
	v_sub_f32_e32 v45, v45, v29
	v_add_f32_e32 v1, v1, v45
	v_add_f32_e32 v45, v44, v46
	v_sub_f32_e32 v44, v44, v45
	v_mul_f32_e32 v54, v45, v52
	v_add_f32_e32 v53, v46, v44
	v_mul_f32_e32 v46, v29, v54
	v_fma_f32 v48, v54, v29, -v46
	v_fmac_f32_e32 v48, v54, v1
	v_add_f32_e32 v44, v46, v48
	v_sub_f32_e32 v47, v45, v44
	v_pk_add_f32 v[50:51], v[44:45], v[46:47] neg_lo:[0,1] neg_hi:[0,1]
	v_mov_b32_e32 v49, v44
	v_pk_add_f32 v[44:45], v[50:51], v[48:49] neg_lo:[0,1] neg_hi:[0,1]
	s_nop 0
	v_add_f32_e32 v45, v53, v45
	v_add_f32_e32 v44, v44, v45
	;; [unrolled: 1-line block ×3, first 2 shown]
	v_mul_f32_e32 v53, v52, v45
	v_mul_f32_e32 v46, v29, v53
	v_fma_f32 v48, v53, v29, -v46
	v_fmac_f32_e32 v48, v53, v1
	v_sub_f32_e32 v1, v47, v45
	v_add_f32_e32 v1, v44, v1
	v_add_f32_e32 v44, v46, v48
	v_sub_f32_e32 v47, v45, v44
	v_pk_add_f32 v[50:51], v[44:45], v[46:47] neg_lo:[0,1] neg_hi:[0,1]
	v_mov_b32_e32 v49, v44
	v_pk_add_f32 v[44:45], v[50:51], v[48:49] neg_lo:[0,1] neg_hi:[0,1]
	s_nop 0
	v_add_f32_e32 v1, v1, v45
	v_add_f32_e32 v1, v44, v1
	;; [unrolled: 1-line block ×4, first 2 shown]
	v_sub_f32_e32 v29, v45, v54
	v_mul_f32_e32 v1, v52, v1
	v_sub_f32_e32 v29, v53, v29
	v_add_f32_e32 v1, v29, v1
	v_add_f32_e32 v46, v45, v1
	v_cvt_f32_i32_e32 v44, v42
	v_mul_f32_e32 v48, v46, v46
	v_fmamk_f32 v29, v48, 0x3e9b6dac, v147
	v_fmaak_f32 v29, v48, v29, 0x3f2aaada
	v_sub_f32_e32 v42, v46, v45
	v_mul_f32_e32 v45, v46, v48
	v_pk_mul_f32 v[48:49], v[44:45], v[28:29]
	v_ldexp_f32 v47, v46, 1
	v_fma_f32 v46, v44, s4, -v48
	v_fmac_f32_e32 v46, 0xb102e308, v44
	v_pk_add_f32 v[44:45], v[48:49], v[46:47]
	v_sub_f32_e32 v1, v1, v42
	v_sub_f32_e32 v29, v45, v47
	v_ldexp_f32 v1, v1, 1
	v_sub_f32_e32 v29, v49, v29
	v_add_f32_e32 v51, v1, v29
	v_mov_b32_e32 v50, v48
	v_pk_add_f32 v[48:49], v[44:45], v[48:49] neg_lo:[0,1] neg_hi:[0,1]
	v_pk_add_f32 v[52:53], v[44:45], v[50:51]
	v_mov_b32_e32 v47, v44
	v_mov_b32_e32 v49, v53
	v_pk_add_f32 v[54:55], v[46:47], v[48:49] neg_lo:[0,1] neg_hi:[0,1]
	v_pk_add_f32 v[46:47], v[46:47], v[48:49]
	s_mov_b32 s4, 0x7f800000
	v_mov_b32_e32 v42, v47
	v_pk_add_f32 v[48:49], v[42:43], v[44:45] neg_lo:[0,1] neg_hi:[0,1]
	v_mov_b32_e32 v46, v53
	v_mov_b32_e32 v1, v48
	v_pk_add_f32 v[56:57], v[52:53], v[0:1] neg_lo:[0,1] neg_hi:[0,1]
	v_mov_b32_e32 v52, v45
	v_mov_b32_e32 v53, v48
	;; [unrolled: 1-line block ×3, first 2 shown]
	v_pk_add_f32 v[46:47], v[46:47], v[52:53] neg_lo:[0,1] neg_hi:[0,1]
	v_mov_b32_e32 v48, v51
	v_mov_b32_e32 v49, v44
	v_pk_add_f32 v[44:45], v[48:49], v[46:47] neg_lo:[0,1] neg_hi:[0,1]
	v_mov_b32_e32 v56, v54
	v_pk_add_f32 v[46:47], v[56:57], v[44:45]
	v_cmp_eq_f32_e32 vcc, s4, v58
	v_mov_b32_e32 v48, v47
	v_pk_add_f32 v[48:49], v[46:47], v[48:49]
	s_mov_b32 s4, 0x33800000
	v_pk_add_f32 v[50:51], v[42:43], v[48:49]
	v_mov_b32_e32 v45, v48
	v_mov_b32_e32 v47, v50
	v_pk_add_f32 v[52:53], v[46:47], v[54:55] neg_lo:[0,1] neg_hi:[0,1]
	v_cmp_gt_f32_e64 s[60:61], s4, v58
	v_sub_f32_e32 v1, v46, v52
	v_pk_add_f32 v[44:45], v[44:45], v[52:53] neg_lo:[0,1] neg_hi:[0,1]
	v_sub_f32_e32 v1, v54, v1
	v_add_f32_e32 v1, v44, v1
	v_add_f32_e32 v1, v1, v45
	;; [unrolled: 1-line block ×3, first 2 shown]
	s_or_b64 vcc, s[60:61], vcc
	v_cndmask_b32_e32 v153, v1, v58, vcc
.LBB156_81:                             ;   in Loop: Header=BB156_13 Depth=1
	s_or_b64 exec, exec, s[6:7]
	v_add_f32_e32 v154, s62, v43
	s_mov_b32 s4, 0x41a00000
	v_readlane_b32 s6, v166, 17
	v_cmp_ge_f32_e32 vcc, s4, v154
	v_readlane_b32 s7, v166, 18
	s_and_b64 s[8:9], s[6:7], vcc
	s_and_saveexec_b64 s[6:7], s[8:9]
	s_cbranch_execz .LBB156_83
; %bb.82:                               ;   in Loop: Header=BB156_13 Depth=1
	v_mul_f32_e32 v1, 0x3fb8aa3b, v154
	v_rndne_f32_e32 v29, v1
	s_mov_b32 s4, 0x3fb8aa3b
	v_sub_f32_e32 v42, v1, v29
	v_fma_f32 v1, v154, s4, -v1
	v_fmac_f32_e32 v1, 0x32a5705f, v154
	v_add_f32_e32 v1, v42, v1
	v_cvt_i32_f32_e32 v29, v29
	v_exp_f32_e32 v1, v1
	s_mov_b32 s4, 0xc2ce8ed0
	v_cmp_ngt_f32_e32 vcc, s4, v154
	s_mov_b32 s4, 0x42b17218
	v_ldexp_f32 v1, v1, v29
	v_cndmask_b32_e32 v1, 0, v1, vcc
	v_cmp_nlt_f32_e32 vcc, s4, v154
	s_mov_b32 s4, 0x3f2aaaab
	s_nop 0
	v_cndmask_b32_e32 v58, v148, v1, vcc
	v_add_f32_e32 v1, 1.0, v58
	v_add_f32_e32 v29, -1.0, v1
	v_sub_f32_e32 v42, v29, v1
	v_add_f32_e32 v42, 1.0, v42
	v_sub_f32_e32 v29, v58, v29
	v_add_f32_e32 v29, v29, v42
	v_frexp_mant_f32_e32 v44, v1
	v_cvt_f64_f32_e32 v[42:43], v1
	v_frexp_exp_i32_f64_e32 v42, v[42:43]
	v_cmp_gt_f32_e32 vcc, s4, v44
	s_mov_b32 s4, 0x3f317218
	s_nop 0
	v_subbrev_co_u32_e32 v50, vcc, 0, v42, vcc
	v_sub_u32_e32 v42, 0, v50
	v_ldexp_f32 v1, v1, v42
	v_ldexp_f32 v29, v29, v42
	v_add_f32_e32 v42, -1.0, v1
	v_add_f32_e32 v43, 1.0, v42
	v_sub_f32_e32 v43, v1, v43
	v_add_f32_e32 v44, v29, v43
	v_add_f32_e32 v43, 1.0, v1
	v_add_f32_e32 v45, -1.0, v43
	v_sub_f32_e32 v1, v1, v45
	v_add_f32_e32 v1, v29, v1
	v_add_f32_e32 v29, v43, v1
	v_rcp_f32_e32 v51, v29
	v_sub_f32_e32 v43, v43, v29
	v_add_f32_e32 v1, v1, v43
	v_add_f32_e32 v43, v42, v44
	v_sub_f32_e32 v42, v42, v43
	v_mul_f32_e32 v53, v43, v51
	v_add_f32_e32 v52, v44, v42
	v_mul_f32_e32 v44, v29, v53
	v_fma_f32 v46, v53, v29, -v44
	v_fmac_f32_e32 v46, v53, v1
	v_add_f32_e32 v42, v44, v46
	v_sub_f32_e32 v45, v43, v42
	v_pk_add_f32 v[48:49], v[42:43], v[44:45] neg_lo:[0,1] neg_hi:[0,1]
	v_mov_b32_e32 v47, v42
	v_pk_add_f32 v[42:43], v[48:49], v[46:47] neg_lo:[0,1] neg_hi:[0,1]
	s_nop 0
	v_add_f32_e32 v43, v52, v43
	v_add_f32_e32 v42, v42, v43
	;; [unrolled: 1-line block ×3, first 2 shown]
	v_mul_f32_e32 v52, v51, v43
	v_mul_f32_e32 v44, v29, v52
	v_fma_f32 v46, v52, v29, -v44
	v_fmac_f32_e32 v46, v52, v1
	v_sub_f32_e32 v1, v45, v43
	v_add_f32_e32 v1, v42, v1
	v_add_f32_e32 v42, v44, v46
	v_sub_f32_e32 v45, v43, v42
	v_pk_add_f32 v[48:49], v[42:43], v[44:45] neg_lo:[0,1] neg_hi:[0,1]
	v_mov_b32_e32 v47, v42
	v_pk_add_f32 v[42:43], v[48:49], v[46:47] neg_lo:[0,1] neg_hi:[0,1]
	s_nop 0
	v_add_f32_e32 v1, v1, v43
	v_add_f32_e32 v1, v42, v1
	;; [unrolled: 1-line block ×4, first 2 shown]
	v_sub_f32_e32 v29, v43, v53
	v_mul_f32_e32 v1, v51, v1
	v_sub_f32_e32 v29, v52, v29
	v_add_f32_e32 v1, v29, v1
	v_add_f32_e32 v44, v43, v1
	v_cvt_f32_i32_e32 v42, v50
	v_mul_f32_e32 v46, v44, v44
	v_fmamk_f32 v29, v46, 0x3e9b6dac, v147
	v_sub_f32_e32 v43, v44, v43
	v_fmaak_f32 v29, v46, v29, 0x3f2aaada
	v_sub_f32_e32 v1, v1, v43
	v_mul_f32_e32 v43, v44, v46
	v_pk_mul_f32 v[46:47], v[42:43], v[28:29]
	v_ldexp_f32 v45, v44, 1
	v_fma_f32 v44, v42, s4, -v46
	v_fmac_f32_e32 v44, 0xb102e308, v42
	v_pk_add_f32 v[42:43], v[46:47], v[44:45]
	v_ldexp_f32 v1, v1, 1
	v_sub_f32_e32 v29, v43, v45
	v_sub_f32_e32 v29, v47, v29
	v_add_f32_e32 v49, v1, v29
	v_mov_b32_e32 v48, v46
	v_pk_add_f32 v[46:47], v[42:43], v[46:47] neg_lo:[0,1] neg_hi:[0,1]
	v_pk_add_f32 v[50:51], v[42:43], v[48:49]
	v_mov_b32_e32 v45, v42
	v_mov_b32_e32 v47, v51
	v_pk_add_f32 v[52:53], v[44:45], v[46:47] neg_lo:[0,1] neg_hi:[0,1]
	v_pk_add_f32 v[44:45], v[44:45], v[46:47]
	v_mov_b32_e32 v48, v49
	v_mov_b32_e32 v46, v45
	v_pk_add_f32 v[54:55], v[46:47], v[42:43] neg_lo:[0,1] neg_hi:[0,1]
	v_mov_b32_e32 v44, v51
	v_mov_b32_e32 v1, v54
	v_pk_add_f32 v[56:57], v[50:51], v[0:1] neg_lo:[0,1] neg_hi:[0,1]
	v_mov_b32_e32 v50, v43
	v_mov_b32_e32 v51, v54
	;; [unrolled: 1-line block ×3, first 2 shown]
	v_pk_add_f32 v[44:45], v[44:45], v[50:51] neg_lo:[0,1] neg_hi:[0,1]
	v_mov_b32_e32 v49, v42
	v_pk_add_f32 v[42:43], v[48:49], v[44:45] neg_lo:[0,1] neg_hi:[0,1]
	v_mov_b32_e32 v56, v52
	v_pk_add_f32 v[44:45], v[56:57], v[42:43]
	s_mov_b32 s4, 0x7f800000
	v_mov_b32_e32 v48, v45
	v_pk_add_f32 v[48:49], v[44:45], v[48:49]
	v_cmp_eq_f32_e32 vcc, s4, v58
	v_pk_add_f32 v[46:47], v[46:47], v[48:49]
	v_mov_b32_e32 v43, v48
	v_mov_b32_e32 v45, v46
	v_pk_add_f32 v[50:51], v[44:45], v[52:53] neg_lo:[0,1] neg_hi:[0,1]
	s_mov_b32 s4, 0x33800000
	v_sub_f32_e32 v1, v44, v50
	v_pk_add_f32 v[42:43], v[42:43], v[50:51] neg_lo:[0,1] neg_hi:[0,1]
	v_sub_f32_e32 v1, v52, v1
	v_add_f32_e32 v1, v42, v1
	v_add_f32_e32 v1, v1, v43
	v_cmp_gt_f32_e64 s[60:61], s4, v58
	v_add_f32_e32 v1, v46, v1
	s_or_b64 vcc, s[60:61], vcc
	v_cndmask_b32_e32 v154, v1, v58, vcc
.LBB156_83:                             ;   in Loop: Header=BB156_13 Depth=1
	s_or_b64 exec, exec, s[6:7]
	s_waitcnt lgkmcnt(5)
	v_add_f32_e32 v155, s62, v40
	s_mov_b32 s4, 0x41a00000
	v_readlane_b32 s6, v166, 17
	v_cmp_ge_f32_e32 vcc, s4, v155
	v_readlane_b32 s7, v166, 18
	s_and_b64 s[8:9], s[6:7], vcc
	s_and_saveexec_b64 s[6:7], s[8:9]
	s_cbranch_execz .LBB156_85
; %bb.84:                               ;   in Loop: Header=BB156_13 Depth=1
	v_mul_f32_e32 v1, 0x3fb8aa3b, v155
	v_rndne_f32_e32 v29, v1
	s_mov_b32 s4, 0x3fb8aa3b
	v_sub_f32_e32 v40, v1, v29
	v_fma_f32 v1, v155, s4, -v1
	v_fmac_f32_e32 v1, 0x32a5705f, v155
	v_add_f32_e32 v1, v40, v1
	v_cvt_i32_f32_e32 v29, v29
	v_exp_f32_e32 v1, v1
	s_mov_b32 s4, 0xc2ce8ed0
	v_cmp_ngt_f32_e32 vcc, s4, v155
	s_mov_b32 s4, 0x42b17218
	v_ldexp_f32 v1, v1, v29
	v_cndmask_b32_e32 v1, 0, v1, vcc
	v_cmp_nlt_f32_e32 vcc, s4, v155
	s_mov_b32 s4, 0x3f2aaaab
	s_nop 0
	v_cndmask_b32_e32 v56, v148, v1, vcc
	v_add_f32_e32 v1, 1.0, v56
	v_add_f32_e32 v29, -1.0, v1
	v_sub_f32_e32 v40, v29, v1
	v_add_f32_e32 v40, 1.0, v40
	v_sub_f32_e32 v29, v56, v29
	v_add_f32_e32 v29, v29, v40
	v_frexp_mant_f32_e32 v40, v1
	v_cvt_f64_f32_e32 v[42:43], v1
	v_frexp_exp_i32_f64_e32 v42, v[42:43]
	v_cmp_gt_f32_e32 vcc, s4, v40
	s_mov_b32 s4, 0x3f317218
	s_nop 0
	v_subbrev_co_u32_e32 v40, vcc, 0, v42, vcc
	v_sub_u32_e32 v42, 0, v40
	v_ldexp_f32 v1, v1, v42
	v_ldexp_f32 v29, v29, v42
	v_add_f32_e32 v42, -1.0, v1
	v_add_f32_e32 v43, 1.0, v42
	v_sub_f32_e32 v43, v1, v43
	v_add_f32_e32 v44, v29, v43
	v_add_f32_e32 v43, 1.0, v1
	v_add_f32_e32 v45, -1.0, v43
	v_sub_f32_e32 v1, v1, v45
	v_add_f32_e32 v1, v29, v1
	v_add_f32_e32 v29, v43, v1
	v_rcp_f32_e32 v50, v29
	v_sub_f32_e32 v43, v43, v29
	v_add_f32_e32 v1, v1, v43
	v_add_f32_e32 v43, v42, v44
	v_sub_f32_e32 v42, v42, v43
	v_mul_f32_e32 v52, v43, v50
	v_add_f32_e32 v51, v44, v42
	v_mul_f32_e32 v44, v29, v52
	v_fma_f32 v46, v52, v29, -v44
	v_fmac_f32_e32 v46, v52, v1
	v_add_f32_e32 v42, v44, v46
	v_sub_f32_e32 v45, v43, v42
	v_pk_add_f32 v[48:49], v[42:43], v[44:45] neg_lo:[0,1] neg_hi:[0,1]
	v_mov_b32_e32 v47, v42
	v_pk_add_f32 v[42:43], v[48:49], v[46:47] neg_lo:[0,1] neg_hi:[0,1]
	s_nop 0
	v_add_f32_e32 v43, v51, v43
	v_add_f32_e32 v42, v42, v43
	;; [unrolled: 1-line block ×3, first 2 shown]
	v_mul_f32_e32 v51, v50, v43
	v_mul_f32_e32 v44, v29, v51
	v_fma_f32 v46, v51, v29, -v44
	v_fmac_f32_e32 v46, v51, v1
	v_sub_f32_e32 v1, v45, v43
	v_add_f32_e32 v1, v42, v1
	v_add_f32_e32 v42, v44, v46
	v_sub_f32_e32 v45, v43, v42
	v_pk_add_f32 v[48:49], v[42:43], v[44:45] neg_lo:[0,1] neg_hi:[0,1]
	v_mov_b32_e32 v47, v42
	v_pk_add_f32 v[42:43], v[48:49], v[46:47] neg_lo:[0,1] neg_hi:[0,1]
	s_nop 0
	v_add_f32_e32 v1, v1, v43
	v_add_f32_e32 v1, v42, v1
	;; [unrolled: 1-line block ×4, first 2 shown]
	v_sub_f32_e32 v29, v43, v52
	v_mul_f32_e32 v1, v50, v1
	v_sub_f32_e32 v29, v51, v29
	v_add_f32_e32 v1, v29, v1
	v_add_f32_e32 v44, v43, v1
	v_cvt_f32_i32_e32 v42, v40
	v_mul_f32_e32 v46, v44, v44
	v_fmamk_f32 v29, v46, 0x3e9b6dac, v147
	v_fmaak_f32 v29, v46, v29, 0x3f2aaada
	v_sub_f32_e32 v40, v44, v43
	v_mul_f32_e32 v43, v44, v46
	v_pk_mul_f32 v[46:47], v[42:43], v[28:29]
	v_ldexp_f32 v45, v44, 1
	v_fma_f32 v44, v42, s4, -v46
	v_fmac_f32_e32 v44, 0xb102e308, v42
	v_pk_add_f32 v[42:43], v[46:47], v[44:45]
	v_sub_f32_e32 v1, v1, v40
	v_sub_f32_e32 v29, v43, v45
	v_ldexp_f32 v1, v1, 1
	v_sub_f32_e32 v29, v47, v29
	v_add_f32_e32 v49, v1, v29
	v_mov_b32_e32 v48, v46
	v_pk_add_f32 v[46:47], v[42:43], v[46:47] neg_lo:[0,1] neg_hi:[0,1]
	v_pk_add_f32 v[50:51], v[42:43], v[48:49]
	v_mov_b32_e32 v45, v42
	v_mov_b32_e32 v47, v51
	v_pk_add_f32 v[52:53], v[44:45], v[46:47] neg_lo:[0,1] neg_hi:[0,1]
	v_pk_add_f32 v[44:45], v[44:45], v[46:47]
	s_mov_b32 s4, 0x7f800000
	v_mov_b32_e32 v40, v45
	v_pk_add_f32 v[46:47], v[40:41], v[42:43] neg_lo:[0,1] neg_hi:[0,1]
	v_mov_b32_e32 v44, v51
	v_mov_b32_e32 v1, v46
	v_pk_add_f32 v[54:55], v[50:51], v[0:1] neg_lo:[0,1] neg_hi:[0,1]
	v_mov_b32_e32 v50, v43
	v_mov_b32_e32 v51, v46
	;; [unrolled: 1-line block ×3, first 2 shown]
	v_pk_add_f32 v[44:45], v[44:45], v[50:51] neg_lo:[0,1] neg_hi:[0,1]
	v_mov_b32_e32 v46, v49
	v_mov_b32_e32 v47, v42
	v_pk_add_f32 v[42:43], v[46:47], v[44:45] neg_lo:[0,1] neg_hi:[0,1]
	v_mov_b32_e32 v54, v52
	v_pk_add_f32 v[44:45], v[54:55], v[42:43]
	v_cmp_eq_f32_e32 vcc, s4, v56
	v_mov_b32_e32 v46, v45
	v_pk_add_f32 v[46:47], v[44:45], v[46:47]
	s_mov_b32 s4, 0x33800000
	v_pk_add_f32 v[48:49], v[40:41], v[46:47]
	v_mov_b32_e32 v43, v46
	v_mov_b32_e32 v45, v48
	v_pk_add_f32 v[50:51], v[44:45], v[52:53] neg_lo:[0,1] neg_hi:[0,1]
	v_cmp_gt_f32_e64 s[60:61], s4, v56
	v_sub_f32_e32 v1, v44, v50
	v_pk_add_f32 v[42:43], v[42:43], v[50:51] neg_lo:[0,1] neg_hi:[0,1]
	v_sub_f32_e32 v1, v52, v1
	v_add_f32_e32 v1, v42, v1
	v_add_f32_e32 v1, v1, v43
	;; [unrolled: 1-line block ×3, first 2 shown]
	s_or_b64 vcc, s[60:61], vcc
	v_cndmask_b32_e32 v155, v1, v56, vcc
.LBB156_85:                             ;   in Loop: Header=BB156_13 Depth=1
	s_or_b64 exec, exec, s[6:7]
	v_add_f32_e32 v156, s62, v41
	s_mov_b32 s4, 0x41a00000
	v_readlane_b32 s6, v166, 17
	v_cmp_ge_f32_e32 vcc, s4, v156
	v_readlane_b32 s7, v166, 18
	s_and_b64 s[8:9], s[6:7], vcc
	s_and_saveexec_b64 s[6:7], s[8:9]
	s_cbranch_execz .LBB156_87
; %bb.86:                               ;   in Loop: Header=BB156_13 Depth=1
	v_mul_f32_e32 v1, 0x3fb8aa3b, v156
	v_rndne_f32_e32 v29, v1
	s_mov_b32 s4, 0x3fb8aa3b
	v_sub_f32_e32 v40, v1, v29
	v_fma_f32 v1, v156, s4, -v1
	v_fmac_f32_e32 v1, 0x32a5705f, v156
	v_add_f32_e32 v1, v40, v1
	v_cvt_i32_f32_e32 v29, v29
	v_exp_f32_e32 v1, v1
	s_mov_b32 s4, 0xc2ce8ed0
	v_cmp_ngt_f32_e32 vcc, s4, v156
	s_mov_b32 s4, 0x42b17218
	v_ldexp_f32 v1, v1, v29
	v_cndmask_b32_e32 v1, 0, v1, vcc
	v_cmp_nlt_f32_e32 vcc, s4, v156
	s_mov_b32 s4, 0x3f2aaaab
	s_nop 0
	v_cndmask_b32_e32 v56, v148, v1, vcc
	v_add_f32_e32 v1, 1.0, v56
	v_add_f32_e32 v29, -1.0, v1
	v_sub_f32_e32 v40, v29, v1
	v_add_f32_e32 v40, 1.0, v40
	v_sub_f32_e32 v29, v56, v29
	v_add_f32_e32 v29, v29, v40
	v_frexp_mant_f32_e32 v42, v1
	v_cvt_f64_f32_e32 v[40:41], v1
	v_frexp_exp_i32_f64_e32 v40, v[40:41]
	v_cmp_gt_f32_e32 vcc, s4, v42
	s_mov_b32 s4, 0x3f317218
	s_nop 0
	v_subbrev_co_u32_e32 v48, vcc, 0, v40, vcc
	v_sub_u32_e32 v40, 0, v48
	v_ldexp_f32 v1, v1, v40
	v_ldexp_f32 v29, v29, v40
	v_add_f32_e32 v40, -1.0, v1
	v_add_f32_e32 v41, 1.0, v40
	v_sub_f32_e32 v41, v1, v41
	v_add_f32_e32 v42, v29, v41
	v_add_f32_e32 v41, 1.0, v1
	v_add_f32_e32 v43, -1.0, v41
	v_sub_f32_e32 v1, v1, v43
	v_add_f32_e32 v1, v29, v1
	v_add_f32_e32 v29, v41, v1
	v_rcp_f32_e32 v49, v29
	v_sub_f32_e32 v41, v41, v29
	v_add_f32_e32 v1, v1, v41
	v_add_f32_e32 v41, v40, v42
	v_sub_f32_e32 v40, v40, v41
	v_mul_f32_e32 v51, v41, v49
	v_add_f32_e32 v50, v42, v40
	v_mul_f32_e32 v42, v29, v51
	v_fma_f32 v44, v51, v29, -v42
	v_fmac_f32_e32 v44, v51, v1
	v_add_f32_e32 v40, v42, v44
	v_sub_f32_e32 v43, v41, v40
	v_pk_add_f32 v[46:47], v[40:41], v[42:43] neg_lo:[0,1] neg_hi:[0,1]
	v_mov_b32_e32 v45, v40
	v_pk_add_f32 v[40:41], v[46:47], v[44:45] neg_lo:[0,1] neg_hi:[0,1]
	s_nop 0
	v_add_f32_e32 v41, v50, v41
	v_add_f32_e32 v40, v40, v41
	;; [unrolled: 1-line block ×3, first 2 shown]
	v_mul_f32_e32 v50, v49, v41
	v_mul_f32_e32 v42, v29, v50
	v_fma_f32 v44, v50, v29, -v42
	v_fmac_f32_e32 v44, v50, v1
	v_sub_f32_e32 v1, v43, v41
	v_add_f32_e32 v1, v40, v1
	v_add_f32_e32 v40, v42, v44
	v_sub_f32_e32 v43, v41, v40
	v_pk_add_f32 v[46:47], v[40:41], v[42:43] neg_lo:[0,1] neg_hi:[0,1]
	v_mov_b32_e32 v45, v40
	v_pk_add_f32 v[40:41], v[46:47], v[44:45] neg_lo:[0,1] neg_hi:[0,1]
	s_nop 0
	v_add_f32_e32 v1, v1, v41
	v_add_f32_e32 v1, v40, v1
	;; [unrolled: 1-line block ×4, first 2 shown]
	v_sub_f32_e32 v29, v41, v51
	v_mul_f32_e32 v1, v49, v1
	v_sub_f32_e32 v29, v50, v29
	v_add_f32_e32 v1, v29, v1
	v_add_f32_e32 v42, v41, v1
	v_cvt_f32_i32_e32 v40, v48
	v_mul_f32_e32 v44, v42, v42
	v_fmamk_f32 v29, v44, 0x3e9b6dac, v147
	v_sub_f32_e32 v41, v42, v41
	v_fmaak_f32 v29, v44, v29, 0x3f2aaada
	v_sub_f32_e32 v1, v1, v41
	v_mul_f32_e32 v41, v42, v44
	v_pk_mul_f32 v[44:45], v[40:41], v[28:29]
	v_ldexp_f32 v43, v42, 1
	v_fma_f32 v42, v40, s4, -v44
	v_fmac_f32_e32 v42, 0xb102e308, v40
	v_pk_add_f32 v[40:41], v[44:45], v[42:43]
	v_ldexp_f32 v1, v1, 1
	v_sub_f32_e32 v29, v41, v43
	v_sub_f32_e32 v29, v45, v29
	v_add_f32_e32 v47, v1, v29
	v_mov_b32_e32 v46, v44
	v_pk_add_f32 v[44:45], v[40:41], v[44:45] neg_lo:[0,1] neg_hi:[0,1]
	v_pk_add_f32 v[48:49], v[40:41], v[46:47]
	v_mov_b32_e32 v43, v40
	v_mov_b32_e32 v45, v49
	v_pk_add_f32 v[50:51], v[42:43], v[44:45] neg_lo:[0,1] neg_hi:[0,1]
	v_pk_add_f32 v[42:43], v[42:43], v[44:45]
	v_mov_b32_e32 v46, v47
	v_mov_b32_e32 v44, v43
	v_pk_add_f32 v[52:53], v[44:45], v[40:41] neg_lo:[0,1] neg_hi:[0,1]
	v_mov_b32_e32 v42, v49
	v_mov_b32_e32 v1, v52
	v_pk_add_f32 v[54:55], v[48:49], v[0:1] neg_lo:[0,1] neg_hi:[0,1]
	v_mov_b32_e32 v48, v41
	v_mov_b32_e32 v49, v52
	;; [unrolled: 1-line block ×3, first 2 shown]
	v_pk_add_f32 v[42:43], v[42:43], v[48:49] neg_lo:[0,1] neg_hi:[0,1]
	v_mov_b32_e32 v47, v40
	v_pk_add_f32 v[40:41], v[46:47], v[42:43] neg_lo:[0,1] neg_hi:[0,1]
	v_mov_b32_e32 v54, v50
	v_pk_add_f32 v[42:43], v[54:55], v[40:41]
	s_mov_b32 s4, 0x7f800000
	v_mov_b32_e32 v46, v43
	v_pk_add_f32 v[46:47], v[42:43], v[46:47]
	v_cmp_eq_f32_e32 vcc, s4, v56
	v_pk_add_f32 v[44:45], v[44:45], v[46:47]
	v_mov_b32_e32 v41, v46
	v_mov_b32_e32 v43, v44
	v_pk_add_f32 v[48:49], v[42:43], v[50:51] neg_lo:[0,1] neg_hi:[0,1]
	s_mov_b32 s4, 0x33800000
	v_sub_f32_e32 v1, v42, v48
	v_pk_add_f32 v[40:41], v[40:41], v[48:49] neg_lo:[0,1] neg_hi:[0,1]
	v_sub_f32_e32 v1, v50, v1
	v_add_f32_e32 v1, v40, v1
	v_add_f32_e32 v1, v1, v41
	v_cmp_gt_f32_e64 s[60:61], s4, v56
	v_add_f32_e32 v1, v44, v1
	s_or_b64 vcc, s[60:61], vcc
	v_cndmask_b32_e32 v156, v1, v56, vcc
.LBB156_87:                             ;   in Loop: Header=BB156_13 Depth=1
	s_or_b64 exec, exec, s[6:7]
	s_waitcnt lgkmcnt(4)
	v_add_f32_e32 v157, s62, v38
	s_mov_b32 s4, 0x41a00000
	v_readlane_b32 s6, v166, 17
	v_cmp_ge_f32_e32 vcc, s4, v157
	v_readlane_b32 s7, v166, 18
	s_and_b64 s[8:9], s[6:7], vcc
	s_and_saveexec_b64 s[6:7], s[8:9]
	s_cbranch_execz .LBB156_89
; %bb.88:                               ;   in Loop: Header=BB156_13 Depth=1
	v_mul_f32_e32 v1, 0x3fb8aa3b, v157
	v_rndne_f32_e32 v29, v1
	s_mov_b32 s4, 0x3fb8aa3b
	v_sub_f32_e32 v38, v1, v29
	v_fma_f32 v1, v157, s4, -v1
	v_fmac_f32_e32 v1, 0x32a5705f, v157
	v_add_f32_e32 v1, v38, v1
	v_cvt_i32_f32_e32 v29, v29
	v_exp_f32_e32 v1, v1
	s_mov_b32 s4, 0xc2ce8ed0
	v_cmp_ngt_f32_e32 vcc, s4, v157
	s_mov_b32 s4, 0x42b17218
	v_ldexp_f32 v1, v1, v29
	v_cndmask_b32_e32 v1, 0, v1, vcc
	v_cmp_nlt_f32_e32 vcc, s4, v157
	s_mov_b32 s4, 0x3f2aaaab
	s_nop 0
	v_cndmask_b32_e32 v54, v148, v1, vcc
	v_add_f32_e32 v1, 1.0, v54
	v_add_f32_e32 v29, -1.0, v1
	v_sub_f32_e32 v38, v29, v1
	v_add_f32_e32 v38, 1.0, v38
	v_sub_f32_e32 v29, v54, v29
	v_add_f32_e32 v29, v29, v38
	v_frexp_mant_f32_e32 v38, v1
	v_cvt_f64_f32_e32 v[40:41], v1
	v_frexp_exp_i32_f64_e32 v40, v[40:41]
	v_cmp_gt_f32_e32 vcc, s4, v38
	s_mov_b32 s4, 0x3f317218
	s_nop 0
	v_subbrev_co_u32_e32 v38, vcc, 0, v40, vcc
	v_sub_u32_e32 v40, 0, v38
	v_ldexp_f32 v1, v1, v40
	v_ldexp_f32 v29, v29, v40
	v_add_f32_e32 v40, -1.0, v1
	v_add_f32_e32 v41, 1.0, v40
	v_sub_f32_e32 v41, v1, v41
	v_add_f32_e32 v42, v29, v41
	v_add_f32_e32 v41, 1.0, v1
	v_add_f32_e32 v43, -1.0, v41
	v_sub_f32_e32 v1, v1, v43
	v_add_f32_e32 v1, v29, v1
	v_add_f32_e32 v29, v41, v1
	v_rcp_f32_e32 v48, v29
	v_sub_f32_e32 v41, v41, v29
	v_add_f32_e32 v1, v1, v41
	v_add_f32_e32 v41, v40, v42
	v_sub_f32_e32 v40, v40, v41
	v_mul_f32_e32 v50, v41, v48
	v_add_f32_e32 v49, v42, v40
	v_mul_f32_e32 v42, v29, v50
	v_fma_f32 v44, v50, v29, -v42
	v_fmac_f32_e32 v44, v50, v1
	v_add_f32_e32 v40, v42, v44
	v_sub_f32_e32 v43, v41, v40
	v_pk_add_f32 v[46:47], v[40:41], v[42:43] neg_lo:[0,1] neg_hi:[0,1]
	v_mov_b32_e32 v45, v40
	v_pk_add_f32 v[40:41], v[46:47], v[44:45] neg_lo:[0,1] neg_hi:[0,1]
	s_nop 0
	v_add_f32_e32 v41, v49, v41
	v_add_f32_e32 v40, v40, v41
	;; [unrolled: 1-line block ×3, first 2 shown]
	v_mul_f32_e32 v49, v48, v41
	v_mul_f32_e32 v42, v29, v49
	v_fma_f32 v44, v49, v29, -v42
	v_fmac_f32_e32 v44, v49, v1
	v_sub_f32_e32 v1, v43, v41
	v_add_f32_e32 v1, v40, v1
	v_add_f32_e32 v40, v42, v44
	v_sub_f32_e32 v43, v41, v40
	v_pk_add_f32 v[46:47], v[40:41], v[42:43] neg_lo:[0,1] neg_hi:[0,1]
	v_mov_b32_e32 v45, v40
	v_pk_add_f32 v[40:41], v[46:47], v[44:45] neg_lo:[0,1] neg_hi:[0,1]
	s_nop 0
	v_add_f32_e32 v1, v1, v41
	v_add_f32_e32 v1, v40, v1
	;; [unrolled: 1-line block ×4, first 2 shown]
	v_sub_f32_e32 v29, v41, v50
	v_mul_f32_e32 v1, v48, v1
	v_sub_f32_e32 v29, v49, v29
	v_add_f32_e32 v1, v29, v1
	v_add_f32_e32 v42, v41, v1
	v_cvt_f32_i32_e32 v40, v38
	v_mul_f32_e32 v44, v42, v42
	v_fmamk_f32 v29, v44, 0x3e9b6dac, v147
	v_fmaak_f32 v29, v44, v29, 0x3f2aaada
	v_sub_f32_e32 v38, v42, v41
	v_mul_f32_e32 v41, v42, v44
	v_pk_mul_f32 v[44:45], v[40:41], v[28:29]
	v_ldexp_f32 v43, v42, 1
	v_fma_f32 v42, v40, s4, -v44
	v_fmac_f32_e32 v42, 0xb102e308, v40
	v_pk_add_f32 v[40:41], v[44:45], v[42:43]
	v_sub_f32_e32 v1, v1, v38
	v_sub_f32_e32 v29, v41, v43
	v_ldexp_f32 v1, v1, 1
	v_sub_f32_e32 v29, v45, v29
	v_add_f32_e32 v47, v1, v29
	v_mov_b32_e32 v46, v44
	v_pk_add_f32 v[44:45], v[40:41], v[44:45] neg_lo:[0,1] neg_hi:[0,1]
	v_pk_add_f32 v[48:49], v[40:41], v[46:47]
	v_mov_b32_e32 v43, v40
	v_mov_b32_e32 v45, v49
	v_pk_add_f32 v[50:51], v[42:43], v[44:45] neg_lo:[0,1] neg_hi:[0,1]
	v_pk_add_f32 v[42:43], v[42:43], v[44:45]
	s_mov_b32 s4, 0x7f800000
	v_mov_b32_e32 v38, v43
	v_pk_add_f32 v[44:45], v[38:39], v[40:41] neg_lo:[0,1] neg_hi:[0,1]
	v_mov_b32_e32 v42, v49
	v_mov_b32_e32 v1, v44
	v_pk_add_f32 v[52:53], v[48:49], v[0:1] neg_lo:[0,1] neg_hi:[0,1]
	v_mov_b32_e32 v48, v41
	v_mov_b32_e32 v49, v44
	;; [unrolled: 1-line block ×3, first 2 shown]
	v_pk_add_f32 v[42:43], v[42:43], v[48:49] neg_lo:[0,1] neg_hi:[0,1]
	v_mov_b32_e32 v44, v47
	v_mov_b32_e32 v45, v40
	v_pk_add_f32 v[40:41], v[44:45], v[42:43] neg_lo:[0,1] neg_hi:[0,1]
	v_mov_b32_e32 v52, v50
	v_pk_add_f32 v[42:43], v[52:53], v[40:41]
	v_cmp_eq_f32_e32 vcc, s4, v54
	v_mov_b32_e32 v44, v43
	v_pk_add_f32 v[44:45], v[42:43], v[44:45]
	s_mov_b32 s4, 0x33800000
	v_pk_add_f32 v[46:47], v[38:39], v[44:45]
	v_mov_b32_e32 v41, v44
	v_mov_b32_e32 v43, v46
	v_pk_add_f32 v[48:49], v[42:43], v[50:51] neg_lo:[0,1] neg_hi:[0,1]
	v_cmp_gt_f32_e64 s[60:61], s4, v54
	v_sub_f32_e32 v1, v42, v48
	v_pk_add_f32 v[40:41], v[40:41], v[48:49] neg_lo:[0,1] neg_hi:[0,1]
	v_sub_f32_e32 v1, v50, v1
	v_add_f32_e32 v1, v40, v1
	v_add_f32_e32 v1, v1, v41
	;; [unrolled: 1-line block ×3, first 2 shown]
	s_or_b64 vcc, s[60:61], vcc
	v_cndmask_b32_e32 v157, v1, v54, vcc
.LBB156_89:                             ;   in Loop: Header=BB156_13 Depth=1
	s_or_b64 exec, exec, s[6:7]
	v_add_f32_e32 v158, s62, v39
	s_mov_b32 s4, 0x41a00000
	v_readlane_b32 s6, v166, 17
	v_cmp_ge_f32_e32 vcc, s4, v158
	v_readlane_b32 s7, v166, 18
	s_and_b64 s[8:9], s[6:7], vcc
	s_and_saveexec_b64 s[6:7], s[8:9]
	s_cbranch_execz .LBB156_91
; %bb.90:                               ;   in Loop: Header=BB156_13 Depth=1
	v_mul_f32_e32 v1, 0x3fb8aa3b, v158
	v_rndne_f32_e32 v29, v1
	s_mov_b32 s4, 0x3fb8aa3b
	v_sub_f32_e32 v38, v1, v29
	v_fma_f32 v1, v158, s4, -v1
	v_fmac_f32_e32 v1, 0x32a5705f, v158
	v_add_f32_e32 v1, v38, v1
	v_cvt_i32_f32_e32 v29, v29
	v_exp_f32_e32 v1, v1
	s_mov_b32 s4, 0xc2ce8ed0
	v_cmp_ngt_f32_e32 vcc, s4, v158
	s_mov_b32 s4, 0x42b17218
	v_ldexp_f32 v1, v1, v29
	v_cndmask_b32_e32 v1, 0, v1, vcc
	v_cmp_nlt_f32_e32 vcc, s4, v158
	s_mov_b32 s4, 0x3f2aaaab
	s_nop 0
	v_cndmask_b32_e32 v54, v148, v1, vcc
	v_add_f32_e32 v1, 1.0, v54
	v_add_f32_e32 v29, -1.0, v1
	v_sub_f32_e32 v38, v29, v1
	v_add_f32_e32 v38, 1.0, v38
	v_sub_f32_e32 v29, v54, v29
	v_add_f32_e32 v29, v29, v38
	v_frexp_mant_f32_e32 v40, v1
	v_cvt_f64_f32_e32 v[38:39], v1
	v_frexp_exp_i32_f64_e32 v38, v[38:39]
	v_cmp_gt_f32_e32 vcc, s4, v40
	s_mov_b32 s4, 0x3f317218
	s_nop 0
	v_subbrev_co_u32_e32 v46, vcc, 0, v38, vcc
	v_sub_u32_e32 v38, 0, v46
	v_ldexp_f32 v1, v1, v38
	v_ldexp_f32 v29, v29, v38
	v_add_f32_e32 v38, -1.0, v1
	v_add_f32_e32 v39, 1.0, v38
	v_sub_f32_e32 v39, v1, v39
	v_add_f32_e32 v40, v29, v39
	v_add_f32_e32 v39, 1.0, v1
	v_add_f32_e32 v41, -1.0, v39
	v_sub_f32_e32 v1, v1, v41
	v_add_f32_e32 v1, v29, v1
	v_add_f32_e32 v29, v39, v1
	v_rcp_f32_e32 v47, v29
	v_sub_f32_e32 v39, v39, v29
	v_add_f32_e32 v1, v1, v39
	v_add_f32_e32 v39, v38, v40
	v_sub_f32_e32 v38, v38, v39
	v_mul_f32_e32 v49, v39, v47
	v_add_f32_e32 v48, v40, v38
	v_mul_f32_e32 v40, v29, v49
	v_fma_f32 v42, v49, v29, -v40
	v_fmac_f32_e32 v42, v49, v1
	v_add_f32_e32 v38, v40, v42
	v_sub_f32_e32 v41, v39, v38
	v_pk_add_f32 v[44:45], v[38:39], v[40:41] neg_lo:[0,1] neg_hi:[0,1]
	v_mov_b32_e32 v43, v38
	v_pk_add_f32 v[38:39], v[44:45], v[42:43] neg_lo:[0,1] neg_hi:[0,1]
	s_nop 0
	v_add_f32_e32 v39, v48, v39
	v_add_f32_e32 v38, v38, v39
	;; [unrolled: 1-line block ×3, first 2 shown]
	v_mul_f32_e32 v48, v47, v39
	v_mul_f32_e32 v40, v29, v48
	v_fma_f32 v42, v48, v29, -v40
	v_fmac_f32_e32 v42, v48, v1
	v_sub_f32_e32 v1, v41, v39
	v_add_f32_e32 v1, v38, v1
	v_add_f32_e32 v38, v40, v42
	v_sub_f32_e32 v41, v39, v38
	v_pk_add_f32 v[44:45], v[38:39], v[40:41] neg_lo:[0,1] neg_hi:[0,1]
	v_mov_b32_e32 v43, v38
	v_pk_add_f32 v[38:39], v[44:45], v[42:43] neg_lo:[0,1] neg_hi:[0,1]
	s_nop 0
	v_add_f32_e32 v1, v1, v39
	v_add_f32_e32 v1, v38, v1
	;; [unrolled: 1-line block ×4, first 2 shown]
	v_sub_f32_e32 v29, v39, v49
	v_mul_f32_e32 v1, v47, v1
	v_sub_f32_e32 v29, v48, v29
	v_add_f32_e32 v1, v29, v1
	v_add_f32_e32 v40, v39, v1
	v_cvt_f32_i32_e32 v38, v46
	v_mul_f32_e32 v42, v40, v40
	v_fmamk_f32 v29, v42, 0x3e9b6dac, v147
	v_sub_f32_e32 v39, v40, v39
	v_fmaak_f32 v29, v42, v29, 0x3f2aaada
	v_sub_f32_e32 v1, v1, v39
	v_mul_f32_e32 v39, v40, v42
	v_pk_mul_f32 v[42:43], v[38:39], v[28:29]
	v_ldexp_f32 v41, v40, 1
	v_fma_f32 v40, v38, s4, -v42
	v_fmac_f32_e32 v40, 0xb102e308, v38
	v_pk_add_f32 v[38:39], v[42:43], v[40:41]
	v_ldexp_f32 v1, v1, 1
	v_sub_f32_e32 v29, v39, v41
	v_sub_f32_e32 v29, v43, v29
	v_add_f32_e32 v45, v1, v29
	v_mov_b32_e32 v44, v42
	v_pk_add_f32 v[42:43], v[38:39], v[42:43] neg_lo:[0,1] neg_hi:[0,1]
	v_pk_add_f32 v[46:47], v[38:39], v[44:45]
	v_mov_b32_e32 v41, v38
	v_mov_b32_e32 v43, v47
	v_pk_add_f32 v[48:49], v[40:41], v[42:43] neg_lo:[0,1] neg_hi:[0,1]
	v_pk_add_f32 v[40:41], v[40:41], v[42:43]
	v_mov_b32_e32 v44, v45
	v_mov_b32_e32 v42, v41
	v_pk_add_f32 v[50:51], v[42:43], v[38:39] neg_lo:[0,1] neg_hi:[0,1]
	v_mov_b32_e32 v40, v47
	v_mov_b32_e32 v1, v50
	v_pk_add_f32 v[52:53], v[46:47], v[0:1] neg_lo:[0,1] neg_hi:[0,1]
	v_mov_b32_e32 v46, v39
	v_mov_b32_e32 v47, v50
	;; [unrolled: 1-line block ×3, first 2 shown]
	v_pk_add_f32 v[40:41], v[40:41], v[46:47] neg_lo:[0,1] neg_hi:[0,1]
	v_mov_b32_e32 v45, v38
	v_pk_add_f32 v[38:39], v[44:45], v[40:41] neg_lo:[0,1] neg_hi:[0,1]
	v_mov_b32_e32 v52, v48
	v_pk_add_f32 v[40:41], v[52:53], v[38:39]
	s_mov_b32 s4, 0x7f800000
	v_mov_b32_e32 v44, v41
	v_pk_add_f32 v[44:45], v[40:41], v[44:45]
	v_cmp_eq_f32_e32 vcc, s4, v54
	v_pk_add_f32 v[42:43], v[42:43], v[44:45]
	v_mov_b32_e32 v39, v44
	v_mov_b32_e32 v41, v42
	v_pk_add_f32 v[46:47], v[40:41], v[48:49] neg_lo:[0,1] neg_hi:[0,1]
	s_mov_b32 s4, 0x33800000
	v_sub_f32_e32 v1, v40, v46
	v_pk_add_f32 v[38:39], v[38:39], v[46:47] neg_lo:[0,1] neg_hi:[0,1]
	v_sub_f32_e32 v1, v48, v1
	v_add_f32_e32 v1, v38, v1
	v_add_f32_e32 v1, v1, v39
	v_cmp_gt_f32_e64 s[60:61], s4, v54
	v_add_f32_e32 v1, v42, v1
	s_or_b64 vcc, s[60:61], vcc
	v_cndmask_b32_e32 v158, v1, v54, vcc
.LBB156_91:                             ;   in Loop: Header=BB156_13 Depth=1
	s_or_b64 exec, exec, s[6:7]
	s_waitcnt lgkmcnt(3)
	v_add_f32_e32 v159, s62, v36
	s_mov_b32 s4, 0x41a00000
	v_readlane_b32 s6, v166, 17
	v_cmp_ge_f32_e32 vcc, s4, v159
	v_readlane_b32 s7, v166, 18
	s_and_b64 s[8:9], s[6:7], vcc
	s_and_saveexec_b64 s[6:7], s[8:9]
	s_cbranch_execz .LBB156_93
; %bb.92:                               ;   in Loop: Header=BB156_13 Depth=1
	v_mul_f32_e32 v1, 0x3fb8aa3b, v159
	v_rndne_f32_e32 v29, v1
	s_mov_b32 s4, 0x3fb8aa3b
	v_sub_f32_e32 v36, v1, v29
	v_fma_f32 v1, v159, s4, -v1
	v_fmac_f32_e32 v1, 0x32a5705f, v159
	v_add_f32_e32 v1, v36, v1
	v_cvt_i32_f32_e32 v29, v29
	v_exp_f32_e32 v1, v1
	s_mov_b32 s4, 0xc2ce8ed0
	v_cmp_ngt_f32_e32 vcc, s4, v159
	s_mov_b32 s4, 0x42b17218
	v_ldexp_f32 v1, v1, v29
	v_cndmask_b32_e32 v1, 0, v1, vcc
	v_cmp_nlt_f32_e32 vcc, s4, v159
	s_mov_b32 s4, 0x3f2aaaab
	s_nop 0
	v_cndmask_b32_e32 v52, v148, v1, vcc
	v_add_f32_e32 v1, 1.0, v52
	v_add_f32_e32 v29, -1.0, v1
	v_sub_f32_e32 v36, v29, v1
	v_add_f32_e32 v36, 1.0, v36
	v_sub_f32_e32 v29, v52, v29
	v_add_f32_e32 v29, v29, v36
	v_frexp_mant_f32_e32 v36, v1
	v_cvt_f64_f32_e32 v[38:39], v1
	v_frexp_exp_i32_f64_e32 v38, v[38:39]
	v_cmp_gt_f32_e32 vcc, s4, v36
	s_mov_b32 s4, 0x3f317218
	s_nop 0
	v_subbrev_co_u32_e32 v36, vcc, 0, v38, vcc
	v_sub_u32_e32 v38, 0, v36
	v_ldexp_f32 v1, v1, v38
	v_ldexp_f32 v29, v29, v38
	v_add_f32_e32 v38, -1.0, v1
	v_add_f32_e32 v39, 1.0, v38
	v_sub_f32_e32 v39, v1, v39
	v_add_f32_e32 v40, v29, v39
	v_add_f32_e32 v39, 1.0, v1
	v_add_f32_e32 v41, -1.0, v39
	v_sub_f32_e32 v1, v1, v41
	v_add_f32_e32 v1, v29, v1
	v_add_f32_e32 v29, v39, v1
	v_rcp_f32_e32 v46, v29
	v_sub_f32_e32 v39, v39, v29
	v_add_f32_e32 v1, v1, v39
	v_add_f32_e32 v39, v38, v40
	v_sub_f32_e32 v38, v38, v39
	v_mul_f32_e32 v48, v39, v46
	v_add_f32_e32 v47, v40, v38
	v_mul_f32_e32 v40, v29, v48
	v_fma_f32 v42, v48, v29, -v40
	v_fmac_f32_e32 v42, v48, v1
	v_add_f32_e32 v38, v40, v42
	v_sub_f32_e32 v41, v39, v38
	v_pk_add_f32 v[44:45], v[38:39], v[40:41] neg_lo:[0,1] neg_hi:[0,1]
	v_mov_b32_e32 v43, v38
	v_pk_add_f32 v[38:39], v[44:45], v[42:43] neg_lo:[0,1] neg_hi:[0,1]
	s_nop 0
	v_add_f32_e32 v39, v47, v39
	v_add_f32_e32 v38, v38, v39
	;; [unrolled: 1-line block ×3, first 2 shown]
	v_mul_f32_e32 v47, v46, v39
	v_mul_f32_e32 v40, v29, v47
	v_fma_f32 v42, v47, v29, -v40
	v_fmac_f32_e32 v42, v47, v1
	v_sub_f32_e32 v1, v41, v39
	v_add_f32_e32 v1, v38, v1
	v_add_f32_e32 v38, v40, v42
	v_sub_f32_e32 v41, v39, v38
	v_pk_add_f32 v[44:45], v[38:39], v[40:41] neg_lo:[0,1] neg_hi:[0,1]
	v_mov_b32_e32 v43, v38
	v_pk_add_f32 v[38:39], v[44:45], v[42:43] neg_lo:[0,1] neg_hi:[0,1]
	s_nop 0
	v_add_f32_e32 v1, v1, v39
	v_add_f32_e32 v1, v38, v1
	;; [unrolled: 1-line block ×4, first 2 shown]
	v_sub_f32_e32 v29, v39, v48
	v_mul_f32_e32 v1, v46, v1
	v_sub_f32_e32 v29, v47, v29
	v_add_f32_e32 v1, v29, v1
	v_add_f32_e32 v40, v39, v1
	v_cvt_f32_i32_e32 v38, v36
	v_mul_f32_e32 v42, v40, v40
	v_fmamk_f32 v29, v42, 0x3e9b6dac, v147
	v_fmaak_f32 v29, v42, v29, 0x3f2aaada
	v_sub_f32_e32 v36, v40, v39
	v_mul_f32_e32 v39, v40, v42
	v_pk_mul_f32 v[42:43], v[38:39], v[28:29]
	v_ldexp_f32 v41, v40, 1
	v_fma_f32 v40, v38, s4, -v42
	v_fmac_f32_e32 v40, 0xb102e308, v38
	v_pk_add_f32 v[38:39], v[42:43], v[40:41]
	v_sub_f32_e32 v1, v1, v36
	v_sub_f32_e32 v29, v39, v41
	v_ldexp_f32 v1, v1, 1
	v_sub_f32_e32 v29, v43, v29
	v_add_f32_e32 v45, v1, v29
	v_mov_b32_e32 v44, v42
	v_pk_add_f32 v[42:43], v[38:39], v[42:43] neg_lo:[0,1] neg_hi:[0,1]
	v_pk_add_f32 v[46:47], v[38:39], v[44:45]
	v_mov_b32_e32 v41, v38
	v_mov_b32_e32 v43, v47
	v_pk_add_f32 v[48:49], v[40:41], v[42:43] neg_lo:[0,1] neg_hi:[0,1]
	v_pk_add_f32 v[40:41], v[40:41], v[42:43]
	s_mov_b32 s4, 0x7f800000
	v_mov_b32_e32 v36, v41
	v_pk_add_f32 v[42:43], v[36:37], v[38:39] neg_lo:[0,1] neg_hi:[0,1]
	v_mov_b32_e32 v40, v47
	v_mov_b32_e32 v1, v42
	v_pk_add_f32 v[50:51], v[46:47], v[0:1] neg_lo:[0,1] neg_hi:[0,1]
	v_mov_b32_e32 v46, v39
	v_mov_b32_e32 v47, v42
	;; [unrolled: 1-line block ×3, first 2 shown]
	v_pk_add_f32 v[40:41], v[40:41], v[46:47] neg_lo:[0,1] neg_hi:[0,1]
	v_mov_b32_e32 v42, v45
	v_mov_b32_e32 v43, v38
	v_pk_add_f32 v[38:39], v[42:43], v[40:41] neg_lo:[0,1] neg_hi:[0,1]
	v_mov_b32_e32 v50, v48
	v_pk_add_f32 v[40:41], v[50:51], v[38:39]
	v_cmp_eq_f32_e32 vcc, s4, v52
	v_mov_b32_e32 v42, v41
	v_pk_add_f32 v[42:43], v[40:41], v[42:43]
	s_mov_b32 s4, 0x33800000
	v_pk_add_f32 v[44:45], v[36:37], v[42:43]
	v_mov_b32_e32 v39, v42
	v_mov_b32_e32 v41, v44
	v_pk_add_f32 v[46:47], v[40:41], v[48:49] neg_lo:[0,1] neg_hi:[0,1]
	v_cmp_gt_f32_e64 s[60:61], s4, v52
	v_sub_f32_e32 v1, v40, v46
	v_pk_add_f32 v[38:39], v[38:39], v[46:47] neg_lo:[0,1] neg_hi:[0,1]
	v_sub_f32_e32 v1, v48, v1
	v_add_f32_e32 v1, v38, v1
	v_add_f32_e32 v1, v1, v39
	;; [unrolled: 1-line block ×3, first 2 shown]
	s_or_b64 vcc, s[60:61], vcc
	v_cndmask_b32_e32 v159, v1, v52, vcc
.LBB156_93:                             ;   in Loop: Header=BB156_13 Depth=1
	s_or_b64 exec, exec, s[6:7]
	v_add_f32_e32 v160, s62, v37
	s_mov_b32 s4, 0x41a00000
	v_readlane_b32 s6, v166, 17
	v_cmp_ge_f32_e32 vcc, s4, v160
	v_readlane_b32 s7, v166, 18
	s_and_b64 s[8:9], s[6:7], vcc
	s_and_saveexec_b64 s[6:7], s[8:9]
	s_cbranch_execz .LBB156_95
; %bb.94:                               ;   in Loop: Header=BB156_13 Depth=1
	v_mul_f32_e32 v1, 0x3fb8aa3b, v160
	v_rndne_f32_e32 v29, v1
	s_mov_b32 s4, 0x3fb8aa3b
	v_sub_f32_e32 v36, v1, v29
	v_fma_f32 v1, v160, s4, -v1
	v_fmac_f32_e32 v1, 0x32a5705f, v160
	v_add_f32_e32 v1, v36, v1
	v_cvt_i32_f32_e32 v29, v29
	v_exp_f32_e32 v1, v1
	s_mov_b32 s4, 0xc2ce8ed0
	v_cmp_ngt_f32_e32 vcc, s4, v160
	s_mov_b32 s4, 0x42b17218
	v_ldexp_f32 v1, v1, v29
	v_cndmask_b32_e32 v1, 0, v1, vcc
	v_cmp_nlt_f32_e32 vcc, s4, v160
	s_mov_b32 s4, 0x3f2aaaab
	s_nop 0
	v_cndmask_b32_e32 v52, v148, v1, vcc
	v_add_f32_e32 v1, 1.0, v52
	v_add_f32_e32 v29, -1.0, v1
	v_sub_f32_e32 v36, v29, v1
	v_add_f32_e32 v36, 1.0, v36
	v_sub_f32_e32 v29, v52, v29
	v_add_f32_e32 v29, v29, v36
	v_frexp_mant_f32_e32 v38, v1
	v_cvt_f64_f32_e32 v[36:37], v1
	v_frexp_exp_i32_f64_e32 v36, v[36:37]
	v_cmp_gt_f32_e32 vcc, s4, v38
	s_mov_b32 s4, 0x3f317218
	s_nop 0
	v_subbrev_co_u32_e32 v44, vcc, 0, v36, vcc
	v_sub_u32_e32 v36, 0, v44
	v_ldexp_f32 v1, v1, v36
	v_ldexp_f32 v29, v29, v36
	v_add_f32_e32 v36, -1.0, v1
	v_add_f32_e32 v37, 1.0, v36
	v_sub_f32_e32 v37, v1, v37
	v_add_f32_e32 v38, v29, v37
	v_add_f32_e32 v37, 1.0, v1
	v_add_f32_e32 v39, -1.0, v37
	v_sub_f32_e32 v1, v1, v39
	v_add_f32_e32 v1, v29, v1
	v_add_f32_e32 v29, v37, v1
	v_rcp_f32_e32 v45, v29
	v_sub_f32_e32 v37, v37, v29
	v_add_f32_e32 v1, v1, v37
	v_add_f32_e32 v37, v36, v38
	v_sub_f32_e32 v36, v36, v37
	v_mul_f32_e32 v47, v37, v45
	v_add_f32_e32 v46, v38, v36
	v_mul_f32_e32 v38, v29, v47
	v_fma_f32 v40, v47, v29, -v38
	v_fmac_f32_e32 v40, v47, v1
	v_add_f32_e32 v36, v38, v40
	v_sub_f32_e32 v39, v37, v36
	v_pk_add_f32 v[42:43], v[36:37], v[38:39] neg_lo:[0,1] neg_hi:[0,1]
	v_mov_b32_e32 v41, v36
	v_pk_add_f32 v[36:37], v[42:43], v[40:41] neg_lo:[0,1] neg_hi:[0,1]
	s_nop 0
	v_add_f32_e32 v37, v46, v37
	v_add_f32_e32 v36, v36, v37
	v_add_f32_e32 v37, v39, v36
	v_mul_f32_e32 v46, v45, v37
	v_mul_f32_e32 v38, v29, v46
	v_fma_f32 v40, v46, v29, -v38
	v_fmac_f32_e32 v40, v46, v1
	v_sub_f32_e32 v1, v39, v37
	v_add_f32_e32 v1, v36, v1
	v_add_f32_e32 v36, v38, v40
	v_sub_f32_e32 v39, v37, v36
	v_pk_add_f32 v[42:43], v[36:37], v[38:39] neg_lo:[0,1] neg_hi:[0,1]
	v_mov_b32_e32 v41, v36
	v_pk_add_f32 v[36:37], v[42:43], v[40:41] neg_lo:[0,1] neg_hi:[0,1]
	s_nop 0
	v_add_f32_e32 v1, v1, v37
	v_add_f32_e32 v1, v36, v1
	;; [unrolled: 1-line block ×4, first 2 shown]
	v_sub_f32_e32 v29, v37, v47
	v_mul_f32_e32 v1, v45, v1
	v_sub_f32_e32 v29, v46, v29
	v_add_f32_e32 v1, v29, v1
	v_add_f32_e32 v38, v37, v1
	v_cvt_f32_i32_e32 v36, v44
	v_mul_f32_e32 v40, v38, v38
	v_fmamk_f32 v29, v40, 0x3e9b6dac, v147
	v_sub_f32_e32 v37, v38, v37
	v_fmaak_f32 v29, v40, v29, 0x3f2aaada
	v_sub_f32_e32 v1, v1, v37
	v_mul_f32_e32 v37, v38, v40
	v_pk_mul_f32 v[40:41], v[36:37], v[28:29]
	v_ldexp_f32 v39, v38, 1
	v_fma_f32 v38, v36, s4, -v40
	v_fmac_f32_e32 v38, 0xb102e308, v36
	v_pk_add_f32 v[36:37], v[40:41], v[38:39]
	v_ldexp_f32 v1, v1, 1
	v_sub_f32_e32 v29, v37, v39
	v_sub_f32_e32 v29, v41, v29
	v_add_f32_e32 v43, v1, v29
	v_mov_b32_e32 v42, v40
	v_pk_add_f32 v[40:41], v[36:37], v[40:41] neg_lo:[0,1] neg_hi:[0,1]
	v_pk_add_f32 v[44:45], v[36:37], v[42:43]
	v_mov_b32_e32 v39, v36
	v_mov_b32_e32 v41, v45
	v_pk_add_f32 v[46:47], v[38:39], v[40:41] neg_lo:[0,1] neg_hi:[0,1]
	v_pk_add_f32 v[38:39], v[38:39], v[40:41]
	v_mov_b32_e32 v42, v43
	v_mov_b32_e32 v40, v39
	v_pk_add_f32 v[48:49], v[40:41], v[36:37] neg_lo:[0,1] neg_hi:[0,1]
	v_mov_b32_e32 v38, v45
	v_mov_b32_e32 v1, v48
	v_pk_add_f32 v[50:51], v[44:45], v[0:1] neg_lo:[0,1] neg_hi:[0,1]
	v_mov_b32_e32 v44, v37
	v_mov_b32_e32 v45, v48
	;; [unrolled: 1-line block ×3, first 2 shown]
	v_pk_add_f32 v[38:39], v[38:39], v[44:45] neg_lo:[0,1] neg_hi:[0,1]
	v_mov_b32_e32 v43, v36
	v_pk_add_f32 v[36:37], v[42:43], v[38:39] neg_lo:[0,1] neg_hi:[0,1]
	v_mov_b32_e32 v50, v46
	v_pk_add_f32 v[38:39], v[50:51], v[36:37]
	s_mov_b32 s4, 0x7f800000
	v_mov_b32_e32 v42, v39
	v_pk_add_f32 v[42:43], v[38:39], v[42:43]
	v_cmp_eq_f32_e32 vcc, s4, v52
	v_pk_add_f32 v[40:41], v[40:41], v[42:43]
	v_mov_b32_e32 v37, v42
	v_mov_b32_e32 v39, v40
	v_pk_add_f32 v[44:45], v[38:39], v[46:47] neg_lo:[0,1] neg_hi:[0,1]
	s_mov_b32 s4, 0x33800000
	v_sub_f32_e32 v1, v38, v44
	v_pk_add_f32 v[36:37], v[36:37], v[44:45] neg_lo:[0,1] neg_hi:[0,1]
	v_sub_f32_e32 v1, v46, v1
	v_add_f32_e32 v1, v36, v1
	v_add_f32_e32 v1, v1, v37
	v_cmp_gt_f32_e64 s[60:61], s4, v52
	v_add_f32_e32 v1, v40, v1
	s_or_b64 vcc, s[60:61], vcc
	v_cndmask_b32_e32 v160, v1, v52, vcc
.LBB156_95:                             ;   in Loop: Header=BB156_13 Depth=1
	s_or_b64 exec, exec, s[6:7]
	s_waitcnt lgkmcnt(2)
	v_add_f32_e32 v161, s62, v34
	s_mov_b32 s4, 0x41a00000
	v_readlane_b32 s6, v166, 17
	v_cmp_ge_f32_e32 vcc, s4, v161
	v_readlane_b32 s7, v166, 18
	s_and_b64 s[8:9], s[6:7], vcc
	s_and_saveexec_b64 s[6:7], s[8:9]
	s_cbranch_execz .LBB156_97
; %bb.96:                               ;   in Loop: Header=BB156_13 Depth=1
	v_mul_f32_e32 v1, 0x3fb8aa3b, v161
	v_rndne_f32_e32 v29, v1
	s_mov_b32 s4, 0x3fb8aa3b
	v_sub_f32_e32 v34, v1, v29
	v_fma_f32 v1, v161, s4, -v1
	v_fmac_f32_e32 v1, 0x32a5705f, v161
	v_add_f32_e32 v1, v34, v1
	v_cvt_i32_f32_e32 v29, v29
	v_exp_f32_e32 v1, v1
	s_mov_b32 s4, 0xc2ce8ed0
	v_cmp_ngt_f32_e32 vcc, s4, v161
	s_mov_b32 s4, 0x42b17218
	v_ldexp_f32 v1, v1, v29
	v_cndmask_b32_e32 v1, 0, v1, vcc
	v_cmp_nlt_f32_e32 vcc, s4, v161
	s_mov_b32 s4, 0x3f2aaaab
	s_nop 0
	v_cndmask_b32_e32 v50, v148, v1, vcc
	v_add_f32_e32 v1, 1.0, v50
	v_add_f32_e32 v29, -1.0, v1
	v_sub_f32_e32 v34, v29, v1
	v_add_f32_e32 v34, 1.0, v34
	v_sub_f32_e32 v29, v50, v29
	v_add_f32_e32 v29, v29, v34
	v_frexp_mant_f32_e32 v34, v1
	v_cvt_f64_f32_e32 v[36:37], v1
	v_frexp_exp_i32_f64_e32 v36, v[36:37]
	v_cmp_gt_f32_e32 vcc, s4, v34
	s_mov_b32 s4, 0x3f317218
	s_nop 0
	v_subbrev_co_u32_e32 v34, vcc, 0, v36, vcc
	v_sub_u32_e32 v36, 0, v34
	v_ldexp_f32 v1, v1, v36
	v_ldexp_f32 v29, v29, v36
	v_add_f32_e32 v36, -1.0, v1
	v_add_f32_e32 v37, 1.0, v36
	v_sub_f32_e32 v37, v1, v37
	v_add_f32_e32 v38, v29, v37
	v_add_f32_e32 v37, 1.0, v1
	v_add_f32_e32 v39, -1.0, v37
	v_sub_f32_e32 v1, v1, v39
	v_add_f32_e32 v1, v29, v1
	v_add_f32_e32 v29, v37, v1
	v_rcp_f32_e32 v44, v29
	v_sub_f32_e32 v37, v37, v29
	v_add_f32_e32 v1, v1, v37
	v_add_f32_e32 v37, v36, v38
	v_sub_f32_e32 v36, v36, v37
	v_mul_f32_e32 v46, v37, v44
	v_add_f32_e32 v45, v38, v36
	v_mul_f32_e32 v38, v29, v46
	v_fma_f32 v40, v46, v29, -v38
	v_fmac_f32_e32 v40, v46, v1
	v_add_f32_e32 v36, v38, v40
	v_sub_f32_e32 v39, v37, v36
	v_pk_add_f32 v[42:43], v[36:37], v[38:39] neg_lo:[0,1] neg_hi:[0,1]
	v_mov_b32_e32 v41, v36
	v_pk_add_f32 v[36:37], v[42:43], v[40:41] neg_lo:[0,1] neg_hi:[0,1]
	s_nop 0
	v_add_f32_e32 v37, v45, v37
	v_add_f32_e32 v36, v36, v37
	;; [unrolled: 1-line block ×3, first 2 shown]
	v_mul_f32_e32 v45, v44, v37
	v_mul_f32_e32 v38, v29, v45
	v_fma_f32 v40, v45, v29, -v38
	v_fmac_f32_e32 v40, v45, v1
	v_sub_f32_e32 v1, v39, v37
	v_add_f32_e32 v1, v36, v1
	v_add_f32_e32 v36, v38, v40
	v_sub_f32_e32 v39, v37, v36
	v_pk_add_f32 v[42:43], v[36:37], v[38:39] neg_lo:[0,1] neg_hi:[0,1]
	v_mov_b32_e32 v41, v36
	v_pk_add_f32 v[36:37], v[42:43], v[40:41] neg_lo:[0,1] neg_hi:[0,1]
	s_nop 0
	v_add_f32_e32 v1, v1, v37
	v_add_f32_e32 v1, v36, v1
	;; [unrolled: 1-line block ×4, first 2 shown]
	v_sub_f32_e32 v29, v37, v46
	v_mul_f32_e32 v1, v44, v1
	v_sub_f32_e32 v29, v45, v29
	v_add_f32_e32 v1, v29, v1
	v_add_f32_e32 v38, v37, v1
	v_cvt_f32_i32_e32 v36, v34
	v_mul_f32_e32 v40, v38, v38
	v_fmamk_f32 v29, v40, 0x3e9b6dac, v147
	v_fmaak_f32 v29, v40, v29, 0x3f2aaada
	v_sub_f32_e32 v34, v38, v37
	v_mul_f32_e32 v37, v38, v40
	v_pk_mul_f32 v[40:41], v[36:37], v[28:29]
	v_ldexp_f32 v39, v38, 1
	v_fma_f32 v38, v36, s4, -v40
	v_fmac_f32_e32 v38, 0xb102e308, v36
	v_pk_add_f32 v[36:37], v[40:41], v[38:39]
	v_sub_f32_e32 v1, v1, v34
	v_sub_f32_e32 v29, v37, v39
	v_ldexp_f32 v1, v1, 1
	v_sub_f32_e32 v29, v41, v29
	v_add_f32_e32 v43, v1, v29
	v_mov_b32_e32 v42, v40
	v_pk_add_f32 v[40:41], v[36:37], v[40:41] neg_lo:[0,1] neg_hi:[0,1]
	v_pk_add_f32 v[44:45], v[36:37], v[42:43]
	v_mov_b32_e32 v39, v36
	v_mov_b32_e32 v41, v45
	v_pk_add_f32 v[46:47], v[38:39], v[40:41] neg_lo:[0,1] neg_hi:[0,1]
	v_pk_add_f32 v[38:39], v[38:39], v[40:41]
	s_mov_b32 s4, 0x7f800000
	v_mov_b32_e32 v34, v39
	v_pk_add_f32 v[40:41], v[34:35], v[36:37] neg_lo:[0,1] neg_hi:[0,1]
	v_mov_b32_e32 v38, v45
	v_mov_b32_e32 v1, v40
	v_pk_add_f32 v[48:49], v[44:45], v[0:1] neg_lo:[0,1] neg_hi:[0,1]
	v_mov_b32_e32 v44, v37
	v_mov_b32_e32 v45, v40
	;; [unrolled: 1-line block ×3, first 2 shown]
	v_pk_add_f32 v[38:39], v[38:39], v[44:45] neg_lo:[0,1] neg_hi:[0,1]
	v_mov_b32_e32 v40, v43
	v_mov_b32_e32 v41, v36
	v_pk_add_f32 v[36:37], v[40:41], v[38:39] neg_lo:[0,1] neg_hi:[0,1]
	v_mov_b32_e32 v48, v46
	v_pk_add_f32 v[38:39], v[48:49], v[36:37]
	v_cmp_eq_f32_e32 vcc, s4, v50
	v_mov_b32_e32 v40, v39
	v_pk_add_f32 v[40:41], v[38:39], v[40:41]
	s_mov_b32 s4, 0x33800000
	v_pk_add_f32 v[42:43], v[34:35], v[40:41]
	v_mov_b32_e32 v37, v40
	v_mov_b32_e32 v39, v42
	v_pk_add_f32 v[44:45], v[38:39], v[46:47] neg_lo:[0,1] neg_hi:[0,1]
	v_cmp_gt_f32_e64 s[60:61], s4, v50
	v_sub_f32_e32 v1, v38, v44
	v_pk_add_f32 v[36:37], v[36:37], v[44:45] neg_lo:[0,1] neg_hi:[0,1]
	v_sub_f32_e32 v1, v46, v1
	v_add_f32_e32 v1, v36, v1
	v_add_f32_e32 v1, v1, v37
	;; [unrolled: 1-line block ×3, first 2 shown]
	s_or_b64 vcc, s[60:61], vcc
	v_cndmask_b32_e32 v161, v1, v50, vcc
.LBB156_97:                             ;   in Loop: Header=BB156_13 Depth=1
	s_or_b64 exec, exec, s[6:7]
	v_add_f32_e32 v162, s62, v35
	s_mov_b32 s4, 0x41a00000
	v_readlane_b32 s6, v166, 17
	v_cmp_ge_f32_e32 vcc, s4, v162
	v_readlane_b32 s7, v166, 18
	s_and_b64 s[8:9], s[6:7], vcc
	s_and_saveexec_b64 s[6:7], s[8:9]
	s_cbranch_execz .LBB156_99
; %bb.98:                               ;   in Loop: Header=BB156_13 Depth=1
	v_mul_f32_e32 v1, 0x3fb8aa3b, v162
	v_rndne_f32_e32 v29, v1
	s_mov_b32 s4, 0x3fb8aa3b
	v_sub_f32_e32 v34, v1, v29
	v_fma_f32 v1, v162, s4, -v1
	v_fmac_f32_e32 v1, 0x32a5705f, v162
	v_add_f32_e32 v1, v34, v1
	v_cvt_i32_f32_e32 v29, v29
	v_exp_f32_e32 v1, v1
	s_mov_b32 s4, 0xc2ce8ed0
	v_cmp_ngt_f32_e32 vcc, s4, v162
	s_mov_b32 s4, 0x42b17218
	v_ldexp_f32 v1, v1, v29
	v_cndmask_b32_e32 v1, 0, v1, vcc
	v_cmp_nlt_f32_e32 vcc, s4, v162
	s_mov_b32 s4, 0x3f2aaaab
	s_nop 0
	v_cndmask_b32_e32 v50, v148, v1, vcc
	v_add_f32_e32 v1, 1.0, v50
	v_add_f32_e32 v29, -1.0, v1
	v_sub_f32_e32 v34, v29, v1
	v_add_f32_e32 v34, 1.0, v34
	v_sub_f32_e32 v29, v50, v29
	v_add_f32_e32 v29, v29, v34
	v_frexp_mant_f32_e32 v36, v1
	v_cvt_f64_f32_e32 v[34:35], v1
	v_frexp_exp_i32_f64_e32 v34, v[34:35]
	v_cmp_gt_f32_e32 vcc, s4, v36
	s_mov_b32 s4, 0x3f317218
	s_nop 0
	v_subbrev_co_u32_e32 v42, vcc, 0, v34, vcc
	v_sub_u32_e32 v34, 0, v42
	v_ldexp_f32 v1, v1, v34
	v_ldexp_f32 v29, v29, v34
	v_add_f32_e32 v34, -1.0, v1
	v_add_f32_e32 v35, 1.0, v34
	v_sub_f32_e32 v35, v1, v35
	v_add_f32_e32 v36, v29, v35
	v_add_f32_e32 v35, 1.0, v1
	v_add_f32_e32 v37, -1.0, v35
	v_sub_f32_e32 v1, v1, v37
	v_add_f32_e32 v1, v29, v1
	v_add_f32_e32 v29, v35, v1
	v_rcp_f32_e32 v43, v29
	v_sub_f32_e32 v35, v35, v29
	v_add_f32_e32 v1, v1, v35
	v_add_f32_e32 v35, v34, v36
	v_sub_f32_e32 v34, v34, v35
	v_mul_f32_e32 v45, v35, v43
	v_add_f32_e32 v44, v36, v34
	v_mul_f32_e32 v36, v29, v45
	v_fma_f32 v38, v45, v29, -v36
	v_fmac_f32_e32 v38, v45, v1
	v_add_f32_e32 v34, v36, v38
	v_sub_f32_e32 v37, v35, v34
	v_pk_add_f32 v[40:41], v[34:35], v[36:37] neg_lo:[0,1] neg_hi:[0,1]
	v_mov_b32_e32 v39, v34
	v_pk_add_f32 v[34:35], v[40:41], v[38:39] neg_lo:[0,1] neg_hi:[0,1]
	s_nop 0
	v_add_f32_e32 v35, v44, v35
	v_add_f32_e32 v34, v34, v35
	v_add_f32_e32 v35, v37, v34
	v_mul_f32_e32 v44, v43, v35
	v_mul_f32_e32 v36, v29, v44
	v_fma_f32 v38, v44, v29, -v36
	v_fmac_f32_e32 v38, v44, v1
	v_sub_f32_e32 v1, v37, v35
	v_add_f32_e32 v1, v34, v1
	v_add_f32_e32 v34, v36, v38
	v_sub_f32_e32 v37, v35, v34
	v_pk_add_f32 v[40:41], v[34:35], v[36:37] neg_lo:[0,1] neg_hi:[0,1]
	v_mov_b32_e32 v39, v34
	v_pk_add_f32 v[34:35], v[40:41], v[38:39] neg_lo:[0,1] neg_hi:[0,1]
	s_nop 0
	v_add_f32_e32 v1, v1, v35
	v_add_f32_e32 v1, v34, v1
	;; [unrolled: 1-line block ×4, first 2 shown]
	v_sub_f32_e32 v29, v35, v45
	v_mul_f32_e32 v1, v43, v1
	v_sub_f32_e32 v29, v44, v29
	v_add_f32_e32 v1, v29, v1
	v_add_f32_e32 v36, v35, v1
	v_cvt_f32_i32_e32 v34, v42
	v_mul_f32_e32 v38, v36, v36
	v_fmamk_f32 v29, v38, 0x3e9b6dac, v147
	v_sub_f32_e32 v35, v36, v35
	v_fmaak_f32 v29, v38, v29, 0x3f2aaada
	v_sub_f32_e32 v1, v1, v35
	v_mul_f32_e32 v35, v36, v38
	v_pk_mul_f32 v[38:39], v[34:35], v[28:29]
	v_ldexp_f32 v37, v36, 1
	v_fma_f32 v36, v34, s4, -v38
	v_fmac_f32_e32 v36, 0xb102e308, v34
	v_pk_add_f32 v[34:35], v[38:39], v[36:37]
	v_ldexp_f32 v1, v1, 1
	v_sub_f32_e32 v29, v35, v37
	v_sub_f32_e32 v29, v39, v29
	v_add_f32_e32 v41, v1, v29
	v_mov_b32_e32 v40, v38
	v_pk_add_f32 v[38:39], v[34:35], v[38:39] neg_lo:[0,1] neg_hi:[0,1]
	v_pk_add_f32 v[42:43], v[34:35], v[40:41]
	v_mov_b32_e32 v37, v34
	v_mov_b32_e32 v39, v43
	v_pk_add_f32 v[44:45], v[36:37], v[38:39] neg_lo:[0,1] neg_hi:[0,1]
	v_pk_add_f32 v[36:37], v[36:37], v[38:39]
	v_mov_b32_e32 v40, v41
	v_mov_b32_e32 v38, v37
	v_pk_add_f32 v[46:47], v[38:39], v[34:35] neg_lo:[0,1] neg_hi:[0,1]
	v_mov_b32_e32 v36, v43
	v_mov_b32_e32 v1, v46
	v_pk_add_f32 v[48:49], v[42:43], v[0:1] neg_lo:[0,1] neg_hi:[0,1]
	v_mov_b32_e32 v42, v35
	v_mov_b32_e32 v43, v46
	;; [unrolled: 1-line block ×3, first 2 shown]
	v_pk_add_f32 v[36:37], v[36:37], v[42:43] neg_lo:[0,1] neg_hi:[0,1]
	v_mov_b32_e32 v41, v34
	v_pk_add_f32 v[34:35], v[40:41], v[36:37] neg_lo:[0,1] neg_hi:[0,1]
	v_mov_b32_e32 v48, v44
	v_pk_add_f32 v[36:37], v[48:49], v[34:35]
	s_mov_b32 s4, 0x7f800000
	v_mov_b32_e32 v40, v37
	v_pk_add_f32 v[40:41], v[36:37], v[40:41]
	v_cmp_eq_f32_e32 vcc, s4, v50
	v_pk_add_f32 v[38:39], v[38:39], v[40:41]
	v_mov_b32_e32 v35, v40
	v_mov_b32_e32 v37, v38
	v_pk_add_f32 v[42:43], v[36:37], v[44:45] neg_lo:[0,1] neg_hi:[0,1]
	s_mov_b32 s4, 0x33800000
	v_sub_f32_e32 v1, v36, v42
	v_pk_add_f32 v[34:35], v[34:35], v[42:43] neg_lo:[0,1] neg_hi:[0,1]
	v_sub_f32_e32 v1, v44, v1
	v_add_f32_e32 v1, v34, v1
	v_add_f32_e32 v1, v1, v35
	v_cmp_gt_f32_e64 s[60:61], s4, v50
	v_add_f32_e32 v1, v38, v1
	s_or_b64 vcc, s[60:61], vcc
	v_cndmask_b32_e32 v162, v1, v50, vcc
.LBB156_99:                             ;   in Loop: Header=BB156_13 Depth=1
	s_or_b64 exec, exec, s[6:7]
	s_waitcnt lgkmcnt(1)
	v_add_f32_e32 v163, s62, v32
	s_mov_b32 s4, 0x41a00000
	v_readlane_b32 s6, v166, 17
	v_cmp_ge_f32_e32 vcc, s4, v163
	v_readlane_b32 s7, v166, 18
	s_and_b64 s[8:9], s[6:7], vcc
	s_and_saveexec_b64 s[6:7], s[8:9]
	s_cbranch_execz .LBB156_101
; %bb.100:                              ;   in Loop: Header=BB156_13 Depth=1
	v_mul_f32_e32 v1, 0x3fb8aa3b, v163
	v_rndne_f32_e32 v29, v1
	s_mov_b32 s4, 0x3fb8aa3b
	v_sub_f32_e32 v32, v1, v29
	v_fma_f32 v1, v163, s4, -v1
	v_fmac_f32_e32 v1, 0x32a5705f, v163
	v_add_f32_e32 v1, v32, v1
	v_cvt_i32_f32_e32 v29, v29
	v_exp_f32_e32 v1, v1
	s_mov_b32 s4, 0xc2ce8ed0
	v_cmp_ngt_f32_e32 vcc, s4, v163
	s_mov_b32 s4, 0x42b17218
	v_ldexp_f32 v1, v1, v29
	v_cndmask_b32_e32 v1, 0, v1, vcc
	v_cmp_nlt_f32_e32 vcc, s4, v163
	s_mov_b32 s4, 0x3f2aaaab
	s_nop 0
	v_cndmask_b32_e32 v48, v148, v1, vcc
	v_add_f32_e32 v1, 1.0, v48
	v_add_f32_e32 v29, -1.0, v1
	v_sub_f32_e32 v32, v29, v1
	v_add_f32_e32 v32, 1.0, v32
	v_sub_f32_e32 v29, v48, v29
	v_add_f32_e32 v29, v29, v32
	v_frexp_mant_f32_e32 v32, v1
	v_cvt_f64_f32_e32 v[34:35], v1
	v_frexp_exp_i32_f64_e32 v34, v[34:35]
	v_cmp_gt_f32_e32 vcc, s4, v32
	s_mov_b32 s4, 0x3f317218
	s_nop 0
	v_subbrev_co_u32_e32 v32, vcc, 0, v34, vcc
	v_sub_u32_e32 v34, 0, v32
	v_ldexp_f32 v1, v1, v34
	v_ldexp_f32 v29, v29, v34
	v_add_f32_e32 v34, -1.0, v1
	v_add_f32_e32 v35, 1.0, v34
	v_sub_f32_e32 v35, v1, v35
	v_add_f32_e32 v36, v29, v35
	v_add_f32_e32 v35, 1.0, v1
	v_add_f32_e32 v37, -1.0, v35
	v_sub_f32_e32 v1, v1, v37
	v_add_f32_e32 v1, v29, v1
	v_add_f32_e32 v29, v35, v1
	v_rcp_f32_e32 v42, v29
	v_sub_f32_e32 v35, v35, v29
	v_add_f32_e32 v1, v1, v35
	v_add_f32_e32 v35, v34, v36
	v_sub_f32_e32 v34, v34, v35
	v_mul_f32_e32 v44, v35, v42
	v_add_f32_e32 v43, v36, v34
	v_mul_f32_e32 v36, v29, v44
	v_fma_f32 v38, v44, v29, -v36
	v_fmac_f32_e32 v38, v44, v1
	v_add_f32_e32 v34, v36, v38
	v_sub_f32_e32 v37, v35, v34
	v_pk_add_f32 v[40:41], v[34:35], v[36:37] neg_lo:[0,1] neg_hi:[0,1]
	v_mov_b32_e32 v39, v34
	v_pk_add_f32 v[34:35], v[40:41], v[38:39] neg_lo:[0,1] neg_hi:[0,1]
	s_nop 0
	v_add_f32_e32 v35, v43, v35
	v_add_f32_e32 v34, v34, v35
	;; [unrolled: 1-line block ×3, first 2 shown]
	v_mul_f32_e32 v43, v42, v35
	v_mul_f32_e32 v36, v29, v43
	v_fma_f32 v38, v43, v29, -v36
	v_fmac_f32_e32 v38, v43, v1
	v_sub_f32_e32 v1, v37, v35
	v_add_f32_e32 v1, v34, v1
	v_add_f32_e32 v34, v36, v38
	v_sub_f32_e32 v37, v35, v34
	v_pk_add_f32 v[40:41], v[34:35], v[36:37] neg_lo:[0,1] neg_hi:[0,1]
	v_mov_b32_e32 v39, v34
	v_pk_add_f32 v[34:35], v[40:41], v[38:39] neg_lo:[0,1] neg_hi:[0,1]
	s_nop 0
	v_add_f32_e32 v1, v1, v35
	v_add_f32_e32 v1, v34, v1
	v_add_f32_e32 v35, v44, v43
	v_add_f32_e32 v1, v37, v1
	v_sub_f32_e32 v29, v35, v44
	v_mul_f32_e32 v1, v42, v1
	v_sub_f32_e32 v29, v43, v29
	v_add_f32_e32 v1, v29, v1
	v_add_f32_e32 v36, v35, v1
	v_cvt_f32_i32_e32 v34, v32
	v_mul_f32_e32 v38, v36, v36
	v_fmamk_f32 v29, v38, 0x3e9b6dac, v147
	v_fmaak_f32 v29, v38, v29, 0x3f2aaada
	v_sub_f32_e32 v32, v36, v35
	v_mul_f32_e32 v35, v36, v38
	v_pk_mul_f32 v[38:39], v[34:35], v[28:29]
	v_ldexp_f32 v37, v36, 1
	v_fma_f32 v36, v34, s4, -v38
	v_fmac_f32_e32 v36, 0xb102e308, v34
	v_pk_add_f32 v[34:35], v[38:39], v[36:37]
	v_sub_f32_e32 v1, v1, v32
	v_sub_f32_e32 v29, v35, v37
	v_ldexp_f32 v1, v1, 1
	v_sub_f32_e32 v29, v39, v29
	v_add_f32_e32 v41, v1, v29
	v_mov_b32_e32 v40, v38
	v_pk_add_f32 v[38:39], v[34:35], v[38:39] neg_lo:[0,1] neg_hi:[0,1]
	v_pk_add_f32 v[42:43], v[34:35], v[40:41]
	v_mov_b32_e32 v37, v34
	v_mov_b32_e32 v39, v43
	v_pk_add_f32 v[44:45], v[36:37], v[38:39] neg_lo:[0,1] neg_hi:[0,1]
	v_pk_add_f32 v[36:37], v[36:37], v[38:39]
	s_mov_b32 s4, 0x7f800000
	v_mov_b32_e32 v32, v37
	v_pk_add_f32 v[38:39], v[32:33], v[34:35] neg_lo:[0,1] neg_hi:[0,1]
	v_mov_b32_e32 v36, v43
	v_mov_b32_e32 v1, v38
	v_pk_add_f32 v[46:47], v[42:43], v[0:1] neg_lo:[0,1] neg_hi:[0,1]
	v_mov_b32_e32 v42, v35
	v_mov_b32_e32 v43, v38
	;; [unrolled: 1-line block ×3, first 2 shown]
	v_pk_add_f32 v[36:37], v[36:37], v[42:43] neg_lo:[0,1] neg_hi:[0,1]
	v_mov_b32_e32 v38, v41
	v_mov_b32_e32 v39, v34
	v_pk_add_f32 v[34:35], v[38:39], v[36:37] neg_lo:[0,1] neg_hi:[0,1]
	v_mov_b32_e32 v46, v44
	v_pk_add_f32 v[36:37], v[46:47], v[34:35]
	v_cmp_eq_f32_e32 vcc, s4, v48
	v_mov_b32_e32 v38, v37
	v_pk_add_f32 v[38:39], v[36:37], v[38:39]
	s_mov_b32 s4, 0x33800000
	v_pk_add_f32 v[40:41], v[32:33], v[38:39]
	v_mov_b32_e32 v35, v38
	v_mov_b32_e32 v37, v40
	v_pk_add_f32 v[42:43], v[36:37], v[44:45] neg_lo:[0,1] neg_hi:[0,1]
	v_cmp_gt_f32_e64 s[60:61], s4, v48
	v_sub_f32_e32 v1, v36, v42
	v_pk_add_f32 v[34:35], v[34:35], v[42:43] neg_lo:[0,1] neg_hi:[0,1]
	v_sub_f32_e32 v1, v44, v1
	v_add_f32_e32 v1, v34, v1
	v_add_f32_e32 v1, v1, v35
	;; [unrolled: 1-line block ×3, first 2 shown]
	s_or_b64 vcc, s[60:61], vcc
	v_cndmask_b32_e32 v163, v1, v48, vcc
.LBB156_101:                            ;   in Loop: Header=BB156_13 Depth=1
	s_or_b64 exec, exec, s[6:7]
	v_add_f32_e32 v164, s62, v33
	s_mov_b32 s4, 0x41a00000
	v_readlane_b32 s6, v166, 17
	v_cmp_ge_f32_e32 vcc, s4, v164
	v_readlane_b32 s7, v166, 18
	s_and_b64 s[8:9], s[6:7], vcc
	s_and_saveexec_b64 s[6:7], s[8:9]
	s_cbranch_execz .LBB156_103
; %bb.102:                              ;   in Loop: Header=BB156_13 Depth=1
	v_mul_f32_e32 v1, 0x3fb8aa3b, v164
	v_rndne_f32_e32 v29, v1
	s_mov_b32 s4, 0x3fb8aa3b
	v_sub_f32_e32 v32, v1, v29
	v_fma_f32 v1, v164, s4, -v1
	v_fmac_f32_e32 v1, 0x32a5705f, v164
	v_add_f32_e32 v1, v32, v1
	v_cvt_i32_f32_e32 v29, v29
	v_exp_f32_e32 v1, v1
	s_mov_b32 s4, 0xc2ce8ed0
	v_cmp_ngt_f32_e32 vcc, s4, v164
	s_mov_b32 s4, 0x42b17218
	v_ldexp_f32 v1, v1, v29
	v_cndmask_b32_e32 v1, 0, v1, vcc
	v_cmp_nlt_f32_e32 vcc, s4, v164
	s_mov_b32 s4, 0x3f2aaaab
	s_nop 0
	v_cndmask_b32_e32 v48, v148, v1, vcc
	v_add_f32_e32 v1, 1.0, v48
	v_add_f32_e32 v29, -1.0, v1
	v_sub_f32_e32 v32, v29, v1
	v_add_f32_e32 v32, 1.0, v32
	v_sub_f32_e32 v29, v48, v29
	v_add_f32_e32 v29, v29, v32
	v_frexp_mant_f32_e32 v34, v1
	v_cvt_f64_f32_e32 v[32:33], v1
	v_frexp_exp_i32_f64_e32 v32, v[32:33]
	v_cmp_gt_f32_e32 vcc, s4, v34
	s_mov_b32 s4, 0x3f317218
	s_nop 0
	v_subbrev_co_u32_e32 v40, vcc, 0, v32, vcc
	v_sub_u32_e32 v32, 0, v40
	v_ldexp_f32 v1, v1, v32
	v_ldexp_f32 v29, v29, v32
	v_add_f32_e32 v32, -1.0, v1
	v_add_f32_e32 v33, 1.0, v32
	v_sub_f32_e32 v33, v1, v33
	v_add_f32_e32 v34, v29, v33
	v_add_f32_e32 v33, 1.0, v1
	v_add_f32_e32 v35, -1.0, v33
	v_sub_f32_e32 v1, v1, v35
	v_add_f32_e32 v1, v29, v1
	v_add_f32_e32 v29, v33, v1
	v_rcp_f32_e32 v41, v29
	v_sub_f32_e32 v33, v33, v29
	v_add_f32_e32 v1, v1, v33
	v_add_f32_e32 v33, v32, v34
	v_sub_f32_e32 v32, v32, v33
	v_mul_f32_e32 v43, v33, v41
	v_add_f32_e32 v42, v34, v32
	v_mul_f32_e32 v34, v29, v43
	v_fma_f32 v36, v43, v29, -v34
	v_fmac_f32_e32 v36, v43, v1
	v_add_f32_e32 v32, v34, v36
	v_sub_f32_e32 v35, v33, v32
	v_pk_add_f32 v[38:39], v[32:33], v[34:35] neg_lo:[0,1] neg_hi:[0,1]
	v_mov_b32_e32 v37, v32
	v_pk_add_f32 v[32:33], v[38:39], v[36:37] neg_lo:[0,1] neg_hi:[0,1]
	s_nop 0
	v_add_f32_e32 v33, v42, v33
	v_add_f32_e32 v32, v32, v33
	;; [unrolled: 1-line block ×3, first 2 shown]
	v_mul_f32_e32 v42, v41, v33
	v_mul_f32_e32 v34, v29, v42
	v_fma_f32 v36, v42, v29, -v34
	v_fmac_f32_e32 v36, v42, v1
	v_sub_f32_e32 v1, v35, v33
	v_add_f32_e32 v1, v32, v1
	v_add_f32_e32 v32, v34, v36
	v_sub_f32_e32 v35, v33, v32
	v_pk_add_f32 v[38:39], v[32:33], v[34:35] neg_lo:[0,1] neg_hi:[0,1]
	v_mov_b32_e32 v37, v32
	v_pk_add_f32 v[32:33], v[38:39], v[36:37] neg_lo:[0,1] neg_hi:[0,1]
	s_nop 0
	v_add_f32_e32 v1, v1, v33
	v_add_f32_e32 v1, v32, v1
	;; [unrolled: 1-line block ×4, first 2 shown]
	v_sub_f32_e32 v29, v33, v43
	v_mul_f32_e32 v1, v41, v1
	v_sub_f32_e32 v29, v42, v29
	v_add_f32_e32 v1, v29, v1
	v_add_f32_e32 v34, v33, v1
	v_cvt_f32_i32_e32 v32, v40
	v_mul_f32_e32 v36, v34, v34
	v_fmamk_f32 v29, v36, 0x3e9b6dac, v147
	v_sub_f32_e32 v33, v34, v33
	v_fmaak_f32 v29, v36, v29, 0x3f2aaada
	v_sub_f32_e32 v1, v1, v33
	v_mul_f32_e32 v33, v34, v36
	v_pk_mul_f32 v[36:37], v[32:33], v[28:29]
	v_ldexp_f32 v35, v34, 1
	v_fma_f32 v34, v32, s4, -v36
	v_fmac_f32_e32 v34, 0xb102e308, v32
	v_pk_add_f32 v[32:33], v[36:37], v[34:35]
	v_ldexp_f32 v1, v1, 1
	v_sub_f32_e32 v29, v33, v35
	v_sub_f32_e32 v29, v37, v29
	v_add_f32_e32 v39, v1, v29
	v_mov_b32_e32 v38, v36
	v_pk_add_f32 v[36:37], v[32:33], v[36:37] neg_lo:[0,1] neg_hi:[0,1]
	v_pk_add_f32 v[40:41], v[32:33], v[38:39]
	v_mov_b32_e32 v35, v32
	v_mov_b32_e32 v37, v41
	v_pk_add_f32 v[42:43], v[34:35], v[36:37] neg_lo:[0,1] neg_hi:[0,1]
	v_pk_add_f32 v[34:35], v[34:35], v[36:37]
	v_mov_b32_e32 v38, v39
	v_mov_b32_e32 v36, v35
	v_pk_add_f32 v[44:45], v[36:37], v[32:33] neg_lo:[0,1] neg_hi:[0,1]
	v_mov_b32_e32 v34, v41
	v_mov_b32_e32 v1, v44
	v_pk_add_f32 v[46:47], v[40:41], v[0:1] neg_lo:[0,1] neg_hi:[0,1]
	v_mov_b32_e32 v40, v33
	v_mov_b32_e32 v41, v44
	;; [unrolled: 1-line block ×3, first 2 shown]
	v_pk_add_f32 v[34:35], v[34:35], v[40:41] neg_lo:[0,1] neg_hi:[0,1]
	v_mov_b32_e32 v39, v32
	v_pk_add_f32 v[32:33], v[38:39], v[34:35] neg_lo:[0,1] neg_hi:[0,1]
	v_mov_b32_e32 v46, v42
	v_pk_add_f32 v[34:35], v[46:47], v[32:33]
	s_mov_b32 s4, 0x7f800000
	v_mov_b32_e32 v38, v35
	v_pk_add_f32 v[38:39], v[34:35], v[38:39]
	v_cmp_eq_f32_e32 vcc, s4, v48
	v_pk_add_f32 v[36:37], v[36:37], v[38:39]
	v_mov_b32_e32 v33, v38
	v_mov_b32_e32 v35, v36
	v_pk_add_f32 v[40:41], v[34:35], v[42:43] neg_lo:[0,1] neg_hi:[0,1]
	s_mov_b32 s4, 0x33800000
	v_sub_f32_e32 v1, v34, v40
	v_pk_add_f32 v[32:33], v[32:33], v[40:41] neg_lo:[0,1] neg_hi:[0,1]
	v_sub_f32_e32 v1, v42, v1
	v_add_f32_e32 v1, v32, v1
	v_add_f32_e32 v1, v1, v33
	v_cmp_gt_f32_e64 s[60:61], s4, v48
	v_add_f32_e32 v1, v36, v1
	s_or_b64 vcc, s[60:61], vcc
	v_cndmask_b32_e32 v164, v1, v48, vcc
.LBB156_103:                            ;   in Loop: Header=BB156_13 Depth=1
	s_or_b64 exec, exec, s[6:7]
	s_waitcnt lgkmcnt(0)
	v_add_f32_e32 v46, s62, v30
	s_mov_b32 s4, 0x41a00000
	v_readlane_b32 s6, v166, 17
	v_cmp_ge_f32_e32 vcc, s4, v46
	v_readlane_b32 s7, v166, 18
	s_and_b64 s[8:9], s[6:7], vcc
	s_and_saveexec_b64 s[6:7], s[8:9]
	s_cbranch_execz .LBB156_105
; %bb.104:                              ;   in Loop: Header=BB156_13 Depth=1
	v_mul_f32_e32 v1, 0x3fb8aa3b, v46
	v_rndne_f32_e32 v29, v1
	s_mov_b32 s4, 0x3fb8aa3b
	v_sub_f32_e32 v30, v1, v29
	v_fma_f32 v1, v46, s4, -v1
	v_fmac_f32_e32 v1, 0x32a5705f, v46
	v_add_f32_e32 v1, v30, v1
	v_cvt_i32_f32_e32 v29, v29
	v_exp_f32_e32 v1, v1
	s_mov_b32 s4, 0xc2ce8ed0
	v_cmp_ngt_f32_e32 vcc, s4, v46
	s_mov_b32 s4, 0x42b17218
	v_ldexp_f32 v1, v1, v29
	v_cndmask_b32_e32 v1, 0, v1, vcc
	v_cmp_nlt_f32_e32 vcc, s4, v46
	s_mov_b32 s4, 0x3f2aaaab
	s_nop 0
	v_cndmask_b32_e32 v46, v148, v1, vcc
	v_add_f32_e32 v1, 1.0, v46
	v_add_f32_e32 v29, -1.0, v1
	v_sub_f32_e32 v30, v29, v1
	v_add_f32_e32 v30, 1.0, v30
	v_sub_f32_e32 v29, v46, v29
	v_add_f32_e32 v29, v29, v30
	v_frexp_mant_f32_e32 v30, v1
	v_cvt_f64_f32_e32 v[32:33], v1
	v_frexp_exp_i32_f64_e32 v32, v[32:33]
	v_cmp_gt_f32_e32 vcc, s4, v30
	s_mov_b32 s4, 0x3f317218
	s_nop 0
	v_subbrev_co_u32_e32 v30, vcc, 0, v32, vcc
	v_sub_u32_e32 v32, 0, v30
	v_ldexp_f32 v1, v1, v32
	v_ldexp_f32 v29, v29, v32
	v_add_f32_e32 v32, -1.0, v1
	v_add_f32_e32 v33, 1.0, v32
	v_sub_f32_e32 v33, v1, v33
	v_add_f32_e32 v34, v29, v33
	v_add_f32_e32 v33, 1.0, v1
	v_add_f32_e32 v35, -1.0, v33
	v_sub_f32_e32 v1, v1, v35
	v_add_f32_e32 v1, v29, v1
	v_add_f32_e32 v29, v33, v1
	v_rcp_f32_e32 v40, v29
	v_sub_f32_e32 v33, v33, v29
	v_add_f32_e32 v1, v1, v33
	v_add_f32_e32 v33, v32, v34
	v_sub_f32_e32 v32, v32, v33
	v_mul_f32_e32 v42, v33, v40
	v_add_f32_e32 v41, v34, v32
	v_mul_f32_e32 v34, v29, v42
	v_fma_f32 v36, v42, v29, -v34
	v_fmac_f32_e32 v36, v42, v1
	v_add_f32_e32 v32, v34, v36
	v_sub_f32_e32 v35, v33, v32
	v_pk_add_f32 v[38:39], v[32:33], v[34:35] neg_lo:[0,1] neg_hi:[0,1]
	v_mov_b32_e32 v37, v32
	v_pk_add_f32 v[32:33], v[38:39], v[36:37] neg_lo:[0,1] neg_hi:[0,1]
	s_nop 0
	v_add_f32_e32 v33, v41, v33
	v_add_f32_e32 v32, v32, v33
	;; [unrolled: 1-line block ×3, first 2 shown]
	v_mul_f32_e32 v41, v40, v33
	v_mul_f32_e32 v34, v29, v41
	v_fma_f32 v36, v41, v29, -v34
	v_fmac_f32_e32 v36, v41, v1
	v_sub_f32_e32 v1, v35, v33
	v_add_f32_e32 v1, v32, v1
	v_add_f32_e32 v32, v34, v36
	v_sub_f32_e32 v35, v33, v32
	v_pk_add_f32 v[38:39], v[32:33], v[34:35] neg_lo:[0,1] neg_hi:[0,1]
	v_mov_b32_e32 v37, v32
	v_pk_add_f32 v[32:33], v[38:39], v[36:37] neg_lo:[0,1] neg_hi:[0,1]
	s_nop 0
	v_add_f32_e32 v1, v1, v33
	v_add_f32_e32 v1, v32, v1
	;; [unrolled: 1-line block ×4, first 2 shown]
	v_sub_f32_e32 v29, v33, v42
	v_mul_f32_e32 v1, v40, v1
	v_sub_f32_e32 v29, v41, v29
	v_add_f32_e32 v1, v29, v1
	v_add_f32_e32 v34, v33, v1
	v_cvt_f32_i32_e32 v32, v30
	v_mul_f32_e32 v36, v34, v34
	v_fmamk_f32 v29, v36, 0x3e9b6dac, v147
	v_fmaak_f32 v29, v36, v29, 0x3f2aaada
	v_sub_f32_e32 v30, v34, v33
	v_mul_f32_e32 v33, v34, v36
	v_pk_mul_f32 v[36:37], v[32:33], v[28:29]
	v_ldexp_f32 v35, v34, 1
	v_fma_f32 v34, v32, s4, -v36
	v_fmac_f32_e32 v34, 0xb102e308, v32
	v_pk_add_f32 v[32:33], v[36:37], v[34:35]
	v_sub_f32_e32 v1, v1, v30
	v_sub_f32_e32 v29, v33, v35
	v_ldexp_f32 v1, v1, 1
	v_sub_f32_e32 v29, v37, v29
	v_add_f32_e32 v39, v1, v29
	v_mov_b32_e32 v38, v36
	v_pk_add_f32 v[36:37], v[32:33], v[36:37] neg_lo:[0,1] neg_hi:[0,1]
	v_pk_add_f32 v[40:41], v[32:33], v[38:39]
	v_mov_b32_e32 v35, v32
	v_mov_b32_e32 v37, v41
	v_pk_add_f32 v[42:43], v[34:35], v[36:37] neg_lo:[0,1] neg_hi:[0,1]
	v_pk_add_f32 v[34:35], v[34:35], v[36:37]
	s_mov_b32 s4, 0x7f800000
	v_mov_b32_e32 v30, v35
	v_pk_add_f32 v[36:37], v[30:31], v[32:33] neg_lo:[0,1] neg_hi:[0,1]
	v_mov_b32_e32 v34, v41
	v_mov_b32_e32 v1, v36
	v_pk_add_f32 v[44:45], v[40:41], v[0:1] neg_lo:[0,1] neg_hi:[0,1]
	v_mov_b32_e32 v40, v33
	v_mov_b32_e32 v41, v36
	;; [unrolled: 1-line block ×3, first 2 shown]
	v_pk_add_f32 v[34:35], v[34:35], v[40:41] neg_lo:[0,1] neg_hi:[0,1]
	v_mov_b32_e32 v36, v39
	v_mov_b32_e32 v37, v32
	v_pk_add_f32 v[32:33], v[36:37], v[34:35] neg_lo:[0,1] neg_hi:[0,1]
	v_mov_b32_e32 v44, v42
	v_pk_add_f32 v[34:35], v[44:45], v[32:33]
	v_cmp_eq_f32_e32 vcc, s4, v46
	v_mov_b32_e32 v36, v35
	v_pk_add_f32 v[36:37], v[34:35], v[36:37]
	s_mov_b32 s4, 0x33800000
	v_pk_add_f32 v[38:39], v[30:31], v[36:37]
	v_mov_b32_e32 v33, v36
	v_mov_b32_e32 v35, v38
	v_pk_add_f32 v[40:41], v[34:35], v[42:43] neg_lo:[0,1] neg_hi:[0,1]
	v_cmp_gt_f32_e64 s[60:61], s4, v46
	v_sub_f32_e32 v1, v34, v40
	v_pk_add_f32 v[32:33], v[32:33], v[40:41] neg_lo:[0,1] neg_hi:[0,1]
	v_sub_f32_e32 v1, v42, v1
	v_add_f32_e32 v1, v32, v1
	v_add_f32_e32 v1, v1, v33
	;; [unrolled: 1-line block ×3, first 2 shown]
	s_or_b64 vcc, s[60:61], vcc
	v_cndmask_b32_e32 v46, v1, v46, vcc
.LBB156_105:                            ;   in Loop: Header=BB156_13 Depth=1
	s_or_b64 exec, exec, s[6:7]
	v_add_f32_e32 v47, s62, v31
	s_mov_b32 s4, 0x41a00000
	v_readlane_b32 s6, v166, 17
	v_cmp_ge_f32_e32 vcc, s4, v47
	v_readlane_b32 s7, v166, 18
	s_and_b64 s[8:9], s[6:7], vcc
	s_and_saveexec_b64 s[6:7], s[8:9]
	s_cbranch_execz .LBB156_107
; %bb.106:                              ;   in Loop: Header=BB156_13 Depth=1
	v_mul_f32_e32 v1, 0x3fb8aa3b, v47
	v_rndne_f32_e32 v29, v1
	s_mov_b32 s4, 0x3fb8aa3b
	v_sub_f32_e32 v30, v1, v29
	v_fma_f32 v1, v47, s4, -v1
	v_fmac_f32_e32 v1, 0x32a5705f, v47
	v_add_f32_e32 v1, v30, v1
	v_cvt_i32_f32_e32 v29, v29
	v_exp_f32_e32 v1, v1
	s_mov_b32 s4, 0xc2ce8ed0
	v_cmp_ngt_f32_e32 vcc, s4, v47
	s_mov_b32 s4, 0x42b17218
	v_ldexp_f32 v1, v1, v29
	v_cndmask_b32_e32 v1, 0, v1, vcc
	v_cmp_nlt_f32_e32 vcc, s4, v47
	s_mov_b32 s4, 0x3f2aaaab
	s_nop 0
	v_cndmask_b32_e32 v47, v148, v1, vcc
	v_add_f32_e32 v1, 1.0, v47
	v_add_f32_e32 v29, -1.0, v1
	v_sub_f32_e32 v30, v29, v1
	v_add_f32_e32 v30, 1.0, v30
	v_sub_f32_e32 v29, v47, v29
	v_add_f32_e32 v29, v29, v30
	v_frexp_mant_f32_e32 v32, v1
	v_cvt_f64_f32_e32 v[30:31], v1
	v_frexp_exp_i32_f64_e32 v30, v[30:31]
	v_cmp_gt_f32_e32 vcc, s4, v32
	s_mov_b32 s4, 0x3f317218
	s_nop 0
	v_subbrev_co_u32_e32 v38, vcc, 0, v30, vcc
	v_sub_u32_e32 v30, 0, v38
	v_ldexp_f32 v1, v1, v30
	v_ldexp_f32 v29, v29, v30
	v_add_f32_e32 v30, -1.0, v1
	v_add_f32_e32 v31, 1.0, v30
	v_sub_f32_e32 v31, v1, v31
	v_add_f32_e32 v32, v29, v31
	v_add_f32_e32 v31, 1.0, v1
	v_add_f32_e32 v33, -1.0, v31
	v_sub_f32_e32 v1, v1, v33
	v_add_f32_e32 v1, v29, v1
	v_add_f32_e32 v29, v31, v1
	v_rcp_f32_e32 v39, v29
	v_sub_f32_e32 v31, v31, v29
	v_add_f32_e32 v1, v1, v31
	v_add_f32_e32 v31, v30, v32
	v_sub_f32_e32 v30, v30, v31
	v_mul_f32_e32 v41, v31, v39
	v_add_f32_e32 v40, v32, v30
	v_mul_f32_e32 v32, v29, v41
	v_fma_f32 v34, v41, v29, -v32
	v_fmac_f32_e32 v34, v41, v1
	v_add_f32_e32 v30, v32, v34
	v_sub_f32_e32 v33, v31, v30
	v_pk_add_f32 v[36:37], v[30:31], v[32:33] neg_lo:[0,1] neg_hi:[0,1]
	v_mov_b32_e32 v35, v30
	v_pk_add_f32 v[30:31], v[36:37], v[34:35] neg_lo:[0,1] neg_hi:[0,1]
	s_nop 0
	v_add_f32_e32 v31, v40, v31
	v_add_f32_e32 v30, v30, v31
	;; [unrolled: 1-line block ×3, first 2 shown]
	v_mul_f32_e32 v40, v39, v31
	v_mul_f32_e32 v32, v29, v40
	v_fma_f32 v34, v40, v29, -v32
	v_fmac_f32_e32 v34, v40, v1
	v_sub_f32_e32 v1, v33, v31
	v_add_f32_e32 v1, v30, v1
	v_add_f32_e32 v30, v32, v34
	v_sub_f32_e32 v33, v31, v30
	v_pk_add_f32 v[36:37], v[30:31], v[32:33] neg_lo:[0,1] neg_hi:[0,1]
	v_mov_b32_e32 v35, v30
	v_pk_add_f32 v[30:31], v[36:37], v[34:35] neg_lo:[0,1] neg_hi:[0,1]
	s_nop 0
	v_add_f32_e32 v1, v1, v31
	v_add_f32_e32 v1, v30, v1
	;; [unrolled: 1-line block ×4, first 2 shown]
	v_sub_f32_e32 v29, v31, v41
	v_mul_f32_e32 v1, v39, v1
	v_sub_f32_e32 v29, v40, v29
	v_add_f32_e32 v1, v29, v1
	v_add_f32_e32 v32, v31, v1
	v_cvt_f32_i32_e32 v30, v38
	v_mul_f32_e32 v34, v32, v32
	v_fmamk_f32 v29, v34, 0x3e9b6dac, v147
	v_sub_f32_e32 v31, v32, v31
	v_fmaak_f32 v29, v34, v29, 0x3f2aaada
	v_sub_f32_e32 v1, v1, v31
	v_mul_f32_e32 v31, v32, v34
	v_pk_mul_f32 v[34:35], v[30:31], v[28:29]
	v_ldexp_f32 v33, v32, 1
	v_fma_f32 v32, v30, s4, -v34
	v_fmac_f32_e32 v32, 0xb102e308, v30
	v_pk_add_f32 v[30:31], v[34:35], v[32:33]
	v_ldexp_f32 v1, v1, 1
	v_sub_f32_e32 v29, v31, v33
	v_sub_f32_e32 v29, v35, v29
	v_add_f32_e32 v37, v1, v29
	v_mov_b32_e32 v36, v34
	v_pk_add_f32 v[34:35], v[30:31], v[34:35] neg_lo:[0,1] neg_hi:[0,1]
	v_pk_add_f32 v[38:39], v[30:31], v[36:37]
	v_mov_b32_e32 v33, v30
	v_mov_b32_e32 v35, v39
	v_pk_add_f32 v[40:41], v[32:33], v[34:35] neg_lo:[0,1] neg_hi:[0,1]
	v_pk_add_f32 v[32:33], v[32:33], v[34:35]
	v_mov_b32_e32 v36, v37
	v_mov_b32_e32 v34, v33
	v_pk_add_f32 v[42:43], v[34:35], v[30:31] neg_lo:[0,1] neg_hi:[0,1]
	v_mov_b32_e32 v32, v39
	v_mov_b32_e32 v1, v42
	v_pk_add_f32 v[44:45], v[38:39], v[0:1] neg_lo:[0,1] neg_hi:[0,1]
	v_mov_b32_e32 v38, v31
	v_mov_b32_e32 v39, v42
	;; [unrolled: 1-line block ×3, first 2 shown]
	v_pk_add_f32 v[32:33], v[32:33], v[38:39] neg_lo:[0,1] neg_hi:[0,1]
	v_mov_b32_e32 v37, v30
	v_pk_add_f32 v[30:31], v[36:37], v[32:33] neg_lo:[0,1] neg_hi:[0,1]
	v_mov_b32_e32 v44, v40
	v_pk_add_f32 v[32:33], v[44:45], v[30:31]
	s_mov_b32 s4, 0x7f800000
	v_mov_b32_e32 v36, v33
	v_pk_add_f32 v[36:37], v[32:33], v[36:37]
	v_cmp_eq_f32_e32 vcc, s4, v47
	v_pk_add_f32 v[34:35], v[34:35], v[36:37]
	v_mov_b32_e32 v31, v36
	v_mov_b32_e32 v33, v34
	v_pk_add_f32 v[38:39], v[32:33], v[40:41] neg_lo:[0,1] neg_hi:[0,1]
	s_mov_b32 s4, 0x33800000
	v_sub_f32_e32 v1, v32, v38
	v_pk_add_f32 v[30:31], v[30:31], v[38:39] neg_lo:[0,1] neg_hi:[0,1]
	v_sub_f32_e32 v1, v40, v1
	v_add_f32_e32 v1, v30, v1
	v_add_f32_e32 v1, v1, v31
	v_cmp_gt_f32_e64 s[60:61], s4, v47
	v_add_f32_e32 v1, v34, v1
	s_or_b64 vcc, s[60:61], vcc
	v_cndmask_b32_e32 v47, v1, v47, vcc
.LBB156_107:                            ;   in Loop: Header=BB156_13 Depth=1
	s_or_b64 exec, exec, s[6:7]
	v_readlane_b32 s6, v166, 20
	v_readlane_b32 s4, v166, 2
	;; [unrolled: 1-line block ×3, first 2 shown]
	s_and_b64 vcc, exec, s[6:7]
	v_mul_f32_e32 v30, s4, v18
	v_mul_f32_e32 v33, s4, v17
	;; [unrolled: 1-line block ×16, first 2 shown]
	s_barrier
	s_cbranch_vccz .LBB156_204
; %bb.108:                              ;   in Loop: Header=BB156_13 Depth=1
	v_writelane_b32 v166, s64, 60
	s_cmp_lg_u32 s24, 0
	s_cselect_b64 s[6:7], -1, 0
	v_writelane_b32 v166, s65, 61
	v_writelane_b32 v166, s66, 62
	v_lshl_add_u64 v[48:49], s[64:65], 0, v[2:3]
	v_cmp_gt_u32_e32 vcc, s10, v21
	v_writelane_b32 v166, s67, 63
	v_lshl_add_u64 v[50:51], s[66:67], 0, v[2:3]
	v_readlane_b32 s8, v166, 24
	v_readlane_b32 s12, v166, 46
	s_cmp_eq_u32 s24, s8
	v_readlane_b32 s13, v166, 47
	v_or_b32_e32 v2, 1, v21
	s_cselect_b64 s[8:9], -1, 0
	s_or_b64 s[60:61], s[12:13], vcc
	v_cmp_gt_u32_e32 vcc, s10, v2
	v_or_b32_e32 v2, 2, v21
	s_or_b64 s[62:63], s[12:13], vcc
	v_cmp_gt_u32_e32 vcc, s10, v2
	v_or_b32_e32 v2, 3, v21
	;; [unrolled: 3-line block ×14, first 2 shown]
	v_mov_b32_e32 v1, v3
	s_mov_b32 s4, 0
                                        ; implicit-def: $vgpr167 : SGPR spill to VGPR lane
	v_cmp_gt_u32_e64 s[88:89], s10, v2
	v_mul_f32_e32 v29, v19, v47
	v_lshl_add_u64 v[48:49], v[48:49], 0, v[0:1]
	v_lshl_add_u64 v[50:51], v[50:51], 0, v[0:1]
	v_mul_f32_e32 v1, v18, v46
	v_mul_f32_e32 v165, v17, v164
	v_mul_f32_e32 v132, v16, v163
	v_mul_f32_e32 v133, v15, v162
	v_mul_f32_e32 v134, v14, v161
	v_mul_f32_e32 v135, v13, v160
	v_mul_f32_e32 v136, v12, v159
	v_mul_f32_e32 v137, v11, v158
	v_mul_f32_e32 v138, v10, v157
	v_mul_f32_e32 v139, v9, v156
	v_mul_f32_e32 v140, v8, v155
	v_mul_f32_e32 v141, v7, v154
	v_mul_f32_e32 v142, v6, v153
	v_mul_f32_e32 v143, v5, v152
	v_mul_f32_e32 v144, v4, v151
	v_writelane_b32 v167, s24, 0
	s_or_b64 s[88:89], s[12:13], s[88:89]
	s_or_b64 s[90:91], s[12:13], vcc
	s_mov_b32 s10, s4
	s_mov_b32 s12, s4
	;; [unrolled: 1-line block ×3, first 2 shown]
	v_readlane_b32 s92, v166, 19
	v_readlane_b32 s93, v166, 54
	s_branch .LBB156_110
.LBB156_109:                            ;   in Loop: Header=BB156_110 Depth=2
	s_or_b64 exec, exec, s[16:17]
	v_cndmask_b32_e64 v2, v2, v79, s[94:95]
	v_cndmask_b32_e64 v54, v60, v78, s[94:95]
	v_mul_f32_e32 v54, v54, v145
	v_fma_f32 v2, v2, v145, v52
	v_cndmask_b32_e64 v52, v2, v52, s[22:23]
	v_cndmask_b32_e64 v2, v54, v145, s[22:23]
	s_waitcnt lgkmcnt(0)
	v_fmac_f32_e32 v52, v73, v2
	v_fmac_f32_e32 v53, v52, v146
	v_fmac_f32_e32 v56, v53, v81
	v_fmac_f32_e32 v57, v56, v82
	v_fmac_f32_e32 v58, v57, v83
	v_fmac_f32_e32 v59, v58, v84
	v_fmac_f32_e32 v62, v59, v85
	v_fmac_f32_e32 v63, v62, v86
	v_fmac_f32_e32 v66, v63, v87
	v_fmac_f32_e32 v67, v66, v88
	v_fmac_f32_e32 v68, v67, v89
	v_fmac_f32_e32 v69, v68, v90
	v_readlane_b32 s24, v166, 25
	v_fmac_f32_e32 v64, v69, v72
	v_readlane_b32 s25, v166, 26
	v_readlane_b32 s26, v166, 27
	;; [unrolled: 1-line block ×7, first 2 shown]
	v_fmac_f32_e32 v65, v64, v70
	s_add_i32 s12, s12, s24
	v_readlane_b32 s24, v166, 7
	v_fmac_f32_e32 v71, v65, v74
	v_readlane_b32 s11, v166, 33
	v_readlane_b32 s25, v166, 8
	;; [unrolled: 1-line block ×3, first 2 shown]
	v_fmac_f32_e32 v61, v71, v75
	v_mov_b32_e32 v60, v71
	s_add_i32 s93, s93, 8
	s_add_i32 s92, s92, -1
	s_add_i32 s14, s14, s11
	s_add_i32 s10, s10, s28
	;; [unrolled: 1-line block ×3, first 2 shown]
	v_pk_fma_f32 v[44:45], v[18:19], v[52:53], v[44:45]
	v_pk_fma_f32 v[42:43], v[16:17], v[56:57], v[42:43]
	;; [unrolled: 1-line block ×7, first 2 shown]
	s_cmp_eq_u32 s92, 0
	v_pk_fma_f32 v[30:31], v[4:5], v[60:61], v[30:31]
	v_readlane_b32 s26, v166, 9
	v_readlane_b32 s27, v166, 10
	;; [unrolled: 1-line block ×5, first 2 shown]
	s_mov_b32 s13, s25
	s_mov_b32 s16, s28
	s_cbranch_scc1 .LBB156_203
.LBB156_110:                            ;   Parent Loop BB156_13 Depth=1
                                        ; =>  This Inner Loop Header: Depth=2
	s_lshl_b64 s[16:17], s[4:5], 2
	v_readlane_b32 s11, v166, 5
	s_add_u32 s16, s11, s16
	v_readlane_b32 s11, v166, 6
	s_addc_u32 s17, s11, s17
	global_load_dword v2, v3, s[16:17]
	s_mov_b32 s11, s5
	v_lshl_add_u64 v[4:5], s[10:11], 2, v[48:49]
	v_mov_b32_e32 v6, 0
	v_mov_b32_e32 v7, 0
	s_and_saveexec_b64 s[16:17], s[96:97]
	s_cbranch_execz .LBB156_112
; %bb.111:                              ;   in Loop: Header=BB156_110 Depth=2
	global_load_dword v7, v[4:5], off
.LBB156_112:                            ;   in Loop: Header=BB156_110 Depth=2
	s_or_b64 exec, exec, s[16:17]
	s_and_saveexec_b64 s[16:17], s[98:99]
	s_cbranch_execz .LBB156_114
; %bb.113:                              ;   in Loop: Header=BB156_110 Depth=2
	global_load_dword v6, v[4:5], off offset:256
.LBB156_114:                            ;   in Loop: Header=BB156_110 Depth=2
	s_or_b64 exec, exec, s[16:17]
	v_mov_b32_e32 v8, 0
	v_mov_b32_e32 v9, 0
	s_and_saveexec_b64 s[16:17], s[2:3]
	s_cbranch_execz .LBB156_116
; %bb.115:                              ;   in Loop: Header=BB156_110 Depth=2
	global_load_dword v9, v[4:5], off offset:512
.LBB156_116:                            ;   in Loop: Header=BB156_110 Depth=2
	s_or_b64 exec, exec, s[16:17]
	s_and_saveexec_b64 s[16:17], s[34:35]
	s_cbranch_execz .LBB156_118
; %bb.117:                              ;   in Loop: Header=BB156_110 Depth=2
	global_load_dword v8, v[4:5], off offset:768
.LBB156_118:                            ;   in Loop: Header=BB156_110 Depth=2
	s_or_b64 exec, exec, s[16:17]
	v_mov_b32_e32 v10, 0
	v_mov_b32_e32 v11, 0
	s_and_saveexec_b64 s[16:17], s[36:37]
	s_cbranch_execz .LBB156_120
; %bb.119:                              ;   in Loop: Header=BB156_110 Depth=2
	global_load_dword v11, v[4:5], off offset:1024
.LBB156_120:                            ;   in Loop: Header=BB156_110 Depth=2
	s_or_b64 exec, exec, s[16:17]
	s_and_saveexec_b64 s[16:17], s[38:39]
	s_cbranch_execz .LBB156_122
; %bb.121:                              ;   in Loop: Header=BB156_110 Depth=2
	global_load_dword v10, v[4:5], off offset:1280
.LBB156_122:                            ;   in Loop: Header=BB156_110 Depth=2
	s_or_b64 exec, exec, s[16:17]
	v_mov_b32_e32 v12, 0
	v_mov_b32_e32 v13, 0
	s_and_saveexec_b64 s[16:17], s[40:41]
	s_cbranch_execz .LBB156_124
; %bb.123:                              ;   in Loop: Header=BB156_110 Depth=2
	global_load_dword v13, v[4:5], off offset:1536
.LBB156_124:                            ;   in Loop: Header=BB156_110 Depth=2
	s_or_b64 exec, exec, s[16:17]
	s_and_saveexec_b64 s[16:17], s[42:43]
	s_cbranch_execz .LBB156_126
; %bb.125:                              ;   in Loop: Header=BB156_110 Depth=2
	global_load_dword v12, v[4:5], off offset:1792
.LBB156_126:                            ;   in Loop: Header=BB156_110 Depth=2
	s_or_b64 exec, exec, s[16:17]
	v_mov_b32_e32 v14, 0
	v_mov_b32_e32 v15, 0
	s_and_saveexec_b64 s[16:17], s[44:45]
	s_cbranch_execz .LBB156_128
; %bb.127:                              ;   in Loop: Header=BB156_110 Depth=2
	global_load_dword v15, v[4:5], off offset:2048
.LBB156_128:                            ;   in Loop: Header=BB156_110 Depth=2
	s_or_b64 exec, exec, s[16:17]
	s_and_saveexec_b64 s[16:17], s[46:47]
	s_cbranch_execz .LBB156_130
; %bb.129:                              ;   in Loop: Header=BB156_110 Depth=2
	global_load_dword v14, v[4:5], off offset:2304
.LBB156_130:                            ;   in Loop: Header=BB156_110 Depth=2
	s_or_b64 exec, exec, s[16:17]
	v_mov_b32_e32 v16, 0
	v_mov_b32_e32 v17, 0
	s_and_saveexec_b64 s[16:17], s[48:49]
	s_cbranch_execz .LBB156_132
; %bb.131:                              ;   in Loop: Header=BB156_110 Depth=2
	global_load_dword v17, v[4:5], off offset:2560
.LBB156_132:                            ;   in Loop: Header=BB156_110 Depth=2
	s_or_b64 exec, exec, s[16:17]
	s_and_saveexec_b64 s[16:17], s[50:51]
	s_cbranch_execz .LBB156_134
; %bb.133:                              ;   in Loop: Header=BB156_110 Depth=2
	global_load_dword v16, v[4:5], off offset:2816
.LBB156_134:                            ;   in Loop: Header=BB156_110 Depth=2
	s_or_b64 exec, exec, s[16:17]
	v_mov_b32_e32 v18, 0
	v_mov_b32_e32 v19, 0
	s_and_saveexec_b64 s[16:17], s[52:53]
	s_cbranch_execz .LBB156_136
; %bb.135:                              ;   in Loop: Header=BB156_110 Depth=2
	global_load_dword v19, v[4:5], off offset:3072
.LBB156_136:                            ;   in Loop: Header=BB156_110 Depth=2
	s_or_b64 exec, exec, s[16:17]
	s_and_saveexec_b64 s[16:17], s[54:55]
	s_cbranch_execz .LBB156_138
; %bb.137:                              ;   in Loop: Header=BB156_110 Depth=2
	global_load_dword v18, v[4:5], off offset:3328
.LBB156_138:                            ;   in Loop: Header=BB156_110 Depth=2
	s_or_b64 exec, exec, s[16:17]
	v_mov_b32_e32 v52, 0
	v_mov_b32_e32 v53, 0
	s_and_saveexec_b64 s[16:17], s[56:57]
	s_cbranch_execz .LBB156_140
; %bb.139:                              ;   in Loop: Header=BB156_110 Depth=2
	global_load_dword v53, v[4:5], off offset:3584
.LBB156_140:                            ;   in Loop: Header=BB156_110 Depth=2
	s_or_b64 exec, exec, s[16:17]
	s_and_saveexec_b64 s[16:17], s[58:59]
	s_cbranch_execz .LBB156_142
; %bb.141:                              ;   in Loop: Header=BB156_110 Depth=2
	global_load_dword v52, v[4:5], off offset:3840
.LBB156_142:                            ;   in Loop: Header=BB156_110 Depth=2
	s_or_b64 exec, exec, s[16:17]
	s_waitcnt vmcnt(0)
	ds_write_b32 v95, v7
	ds_write_b32 v97, v6 offset:256
	ds_write_b32 v99, v9 offset:512
	;; [unrolled: 1-line block ×15, first 2 shown]
	; wave barrier
	ds_read2_b32 v[52:53], v127 offset1:1
	ds_read2_b32 v[56:57], v127 offset0:2 offset1:3
	ds_read2_b32 v[58:59], v127 offset0:4 offset1:5
	;; [unrolled: 1-line block ×7, first 2 shown]
	s_mov_b32 s13, s5
	v_lshl_add_u64 v[4:5], s[12:13], 2, v[50:51]
	v_mov_b32_e32 v6, 0
	v_mov_b32_e32 v7, 0
	s_and_saveexec_b64 s[16:17], s[96:97]
	s_cbranch_execz .LBB156_144
; %bb.143:                              ;   in Loop: Header=BB156_110 Depth=2
	global_load_dword v7, v[4:5], off
.LBB156_144:                            ;   in Loop: Header=BB156_110 Depth=2
	s_or_b64 exec, exec, s[16:17]
	s_and_saveexec_b64 s[16:17], s[98:99]
	s_cbranch_execz .LBB156_146
; %bb.145:                              ;   in Loop: Header=BB156_110 Depth=2
	global_load_dword v6, v[4:5], off offset:256
.LBB156_146:                            ;   in Loop: Header=BB156_110 Depth=2
	s_or_b64 exec, exec, s[16:17]
	v_mov_b32_e32 v8, 0
	v_mov_b32_e32 v9, 0
	s_and_saveexec_b64 s[16:17], s[2:3]
	s_cbranch_execz .LBB156_148
; %bb.147:                              ;   in Loop: Header=BB156_110 Depth=2
	global_load_dword v9, v[4:5], off offset:512
.LBB156_148:                            ;   in Loop: Header=BB156_110 Depth=2
	s_or_b64 exec, exec, s[16:17]
	s_and_saveexec_b64 s[16:17], s[34:35]
	s_cbranch_execz .LBB156_150
; %bb.149:                              ;   in Loop: Header=BB156_110 Depth=2
	global_load_dword v8, v[4:5], off offset:768
.LBB156_150:                            ;   in Loop: Header=BB156_110 Depth=2
	s_or_b64 exec, exec, s[16:17]
	v_mov_b32_e32 v10, 0
	v_mov_b32_e32 v11, 0
	s_and_saveexec_b64 s[16:17], s[36:37]
	s_cbranch_execz .LBB156_152
; %bb.151:                              ;   in Loop: Header=BB156_110 Depth=2
	global_load_dword v11, v[4:5], off offset:1024
.LBB156_152:                            ;   in Loop: Header=BB156_110 Depth=2
	;; [unrolled: 14-line block ×7, first 2 shown]
	s_or_b64 exec, exec, s[16:17]
	s_and_saveexec_b64 s[16:17], s[58:59]
	s_cbranch_execz .LBB156_174
; %bb.173:                              ;   in Loop: Header=BB156_110 Depth=2
	global_load_dword v54, v[4:5], off offset:3840
.LBB156_174:                            ;   in Loop: Header=BB156_110 Depth=2
	s_or_b64 exec, exec, s[16:17]
	v_add_u32_e32 v4, 0x2100, v127
	s_waitcnt vmcnt(0)
	ds_write_b32 v95, v7 offset:8448
	ds_write_b32 v98, v6 offset:256
	;; [unrolled: 1-line block ×16, first 2 shown]
	; wave barrier
	ds_read2_b32 v[16:17], v128 offset0:2 offset1:3
	ds_read2_b32 v[14:15], v128 offset0:4 offset1:5
	;; [unrolled: 1-line block ×6, first 2 shown]
	ds_read2_b32 v[18:19], v4 offset1:1
	ds_read2_b32 v[4:5], v128 offset0:14 offset1:15
	s_andn2_b64 vcc, exec, s[6:7]
	s_cbranch_vccnz .LBB156_176
; %bb.175:                              ;   in Loop: Header=BB156_110 Depth=2
	v_mov_b32_e32 v54, s93
	ds_read_b64 v[54:55], v54
	s_cbranch_execz .LBB156_177
	s_branch .LBB156_180
.LBB156_176:                            ;   in Loop: Header=BB156_110 Depth=2
                                        ; implicit-def: $vgpr55
.LBB156_177:                            ;   in Loop: Header=BB156_110 Depth=2
	v_readlane_b32 s16, v166, 0
	v_readlane_b32 s17, v166, 1
	s_andn2_b64 vcc, exec, s[16:17]
	s_waitcnt lgkmcnt(0)
	v_mov_b32_e32 v55, 0
	s_cbranch_vccnz .LBB156_179
; %bb.178:                              ;   in Loop: Header=BB156_110 Depth=2
	s_mov_b32 s15, s5
	s_lshl_b64 s[16:17], s[14:15], 2
	v_readlane_b32 s11, v166, 15
	s_add_u32 s16, s11, s16
	v_readlane_b32 s11, v166, 16
	s_addc_u32 s17, s11, s17
	global_load_dword v55, v3, s[16:17]
.LBB156_179:                            ;   in Loop: Header=BB156_110 Depth=2
	v_mov_b32_e32 v54, 1.0
.LBB156_180:                            ;   in Loop: Header=BB156_110 Depth=2
	v_mul_f32_e32 v2, 0x3fb8aa3b, v2
	v_mul_f32_e32 v70, v2, v151
	v_cmp_gt_f32_e32 vcc, s33, v70
	v_pk_mul_f32 v[74:75], v[2:3], v[46:47] op_sel_hi:[0,1]
	s_waitcnt lgkmcnt(14)
	v_mul_f32_e32 v52, v52, v144
	v_cndmask_b32_e32 v70, 0, v149, vcc
	v_fmac_f32_e32 v70, v2, v151
	v_exp_f32_e32 v70, v70
	v_cndmask_b32_e32 v71, 1.0, v150, vcc
	v_mul_f32_e32 v53, v53, v143
	v_cndmask_b32_e64 v52, 0, v52, s[60:61]
	v_mul_f32_e32 v70, v70, v71
	v_cndmask_b32_e64 v145, 1.0, v70, s[60:61]
	v_mul_f32_e32 v70, v2, v152
	v_cmp_gt_f32_e32 vcc, s33, v70
	v_cndmask_b32_e64 v53, 0, v53, s[62:63]
	v_mul_f32_e32 v56, v56, v142
	v_cndmask_b32_e32 v70, 0, v149, vcc
	v_fmac_f32_e32 v70, v2, v152
	v_exp_f32_e32 v70, v70
	v_cndmask_b32_e32 v71, 1.0, v150, vcc
	v_cndmask_b32_e64 v56, 0, v56, s[64:65]
	v_mul_f32_e32 v57, v57, v141
	v_mul_f32_e32 v70, v70, v71
	v_cndmask_b32_e64 v146, 1.0, v70, s[62:63]
	v_mul_f32_e32 v70, v2, v153
	v_cmp_gt_f32_e32 vcc, s33, v70
	v_cndmask_b32_e64 v57, 0, v57, s[66:67]
	v_mul_f32_e32 v58, v58, v140
	v_cndmask_b32_e32 v70, 0, v149, vcc
	v_fmac_f32_e32 v70, v2, v153
	v_exp_f32_e32 v70, v70
	v_cndmask_b32_e32 v71, 1.0, v150, vcc
	v_cndmask_b32_e64 v58, 0, v58, s[68:69]
	v_mul_f32_e32 v59, v59, v139
	;; [unrolled: 12-line block ×7, first 2 shown]
	v_cndmask_b32_e64 v86, 1.0, v70, s[74:75]
	v_mul_f32_e32 v70, v2, v159
	v_cmp_gt_f32_e32 vcc, s33, v70
	s_nop 1
	v_cndmask_b32_e32 v70, 0, v149, vcc
	v_fmac_f32_e32 v70, v2, v159
	v_exp_f32_e32 v70, v70
	v_cndmask_b32_e32 v71, 1.0, v150, vcc
	v_mul_f32_e32 v70, v70, v71
	v_cndmask_b32_e64 v87, 1.0, v70, s[76:77]
	v_mul_f32_e32 v70, v2, v160
	v_cmp_gt_f32_e32 vcc, s33, v70
	s_nop 1
	v_cndmask_b32_e32 v70, 0, v149, vcc
	v_fmac_f32_e32 v70, v2, v160
	v_exp_f32_e32 v70, v70
	v_cndmask_b32_e32 v71, 1.0, v150, vcc
	v_mul_f32_e32 v70, v70, v71
	;; [unrolled: 9-line block ×6, first 2 shown]
	v_cmp_gt_f32_e32 vcc, s33, v74
	v_mul_f32_e32 v70, v70, v71
	v_cndmask_b32_e64 v71, 0, v2, s[90:91]
	v_cndmask_b32_e32 v2, 0, v149, vcc
	v_add_f32_e32 v2, v74, v2
	v_exp_f32_e32 v2, v2
	v_cndmask_b32_e32 v60, 1.0, v150, vcc
	v_cmp_gt_f32_e32 vcc, s33, v75
	v_cndmask_b32_e64 v70, 1.0, v70, s[86:87]
	v_mul_f32_e32 v2, v2, v60
	v_cndmask_b32_e32 v60, 0, v149, vcc
	v_add_f32_e32 v60, v75, v60
	v_exp_f32_e32 v60, v60
	v_cndmask_b32_e32 v73, 1.0, v150, vcc
	v_cndmask_b32_e64 v74, 1.0, v2, s[90:91]
	v_mul_f32_e32 v2, v146, v145
	v_mul_f32_e32 v60, v60, v73
	v_cndmask_b32_e64 v75, 1.0, v60, s[88:89]
	v_fma_f32 v60, v146, v52, v53
	v_mul_f32_e32 v2, v2, v81
	v_fma_f32 v60, v60, v81, v56
	v_mul_f32_e32 v2, v2, v82
	;; [unrolled: 2-line block ×10, first 2 shown]
	v_fma_f32 v2, v60, v90, v69
	v_fma_f32 v2, v2, v72, v64
	;; [unrolled: 1-line block ×3, first 2 shown]
	v_mov_b32_e32 v73, v74
	v_pk_mul_f32 v[92:93], v[76:77], v[72:73]
	v_pk_fma_f32 v[76:77], v[76:77], v[72:73], v[70:71]
	v_pk_mul_f32 v[92:93], v[92:93], v[70:71]
	v_mov_b32_e32 v78, v75
	v_mov_b32_e32 v93, v77
	;; [unrolled: 1-line block ×3, first 2 shown]
	v_pk_mul_f32 v[76:77], v[92:93], v[74:75]
	v_mov_b32_e32 v60, v75
	v_pk_mul_f32 v[78:79], v[76:77], v[78:79]
	v_pk_fma_f32 v[76:77], v[92:93], v[74:75], v[60:61]
	s_nop 0
	v_mov_b32_dpp v2, v78 row_shr:1 row_mask:0xf bank_mask:0xf
	v_mov_b32_dpp v60, v77 row_shr:1 row_mask:0xf bank_mask:0xf
	v_mul_f32_e32 v73, v78, v2
	v_fma_f32 v60, v78, v60, v77
	v_cndmask_b32_e64 v76, v73, v78, s[0:1]
	v_cndmask_b32_e64 v79, v60, v77, s[0:1]
	;; [unrolled: 1-line block ×4, first 2 shown]
	v_mov_b32_dpp v73, v79 row_shr:2 row_mask:0xf bank_mask:0xf
	v_mov_b32_dpp v60, v78 row_shr:2 row_mask:0xf bank_mask:0xf
	s_mov_b64 s[16:17], exec
	v_readlane_b32 s18, v166, 34
	v_readlane_b32 s19, v166, 35
	s_and_b64 s[18:19], s[16:17], s[18:19]
	s_mov_b64 exec, s[18:19]
; %bb.181:                              ;   in Loop: Header=BB156_110 Depth=2
	v_fmac_f32_e32 v79, v78, v73
	v_mul_f32_e32 v78, v78, v60
	v_mov_b32_e32 v76, v78
	v_mov_b32_e32 v2, v79
; %bb.182:                              ;   in Loop: Header=BB156_110 Depth=2
	s_or_b64 exec, exec, s[16:17]
	v_mov_b32_dpp v60, v78 row_shr:4 row_mask:0xf bank_mask:0xf
	v_mov_b32_dpp v73, v79 row_shr:4 row_mask:0xf bank_mask:0xf
	s_mov_b64 s[16:17], exec
	v_readlane_b32 s18, v166, 36
	v_readlane_b32 s19, v166, 37
	s_and_b64 s[18:19], s[16:17], s[18:19]
	s_mov_b64 exec, s[18:19]
; %bb.183:                              ;   in Loop: Header=BB156_110 Depth=2
	v_fmac_f32_e32 v79, v78, v73
	v_mul_f32_e32 v78, v78, v60
	v_mov_b32_e32 v76, v78
	v_mov_b32_e32 v2, v79
; %bb.184:                              ;   in Loop: Header=BB156_110 Depth=2
	s_or_b64 exec, exec, s[16:17]
	;; [unrolled: 14-line block ×3, first 2 shown]
	v_mov_b32_dpp v60, v78 row_bcast:15 row_mask:0xf bank_mask:0xf
	v_mov_b32_dpp v73, v79 row_bcast:15 row_mask:0xf bank_mask:0xf
	s_mov_b64 s[16:17], exec
	v_readlane_b32 s18, v166, 40
	v_readlane_b32 s19, v166, 41
	s_and_b64 s[18:19], s[16:17], s[18:19]
	s_mov_b64 exec, s[18:19]
; %bb.187:                              ;   in Loop: Header=BB156_110 Depth=2
	v_fmac_f32_e32 v79, v78, v73
	v_mul_f32_e32 v78, v78, v60
	v_mov_b32_e32 v76, v78
	v_mov_b32_e32 v2, v79
; %bb.188:                              ;   in Loop: Header=BB156_110 Depth=2
	s_or_b64 exec, exec, s[16:17]
	v_mov_b32_dpp v73, v78 row_bcast:31 row_mask:0xf bank_mask:0xf
	v_mov_b32_dpp v60, v79 row_bcast:31 row_mask:0xf bank_mask:0xf
	s_mov_b64 s[16:17], exec
	v_readlane_b32 s18, v166, 48
	v_readlane_b32 s19, v166, 49
	s_and_b64 s[18:19], s[16:17], s[18:19]
	s_mov_b64 exec, s[18:19]
; %bb.189:                              ;   in Loop: Header=BB156_110 Depth=2
	v_fmac_f32_e32 v79, v78, v60
	v_mul_f32_e32 v76, v78, v73
	v_mov_b32_e32 v77, v79
	v_mov_b32_e32 v2, v79
	v_mov_b64_e32 v[78:79], v[76:77]
; %bb.190:                              ;   in Loop: Header=BB156_110 Depth=2
	s_or_b64 exec, exec, s[16:17]
	s_mov_b64 s[16:17], exec
	v_readlane_b32 s18, v166, 42
	v_readlane_b32 s19, v166, 43
	s_and_b64 s[18:19], s[16:17], s[18:19]
	s_mov_b64 exec, s[18:19]
	s_cbranch_execz .LBB156_192
; %bb.191:                              ;   in Loop: Header=BB156_110 Depth=2
	ds_write_b64 v129, v[78:79] offset:16896
.LBB156_192:                            ;   in Loop: Header=BB156_110 Depth=2
	s_or_b64 exec, exec, s[16:17]
	s_waitcnt lgkmcnt(0)
	s_barrier
	s_mov_b64 s[16:17], exec
	v_readlane_b32 s18, v166, 50
	v_readlane_b32 s19, v166, 51
	s_and_b64 s[18:19], s[16:17], s[18:19]
	s_mov_b64 exec, s[18:19]
	s_cbranch_execz .LBB156_194
; %bb.193:                              ;   in Loop: Header=BB156_110 Depth=2
	ds_read_b64 v[78:79], v130 offset:16896
	v_readlane_b32 s18, v166, 44
	v_readlane_b32 s19, v166, 45
	s_waitcnt lgkmcnt(0)
	v_mov_b32_dpp v60, v78 row_shr:1 row_mask:0xf bank_mask:0xf
	v_mov_b32_dpp v73, v79 row_shr:1 row_mask:0xf bank_mask:0xf
	v_fma_f32 v73, v78, v73, v79
	v_mul_f32_e32 v60, v78, v60
	v_cndmask_b32_e64 v78, v60, v78, s[18:19]
	v_cndmask_b32_e64 v79, v73, v79, s[18:19]
	ds_write_b64 v130, v[78:79] offset:16896
.LBB156_194:                            ;   in Loop: Header=BB156_110 Depth=2
	s_or_b64 exec, exec, s[16:17]
	s_waitcnt lgkmcnt(0)
	s_barrier
	s_waitcnt lgkmcnt(0)
                                        ; implicit-def: $vgpr78
	s_and_saveexec_b64 s[16:17], s[20:21]
	s_cbranch_execz .LBB156_196
; %bb.195:                              ;   in Loop: Header=BB156_110 Depth=2
	ds_read_b64 v[78:79], v129 offset:16888
	s_waitcnt lgkmcnt(0)
	v_mul_f32_e32 v60, v76, v78
	v_fmac_f32_e32 v2, v76, v79
	v_mov_b32_e32 v76, v60
.LBB156_196:                            ;   in Loop: Header=BB156_110 Depth=2
	s_or_b64 exec, exec, s[16:17]
	ds_bpermute_b32 v60, v131, v76
	ds_bpermute_b32 v2, v131, v2
	s_waitcnt vmcnt(0)
	v_mov_b32_e32 v77, v55
	s_mov_b64 s[16:17], exec
	v_readlane_b32 s18, v166, 52
	v_readlane_b32 s19, v166, 53
	s_and_b64 s[18:19], s[16:17], s[18:19]
	s_mov_b64 exec, s[18:19]
	s_cbranch_execz .LBB156_200
; %bb.197:                              ;   in Loop: Header=BB156_110 Depth=2
	ds_read_b64 v[76:77], v3 offset:16904
	s_and_saveexec_b64 s[18:19], s[22:23]
	s_cbranch_execz .LBB156_199
; %bb.198:                              ;   in Loop: Header=BB156_110 Depth=2
	ds_write_b64 v3, v[54:55] offset:16904
.LBB156_199:                            ;   in Loop: Header=BB156_110 Depth=2
	s_or_b64 exec, exec, s[18:19]
	s_waitcnt lgkmcnt(0)
	v_fmac_f32_e32 v77, v55, v76
	v_mul_f32_e32 v54, v54, v76
	v_mov_b32_e32 v55, v77
.LBB156_200:                            ;   in Loop: Header=BB156_110 Depth=2
	s_or_b64 exec, exec, s[16:17]
	s_waitcnt lgkmcnt(0)
	s_barrier
	ds_read_b32 v73, v3 offset:16908
	s_and_saveexec_b64 s[16:17], s[22:23]
	s_cbranch_execz .LBB156_109
; %bb.201:                              ;   in Loop: Header=BB156_110 Depth=2
	v_mov_b32_e32 v76, s93
	s_andn2_b64 vcc, exec, s[8:9]
	ds_write_b64 v76, v[54:55]
	s_cbranch_vccnz .LBB156_109
; %bb.202:                              ;   in Loop: Header=BB156_110 Depth=2
	s_mov_b32 s15, s5
	s_lshl_b64 s[18:19], s[14:15], 2
	v_readlane_b32 s11, v166, 15
	s_add_u32 s18, s11, s18
	v_readlane_b32 s11, v166, 16
	s_addc_u32 s19, s11, s19
	global_store_dword v3, v77, s[18:19]
	s_branch .LBB156_109
.LBB156_203:                            ;   in Loop: Header=BB156_13 Depth=1
	v_readlane_b32 s64, v166, 60
	v_readlane_b32 s66, v166, 62
	;; [unrolled: 1-line block ×6, first 2 shown]
.LBB156_204:                            ;   in Loop: Header=BB156_13 Depth=1
	s_barrier
	ds_write2_b32 v127, v44, v45 offset1:1
	ds_write2_b32 v127, v42, v43 offset0:2 offset1:3
	ds_write2_b32 v127, v40, v41 offset0:4 offset1:5
	;; [unrolled: 1-line block ×7, first 2 shown]
	; wave barrier
	ds_read_b32 v18, v97 offset:256
	ds_read_b32 v17, v99 offset:512
	;; [unrolled: 1-line block ×15, first 2 shown]
	v_readlane_b32 s6, v166, 56
	v_readlane_b32 s7, v166, 57
	s_mov_b32 s7, s5
	s_mov_b64 s[26:27], s[6:7]
	v_lshl_add_u64 v[4:5], s[6:7], 2, v[22:23]
	s_and_saveexec_b64 s[6:7], s[96:97]
	s_cbranch_execnz .LBB156_256
; %bb.205:                              ;   in Loop: Header=BB156_13 Depth=1
	s_or_b64 exec, exec, s[6:7]
	s_and_saveexec_b64 s[6:7], s[98:99]
	s_cbranch_execnz .LBB156_257
.LBB156_206:                            ;   in Loop: Header=BB156_13 Depth=1
	s_or_b64 exec, exec, s[6:7]
	s_and_saveexec_b64 s[6:7], s[2:3]
	s_cbranch_execnz .LBB156_258
.LBB156_207:                            ;   in Loop: Header=BB156_13 Depth=1
	s_or_b64 exec, exec, s[6:7]
	s_and_saveexec_b64 s[6:7], s[34:35]
	s_cbranch_execnz .LBB156_259
.LBB156_208:                            ;   in Loop: Header=BB156_13 Depth=1
	s_or_b64 exec, exec, s[6:7]
	s_and_saveexec_b64 s[6:7], s[36:37]
	s_cbranch_execnz .LBB156_260
.LBB156_209:                            ;   in Loop: Header=BB156_13 Depth=1
	s_or_b64 exec, exec, s[6:7]
	s_and_saveexec_b64 s[6:7], s[38:39]
	s_cbranch_execnz .LBB156_261
.LBB156_210:                            ;   in Loop: Header=BB156_13 Depth=1
	s_or_b64 exec, exec, s[6:7]
	s_and_saveexec_b64 s[6:7], s[40:41]
	s_cbranch_execnz .LBB156_262
.LBB156_211:                            ;   in Loop: Header=BB156_13 Depth=1
	s_or_b64 exec, exec, s[6:7]
	s_and_saveexec_b64 s[6:7], s[42:43]
	s_cbranch_execnz .LBB156_263
.LBB156_212:                            ;   in Loop: Header=BB156_13 Depth=1
	s_or_b64 exec, exec, s[6:7]
	s_and_saveexec_b64 s[6:7], s[44:45]
	s_cbranch_execnz .LBB156_264
.LBB156_213:                            ;   in Loop: Header=BB156_13 Depth=1
	s_or_b64 exec, exec, s[6:7]
	s_and_saveexec_b64 s[6:7], s[46:47]
	s_cbranch_execnz .LBB156_265
.LBB156_214:                            ;   in Loop: Header=BB156_13 Depth=1
	s_or_b64 exec, exec, s[6:7]
	s_and_saveexec_b64 s[6:7], s[48:49]
	s_cbranch_execnz .LBB156_266
.LBB156_215:                            ;   in Loop: Header=BB156_13 Depth=1
	s_or_b64 exec, exec, s[6:7]
	s_and_saveexec_b64 s[6:7], s[50:51]
	s_cbranch_execnz .LBB156_267
.LBB156_216:                            ;   in Loop: Header=BB156_13 Depth=1
	s_or_b64 exec, exec, s[6:7]
	s_and_saveexec_b64 s[6:7], s[52:53]
	s_cbranch_execnz .LBB156_268
.LBB156_217:                            ;   in Loop: Header=BB156_13 Depth=1
	s_or_b64 exec, exec, s[6:7]
	s_and_saveexec_b64 s[6:7], s[54:55]
	s_cbranch_execnz .LBB156_269
.LBB156_218:                            ;   in Loop: Header=BB156_13 Depth=1
	s_or_b64 exec, exec, s[6:7]
	s_and_saveexec_b64 s[6:7], s[56:57]
	s_cbranch_execnz .LBB156_270
.LBB156_219:                            ;   in Loop: Header=BB156_13 Depth=1
	s_or_b64 exec, exec, s[6:7]
	s_and_saveexec_b64 s[6:7], s[58:59]
	s_cbranch_execz .LBB156_221
.LBB156_220:                            ;   in Loop: Header=BB156_13 Depth=1
	s_waitcnt lgkmcnt(0)
	global_store_dword v[4:5], v1, off offset:3840
.LBB156_221:                            ;   in Loop: Header=BB156_13 Depth=1
	s_or_b64 exec, exec, s[6:7]
	s_mov_b32 s4, s5
	s_mov_b32 s6, s5
	s_mov_b32 s7, s5
	s_mov_b32 s8, s5
	s_mov_b32 s9, s5
	s_mov_b32 s10, s5
	s_mov_b32 s11, s5
	s_mov_b32 s12, s5
	s_mov_b32 s13, s5
	s_mov_b32 s14, s5
	s_mov_b32 s15, s5
	s_mov_b32 s16, s5
	s_mov_b32 s17, s5
	s_mov_b32 s18, s5
	s_mov_b32 s19, s5
	s_waitcnt lgkmcnt(2)
	v_mov_b64_e32 v[4:5], s[4:5]
	v_lshl_add_u64 v[46:47], s[26:27], 2, v[24:25]
	v_mov_b64_e32 v[6:7], s[6:7]
	v_mov_b64_e32 v[8:9], s[8:9]
	;; [unrolled: 1-line block ×7, first 2 shown]
	s_waitcnt lgkmcnt(0)
	v_mov_b32_e32 v1, 0
	s_barrier
	s_and_saveexec_b64 s[6:7], s[96:97]
	s_cbranch_execnz .LBB156_271
; %bb.222:                              ;   in Loop: Header=BB156_13 Depth=1
	s_or_b64 exec, exec, s[6:7]
	s_and_saveexec_b64 s[6:7], s[98:99]
	s_cbranch_execnz .LBB156_272
.LBB156_223:                            ;   in Loop: Header=BB156_13 Depth=1
	s_or_b64 exec, exec, s[6:7]
	s_and_saveexec_b64 s[6:7], s[2:3]
	s_cbranch_execnz .LBB156_273
.LBB156_224:                            ;   in Loop: Header=BB156_13 Depth=1
	s_or_b64 exec, exec, s[6:7]
	s_and_saveexec_b64 s[6:7], s[34:35]
	s_cbranch_execnz .LBB156_274
.LBB156_225:                            ;   in Loop: Header=BB156_13 Depth=1
	s_or_b64 exec, exec, s[6:7]
	s_and_saveexec_b64 s[6:7], s[36:37]
	s_cbranch_execnz .LBB156_275
.LBB156_226:                            ;   in Loop: Header=BB156_13 Depth=1
	s_or_b64 exec, exec, s[6:7]
	s_and_saveexec_b64 s[6:7], s[38:39]
	s_cbranch_execnz .LBB156_276
.LBB156_227:                            ;   in Loop: Header=BB156_13 Depth=1
	s_or_b64 exec, exec, s[6:7]
	s_and_saveexec_b64 s[6:7], s[40:41]
	s_cbranch_execnz .LBB156_277
.LBB156_228:                            ;   in Loop: Header=BB156_13 Depth=1
	s_or_b64 exec, exec, s[6:7]
	s_and_saveexec_b64 s[6:7], s[42:43]
	s_cbranch_execnz .LBB156_278
.LBB156_229:                            ;   in Loop: Header=BB156_13 Depth=1
	s_or_b64 exec, exec, s[6:7]
	s_and_saveexec_b64 s[6:7], s[44:45]
	s_cbranch_execnz .LBB156_279
.LBB156_230:                            ;   in Loop: Header=BB156_13 Depth=1
	s_or_b64 exec, exec, s[6:7]
	s_and_saveexec_b64 s[6:7], s[46:47]
	s_cbranch_execnz .LBB156_280
.LBB156_231:                            ;   in Loop: Header=BB156_13 Depth=1
	s_or_b64 exec, exec, s[6:7]
	s_and_saveexec_b64 s[6:7], s[48:49]
	s_cbranch_execnz .LBB156_281
.LBB156_232:                            ;   in Loop: Header=BB156_13 Depth=1
	s_or_b64 exec, exec, s[6:7]
	s_and_saveexec_b64 s[6:7], s[50:51]
	s_cbranch_execnz .LBB156_282
.LBB156_233:                            ;   in Loop: Header=BB156_13 Depth=1
	s_or_b64 exec, exec, s[6:7]
	s_and_saveexec_b64 s[6:7], s[52:53]
	s_cbranch_execnz .LBB156_283
.LBB156_234:                            ;   in Loop: Header=BB156_13 Depth=1
	s_or_b64 exec, exec, s[6:7]
	s_and_saveexec_b64 s[6:7], s[54:55]
	s_cbranch_execnz .LBB156_284
.LBB156_235:                            ;   in Loop: Header=BB156_13 Depth=1
	s_or_b64 exec, exec, s[6:7]
	s_and_saveexec_b64 s[6:7], s[56:57]
	s_cbranch_execnz .LBB156_285
.LBB156_236:                            ;   in Loop: Header=BB156_13 Depth=1
	s_or_b64 exec, exec, s[6:7]
	s_and_saveexec_b64 s[6:7], s[58:59]
	s_cbranch_execz .LBB156_238
.LBB156_237:                            ;   in Loop: Header=BB156_13 Depth=1
	global_load_dword v19, v[46:47], off offset:3840
.LBB156_238:                            ;   in Loop: Header=BB156_13 Depth=1
	s_or_b64 exec, exec, s[6:7]
	s_waitcnt vmcnt(0)
	ds_write_b32 v95, v1
	ds_write_b32 v97, v5 offset:256
	ds_write_b32 v99, v6 offset:512
	;; [unrolled: 1-line block ×15, first 2 shown]
	; wave barrier
	ds_read2_b32 v[4:5], v127 offset1:1
	s_mov_b32 s4, 0xbfb8aa3b
	s_mov_b32 s8, 0x42ce8ed0
	;; [unrolled: 1-line block ×3, first 2 shown]
	s_waitcnt lgkmcnt(0)
	v_mul_f32_e32 v1, 0xbfb8aa3b, v5
	v_rndne_f32_e32 v2, v1
	v_sub_f32_e32 v6, v1, v2
	v_fma_f32 v1, v5, s4, -v1
	v_fmac_f32_e32 v1, 0xb2a5705f, v5
	v_add_f32_e32 v1, v6, v1
	v_exp_f32_e32 v1, v1
	v_cvt_i32_f32_e32 v2, v2
	v_cmp_nlt_f32_e32 vcc, s8, v5
	v_ldexp_f32 v1, v1, v2
	s_nop 0
	v_cndmask_b32_e32 v1, 0, v1, vcc
	v_cmp_ngt_f32_e32 vcc, s9, v5
	s_nop 1
	v_cndmask_b32_e32 v7, v148, v1, vcc
	v_mul_f32_e32 v1, 0xbfb8aa3b, v4
	v_rndne_f32_e32 v2, v1
	v_sub_f32_e32 v6, v1, v2
	v_fma_f32 v1, v4, s4, -v1
	v_fmac_f32_e32 v1, 0xb2a5705f, v4
	v_add_f32_e32 v1, v6, v1
	v_exp_f32_e32 v1, v1
	v_cvt_i32_f32_e32 v2, v2
	v_cmp_nlt_f32_e32 vcc, s8, v4
	v_ldexp_f32 v1, v1, v2
	s_nop 0
	v_cndmask_b32_e32 v1, 0, v1, vcc
	v_cmp_ngt_f32_e32 vcc, s9, v4
	s_nop 1
	v_cndmask_b32_e32 v6, v148, v1, vcc
	v_pk_add_f32 v[6:7], v[6:7], 1.0 op_sel_hi:[1,0]
	s_nop 0
	v_div_scale_f32 v1, s[6:7], v7, v7, v5
	v_rcp_f32_e32 v2, v1
	s_nop 0
	v_fma_f32 v8, -v1, v2, 1.0
	v_fmac_f32_e32 v2, v8, v2
	v_div_scale_f32 v8, vcc, v5, v7, v5
	v_mul_f32_e32 v9, v8, v2
	v_fma_f32 v10, -v1, v9, v8
	v_fmac_f32_e32 v9, v10, v2
	v_fma_f32 v1, -v1, v9, v8
	v_div_fmas_f32 v1, v1, v2, v9
	v_div_fixup_f32 v5, v1, v7, v5
	v_div_scale_f32 v1, s[6:7], v6, v6, v4
	v_rcp_f32_e32 v2, v1
	s_nop 0
	v_fma_f32 v7, -v1, v2, 1.0
	v_fmac_f32_e32 v2, v7, v2
	v_div_scale_f32 v7, vcc, v4, v6, v4
	v_mul_f32_e32 v8, v7, v2
	v_fma_f32 v9, -v1, v8, v7
	v_fmac_f32_e32 v8, v9, v2
	v_fma_f32 v1, -v1, v8, v7
	v_div_fmas_f32 v1, v1, v2, v8
	v_div_fixup_f32 v4, v1, v6, v4
	ds_read2_b32 v[6:7], v127 offset0:2 offset1:3
	v_pk_mul_f32 v[4:5], v[4:5], v[44:45]
	s_waitcnt lgkmcnt(0)
	v_mul_f32_e32 v1, 0xbfb8aa3b, v7
	v_rndne_f32_e32 v2, v1
	v_sub_f32_e32 v8, v1, v2
	v_fma_f32 v1, v7, s4, -v1
	v_fmac_f32_e32 v1, 0xb2a5705f, v7
	v_add_f32_e32 v1, v8, v1
	v_exp_f32_e32 v1, v1
	v_cvt_i32_f32_e32 v2, v2
	v_cmp_nlt_f32_e32 vcc, s8, v7
	v_ldexp_f32 v1, v1, v2
	s_nop 0
	v_cndmask_b32_e32 v1, 0, v1, vcc
	v_cmp_ngt_f32_e32 vcc, s9, v7
	s_nop 1
	v_cndmask_b32_e32 v9, v148, v1, vcc
	v_mul_f32_e32 v1, 0xbfb8aa3b, v6
	v_rndne_f32_e32 v2, v1
	v_sub_f32_e32 v8, v1, v2
	v_fma_f32 v1, v6, s4, -v1
	v_fmac_f32_e32 v1, 0xb2a5705f, v6
	v_add_f32_e32 v1, v8, v1
	v_exp_f32_e32 v1, v1
	v_cvt_i32_f32_e32 v2, v2
	v_cmp_nlt_f32_e32 vcc, s8, v6
	v_ldexp_f32 v1, v1, v2
	s_nop 0
	v_cndmask_b32_e32 v1, 0, v1, vcc
	v_cmp_ngt_f32_e32 vcc, s9, v6
	s_nop 1
	v_cndmask_b32_e32 v8, v148, v1, vcc
	v_pk_add_f32 v[8:9], v[8:9], 1.0 op_sel_hi:[1,0]
	s_nop 0
	v_div_scale_f32 v1, s[6:7], v9, v9, v7
	v_rcp_f32_e32 v2, v1
	s_nop 0
	v_fma_f32 v10, -v1, v2, 1.0
	v_fmac_f32_e32 v2, v10, v2
	v_div_scale_f32 v10, vcc, v7, v9, v7
	v_mul_f32_e32 v11, v10, v2
	v_fma_f32 v12, -v1, v11, v10
	v_fmac_f32_e32 v11, v12, v2
	v_fma_f32 v1, -v1, v11, v10
	v_div_fmas_f32 v1, v1, v2, v11
	v_div_fixup_f32 v7, v1, v9, v7
	v_div_scale_f32 v1, s[6:7], v8, v8, v6
	v_rcp_f32_e32 v2, v1
	s_nop 0
	v_fma_f32 v9, -v1, v2, 1.0
	v_fmac_f32_e32 v2, v9, v2
	v_div_scale_f32 v9, vcc, v6, v8, v6
	v_mul_f32_e32 v10, v9, v2
	v_fma_f32 v11, -v1, v10, v9
	v_fmac_f32_e32 v10, v11, v2
	v_fma_f32 v1, -v1, v10, v9
	v_div_fmas_f32 v1, v1, v2, v10
	v_div_fixup_f32 v6, v1, v8, v6
	ds_read2_b32 v[8:9], v127 offset0:4 offset1:5
	v_pk_mul_f32 v[6:7], v[6:7], v[42:43]
	;; [unrolled: 59-line block ×7, first 2 shown]
	s_waitcnt lgkmcnt(0)
	s_barrier
	v_mul_f32_e32 v1, 0xbfb8aa3b, v19
	v_rndne_f32_e32 v2, v1
	v_sub_f32_e32 v29, v1, v2
	v_fma_f32 v1, v19, s4, -v1
	v_fmac_f32_e32 v1, 0xb2a5705f, v19
	v_add_f32_e32 v1, v29, v1
	v_exp_f32_e32 v1, v1
	v_cvt_i32_f32_e32 v2, v2
	v_cmp_nlt_f32_e32 vcc, s8, v19
	v_ldexp_f32 v1, v1, v2
	s_nop 0
	v_cndmask_b32_e32 v1, 0, v1, vcc
	v_cmp_ngt_f32_e32 vcc, s9, v19
	s_nop 1
	v_cndmask_b32_e32 v33, v148, v1, vcc
	v_mul_f32_e32 v1, 0xbfb8aa3b, v18
	v_rndne_f32_e32 v2, v1
	v_sub_f32_e32 v29, v1, v2
	v_fma_f32 v1, v18, s4, -v1
	v_fmac_f32_e32 v1, 0xb2a5705f, v18
	v_add_f32_e32 v1, v29, v1
	v_exp_f32_e32 v1, v1
	v_cvt_i32_f32_e32 v2, v2
	v_cmp_nlt_f32_e32 vcc, s8, v18
	v_ldexp_f32 v1, v1, v2
	s_nop 0
	v_cndmask_b32_e32 v1, 0, v1, vcc
	v_cmp_ngt_f32_e32 vcc, s9, v18
	s_nop 1
	v_cndmask_b32_e32 v32, v148, v1, vcc
	v_pk_add_f32 v[32:33], v[32:33], 1.0 op_sel_hi:[1,0]
	s_nop 0
	v_div_scale_f32 v1, s[6:7], v33, v33, v19
	v_rcp_f32_e32 v2, v1
	s_nop 0
	v_fma_f32 v29, -v1, v2, 1.0
	v_fmac_f32_e32 v2, v29, v2
	v_div_scale_f32 v29, vcc, v19, v33, v19
	v_mul_f32_e32 v34, v29, v2
	v_fma_f32 v35, -v1, v34, v29
	v_fmac_f32_e32 v34, v35, v2
	v_fma_f32 v1, -v1, v34, v29
	v_div_fmas_f32 v1, v1, v2, v34
	v_div_fixup_f32 v19, v1, v33, v19
	v_div_scale_f32 v1, s[6:7], v32, v32, v18
	v_rcp_f32_e32 v2, v1
	s_nop 0
	v_fma_f32 v29, -v1, v2, 1.0
	v_fmac_f32_e32 v2, v29, v2
	v_div_scale_f32 v29, vcc, v18, v32, v18
	v_mul_f32_e32 v33, v29, v2
	v_fma_f32 v34, -v1, v33, v29
	v_fmac_f32_e32 v33, v34, v2
	v_fma_f32 v1, -v1, v33, v29
	v_div_fmas_f32 v1, v1, v2, v33
	v_div_fixup_f32 v18, v1, v32, v18
	v_pk_mul_f32 v[18:19], v[18:19], v[30:31]
	ds_write2_b32 v127, v4, v5 offset1:1
	ds_write2_b32 v127, v6, v7 offset0:2 offset1:3
	ds_write2_b32 v127, v8, v9 offset0:4 offset1:5
	;; [unrolled: 1-line block ×7, first 2 shown]
	; wave barrier
	ds_read_b32 v18, v97 offset:256
	ds_read_b32 v17, v99 offset:512
	;; [unrolled: 1-line block ×15, first 2 shown]
	v_lshl_add_u64 v[4:5], s[26:27], 2, v[26:27]
	s_and_saveexec_b64 s[6:7], s[96:97]
	s_cbranch_execnz .LBB156_286
; %bb.239:                              ;   in Loop: Header=BB156_13 Depth=1
	s_or_b64 exec, exec, s[6:7]
	s_and_saveexec_b64 s[6:7], s[98:99]
	s_cbranch_execnz .LBB156_287
.LBB156_240:                            ;   in Loop: Header=BB156_13 Depth=1
	s_or_b64 exec, exec, s[6:7]
	s_and_saveexec_b64 s[6:7], s[2:3]
	s_cbranch_execnz .LBB156_288
.LBB156_241:                            ;   in Loop: Header=BB156_13 Depth=1
	s_or_b64 exec, exec, s[6:7]
	s_and_saveexec_b64 s[6:7], s[34:35]
	s_cbranch_execnz .LBB156_289
.LBB156_242:                            ;   in Loop: Header=BB156_13 Depth=1
	s_or_b64 exec, exec, s[6:7]
	s_and_saveexec_b64 s[6:7], s[36:37]
	s_cbranch_execnz .LBB156_290
.LBB156_243:                            ;   in Loop: Header=BB156_13 Depth=1
	s_or_b64 exec, exec, s[6:7]
	s_and_saveexec_b64 s[6:7], s[38:39]
	s_cbranch_execnz .LBB156_291
.LBB156_244:                            ;   in Loop: Header=BB156_13 Depth=1
	s_or_b64 exec, exec, s[6:7]
	s_and_saveexec_b64 s[6:7], s[40:41]
	s_cbranch_execnz .LBB156_292
.LBB156_245:                            ;   in Loop: Header=BB156_13 Depth=1
	s_or_b64 exec, exec, s[6:7]
	s_and_saveexec_b64 s[6:7], s[42:43]
	s_cbranch_execnz .LBB156_293
.LBB156_246:                            ;   in Loop: Header=BB156_13 Depth=1
	s_or_b64 exec, exec, s[6:7]
	s_and_saveexec_b64 s[6:7], s[44:45]
	s_cbranch_execnz .LBB156_294
.LBB156_247:                            ;   in Loop: Header=BB156_13 Depth=1
	s_or_b64 exec, exec, s[6:7]
	s_and_saveexec_b64 s[6:7], s[46:47]
	s_cbranch_execnz .LBB156_295
.LBB156_248:                            ;   in Loop: Header=BB156_13 Depth=1
	s_or_b64 exec, exec, s[6:7]
	s_and_saveexec_b64 s[6:7], s[48:49]
	s_cbranch_execnz .LBB156_296
.LBB156_249:                            ;   in Loop: Header=BB156_13 Depth=1
	s_or_b64 exec, exec, s[6:7]
	s_and_saveexec_b64 s[6:7], s[50:51]
	s_cbranch_execnz .LBB156_297
.LBB156_250:                            ;   in Loop: Header=BB156_13 Depth=1
	s_or_b64 exec, exec, s[6:7]
	s_and_saveexec_b64 s[6:7], s[52:53]
	s_cbranch_execnz .LBB156_298
.LBB156_251:                            ;   in Loop: Header=BB156_13 Depth=1
	s_or_b64 exec, exec, s[6:7]
	s_and_saveexec_b64 s[6:7], s[54:55]
	s_cbranch_execnz .LBB156_299
.LBB156_252:                            ;   in Loop: Header=BB156_13 Depth=1
	s_or_b64 exec, exec, s[6:7]
	s_and_saveexec_b64 s[6:7], s[56:57]
	s_cbranch_execnz .LBB156_300
.LBB156_253:                            ;   in Loop: Header=BB156_13 Depth=1
	s_or_b64 exec, exec, s[6:7]
	s_and_saveexec_b64 s[6:7], s[58:59]
	s_cbranch_execz .LBB156_12
	s_branch .LBB156_301
.LBB156_254:                            ;   in Loop: Header=BB156_13 Depth=1
	global_load_dword v44, v[30:31], off offset:3328
	s_or_b64 exec, exec, s[6:7]
	s_and_saveexec_b64 s[6:7], s[56:57]
	s_cbranch_execz .LBB156_73
.LBB156_255:                            ;   in Loop: Header=BB156_13 Depth=1
	global_load_dword v43, v[30:31], off offset:3584
	s_or_b64 exec, exec, s[6:7]
	v_mov_b32_e32 v45, 0
	s_and_saveexec_b64 s[6:7], s[58:59]
	s_cbranch_execnz .LBB156_74
	s_branch .LBB156_75
.LBB156_256:                            ;   in Loop: Header=BB156_13 Depth=1
	ds_read_b32 v19, v95
	s_waitcnt lgkmcnt(0)
	global_store_dword v[4:5], v19, off
	s_or_b64 exec, exec, s[6:7]
	s_and_saveexec_b64 s[6:7], s[98:99]
	s_cbranch_execz .LBB156_206
.LBB156_257:                            ;   in Loop: Header=BB156_13 Depth=1
	s_waitcnt lgkmcnt(14)
	global_store_dword v[4:5], v18, off offset:256
	s_or_b64 exec, exec, s[6:7]
	s_and_saveexec_b64 s[6:7], s[2:3]
	s_cbranch_execz .LBB156_207
.LBB156_258:                            ;   in Loop: Header=BB156_13 Depth=1
	s_waitcnt lgkmcnt(13)
	global_store_dword v[4:5], v17, off offset:512
	s_or_b64 exec, exec, s[6:7]
	s_and_saveexec_b64 s[6:7], s[34:35]
	s_cbranch_execz .LBB156_208
.LBB156_259:                            ;   in Loop: Header=BB156_13 Depth=1
	s_waitcnt lgkmcnt(12)
	global_store_dword v[4:5], v16, off offset:768
	s_or_b64 exec, exec, s[6:7]
	s_and_saveexec_b64 s[6:7], s[36:37]
	s_cbranch_execz .LBB156_209
.LBB156_260:                            ;   in Loop: Header=BB156_13 Depth=1
	s_waitcnt lgkmcnt(11)
	global_store_dword v[4:5], v15, off offset:1024
	s_or_b64 exec, exec, s[6:7]
	s_and_saveexec_b64 s[6:7], s[38:39]
	s_cbranch_execz .LBB156_210
.LBB156_261:                            ;   in Loop: Header=BB156_13 Depth=1
	s_waitcnt lgkmcnt(10)
	global_store_dword v[4:5], v14, off offset:1280
	s_or_b64 exec, exec, s[6:7]
	s_and_saveexec_b64 s[6:7], s[40:41]
	s_cbranch_execz .LBB156_211
.LBB156_262:                            ;   in Loop: Header=BB156_13 Depth=1
	s_waitcnt lgkmcnt(9)
	global_store_dword v[4:5], v13, off offset:1536
	s_or_b64 exec, exec, s[6:7]
	s_and_saveexec_b64 s[6:7], s[42:43]
	s_cbranch_execz .LBB156_212
.LBB156_263:                            ;   in Loop: Header=BB156_13 Depth=1
	s_waitcnt lgkmcnt(8)
	global_store_dword v[4:5], v12, off offset:1792
	s_or_b64 exec, exec, s[6:7]
	s_and_saveexec_b64 s[6:7], s[44:45]
	s_cbranch_execz .LBB156_213
.LBB156_264:                            ;   in Loop: Header=BB156_13 Depth=1
	s_waitcnt lgkmcnt(7)
	global_store_dword v[4:5], v11, off offset:2048
	s_or_b64 exec, exec, s[6:7]
	s_and_saveexec_b64 s[6:7], s[46:47]
	s_cbranch_execz .LBB156_214
.LBB156_265:                            ;   in Loop: Header=BB156_13 Depth=1
	s_waitcnt lgkmcnt(6)
	global_store_dword v[4:5], v10, off offset:2304
	s_or_b64 exec, exec, s[6:7]
	s_and_saveexec_b64 s[6:7], s[48:49]
	s_cbranch_execz .LBB156_215
.LBB156_266:                            ;   in Loop: Header=BB156_13 Depth=1
	s_waitcnt lgkmcnt(5)
	global_store_dword v[4:5], v9, off offset:2560
	s_or_b64 exec, exec, s[6:7]
	s_and_saveexec_b64 s[6:7], s[50:51]
	s_cbranch_execz .LBB156_216
.LBB156_267:                            ;   in Loop: Header=BB156_13 Depth=1
	s_waitcnt lgkmcnt(4)
	global_store_dword v[4:5], v8, off offset:2816
	s_or_b64 exec, exec, s[6:7]
	s_and_saveexec_b64 s[6:7], s[52:53]
	s_cbranch_execz .LBB156_217
.LBB156_268:                            ;   in Loop: Header=BB156_13 Depth=1
	s_waitcnt lgkmcnt(3)
	global_store_dword v[4:5], v7, off offset:3072
	s_or_b64 exec, exec, s[6:7]
	s_and_saveexec_b64 s[6:7], s[54:55]
	s_cbranch_execz .LBB156_218
.LBB156_269:                            ;   in Loop: Header=BB156_13 Depth=1
	s_waitcnt lgkmcnt(2)
	global_store_dword v[4:5], v6, off offset:3328
	s_or_b64 exec, exec, s[6:7]
	s_and_saveexec_b64 s[6:7], s[56:57]
	s_cbranch_execz .LBB156_219
.LBB156_270:                            ;   in Loop: Header=BB156_13 Depth=1
	s_waitcnt lgkmcnt(1)
	global_store_dword v[4:5], v2, off offset:3584
	s_or_b64 exec, exec, s[6:7]
	s_and_saveexec_b64 s[6:7], s[58:59]
	s_cbranch_execnz .LBB156_220
	s_branch .LBB156_221
.LBB156_271:                            ;   in Loop: Header=BB156_13 Depth=1
	global_load_dword v1, v[46:47], off
	v_mov_b32_e32 v4, v3
	v_mov_b32_e32 v5, v3
	;; [unrolled: 1-line block ×14, first 2 shown]
	v_mov_b64_e32 v[18:19], v[16:17]
	v_mov_b64_e32 v[16:17], v[14:15]
	;; [unrolled: 1-line block ×8, first 2 shown]
	s_or_b64 exec, exec, s[6:7]
	s_and_saveexec_b64 s[6:7], s[98:99]
	s_cbranch_execz .LBB156_223
.LBB156_272:                            ;   in Loop: Header=BB156_13 Depth=1
	global_load_dword v5, v[46:47], off offset:256
	s_or_b64 exec, exec, s[6:7]
	s_and_saveexec_b64 s[6:7], s[2:3]
	s_cbranch_execz .LBB156_224
.LBB156_273:                            ;   in Loop: Header=BB156_13 Depth=1
	global_load_dword v6, v[46:47], off offset:512
	s_or_b64 exec, exec, s[6:7]
	s_and_saveexec_b64 s[6:7], s[34:35]
	s_cbranch_execz .LBB156_225
.LBB156_274:                            ;   in Loop: Header=BB156_13 Depth=1
	global_load_dword v7, v[46:47], off offset:768
	s_or_b64 exec, exec, s[6:7]
	s_and_saveexec_b64 s[6:7], s[36:37]
	s_cbranch_execz .LBB156_226
.LBB156_275:                            ;   in Loop: Header=BB156_13 Depth=1
	global_load_dword v8, v[46:47], off offset:1024
	s_or_b64 exec, exec, s[6:7]
	s_and_saveexec_b64 s[6:7], s[38:39]
	s_cbranch_execz .LBB156_227
.LBB156_276:                            ;   in Loop: Header=BB156_13 Depth=1
	global_load_dword v9, v[46:47], off offset:1280
	s_or_b64 exec, exec, s[6:7]
	s_and_saveexec_b64 s[6:7], s[40:41]
	s_cbranch_execz .LBB156_228
.LBB156_277:                            ;   in Loop: Header=BB156_13 Depth=1
	global_load_dword v10, v[46:47], off offset:1536
	s_or_b64 exec, exec, s[6:7]
	s_and_saveexec_b64 s[6:7], s[42:43]
	s_cbranch_execz .LBB156_229
.LBB156_278:                            ;   in Loop: Header=BB156_13 Depth=1
	global_load_dword v11, v[46:47], off offset:1792
	s_or_b64 exec, exec, s[6:7]
	s_and_saveexec_b64 s[6:7], s[44:45]
	s_cbranch_execz .LBB156_230
.LBB156_279:                            ;   in Loop: Header=BB156_13 Depth=1
	global_load_dword v12, v[46:47], off offset:2048
	s_or_b64 exec, exec, s[6:7]
	s_and_saveexec_b64 s[6:7], s[46:47]
	s_cbranch_execz .LBB156_231
.LBB156_280:                            ;   in Loop: Header=BB156_13 Depth=1
	global_load_dword v13, v[46:47], off offset:2304
	s_or_b64 exec, exec, s[6:7]
	s_and_saveexec_b64 s[6:7], s[48:49]
	s_cbranch_execz .LBB156_232
.LBB156_281:                            ;   in Loop: Header=BB156_13 Depth=1
	global_load_dword v14, v[46:47], off offset:2560
	s_or_b64 exec, exec, s[6:7]
	s_and_saveexec_b64 s[6:7], s[50:51]
	s_cbranch_execz .LBB156_233
.LBB156_282:                            ;   in Loop: Header=BB156_13 Depth=1
	global_load_dword v15, v[46:47], off offset:2816
	s_or_b64 exec, exec, s[6:7]
	s_and_saveexec_b64 s[6:7], s[52:53]
	s_cbranch_execz .LBB156_234
.LBB156_283:                            ;   in Loop: Header=BB156_13 Depth=1
	global_load_dword v16, v[46:47], off offset:3072
	s_or_b64 exec, exec, s[6:7]
	s_and_saveexec_b64 s[6:7], s[54:55]
	s_cbranch_execz .LBB156_235
.LBB156_284:                            ;   in Loop: Header=BB156_13 Depth=1
	global_load_dword v17, v[46:47], off offset:3328
	s_or_b64 exec, exec, s[6:7]
	s_and_saveexec_b64 s[6:7], s[56:57]
	s_cbranch_execz .LBB156_236
.LBB156_285:                            ;   in Loop: Header=BB156_13 Depth=1
	global_load_dword v18, v[46:47], off offset:3584
	s_or_b64 exec, exec, s[6:7]
	s_and_saveexec_b64 s[6:7], s[58:59]
	s_cbranch_execnz .LBB156_237
	s_branch .LBB156_238
.LBB156_286:                            ;   in Loop: Header=BB156_13 Depth=1
	ds_read_b32 v19, v95
	s_waitcnt lgkmcnt(0)
	global_store_dword v[4:5], v19, off
	s_or_b64 exec, exec, s[6:7]
	s_and_saveexec_b64 s[6:7], s[98:99]
	s_cbranch_execz .LBB156_240
.LBB156_287:                            ;   in Loop: Header=BB156_13 Depth=1
	s_waitcnt lgkmcnt(14)
	global_store_dword v[4:5], v18, off offset:256
	s_or_b64 exec, exec, s[6:7]
	s_and_saveexec_b64 s[6:7], s[2:3]
	s_cbranch_execz .LBB156_241
.LBB156_288:                            ;   in Loop: Header=BB156_13 Depth=1
	s_waitcnt lgkmcnt(13)
	global_store_dword v[4:5], v17, off offset:512
	s_or_b64 exec, exec, s[6:7]
	s_and_saveexec_b64 s[6:7], s[34:35]
	s_cbranch_execz .LBB156_242
.LBB156_289:                            ;   in Loop: Header=BB156_13 Depth=1
	s_waitcnt lgkmcnt(12)
	global_store_dword v[4:5], v16, off offset:768
	s_or_b64 exec, exec, s[6:7]
	s_and_saveexec_b64 s[6:7], s[36:37]
	s_cbranch_execz .LBB156_243
.LBB156_290:                            ;   in Loop: Header=BB156_13 Depth=1
	s_waitcnt lgkmcnt(11)
	global_store_dword v[4:5], v15, off offset:1024
	s_or_b64 exec, exec, s[6:7]
	s_and_saveexec_b64 s[6:7], s[38:39]
	s_cbranch_execz .LBB156_244
.LBB156_291:                            ;   in Loop: Header=BB156_13 Depth=1
	s_waitcnt lgkmcnt(10)
	global_store_dword v[4:5], v14, off offset:1280
	s_or_b64 exec, exec, s[6:7]
	s_and_saveexec_b64 s[6:7], s[40:41]
	s_cbranch_execz .LBB156_245
.LBB156_292:                            ;   in Loop: Header=BB156_13 Depth=1
	s_waitcnt lgkmcnt(9)
	global_store_dword v[4:5], v13, off offset:1536
	s_or_b64 exec, exec, s[6:7]
	s_and_saveexec_b64 s[6:7], s[42:43]
	s_cbranch_execz .LBB156_246
.LBB156_293:                            ;   in Loop: Header=BB156_13 Depth=1
	s_waitcnt lgkmcnt(8)
	global_store_dword v[4:5], v12, off offset:1792
	s_or_b64 exec, exec, s[6:7]
	s_and_saveexec_b64 s[6:7], s[44:45]
	s_cbranch_execz .LBB156_247
.LBB156_294:                            ;   in Loop: Header=BB156_13 Depth=1
	s_waitcnt lgkmcnt(7)
	global_store_dword v[4:5], v11, off offset:2048
	s_or_b64 exec, exec, s[6:7]
	s_and_saveexec_b64 s[6:7], s[46:47]
	s_cbranch_execz .LBB156_248
.LBB156_295:                            ;   in Loop: Header=BB156_13 Depth=1
	s_waitcnt lgkmcnt(6)
	global_store_dword v[4:5], v10, off offset:2304
	s_or_b64 exec, exec, s[6:7]
	s_and_saveexec_b64 s[6:7], s[48:49]
	s_cbranch_execz .LBB156_249
.LBB156_296:                            ;   in Loop: Header=BB156_13 Depth=1
	s_waitcnt lgkmcnt(5)
	global_store_dword v[4:5], v9, off offset:2560
	s_or_b64 exec, exec, s[6:7]
	s_and_saveexec_b64 s[6:7], s[50:51]
	s_cbranch_execz .LBB156_250
.LBB156_297:                            ;   in Loop: Header=BB156_13 Depth=1
	s_waitcnt lgkmcnt(4)
	global_store_dword v[4:5], v8, off offset:2816
	s_or_b64 exec, exec, s[6:7]
	s_and_saveexec_b64 s[6:7], s[52:53]
	s_cbranch_execz .LBB156_251
.LBB156_298:                            ;   in Loop: Header=BB156_13 Depth=1
	s_waitcnt lgkmcnt(3)
	global_store_dword v[4:5], v7, off offset:3072
	s_or_b64 exec, exec, s[6:7]
	s_and_saveexec_b64 s[6:7], s[54:55]
	s_cbranch_execz .LBB156_252
.LBB156_299:                            ;   in Loop: Header=BB156_13 Depth=1
	s_waitcnt lgkmcnt(2)
	global_store_dword v[4:5], v6, off offset:3328
	s_or_b64 exec, exec, s[6:7]
	s_and_saveexec_b64 s[6:7], s[56:57]
	s_cbranch_execz .LBB156_253
.LBB156_300:                            ;   in Loop: Header=BB156_13 Depth=1
	s_waitcnt lgkmcnt(1)
	global_store_dword v[4:5], v2, off offset:3584
	s_or_b64 exec, exec, s[6:7]
	s_and_saveexec_b64 s[6:7], s[58:59]
	s_cbranch_execz .LBB156_12
.LBB156_301:                            ;   in Loop: Header=BB156_13 Depth=1
	s_waitcnt lgkmcnt(0)
	global_store_dword v[4:5], v1, off offset:3840
	s_branch .LBB156_12
.LBB156_302:
	s_endpgm
	.section	.rodata,"a",@progbits
	.p2align	6, 0x0
	.amdhsa_kernel _Z25selective_scan_fwd_kernelI32Selective_Scan_fwd_kernel_traitsILi128ELi16ELi1ELb0ELb1ELb1ELb1ELb1EfffEEv13SSMParamsBase
		.amdhsa_group_segment_fixed_size 0
		.amdhsa_private_segment_fixed_size 0
		.amdhsa_kernarg_size 248
		.amdhsa_user_sgpr_count 2
		.amdhsa_user_sgpr_dispatch_ptr 0
		.amdhsa_user_sgpr_queue_ptr 0
		.amdhsa_user_sgpr_kernarg_segment_ptr 1
		.amdhsa_user_sgpr_dispatch_id 0
		.amdhsa_user_sgpr_kernarg_preload_length 0
		.amdhsa_user_sgpr_kernarg_preload_offset 0
		.amdhsa_user_sgpr_private_segment_size 0
		.amdhsa_uses_dynamic_stack 0
		.amdhsa_enable_private_segment 0
		.amdhsa_system_sgpr_workgroup_id_x 1
		.amdhsa_system_sgpr_workgroup_id_y 1
		.amdhsa_system_sgpr_workgroup_id_z 0
		.amdhsa_system_sgpr_workgroup_info 0
		.amdhsa_system_vgpr_workitem_id 0
		.amdhsa_next_free_vgpr 168
		.amdhsa_next_free_sgpr 100
		.amdhsa_accum_offset 168
		.amdhsa_reserve_vcc 1
		.amdhsa_float_round_mode_32 0
		.amdhsa_float_round_mode_16_64 0
		.amdhsa_float_denorm_mode_32 3
		.amdhsa_float_denorm_mode_16_64 3
		.amdhsa_dx10_clamp 1
		.amdhsa_ieee_mode 1
		.amdhsa_fp16_overflow 0
		.amdhsa_tg_split 0
		.amdhsa_exception_fp_ieee_invalid_op 0
		.amdhsa_exception_fp_denorm_src 0
		.amdhsa_exception_fp_ieee_div_zero 0
		.amdhsa_exception_fp_ieee_overflow 0
		.amdhsa_exception_fp_ieee_underflow 0
		.amdhsa_exception_fp_ieee_inexact 0
		.amdhsa_exception_int_div_zero 0
	.end_amdhsa_kernel
	.section	.text._Z25selective_scan_fwd_kernelI32Selective_Scan_fwd_kernel_traitsILi128ELi16ELi1ELb0ELb1ELb1ELb1ELb1EfffEEv13SSMParamsBase,"axG",@progbits,_Z25selective_scan_fwd_kernelI32Selective_Scan_fwd_kernel_traitsILi128ELi16ELi1ELb0ELb1ELb1ELb1ELb1EfffEEv13SSMParamsBase,comdat
.Lfunc_end156:
	.size	_Z25selective_scan_fwd_kernelI32Selective_Scan_fwd_kernel_traitsILi128ELi16ELi1ELb0ELb1ELb1ELb1ELb1EfffEEv13SSMParamsBase, .Lfunc_end156-_Z25selective_scan_fwd_kernelI32Selective_Scan_fwd_kernel_traitsILi128ELi16ELi1ELb0ELb1ELb1ELb1ELb1EfffEEv13SSMParamsBase
                                        ; -- End function
	.section	.AMDGPU.csdata,"",@progbits
; Kernel info:
; codeLenInByte = 25156
; NumSgprs: 106
; NumVgprs: 168
; NumAgprs: 0
; TotalNumVgprs: 168
; ScratchSize: 0
; MemoryBound: 0
; FloatMode: 240
; IeeeMode: 1
; LDSByteSize: 0 bytes/workgroup (compile time only)
; SGPRBlocks: 13
; VGPRBlocks: 20
; NumSGPRsForWavesPerEU: 106
; NumVGPRsForWavesPerEU: 168
; AccumOffset: 168
; Occupancy: 3
; WaveLimiterHint : 1
; COMPUTE_PGM_RSRC2:SCRATCH_EN: 0
; COMPUTE_PGM_RSRC2:USER_SGPR: 2
; COMPUTE_PGM_RSRC2:TRAP_HANDLER: 0
; COMPUTE_PGM_RSRC2:TGID_X_EN: 1
; COMPUTE_PGM_RSRC2:TGID_Y_EN: 1
; COMPUTE_PGM_RSRC2:TGID_Z_EN: 0
; COMPUTE_PGM_RSRC2:TIDIG_COMP_CNT: 0
; COMPUTE_PGM_RSRC3_GFX90A:ACCUM_OFFSET: 41
; COMPUTE_PGM_RSRC3_GFX90A:TG_SPLIT: 0
	.section	.text._Z25selective_scan_fwd_kernelI32Selective_Scan_fwd_kernel_traitsILi128ELi16ELi1ELb0ELb1ELb1ELb1ELb0EfffEEv13SSMParamsBase,"axG",@progbits,_Z25selective_scan_fwd_kernelI32Selective_Scan_fwd_kernel_traitsILi128ELi16ELi1ELb0ELb1ELb1ELb1ELb0EfffEEv13SSMParamsBase,comdat
	.protected	_Z25selective_scan_fwd_kernelI32Selective_Scan_fwd_kernel_traitsILi128ELi16ELi1ELb0ELb1ELb1ELb1ELb0EfffEEv13SSMParamsBase ; -- Begin function _Z25selective_scan_fwd_kernelI32Selective_Scan_fwd_kernel_traitsILi128ELi16ELi1ELb0ELb1ELb1ELb1ELb0EfffEEv13SSMParamsBase
	.globl	_Z25selective_scan_fwd_kernelI32Selective_Scan_fwd_kernel_traitsILi128ELi16ELi1ELb0ELb1ELb1ELb1ELb0EfffEEv13SSMParamsBase
	.p2align	8
	.type	_Z25selective_scan_fwd_kernelI32Selective_Scan_fwd_kernel_traitsILi128ELi16ELi1ELb0ELb1ELb1ELb1ELb0EfffEEv13SSMParamsBase,@function
_Z25selective_scan_fwd_kernelI32Selective_Scan_fwd_kernel_traitsILi128ELi16ELi1ELb0ELb1ELb1ELb1ELb0EfffEEv13SSMParamsBase: ; @_Z25selective_scan_fwd_kernelI32Selective_Scan_fwd_kernel_traitsILi128ELi16ELi1ELb0ELb1ELb1ELb1ELb0EfffEEv13SSMParamsBase
; %bb.0:
	s_load_dword s27, s[0:1], 0x18
	s_load_dwordx4 s[4:7], s[0:1], 0xe8
	s_mov_b32 s24, s3
                                        ; implicit-def: $vgpr166 : SGPR spill to VGPR lane
	s_waitcnt lgkmcnt(0)
	s_abs_i32 s26, s27
	v_cvt_f32_u32_e32 v1, s26
	s_cmp_eq_u64 s[6:7], 0
	v_rcp_iflag_f32_e32 v1, v1
	s_nop 0
	v_mul_f32_e32 v1, 0x4f7ffffe, v1
	v_cvt_u32_f32_e32 v1, v1
	s_nop 0
	v_readfirstlane_b32 s28, v1
	s_cbranch_scc1 .LBB157_2
; %bb.1:
	s_ashr_i32 s3, s2, 31
	s_add_u32 s6, s6, s2
	s_addc_u32 s7, s7, s3
	v_mov_b32_e32 v1, 0
	global_load_ubyte v1, v1, s[6:7]
	s_waitcnt vmcnt(0)
	v_and_b32_e32 v1, 1, v1
	v_cmp_eq_u32_e64 s[6:7], 1, v1
	s_branch .LBB157_3
.LBB157_2:
	s_mov_b64 s[6:7], 0
.LBB157_3:
	s_load_dwordx2 s[8:9], s[0:1], 0x20
	v_writelane_b32 v166, s6, 0
	s_cmp_eq_u64 s[4:5], 0
	s_nop 0
	v_writelane_b32 v166, s7, 1
	s_cbranch_scc1 .LBB157_5
; %bb.4:
	s_ashr_i32 s3, s2, 31
	s_lshl_b64 s[6:7], s[2:3], 2
	s_add_u32 s4, s4, s6
	s_addc_u32 s5, s5, s7
	s_load_dword s6, s[4:5], 0x0
	s_waitcnt lgkmcnt(0)
	s_ashr_i32 s7, s6, 31
	s_cmp_eq_u64 s[8:9], s[6:7]
	s_cbranch_scc0 .LBB157_6
	s_branch .LBB157_302
.LBB157_5:
	s_mov_b32 s6, s2
	s_ashr_i32 s7, s6, 31
	s_waitcnt lgkmcnt(0)
	s_cmp_eq_u64 s[8:9], s[6:7]
	s_cbranch_scc1 .LBB157_302
.LBB157_6:
	s_load_dwordx16 s[8:23], s[0:1], 0x88
	s_load_dwordx2 s[92:93], s[0:1], 0x8
	s_mov_b32 s3, 0
	s_mov_b32 s62, 0
	v_writelane_b32 v166, s3, 2
	s_waitcnt lgkmcnt(0)
	s_cmp_eq_u64 s[14:15], 0
	s_cbranch_scc1 .LBB157_8
; %bb.7:
	s_ashr_i32 s25, s24, 31
	s_lshl_b64 s[4:5], s[24:25], 2
	s_add_u32 s4, s14, s4
	s_addc_u32 s5, s15, s5
	s_load_dword s3, s[4:5], 0x0
	s_waitcnt lgkmcnt(0)
	v_writelane_b32 v166, s3, 2
.LBB157_8:
	s_cmp_eq_u64 s[20:21], 0
	s_cbranch_scc1 .LBB157_10
; %bb.9:
	s_ashr_i32 s25, s24, 31
	s_lshl_b64 s[4:5], s[24:25], 2
	s_add_u32 s4, s20, s4
	s_addc_u32 s5, s21, s5
	s_load_dword s62, s[4:5], 0x0
.LBB157_10:
	s_cmp_lt_i32 s92, 1
	s_cbranch_scc1 .LBB157_302
; %bb.11:
	s_sub_i32 s3, 0, s26
	s_mul_i32 s3, s3, s28
	s_mul_hi_u32 s3, s28, s3
	s_abs_i32 s4, s24
	s_add_i32 s28, s28, s3
	s_mul_hi_u32 s3, s4, s28
	s_ashr_i32 s5, s24, 31
	s_ashr_i32 s7, s27, 31
	s_xor_b32 s5, s5, s7
	s_mul_i32 s7, s3, s26
	s_sub_i32 s4, s4, s7
	s_add_i32 s7, s3, 1
	s_sub_i32 s14, s4, s26
	s_cmp_ge_u32 s4, s26
	s_load_dwordx8 s[36:43], s[0:1], 0x2c
	s_load_dwordx8 s[44:51], s[0:1], 0x4c
	s_cselect_b32 s3, s7, s3
	s_cselect_b32 s4, s14, s4
	s_add_i32 s7, s3, 1
	s_cmp_ge_u32 s4, s26
	s_cselect_b32 s3, s7, s3
	s_xor_b32 s3, s3, s5
	s_sub_i32 s3, s3, s5
	s_waitcnt lgkmcnt(0)
	s_mul_i32 s4, s46, s2
	s_mov_b32 s5, 0
	s_lshl_b64 s[14:15], s[4:5], 2
	s_add_u32 s7, s16, s14
	s_mul_i32 s4, s47, s24
	s_addc_u32 s16, s17, s15
	s_lshl_b64 s[14:15], s[4:5], 2
	s_add_u32 s20, s7, s14
	s_mul_i32 s4, s48, s2
	s_addc_u32 s21, s16, s15
	;; [unrolled: 4-line block ×3, first 2 shown]
	s_lshl_b64 s[14:15], s[4:5], 2
	s_add_u32 s14, s7, s14
	s_addc_u32 s15, s16, s15
	v_writelane_b32 v166, s14, 3
	s_mul_i32 s4, s36, s24
	s_load_dwordx2 s[16:17], s[0:1], 0x7c
	v_writelane_b32 v166, s15, 4
	s_lshl_b64 s[14:15], s[4:5], 2
	s_add_u32 s4, s8, s14
	v_writelane_b32 v166, s4, 5
	s_addc_u32 s4, s9, s15
	v_writelane_b32 v166, s4, 6
	s_mul_i32 s4, s38, s2
	s_lshl_b64 s[8:9], s[4:5], 2
	s_add_u32 s7, s10, s8
	s_mul_i32 s4, s3, s41
	s_addc_u32 s10, s11, s9
	s_lshl_b64 s[8:9], s[4:5], 2
	s_add_u32 s26, s7, s8
	v_writelane_b32 v166, s36, 7
	s_mul_i32 s4, s42, s2
	s_addc_u32 s27, s10, s9
	s_lshl_b64 s[8:9], s[4:5], 2
	s_add_u32 s7, s12, s8
	s_mul_i32 s4, s3, s45
	s_load_dword s3, s[0:1], 0x84
	v_writelane_b32 v166, s37, 8
	s_addc_u32 s10, s13, s9
	s_lshl_b64 s[8:9], s[4:5], 2
	v_writelane_b32 v166, s38, 9
	s_add_u32 s28, s7, s8
	v_writelane_b32 v166, s39, 10
	s_addc_u32 s29, s10, s9
	s_load_dwordx4 s[8:11], s[0:1], 0x6c
	s_load_dwordx4 s[12:15], s[0:1], 0xc8
	v_writelane_b32 v166, s40, 11
	v_writelane_b32 v166, s41, 12
	;; [unrolled: 1-line block ×3, first 2 shown]
	s_waitcnt lgkmcnt(0)
	s_mul_i32 s4, s6, s16
	v_writelane_b32 v166, s43, 14
	s_lshl_b64 s[6:7], s[4:5], 2
	s_mul_i32 s4, s17, s24
	v_writelane_b32 v166, s3, 15
	s_add_u32 s3, s12, s6
	s_addc_u32 s12, s13, s7
	s_lshl_b64 s[6:7], s[4:5], 2
	s_load_dword s4, s[0:1], 0x28
	s_add_u32 s3, s3, s6
	v_writelane_b32 v166, s3, 16
	s_addc_u32 s3, s12, s7
	v_mbcnt_lo_u32_b32 v1, -1, 0
	v_lshlrev_b32_e32 v21, 4, v0
	v_writelane_b32 v166, s3, 17
	s_add_i32 s3, s92, 0x7ff
	v_mbcnt_hi_u32_b32 v20, -1, v1
	v_and_b32_e32 v4, 0x400, v21
	s_lshr_b32 s3, s3, 11
	v_or_b32_e32 v80, v20, v4
	s_waitcnt lgkmcnt(0)
	s_bitcmp1_b32 s4, 0
	v_lshrrev_b32_e32 v1, 5, v80
	s_cselect_b64 s[6:7], -1, 0
	v_add_u32_e32 v2, 64, v80
	v_or_b32_e32 v5, 0x80, v80
	v_add_u32_e32 v1, v1, v80
	v_writelane_b32 v166, s6, 18
	s_cmp_gt_i32 s93, 0
	v_add_u32_e32 v6, 0xc0, v80
	v_lshl_add_u32 v95, v1, 2, 0
	v_lshrrev_b32_e32 v1, 5, v2
	v_lshrrev_b32_e32 v2, 5, v5
	v_writelane_b32 v166, s7, 19
	s_cselect_b64 s[6:7], -1, 0
	v_or_b32_e32 v7, 0x100, v80
	v_add_lshl_u32 v5, v2, v80, 2
	v_lshrrev_b32_e32 v2, 5, v6
	v_writelane_b32 v166, s6, 20
	v_add_u32_e32 v8, 0x140, v80
	v_add_lshl_u32 v10, v2, v80, 2
	v_lshrrev_b32_e32 v2, 5, v7
	s_mul_i32 s4, s8, s2
	v_writelane_b32 v166, s7, 21
	v_or_b32_e32 v9, 0x180, v80
	v_add_lshl_u32 v11, v2, v80, 2
	v_lshrrev_b32_e32 v2, 5, v8
	s_add_i32 s12, 0, 0x2100
	s_and_b32 s13, s92, 0x7ff
	v_writelane_b32 v166, s3, 22
	s_add_i32 s3, s3, -1
	s_lshl_b64 s[6:7], s[4:5], 2
	v_add_u32_e32 v14, 0x1c0, v80
	v_add_lshl_u32 v12, v2, v80, 2
	v_lshrrev_b32_e32 v2, 5, v9
	v_writelane_b32 v166, s3, 23
	s_add_u32 s3, s22, s6
	v_or_b32_e32 v15, 0x200, v80
	v_add_lshl_u32 v13, v2, v80, 2
	v_lshrrev_b32_e32 v2, 5, v14
	s_mul_i32 s4, s9, s24
	s_addc_u32 s8, s23, s7
	v_add_u32_e32 v16, 0x240, v80
	v_add_lshl_u32 v14, v2, v80, 2
	v_lshrrev_b32_e32 v2, 5, v15
	s_lshl_b64 s[6:7], s[4:5], 2
	v_or_b32_e32 v17, 0x280, v80
	v_add_lshl_u32 v15, v2, v80, 2
	v_lshrrev_b32_e32 v2, 5, v16
	s_add_u32 s6, s3, s6
	s_mul_i32 s4, s50, s2
	s_load_dwordx2 s[0:1], s[0:1], 0xd8
	v_add_u32_e32 v18, 0x2c0, v80
	v_add_lshl_u32 v16, v2, v80, 2
	v_lshrrev_b32_e32 v2, 5, v17
	s_addc_u32 s7, s8, s7
	s_lshl_b64 s[8:9], s[4:5], 2
	v_or_b32_e32 v91, 0x300, v80
	v_add_lshl_u32 v17, v2, v80, 2
	v_lshrrev_b32_e32 v2, 5, v18
	s_add_u32 s3, s14, s8
	v_writelane_b32 v166, s44, 24
	s_mul_i32 s4, s51, s24
	v_add_u32_e32 v22, 0x340, v80
	v_add_lshl_u32 v18, v2, v80, 2
	v_lshrrev_b32_e32 v2, 5, v91
	s_addc_u32 s14, s15, s9
	v_writelane_b32 v166, s45, 25
	s_lshl_b64 s[8:9], s[4:5], 2
	v_add_lshl_u32 v19, v2, v80, 2
	v_lshrrev_b32_e32 v2, 5, v22
	v_writelane_b32 v166, s46, 26
	s_add_u32 s8, s3, s8
	s_mul_i32 s4, s10, s2
	v_add_lshl_u32 v28, v2, v80, 2
	v_and_b32_e32 v2, 64, v0
	v_writelane_b32 v166, s47, 27
	s_addc_u32 s9, s14, s9
	s_lshl_b64 s[2:3], s[4:5], 2
	v_add_u32_e32 v6, v20, v2
	v_writelane_b32 v166, s48, 28
	s_waitcnt lgkmcnt(0)
	s_add_u32 s2, s0, s2
	s_mul_i32 s4, s11, s24
	v_lshlrev_b32_e32 v7, 4, v6
	v_bfe_u32 v6, v6, 1, 27
	v_writelane_b32 v166, s49, 29
	s_addc_u32 s3, s1, s3
	s_lshl_b64 s[0:1], s[4:5], 2
	v_add_lshl_u32 v29, v6, v7, 2
	v_writelane_b32 v166, s50, 30
	s_add_u32 s10, s2, s0
	v_and_b32_e32 v6, 15, v20
	v_writelane_b32 v166, s51, 31
	s_addc_u32 s11, s3, s1
	v_cmp_lt_u32_e64 s[2:3], 1, v6
	v_cmp_eq_u32_e64 s[0:1], 0, v6
	v_or_b32_e32 v2, 63, v2
	v_writelane_b32 v166, s2, 32
	v_mov_b32_e32 v3, 0
	s_cmp_eq_u32 s13, 0
	v_writelane_b32 v166, s3, 33
	v_cmp_lt_u32_e64 s[2:3], 3, v6
	v_lshlrev_b32_e32 v8, 2, v4
	v_mov_b32_e32 v9, v3
	v_writelane_b32 v166, s2, 34
	v_or_b32_e32 v94, 0x380, v80
	v_add_lshl_u32 v1, v1, v80, 2
	v_writelane_b32 v166, s3, 35
	v_cmp_lt_u32_e64 s[2:3], 7, v6
	v_and_b32_e32 v6, 16, v20
	v_add_u32_e32 v96, 0x3c0, v80
	v_writelane_b32 v166, s2, 36
	v_add_u32_e32 v97, 0, v1
	v_add_u32_e32 v98, s12, v1
	v_writelane_b32 v166, s3, 37
	v_cmp_ne_u32_e64 s[2:3], 0, v6
	v_lshrrev_b32_e32 v1, 3, v0
	v_and_b32_e32 v1, 8, v1
	v_writelane_b32 v166, s2, 38
	v_cmp_eq_u32_e64 s[22:23], 0, v0
	v_lshl_add_u32 v130, v0, 3, 0
	v_writelane_b32 v166, s3, 39
	v_cmp_eq_u32_e64 s[2:3], v2, v0
	v_and_b32_e32 v2, 1, v20
	v_add_u32_e32 v99, 0, v5
	v_writelane_b32 v166, s2, 40
	v_add_u32_e32 v100, s12, v5
	v_add_u32_e32 v101, 0, v10
	v_writelane_b32 v166, s3, 41
	v_cmp_eq_u32_e64 s[2:3], 0, v2
	v_lshlrev_b32_e32 v2, 2, v20
	v_lshl_add_u64 v[6:7], s[6:7], 0, v[2:3]
	v_writelane_b32 v166, s2, 42
	s_cselect_b64 s[6:7], -1, 0
	v_lshl_add_u64 v[22:23], v[6:7], 0, v[8:9]
	v_writelane_b32 v166, s3, 43
	v_writelane_b32 v166, s6, 44
	v_lshl_add_u64 v[6:7], s[8:9], 0, v[2:3]
	v_lshl_add_u64 v[24:25], v[6:7], 0, v[8:9]
	v_writelane_b32 v166, s7, 45
	v_cmp_lt_u32_e64 s[6:7], 31, v20
	v_lshl_add_u64 v[6:7], s[10:11], 0, v[2:3]
	s_add_i32 s4, 0, 0x4210
	v_writelane_b32 v166, s6, 46
	v_lshl_add_u64 v[26:27], v[6:7], 0, v[8:9]
	v_add_u32_e32 v2, -1, v20
	v_writelane_b32 v166, s7, 47
	v_cmp_gt_u32_e64 s[6:7], 2, v0
	v_and_b32_e32 v6, 64, v20
	v_lshrrev_b32_e32 v7, 5, v94
	v_writelane_b32 v166, s6, 48
	v_lshrrev_b32_e32 v8, 5, v96
	v_cmp_lt_i32_e32 vcc, v2, v6
	v_writelane_b32 v166, s7, 49
	v_cmp_gt_u32_e64 s[6:7], 64, v0
	s_mov_b64 s[2:3], s[20:21]
	v_add_lshl_u32 v7, v7, v80, 2
	v_writelane_b32 v166, s6, 50
	v_add_lshl_u32 v8, v8, v80, 2
	v_cmp_lt_u32_e64 s[20:21], 63, v0
	v_writelane_b32 v166, s7, 51
	v_writelane_b32 v166, s4, 52
	;; [unrolled: 1-line block ×3, first 2 shown]
	v_cndmask_b32_e32 v0, v2, v20, vcc
	v_add_u32_e32 v102, s12, v10
	v_writelane_b32 v166, s93, 54
	v_add_u32_e32 v103, 0, v11
	v_add_u32_e32 v104, s12, v11
	;; [unrolled: 1-line block ×27, first 2 shown]
	v_lshlrev_b32_e32 v131, 2, v0
	v_cmp_eq_u32_e64 s[94:95], 0, v20
	v_lshlrev_b32_e32 v0, 2, v4
	s_mov_b32 s33, 0xc2fc0000
	s_mov_b32 s24, 0
	v_mov_b32_e32 v147, 0x3ecc95a3
	v_mov_b32_e32 v148, 0x7f800000
	;; [unrolled: 1-line block ×5, first 2 shown]
	v_writelane_b32 v166, s62, 55
                                        ; implicit-def: $vgpr1
	s_branch .LBB157_13
.LBB157_12:                             ;   in Loop: Header=BB157_13 Depth=1
	s_or_b64 exec, exec, s[6:7]
	v_readlane_b32 s2, v166, 3
	v_readlane_b32 s3, v166, 4
	s_add_u32 s2, s2, 0x2000
	s_addc_u32 s3, s3, 0
	v_writelane_b32 v166, s2, 3
	s_nop 1
	v_writelane_b32 v166, s3, 4
	s_nop 0
	v_readlane_b32 s2, v166, 58
	v_readlane_b32 s3, v166, 59
	s_add_u32 s2, s2, 0x2000
	s_addc_u32 s3, s3, 0
	s_add_u32 s26, s26, 0x2000
	s_addc_u32 s27, s27, 0
	;; [unrolled: 2-line block ×3, first 2 shown]
	s_add_i32 s24, s24, 1
	v_readlane_b32 s4, v166, 22
	s_cmp_lg_u32 s24, s4
	s_cbranch_scc0 .LBB157_302
.LBB157_13:                             ; =>This Loop Header: Depth=1
                                        ;     Child Loop BB157_110 Depth 2
	s_lshl_b32 s6, s24, 11
	s_mov_b32 s4, s6
	v_writelane_b32 v166, s4, 56
	s_waitcnt lgkmcnt(1)
	v_lshlrev_b32_e32 v2, 2, v20
	s_sub_i32 s10, s92, s6
	v_writelane_b32 v166, s5, 57
	v_writelane_b32 v166, s2, 58
	s_waitcnt lgkmcnt(0)
	v_mov_b32_e32 v1, v3
	v_cmp_gt_u32_e64 s[96:97], s10, v80
	v_lshl_add_u64 v[4:5], s[2:3], 0, v[2:3]
	v_writelane_b32 v166, s3, 59
	v_lshl_add_u64 v[4:5], v[4:5], 0, v[0:1]
	v_mov_b32_e32 v1, 0
	s_barrier
	s_and_saveexec_b64 s[6:7], s[96:97]
	s_cbranch_execz .LBB157_15
; %bb.14:                               ;   in Loop: Header=BB157_13 Depth=1
	global_load_dword v1, v[4:5], off
.LBB157_15:                             ;   in Loop: Header=BB157_13 Depth=1
	s_or_b64 exec, exec, s[6:7]
	v_add_u32_e32 v6, 64, v80
	v_cmp_gt_u32_e64 s[98:99], s10, v6
	v_mov_b32_e32 v6, 0
	v_mov_b32_e32 v7, 0
	s_and_saveexec_b64 s[6:7], s[98:99]
	s_cbranch_execz .LBB157_17
; %bb.16:                               ;   in Loop: Header=BB157_13 Depth=1
	global_load_dword v7, v[4:5], off offset:256
.LBB157_17:                             ;   in Loop: Header=BB157_13 Depth=1
	s_or_b64 exec, exec, s[6:7]
	v_or_b32_e32 v8, 0x80, v80
	v_cmp_gt_u32_e64 s[2:3], s10, v8
	s_and_saveexec_b64 s[6:7], s[2:3]
	s_cbranch_execz .LBB157_19
; %bb.18:                               ;   in Loop: Header=BB157_13 Depth=1
	global_load_dword v6, v[4:5], off offset:512
.LBB157_19:                             ;   in Loop: Header=BB157_13 Depth=1
	s_or_b64 exec, exec, s[6:7]
	v_add_u32_e32 v8, 0xc0, v80
	v_cmp_gt_u32_e64 s[34:35], s10, v8
	v_mov_b32_e32 v8, 0
	v_mov_b32_e32 v9, 0
	s_and_saveexec_b64 s[6:7], s[34:35]
	s_cbranch_execz .LBB157_21
; %bb.20:                               ;   in Loop: Header=BB157_13 Depth=1
	global_load_dword v9, v[4:5], off offset:768
.LBB157_21:                             ;   in Loop: Header=BB157_13 Depth=1
	s_or_b64 exec, exec, s[6:7]
	v_or_b32_e32 v10, 0x100, v80
	v_cmp_gt_u32_e64 s[36:37], s10, v10
	s_and_saveexec_b64 s[6:7], s[36:37]
	s_cbranch_execz .LBB157_23
; %bb.22:                               ;   in Loop: Header=BB157_13 Depth=1
	global_load_dword v8, v[4:5], off offset:1024
.LBB157_23:                             ;   in Loop: Header=BB157_13 Depth=1
	;; [unrolled: 18-line block ×5, first 2 shown]
	s_or_b64 exec, exec, s[6:7]
	v_add_u32_e32 v16, 0x2c0, v80
	v_cmp_gt_u32_e64 s[50:51], s10, v16
	v_mov_b32_e32 v16, 0
	v_mov_b32_e32 v17, 0
	s_and_saveexec_b64 s[6:7], s[50:51]
	s_cbranch_execz .LBB157_37
; %bb.36:                               ;   in Loop: Header=BB157_13 Depth=1
	global_load_dword v17, v[4:5], off offset:2816
.LBB157_37:                             ;   in Loop: Header=BB157_13 Depth=1
	s_or_b64 exec, exec, s[6:7]
	v_cmp_gt_u32_e64 s[52:53], s10, v91
	s_and_saveexec_b64 s[6:7], s[52:53]
	s_cbranch_execz .LBB157_39
; %bb.38:                               ;   in Loop: Header=BB157_13 Depth=1
	global_load_dword v16, v[4:5], off offset:3072
.LBB157_39:                             ;   in Loop: Header=BB157_13 Depth=1
	s_or_b64 exec, exec, s[6:7]
	v_add_u32_e32 v18, 0x340, v80
	v_cmp_gt_u32_e64 s[54:55], s10, v18
	v_mov_b32_e32 v18, 0
	v_mov_b32_e32 v19, 0
	s_and_saveexec_b64 s[6:7], s[54:55]
	s_cbranch_execz .LBB157_41
; %bb.40:                               ;   in Loop: Header=BB157_13 Depth=1
	global_load_dword v19, v[4:5], off offset:3328
.LBB157_41:                             ;   in Loop: Header=BB157_13 Depth=1
	s_or_b64 exec, exec, s[6:7]
	v_cmp_gt_u32_e64 s[56:57], s10, v94
	s_and_saveexec_b64 s[6:7], s[56:57]
	s_cbranch_execz .LBB157_43
; %bb.42:                               ;   in Loop: Header=BB157_13 Depth=1
	global_load_dword v18, v[4:5], off offset:3584
.LBB157_43:                             ;   in Loop: Header=BB157_13 Depth=1
	s_or_b64 exec, exec, s[6:7]
	v_cmp_gt_u32_e64 s[58:59], s10, v96
	v_mov_b32_e32 v29, 0
	v_mov_b32_e32 v30, 0
	s_and_saveexec_b64 s[6:7], s[58:59]
	s_cbranch_execz .LBB157_45
; %bb.44:                               ;   in Loop: Header=BB157_13 Depth=1
	global_load_dword v30, v[4:5], off offset:3840
.LBB157_45:                             ;   in Loop: Header=BB157_13 Depth=1
	s_or_b64 exec, exec, s[6:7]
	s_waitcnt vmcnt(0)
	ds_write_b32 v95, v1
	ds_write_b32 v97, v7 offset:256
	ds_write_b32 v99, v6 offset:512
	;; [unrolled: 1-line block ×15, first 2 shown]
	; wave barrier
	ds_read2_b32 v[4:5], v127 offset1:1
	ds_read2_b32 v[6:7], v127 offset0:2 offset1:3
	ds_read2_b32 v[8:9], v127 offset0:4 offset1:5
	;; [unrolled: 1-line block ×7, first 2 shown]
	v_readlane_b32 s6, v166, 3
	v_readlane_b32 s7, v166, 4
	v_mov_b32_e32 v1, v3
	s_waitcnt lgkmcnt(0)
	v_lshl_add_u64 v[30:31], s[6:7], 0, v[2:3]
	v_lshl_add_u64 v[30:31], v[30:31], 0, v[0:1]
	s_barrier
	s_and_saveexec_b64 s[6:7], s[96:97]
	s_cbranch_execz .LBB157_47
; %bb.46:                               ;   in Loop: Header=BB157_13 Depth=1
	global_load_dword v29, v[30:31], off
.LBB157_47:                             ;   in Loop: Header=BB157_13 Depth=1
	s_or_b64 exec, exec, s[6:7]
	v_mov_b32_e32 v1, 0
	v_mov_b32_e32 v32, 0
	s_and_saveexec_b64 s[6:7], s[98:99]
	s_cbranch_execz .LBB157_49
; %bb.48:                               ;   in Loop: Header=BB157_13 Depth=1
	global_load_dword v32, v[30:31], off offset:256
.LBB157_49:                             ;   in Loop: Header=BB157_13 Depth=1
	s_or_b64 exec, exec, s[6:7]
	s_and_saveexec_b64 s[6:7], s[2:3]
	s_cbranch_execz .LBB157_51
; %bb.50:                               ;   in Loop: Header=BB157_13 Depth=1
	global_load_dword v1, v[30:31], off offset:512
.LBB157_51:                             ;   in Loop: Header=BB157_13 Depth=1
	s_or_b64 exec, exec, s[6:7]
	v_mov_b32_e32 v33, 0
	v_mov_b32_e32 v34, 0
	s_and_saveexec_b64 s[6:7], s[34:35]
	s_cbranch_execz .LBB157_53
; %bb.52:                               ;   in Loop: Header=BB157_13 Depth=1
	global_load_dword v34, v[30:31], off offset:768
.LBB157_53:                             ;   in Loop: Header=BB157_13 Depth=1
	s_or_b64 exec, exec, s[6:7]
	s_and_saveexec_b64 s[6:7], s[36:37]
	s_cbranch_execz .LBB157_55
; %bb.54:                               ;   in Loop: Header=BB157_13 Depth=1
	global_load_dword v33, v[30:31], off offset:1024
.LBB157_55:                             ;   in Loop: Header=BB157_13 Depth=1
	;; [unrolled: 14-line block ×6, first 2 shown]
	s_or_b64 exec, exec, s[6:7]
	v_mov_b32_e32 v43, 0
	v_mov_b32_e32 v44, 0
	s_and_saveexec_b64 s[6:7], s[54:55]
	s_cbranch_execnz .LBB157_254
; %bb.72:                               ;   in Loop: Header=BB157_13 Depth=1
	s_or_b64 exec, exec, s[6:7]
	s_and_saveexec_b64 s[6:7], s[56:57]
	s_cbranch_execnz .LBB157_255
.LBB157_73:                             ;   in Loop: Header=BB157_13 Depth=1
	s_or_b64 exec, exec, s[6:7]
	v_mov_b32_e32 v45, 0
	s_and_saveexec_b64 s[6:7], s[58:59]
	s_cbranch_execz .LBB157_75
.LBB157_74:                             ;   in Loop: Header=BB157_13 Depth=1
	global_load_dword v45, v[30:31], off offset:3840
.LBB157_75:                             ;   in Loop: Header=BB157_13 Depth=1
	s_or_b64 exec, exec, s[6:7]
	s_waitcnt vmcnt(0)
	ds_write_b32 v95, v29
	ds_write_b32 v97, v32 offset:256
	ds_write_b32 v99, v1 offset:512
	;; [unrolled: 1-line block ×15, first 2 shown]
	; wave barrier
	ds_read2_b32 v[44:45], v127 offset1:1
	ds_read2_b32 v[42:43], v127 offset0:2 offset1:3
	ds_read2_b32 v[40:41], v127 offset0:4 offset1:5
	;; [unrolled: 1-line block ×7, first 2 shown]
	s_waitcnt lgkmcnt(7)
	v_add_f32_e32 v151, s62, v44
	s_mov_b32 s4, 0x41a00000
	v_readlane_b32 s6, v166, 18
	v_cmp_ge_f32_e32 vcc, s4, v151
	v_readlane_b32 s7, v166, 19
	s_and_b64 s[8:9], s[6:7], vcc
	s_and_saveexec_b64 s[6:7], s[8:9]
	s_cbranch_execz .LBB157_77
; %bb.76:                               ;   in Loop: Header=BB157_13 Depth=1
	v_mul_f32_e32 v1, 0x3fb8aa3b, v151
	v_rndne_f32_e32 v29, v1
	s_mov_b32 s4, 0x3fb8aa3b
	v_sub_f32_e32 v44, v1, v29
	v_fma_f32 v1, v151, s4, -v1
	v_fmac_f32_e32 v1, 0x32a5705f, v151
	v_add_f32_e32 v1, v44, v1
	v_cvt_i32_f32_e32 v29, v29
	v_exp_f32_e32 v1, v1
	s_mov_b32 s4, 0xc2ce8ed0
	v_cmp_ngt_f32_e32 vcc, s4, v151
	s_mov_b32 s4, 0x42b17218
	v_ldexp_f32 v1, v1, v29
	v_cndmask_b32_e32 v1, 0, v1, vcc
	v_cmp_nlt_f32_e32 vcc, s4, v151
	s_mov_b32 s4, 0x3f2aaaab
	s_nop 0
	v_cndmask_b32_e32 v60, v148, v1, vcc
	v_add_f32_e32 v1, 1.0, v60
	v_add_f32_e32 v29, -1.0, v1
	v_sub_f32_e32 v44, v29, v1
	v_add_f32_e32 v44, 1.0, v44
	v_sub_f32_e32 v29, v60, v29
	v_add_f32_e32 v29, v29, v44
	v_frexp_mant_f32_e32 v44, v1
	v_cvt_f64_f32_e32 v[46:47], v1
	v_frexp_exp_i32_f64_e32 v46, v[46:47]
	v_cmp_gt_f32_e32 vcc, s4, v44
	s_mov_b32 s4, 0x3f317218
	s_nop 0
	v_subbrev_co_u32_e32 v44, vcc, 0, v46, vcc
	v_sub_u32_e32 v46, 0, v44
	v_ldexp_f32 v1, v1, v46
	v_ldexp_f32 v29, v29, v46
	v_add_f32_e32 v46, -1.0, v1
	v_add_f32_e32 v47, 1.0, v46
	v_sub_f32_e32 v47, v1, v47
	v_add_f32_e32 v48, v29, v47
	v_add_f32_e32 v47, 1.0, v1
	v_add_f32_e32 v49, -1.0, v47
	v_sub_f32_e32 v1, v1, v49
	v_add_f32_e32 v1, v29, v1
	v_add_f32_e32 v29, v47, v1
	v_rcp_f32_e32 v54, v29
	v_sub_f32_e32 v47, v47, v29
	v_add_f32_e32 v1, v1, v47
	v_add_f32_e32 v47, v46, v48
	v_sub_f32_e32 v46, v46, v47
	v_mul_f32_e32 v56, v47, v54
	v_add_f32_e32 v55, v48, v46
	v_mul_f32_e32 v48, v29, v56
	v_fma_f32 v50, v56, v29, -v48
	v_fmac_f32_e32 v50, v56, v1
	v_add_f32_e32 v46, v48, v50
	v_sub_f32_e32 v49, v47, v46
	v_pk_add_f32 v[52:53], v[46:47], v[48:49] neg_lo:[0,1] neg_hi:[0,1]
	v_mov_b32_e32 v51, v46
	v_pk_add_f32 v[46:47], v[52:53], v[50:51] neg_lo:[0,1] neg_hi:[0,1]
	s_nop 0
	v_add_f32_e32 v47, v55, v47
	v_add_f32_e32 v46, v46, v47
	;; [unrolled: 1-line block ×3, first 2 shown]
	v_mul_f32_e32 v55, v54, v47
	v_mul_f32_e32 v48, v29, v55
	v_fma_f32 v50, v55, v29, -v48
	v_fmac_f32_e32 v50, v55, v1
	v_sub_f32_e32 v1, v49, v47
	v_add_f32_e32 v1, v46, v1
	v_add_f32_e32 v46, v48, v50
	v_sub_f32_e32 v49, v47, v46
	v_pk_add_f32 v[52:53], v[46:47], v[48:49] neg_lo:[0,1] neg_hi:[0,1]
	v_mov_b32_e32 v51, v46
	v_pk_add_f32 v[46:47], v[52:53], v[50:51] neg_lo:[0,1] neg_hi:[0,1]
	s_nop 0
	v_add_f32_e32 v1, v1, v47
	v_add_f32_e32 v1, v46, v1
	;; [unrolled: 1-line block ×4, first 2 shown]
	v_sub_f32_e32 v29, v47, v56
	v_mul_f32_e32 v1, v54, v1
	v_sub_f32_e32 v29, v55, v29
	v_add_f32_e32 v1, v29, v1
	v_add_f32_e32 v48, v47, v1
	v_cvt_f32_i32_e32 v46, v44
	v_mul_f32_e32 v50, v48, v48
	v_fmamk_f32 v29, v50, 0x3e9b6dac, v147
	v_fmaak_f32 v29, v50, v29, 0x3f2aaada
	v_sub_f32_e32 v44, v48, v47
	v_mul_f32_e32 v47, v48, v50
	v_pk_mul_f32 v[50:51], v[46:47], v[28:29]
	v_ldexp_f32 v49, v48, 1
	v_fma_f32 v48, v46, s4, -v50
	v_fmac_f32_e32 v48, 0xb102e308, v46
	v_pk_add_f32 v[46:47], v[50:51], v[48:49]
	v_sub_f32_e32 v1, v1, v44
	v_sub_f32_e32 v29, v47, v49
	v_ldexp_f32 v1, v1, 1
	v_sub_f32_e32 v29, v51, v29
	v_add_f32_e32 v53, v1, v29
	v_mov_b32_e32 v52, v50
	v_pk_add_f32 v[50:51], v[46:47], v[50:51] neg_lo:[0,1] neg_hi:[0,1]
	v_pk_add_f32 v[54:55], v[46:47], v[52:53]
	v_mov_b32_e32 v49, v46
	v_mov_b32_e32 v51, v55
	v_pk_add_f32 v[56:57], v[48:49], v[50:51] neg_lo:[0,1] neg_hi:[0,1]
	v_pk_add_f32 v[48:49], v[48:49], v[50:51]
	s_mov_b32 s4, 0x7f800000
	v_mov_b32_e32 v44, v49
	v_pk_add_f32 v[50:51], v[44:45], v[46:47] neg_lo:[0,1] neg_hi:[0,1]
	v_mov_b32_e32 v48, v55
	v_mov_b32_e32 v1, v50
	v_pk_add_f32 v[58:59], v[54:55], v[0:1] neg_lo:[0,1] neg_hi:[0,1]
	v_mov_b32_e32 v54, v47
	v_mov_b32_e32 v55, v50
	;; [unrolled: 1-line block ×3, first 2 shown]
	v_pk_add_f32 v[48:49], v[48:49], v[54:55] neg_lo:[0,1] neg_hi:[0,1]
	v_mov_b32_e32 v50, v53
	v_mov_b32_e32 v51, v46
	v_pk_add_f32 v[46:47], v[50:51], v[48:49] neg_lo:[0,1] neg_hi:[0,1]
	v_mov_b32_e32 v58, v56
	v_pk_add_f32 v[48:49], v[58:59], v[46:47]
	v_cmp_eq_f32_e32 vcc, s4, v60
	v_mov_b32_e32 v50, v49
	v_pk_add_f32 v[50:51], v[48:49], v[50:51]
	s_mov_b32 s4, 0x33800000
	v_pk_add_f32 v[52:53], v[44:45], v[50:51]
	v_mov_b32_e32 v47, v50
	v_mov_b32_e32 v49, v52
	v_pk_add_f32 v[54:55], v[48:49], v[56:57] neg_lo:[0,1] neg_hi:[0,1]
	v_cmp_gt_f32_e64 s[60:61], s4, v60
	v_sub_f32_e32 v1, v48, v54
	v_pk_add_f32 v[46:47], v[46:47], v[54:55] neg_lo:[0,1] neg_hi:[0,1]
	v_sub_f32_e32 v1, v56, v1
	v_add_f32_e32 v1, v46, v1
	v_add_f32_e32 v1, v1, v47
	;; [unrolled: 1-line block ×3, first 2 shown]
	s_or_b64 vcc, s[60:61], vcc
	v_cndmask_b32_e32 v151, v1, v60, vcc
.LBB157_77:                             ;   in Loop: Header=BB157_13 Depth=1
	s_or_b64 exec, exec, s[6:7]
	v_add_f32_e32 v152, s62, v45
	s_mov_b32 s4, 0x41a00000
	v_readlane_b32 s6, v166, 18
	v_cmp_ge_f32_e32 vcc, s4, v152
	v_readlane_b32 s7, v166, 19
	s_and_b64 s[8:9], s[6:7], vcc
	s_and_saveexec_b64 s[6:7], s[8:9]
	s_cbranch_execz .LBB157_79
; %bb.78:                               ;   in Loop: Header=BB157_13 Depth=1
	v_mul_f32_e32 v1, 0x3fb8aa3b, v152
	v_rndne_f32_e32 v29, v1
	s_mov_b32 s4, 0x3fb8aa3b
	v_sub_f32_e32 v44, v1, v29
	v_fma_f32 v1, v152, s4, -v1
	v_fmac_f32_e32 v1, 0x32a5705f, v152
	v_add_f32_e32 v1, v44, v1
	v_cvt_i32_f32_e32 v29, v29
	v_exp_f32_e32 v1, v1
	s_mov_b32 s4, 0xc2ce8ed0
	v_cmp_ngt_f32_e32 vcc, s4, v152
	s_mov_b32 s4, 0x42b17218
	v_ldexp_f32 v1, v1, v29
	v_cndmask_b32_e32 v1, 0, v1, vcc
	v_cmp_nlt_f32_e32 vcc, s4, v152
	s_mov_b32 s4, 0x3f2aaaab
	s_nop 0
	v_cndmask_b32_e32 v60, v148, v1, vcc
	v_add_f32_e32 v1, 1.0, v60
	v_add_f32_e32 v29, -1.0, v1
	v_sub_f32_e32 v44, v29, v1
	v_add_f32_e32 v44, 1.0, v44
	v_sub_f32_e32 v29, v60, v29
	v_add_f32_e32 v29, v29, v44
	v_frexp_mant_f32_e32 v46, v1
	v_cvt_f64_f32_e32 v[44:45], v1
	v_frexp_exp_i32_f64_e32 v44, v[44:45]
	v_cmp_gt_f32_e32 vcc, s4, v46
	s_mov_b32 s4, 0x3f317218
	s_nop 0
	v_subbrev_co_u32_e32 v52, vcc, 0, v44, vcc
	v_sub_u32_e32 v44, 0, v52
	v_ldexp_f32 v1, v1, v44
	v_ldexp_f32 v29, v29, v44
	v_add_f32_e32 v44, -1.0, v1
	v_add_f32_e32 v45, 1.0, v44
	v_sub_f32_e32 v45, v1, v45
	v_add_f32_e32 v46, v29, v45
	v_add_f32_e32 v45, 1.0, v1
	v_add_f32_e32 v47, -1.0, v45
	v_sub_f32_e32 v1, v1, v47
	v_add_f32_e32 v1, v29, v1
	v_add_f32_e32 v29, v45, v1
	v_rcp_f32_e32 v53, v29
	v_sub_f32_e32 v45, v45, v29
	v_add_f32_e32 v1, v1, v45
	v_add_f32_e32 v45, v44, v46
	v_sub_f32_e32 v44, v44, v45
	v_mul_f32_e32 v55, v45, v53
	v_add_f32_e32 v54, v46, v44
	v_mul_f32_e32 v46, v29, v55
	v_fma_f32 v48, v55, v29, -v46
	v_fmac_f32_e32 v48, v55, v1
	v_add_f32_e32 v44, v46, v48
	v_sub_f32_e32 v47, v45, v44
	v_pk_add_f32 v[50:51], v[44:45], v[46:47] neg_lo:[0,1] neg_hi:[0,1]
	v_mov_b32_e32 v49, v44
	v_pk_add_f32 v[44:45], v[50:51], v[48:49] neg_lo:[0,1] neg_hi:[0,1]
	s_nop 0
	v_add_f32_e32 v45, v54, v45
	v_add_f32_e32 v44, v44, v45
	v_add_f32_e32 v45, v47, v44
	v_mul_f32_e32 v54, v53, v45
	v_mul_f32_e32 v46, v29, v54
	v_fma_f32 v48, v54, v29, -v46
	v_fmac_f32_e32 v48, v54, v1
	v_sub_f32_e32 v1, v47, v45
	v_add_f32_e32 v1, v44, v1
	v_add_f32_e32 v44, v46, v48
	v_sub_f32_e32 v47, v45, v44
	v_pk_add_f32 v[50:51], v[44:45], v[46:47] neg_lo:[0,1] neg_hi:[0,1]
	v_mov_b32_e32 v49, v44
	v_pk_add_f32 v[44:45], v[50:51], v[48:49] neg_lo:[0,1] neg_hi:[0,1]
	s_nop 0
	v_add_f32_e32 v1, v1, v45
	v_add_f32_e32 v1, v44, v1
	v_add_f32_e32 v45, v55, v54
	v_add_f32_e32 v1, v47, v1
	v_sub_f32_e32 v29, v45, v55
	v_mul_f32_e32 v1, v53, v1
	v_sub_f32_e32 v29, v54, v29
	v_add_f32_e32 v1, v29, v1
	v_add_f32_e32 v46, v45, v1
	v_cvt_f32_i32_e32 v44, v52
	v_mul_f32_e32 v48, v46, v46
	v_fmamk_f32 v29, v48, 0x3e9b6dac, v147
	v_sub_f32_e32 v45, v46, v45
	v_fmaak_f32 v29, v48, v29, 0x3f2aaada
	v_sub_f32_e32 v1, v1, v45
	v_mul_f32_e32 v45, v46, v48
	v_pk_mul_f32 v[48:49], v[44:45], v[28:29]
	v_ldexp_f32 v47, v46, 1
	v_fma_f32 v46, v44, s4, -v48
	v_fmac_f32_e32 v46, 0xb102e308, v44
	v_pk_add_f32 v[44:45], v[48:49], v[46:47]
	v_ldexp_f32 v1, v1, 1
	v_sub_f32_e32 v29, v45, v47
	v_sub_f32_e32 v29, v49, v29
	v_add_f32_e32 v51, v1, v29
	v_mov_b32_e32 v50, v48
	v_pk_add_f32 v[48:49], v[44:45], v[48:49] neg_lo:[0,1] neg_hi:[0,1]
	v_pk_add_f32 v[52:53], v[44:45], v[50:51]
	v_mov_b32_e32 v47, v44
	v_mov_b32_e32 v49, v53
	v_pk_add_f32 v[54:55], v[46:47], v[48:49] neg_lo:[0,1] neg_hi:[0,1]
	v_pk_add_f32 v[46:47], v[46:47], v[48:49]
	v_mov_b32_e32 v50, v51
	v_mov_b32_e32 v48, v47
	v_pk_add_f32 v[56:57], v[48:49], v[44:45] neg_lo:[0,1] neg_hi:[0,1]
	v_mov_b32_e32 v46, v53
	v_mov_b32_e32 v1, v56
	v_pk_add_f32 v[58:59], v[52:53], v[0:1] neg_lo:[0,1] neg_hi:[0,1]
	v_mov_b32_e32 v52, v45
	v_mov_b32_e32 v53, v56
	;; [unrolled: 1-line block ×3, first 2 shown]
	v_pk_add_f32 v[46:47], v[46:47], v[52:53] neg_lo:[0,1] neg_hi:[0,1]
	v_mov_b32_e32 v51, v44
	v_pk_add_f32 v[44:45], v[50:51], v[46:47] neg_lo:[0,1] neg_hi:[0,1]
	v_mov_b32_e32 v58, v54
	v_pk_add_f32 v[46:47], v[58:59], v[44:45]
	s_mov_b32 s4, 0x7f800000
	v_mov_b32_e32 v50, v47
	v_pk_add_f32 v[50:51], v[46:47], v[50:51]
	v_cmp_eq_f32_e32 vcc, s4, v60
	v_pk_add_f32 v[48:49], v[48:49], v[50:51]
	v_mov_b32_e32 v45, v50
	v_mov_b32_e32 v47, v48
	v_pk_add_f32 v[52:53], v[46:47], v[54:55] neg_lo:[0,1] neg_hi:[0,1]
	s_mov_b32 s4, 0x33800000
	v_sub_f32_e32 v1, v46, v52
	v_pk_add_f32 v[44:45], v[44:45], v[52:53] neg_lo:[0,1] neg_hi:[0,1]
	v_sub_f32_e32 v1, v54, v1
	v_add_f32_e32 v1, v44, v1
	v_add_f32_e32 v1, v1, v45
	v_cmp_gt_f32_e64 s[60:61], s4, v60
	v_add_f32_e32 v1, v48, v1
	s_or_b64 vcc, s[60:61], vcc
	v_cndmask_b32_e32 v152, v1, v60, vcc
.LBB157_79:                             ;   in Loop: Header=BB157_13 Depth=1
	s_or_b64 exec, exec, s[6:7]
	s_waitcnt lgkmcnt(6)
	v_add_f32_e32 v153, s62, v42
	s_mov_b32 s4, 0x41a00000
	v_readlane_b32 s6, v166, 18
	v_cmp_ge_f32_e32 vcc, s4, v153
	v_readlane_b32 s7, v166, 19
	s_and_b64 s[8:9], s[6:7], vcc
	s_and_saveexec_b64 s[6:7], s[8:9]
	s_cbranch_execz .LBB157_81
; %bb.80:                               ;   in Loop: Header=BB157_13 Depth=1
	v_mul_f32_e32 v1, 0x3fb8aa3b, v153
	v_rndne_f32_e32 v29, v1
	s_mov_b32 s4, 0x3fb8aa3b
	v_sub_f32_e32 v42, v1, v29
	v_fma_f32 v1, v153, s4, -v1
	v_fmac_f32_e32 v1, 0x32a5705f, v153
	v_add_f32_e32 v1, v42, v1
	v_cvt_i32_f32_e32 v29, v29
	v_exp_f32_e32 v1, v1
	s_mov_b32 s4, 0xc2ce8ed0
	v_cmp_ngt_f32_e32 vcc, s4, v153
	s_mov_b32 s4, 0x42b17218
	v_ldexp_f32 v1, v1, v29
	v_cndmask_b32_e32 v1, 0, v1, vcc
	v_cmp_nlt_f32_e32 vcc, s4, v153
	s_mov_b32 s4, 0x3f2aaaab
	s_nop 0
	v_cndmask_b32_e32 v58, v148, v1, vcc
	v_add_f32_e32 v1, 1.0, v58
	v_add_f32_e32 v29, -1.0, v1
	v_sub_f32_e32 v42, v29, v1
	v_add_f32_e32 v42, 1.0, v42
	v_sub_f32_e32 v29, v58, v29
	v_add_f32_e32 v29, v29, v42
	v_frexp_mant_f32_e32 v42, v1
	v_cvt_f64_f32_e32 v[44:45], v1
	v_frexp_exp_i32_f64_e32 v44, v[44:45]
	v_cmp_gt_f32_e32 vcc, s4, v42
	s_mov_b32 s4, 0x3f317218
	s_nop 0
	v_subbrev_co_u32_e32 v42, vcc, 0, v44, vcc
	v_sub_u32_e32 v44, 0, v42
	v_ldexp_f32 v1, v1, v44
	v_ldexp_f32 v29, v29, v44
	v_add_f32_e32 v44, -1.0, v1
	v_add_f32_e32 v45, 1.0, v44
	v_sub_f32_e32 v45, v1, v45
	v_add_f32_e32 v46, v29, v45
	v_add_f32_e32 v45, 1.0, v1
	v_add_f32_e32 v47, -1.0, v45
	v_sub_f32_e32 v1, v1, v47
	v_add_f32_e32 v1, v29, v1
	v_add_f32_e32 v29, v45, v1
	v_rcp_f32_e32 v52, v29
	v_sub_f32_e32 v45, v45, v29
	v_add_f32_e32 v1, v1, v45
	v_add_f32_e32 v45, v44, v46
	v_sub_f32_e32 v44, v44, v45
	v_mul_f32_e32 v54, v45, v52
	v_add_f32_e32 v53, v46, v44
	v_mul_f32_e32 v46, v29, v54
	v_fma_f32 v48, v54, v29, -v46
	v_fmac_f32_e32 v48, v54, v1
	v_add_f32_e32 v44, v46, v48
	v_sub_f32_e32 v47, v45, v44
	v_pk_add_f32 v[50:51], v[44:45], v[46:47] neg_lo:[0,1] neg_hi:[0,1]
	v_mov_b32_e32 v49, v44
	v_pk_add_f32 v[44:45], v[50:51], v[48:49] neg_lo:[0,1] neg_hi:[0,1]
	s_nop 0
	v_add_f32_e32 v45, v53, v45
	v_add_f32_e32 v44, v44, v45
	;; [unrolled: 1-line block ×3, first 2 shown]
	v_mul_f32_e32 v53, v52, v45
	v_mul_f32_e32 v46, v29, v53
	v_fma_f32 v48, v53, v29, -v46
	v_fmac_f32_e32 v48, v53, v1
	v_sub_f32_e32 v1, v47, v45
	v_add_f32_e32 v1, v44, v1
	v_add_f32_e32 v44, v46, v48
	v_sub_f32_e32 v47, v45, v44
	v_pk_add_f32 v[50:51], v[44:45], v[46:47] neg_lo:[0,1] neg_hi:[0,1]
	v_mov_b32_e32 v49, v44
	v_pk_add_f32 v[44:45], v[50:51], v[48:49] neg_lo:[0,1] neg_hi:[0,1]
	s_nop 0
	v_add_f32_e32 v1, v1, v45
	v_add_f32_e32 v1, v44, v1
	;; [unrolled: 1-line block ×4, first 2 shown]
	v_sub_f32_e32 v29, v45, v54
	v_mul_f32_e32 v1, v52, v1
	v_sub_f32_e32 v29, v53, v29
	v_add_f32_e32 v1, v29, v1
	v_add_f32_e32 v46, v45, v1
	v_cvt_f32_i32_e32 v44, v42
	v_mul_f32_e32 v48, v46, v46
	v_fmamk_f32 v29, v48, 0x3e9b6dac, v147
	v_fmaak_f32 v29, v48, v29, 0x3f2aaada
	v_sub_f32_e32 v42, v46, v45
	v_mul_f32_e32 v45, v46, v48
	v_pk_mul_f32 v[48:49], v[44:45], v[28:29]
	v_ldexp_f32 v47, v46, 1
	v_fma_f32 v46, v44, s4, -v48
	v_fmac_f32_e32 v46, 0xb102e308, v44
	v_pk_add_f32 v[44:45], v[48:49], v[46:47]
	v_sub_f32_e32 v1, v1, v42
	v_sub_f32_e32 v29, v45, v47
	v_ldexp_f32 v1, v1, 1
	v_sub_f32_e32 v29, v49, v29
	v_add_f32_e32 v51, v1, v29
	v_mov_b32_e32 v50, v48
	v_pk_add_f32 v[48:49], v[44:45], v[48:49] neg_lo:[0,1] neg_hi:[0,1]
	v_pk_add_f32 v[52:53], v[44:45], v[50:51]
	v_mov_b32_e32 v47, v44
	v_mov_b32_e32 v49, v53
	v_pk_add_f32 v[54:55], v[46:47], v[48:49] neg_lo:[0,1] neg_hi:[0,1]
	v_pk_add_f32 v[46:47], v[46:47], v[48:49]
	s_mov_b32 s4, 0x7f800000
	v_mov_b32_e32 v42, v47
	v_pk_add_f32 v[48:49], v[42:43], v[44:45] neg_lo:[0,1] neg_hi:[0,1]
	v_mov_b32_e32 v46, v53
	v_mov_b32_e32 v1, v48
	v_pk_add_f32 v[56:57], v[52:53], v[0:1] neg_lo:[0,1] neg_hi:[0,1]
	v_mov_b32_e32 v52, v45
	v_mov_b32_e32 v53, v48
	;; [unrolled: 1-line block ×3, first 2 shown]
	v_pk_add_f32 v[46:47], v[46:47], v[52:53] neg_lo:[0,1] neg_hi:[0,1]
	v_mov_b32_e32 v48, v51
	v_mov_b32_e32 v49, v44
	v_pk_add_f32 v[44:45], v[48:49], v[46:47] neg_lo:[0,1] neg_hi:[0,1]
	v_mov_b32_e32 v56, v54
	v_pk_add_f32 v[46:47], v[56:57], v[44:45]
	v_cmp_eq_f32_e32 vcc, s4, v58
	v_mov_b32_e32 v48, v47
	v_pk_add_f32 v[48:49], v[46:47], v[48:49]
	s_mov_b32 s4, 0x33800000
	v_pk_add_f32 v[50:51], v[42:43], v[48:49]
	v_mov_b32_e32 v45, v48
	v_mov_b32_e32 v47, v50
	v_pk_add_f32 v[52:53], v[46:47], v[54:55] neg_lo:[0,1] neg_hi:[0,1]
	v_cmp_gt_f32_e64 s[60:61], s4, v58
	v_sub_f32_e32 v1, v46, v52
	v_pk_add_f32 v[44:45], v[44:45], v[52:53] neg_lo:[0,1] neg_hi:[0,1]
	v_sub_f32_e32 v1, v54, v1
	v_add_f32_e32 v1, v44, v1
	v_add_f32_e32 v1, v1, v45
	v_add_f32_e32 v1, v50, v1
	s_or_b64 vcc, s[60:61], vcc
	v_cndmask_b32_e32 v153, v1, v58, vcc
.LBB157_81:                             ;   in Loop: Header=BB157_13 Depth=1
	s_or_b64 exec, exec, s[6:7]
	v_add_f32_e32 v154, s62, v43
	s_mov_b32 s4, 0x41a00000
	v_readlane_b32 s6, v166, 18
	v_cmp_ge_f32_e32 vcc, s4, v154
	v_readlane_b32 s7, v166, 19
	s_and_b64 s[8:9], s[6:7], vcc
	s_and_saveexec_b64 s[6:7], s[8:9]
	s_cbranch_execz .LBB157_83
; %bb.82:                               ;   in Loop: Header=BB157_13 Depth=1
	v_mul_f32_e32 v1, 0x3fb8aa3b, v154
	v_rndne_f32_e32 v29, v1
	s_mov_b32 s4, 0x3fb8aa3b
	v_sub_f32_e32 v42, v1, v29
	v_fma_f32 v1, v154, s4, -v1
	v_fmac_f32_e32 v1, 0x32a5705f, v154
	v_add_f32_e32 v1, v42, v1
	v_cvt_i32_f32_e32 v29, v29
	v_exp_f32_e32 v1, v1
	s_mov_b32 s4, 0xc2ce8ed0
	v_cmp_ngt_f32_e32 vcc, s4, v154
	s_mov_b32 s4, 0x42b17218
	v_ldexp_f32 v1, v1, v29
	v_cndmask_b32_e32 v1, 0, v1, vcc
	v_cmp_nlt_f32_e32 vcc, s4, v154
	s_mov_b32 s4, 0x3f2aaaab
	s_nop 0
	v_cndmask_b32_e32 v58, v148, v1, vcc
	v_add_f32_e32 v1, 1.0, v58
	v_add_f32_e32 v29, -1.0, v1
	v_sub_f32_e32 v42, v29, v1
	v_add_f32_e32 v42, 1.0, v42
	v_sub_f32_e32 v29, v58, v29
	v_add_f32_e32 v29, v29, v42
	v_frexp_mant_f32_e32 v44, v1
	v_cvt_f64_f32_e32 v[42:43], v1
	v_frexp_exp_i32_f64_e32 v42, v[42:43]
	v_cmp_gt_f32_e32 vcc, s4, v44
	s_mov_b32 s4, 0x3f317218
	s_nop 0
	v_subbrev_co_u32_e32 v50, vcc, 0, v42, vcc
	v_sub_u32_e32 v42, 0, v50
	v_ldexp_f32 v1, v1, v42
	v_ldexp_f32 v29, v29, v42
	v_add_f32_e32 v42, -1.0, v1
	v_add_f32_e32 v43, 1.0, v42
	v_sub_f32_e32 v43, v1, v43
	v_add_f32_e32 v44, v29, v43
	v_add_f32_e32 v43, 1.0, v1
	v_add_f32_e32 v45, -1.0, v43
	v_sub_f32_e32 v1, v1, v45
	v_add_f32_e32 v1, v29, v1
	v_add_f32_e32 v29, v43, v1
	v_rcp_f32_e32 v51, v29
	v_sub_f32_e32 v43, v43, v29
	v_add_f32_e32 v1, v1, v43
	v_add_f32_e32 v43, v42, v44
	v_sub_f32_e32 v42, v42, v43
	v_mul_f32_e32 v53, v43, v51
	v_add_f32_e32 v52, v44, v42
	v_mul_f32_e32 v44, v29, v53
	v_fma_f32 v46, v53, v29, -v44
	v_fmac_f32_e32 v46, v53, v1
	v_add_f32_e32 v42, v44, v46
	v_sub_f32_e32 v45, v43, v42
	v_pk_add_f32 v[48:49], v[42:43], v[44:45] neg_lo:[0,1] neg_hi:[0,1]
	v_mov_b32_e32 v47, v42
	v_pk_add_f32 v[42:43], v[48:49], v[46:47] neg_lo:[0,1] neg_hi:[0,1]
	s_nop 0
	v_add_f32_e32 v43, v52, v43
	v_add_f32_e32 v42, v42, v43
	;; [unrolled: 1-line block ×3, first 2 shown]
	v_mul_f32_e32 v52, v51, v43
	v_mul_f32_e32 v44, v29, v52
	v_fma_f32 v46, v52, v29, -v44
	v_fmac_f32_e32 v46, v52, v1
	v_sub_f32_e32 v1, v45, v43
	v_add_f32_e32 v1, v42, v1
	v_add_f32_e32 v42, v44, v46
	v_sub_f32_e32 v45, v43, v42
	v_pk_add_f32 v[48:49], v[42:43], v[44:45] neg_lo:[0,1] neg_hi:[0,1]
	v_mov_b32_e32 v47, v42
	v_pk_add_f32 v[42:43], v[48:49], v[46:47] neg_lo:[0,1] neg_hi:[0,1]
	s_nop 0
	v_add_f32_e32 v1, v1, v43
	v_add_f32_e32 v1, v42, v1
	v_add_f32_e32 v43, v53, v52
	v_add_f32_e32 v1, v45, v1
	v_sub_f32_e32 v29, v43, v53
	v_mul_f32_e32 v1, v51, v1
	v_sub_f32_e32 v29, v52, v29
	v_add_f32_e32 v1, v29, v1
	v_add_f32_e32 v44, v43, v1
	v_cvt_f32_i32_e32 v42, v50
	v_mul_f32_e32 v46, v44, v44
	v_fmamk_f32 v29, v46, 0x3e9b6dac, v147
	v_sub_f32_e32 v43, v44, v43
	v_fmaak_f32 v29, v46, v29, 0x3f2aaada
	v_sub_f32_e32 v1, v1, v43
	v_mul_f32_e32 v43, v44, v46
	v_pk_mul_f32 v[46:47], v[42:43], v[28:29]
	v_ldexp_f32 v45, v44, 1
	v_fma_f32 v44, v42, s4, -v46
	v_fmac_f32_e32 v44, 0xb102e308, v42
	v_pk_add_f32 v[42:43], v[46:47], v[44:45]
	v_ldexp_f32 v1, v1, 1
	v_sub_f32_e32 v29, v43, v45
	v_sub_f32_e32 v29, v47, v29
	v_add_f32_e32 v49, v1, v29
	v_mov_b32_e32 v48, v46
	v_pk_add_f32 v[46:47], v[42:43], v[46:47] neg_lo:[0,1] neg_hi:[0,1]
	v_pk_add_f32 v[50:51], v[42:43], v[48:49]
	v_mov_b32_e32 v45, v42
	v_mov_b32_e32 v47, v51
	v_pk_add_f32 v[52:53], v[44:45], v[46:47] neg_lo:[0,1] neg_hi:[0,1]
	v_pk_add_f32 v[44:45], v[44:45], v[46:47]
	v_mov_b32_e32 v48, v49
	v_mov_b32_e32 v46, v45
	v_pk_add_f32 v[54:55], v[46:47], v[42:43] neg_lo:[0,1] neg_hi:[0,1]
	v_mov_b32_e32 v44, v51
	v_mov_b32_e32 v1, v54
	v_pk_add_f32 v[56:57], v[50:51], v[0:1] neg_lo:[0,1] neg_hi:[0,1]
	v_mov_b32_e32 v50, v43
	v_mov_b32_e32 v51, v54
	;; [unrolled: 1-line block ×3, first 2 shown]
	v_pk_add_f32 v[44:45], v[44:45], v[50:51] neg_lo:[0,1] neg_hi:[0,1]
	v_mov_b32_e32 v49, v42
	v_pk_add_f32 v[42:43], v[48:49], v[44:45] neg_lo:[0,1] neg_hi:[0,1]
	v_mov_b32_e32 v56, v52
	v_pk_add_f32 v[44:45], v[56:57], v[42:43]
	s_mov_b32 s4, 0x7f800000
	v_mov_b32_e32 v48, v45
	v_pk_add_f32 v[48:49], v[44:45], v[48:49]
	v_cmp_eq_f32_e32 vcc, s4, v58
	v_pk_add_f32 v[46:47], v[46:47], v[48:49]
	v_mov_b32_e32 v43, v48
	v_mov_b32_e32 v45, v46
	v_pk_add_f32 v[50:51], v[44:45], v[52:53] neg_lo:[0,1] neg_hi:[0,1]
	s_mov_b32 s4, 0x33800000
	v_sub_f32_e32 v1, v44, v50
	v_pk_add_f32 v[42:43], v[42:43], v[50:51] neg_lo:[0,1] neg_hi:[0,1]
	v_sub_f32_e32 v1, v52, v1
	v_add_f32_e32 v1, v42, v1
	v_add_f32_e32 v1, v1, v43
	v_cmp_gt_f32_e64 s[60:61], s4, v58
	v_add_f32_e32 v1, v46, v1
	s_or_b64 vcc, s[60:61], vcc
	v_cndmask_b32_e32 v154, v1, v58, vcc
.LBB157_83:                             ;   in Loop: Header=BB157_13 Depth=1
	s_or_b64 exec, exec, s[6:7]
	s_waitcnt lgkmcnt(5)
	v_add_f32_e32 v155, s62, v40
	s_mov_b32 s4, 0x41a00000
	v_readlane_b32 s6, v166, 18
	v_cmp_ge_f32_e32 vcc, s4, v155
	v_readlane_b32 s7, v166, 19
	s_and_b64 s[8:9], s[6:7], vcc
	s_and_saveexec_b64 s[6:7], s[8:9]
	s_cbranch_execz .LBB157_85
; %bb.84:                               ;   in Loop: Header=BB157_13 Depth=1
	v_mul_f32_e32 v1, 0x3fb8aa3b, v155
	v_rndne_f32_e32 v29, v1
	s_mov_b32 s4, 0x3fb8aa3b
	v_sub_f32_e32 v40, v1, v29
	v_fma_f32 v1, v155, s4, -v1
	v_fmac_f32_e32 v1, 0x32a5705f, v155
	v_add_f32_e32 v1, v40, v1
	v_cvt_i32_f32_e32 v29, v29
	v_exp_f32_e32 v1, v1
	s_mov_b32 s4, 0xc2ce8ed0
	v_cmp_ngt_f32_e32 vcc, s4, v155
	s_mov_b32 s4, 0x42b17218
	v_ldexp_f32 v1, v1, v29
	v_cndmask_b32_e32 v1, 0, v1, vcc
	v_cmp_nlt_f32_e32 vcc, s4, v155
	s_mov_b32 s4, 0x3f2aaaab
	s_nop 0
	v_cndmask_b32_e32 v56, v148, v1, vcc
	v_add_f32_e32 v1, 1.0, v56
	v_add_f32_e32 v29, -1.0, v1
	v_sub_f32_e32 v40, v29, v1
	v_add_f32_e32 v40, 1.0, v40
	v_sub_f32_e32 v29, v56, v29
	v_add_f32_e32 v29, v29, v40
	v_frexp_mant_f32_e32 v40, v1
	v_cvt_f64_f32_e32 v[42:43], v1
	v_frexp_exp_i32_f64_e32 v42, v[42:43]
	v_cmp_gt_f32_e32 vcc, s4, v40
	s_mov_b32 s4, 0x3f317218
	s_nop 0
	v_subbrev_co_u32_e32 v40, vcc, 0, v42, vcc
	v_sub_u32_e32 v42, 0, v40
	v_ldexp_f32 v1, v1, v42
	v_ldexp_f32 v29, v29, v42
	v_add_f32_e32 v42, -1.0, v1
	v_add_f32_e32 v43, 1.0, v42
	v_sub_f32_e32 v43, v1, v43
	v_add_f32_e32 v44, v29, v43
	v_add_f32_e32 v43, 1.0, v1
	v_add_f32_e32 v45, -1.0, v43
	v_sub_f32_e32 v1, v1, v45
	v_add_f32_e32 v1, v29, v1
	v_add_f32_e32 v29, v43, v1
	v_rcp_f32_e32 v50, v29
	v_sub_f32_e32 v43, v43, v29
	v_add_f32_e32 v1, v1, v43
	v_add_f32_e32 v43, v42, v44
	v_sub_f32_e32 v42, v42, v43
	v_mul_f32_e32 v52, v43, v50
	v_add_f32_e32 v51, v44, v42
	v_mul_f32_e32 v44, v29, v52
	v_fma_f32 v46, v52, v29, -v44
	v_fmac_f32_e32 v46, v52, v1
	v_add_f32_e32 v42, v44, v46
	v_sub_f32_e32 v45, v43, v42
	v_pk_add_f32 v[48:49], v[42:43], v[44:45] neg_lo:[0,1] neg_hi:[0,1]
	v_mov_b32_e32 v47, v42
	v_pk_add_f32 v[42:43], v[48:49], v[46:47] neg_lo:[0,1] neg_hi:[0,1]
	s_nop 0
	v_add_f32_e32 v43, v51, v43
	v_add_f32_e32 v42, v42, v43
	;; [unrolled: 1-line block ×3, first 2 shown]
	v_mul_f32_e32 v51, v50, v43
	v_mul_f32_e32 v44, v29, v51
	v_fma_f32 v46, v51, v29, -v44
	v_fmac_f32_e32 v46, v51, v1
	v_sub_f32_e32 v1, v45, v43
	v_add_f32_e32 v1, v42, v1
	v_add_f32_e32 v42, v44, v46
	v_sub_f32_e32 v45, v43, v42
	v_pk_add_f32 v[48:49], v[42:43], v[44:45] neg_lo:[0,1] neg_hi:[0,1]
	v_mov_b32_e32 v47, v42
	v_pk_add_f32 v[42:43], v[48:49], v[46:47] neg_lo:[0,1] neg_hi:[0,1]
	s_nop 0
	v_add_f32_e32 v1, v1, v43
	v_add_f32_e32 v1, v42, v1
	;; [unrolled: 1-line block ×4, first 2 shown]
	v_sub_f32_e32 v29, v43, v52
	v_mul_f32_e32 v1, v50, v1
	v_sub_f32_e32 v29, v51, v29
	v_add_f32_e32 v1, v29, v1
	v_add_f32_e32 v44, v43, v1
	v_cvt_f32_i32_e32 v42, v40
	v_mul_f32_e32 v46, v44, v44
	v_fmamk_f32 v29, v46, 0x3e9b6dac, v147
	v_fmaak_f32 v29, v46, v29, 0x3f2aaada
	v_sub_f32_e32 v40, v44, v43
	v_mul_f32_e32 v43, v44, v46
	v_pk_mul_f32 v[46:47], v[42:43], v[28:29]
	v_ldexp_f32 v45, v44, 1
	v_fma_f32 v44, v42, s4, -v46
	v_fmac_f32_e32 v44, 0xb102e308, v42
	v_pk_add_f32 v[42:43], v[46:47], v[44:45]
	v_sub_f32_e32 v1, v1, v40
	v_sub_f32_e32 v29, v43, v45
	v_ldexp_f32 v1, v1, 1
	v_sub_f32_e32 v29, v47, v29
	v_add_f32_e32 v49, v1, v29
	v_mov_b32_e32 v48, v46
	v_pk_add_f32 v[46:47], v[42:43], v[46:47] neg_lo:[0,1] neg_hi:[0,1]
	v_pk_add_f32 v[50:51], v[42:43], v[48:49]
	v_mov_b32_e32 v45, v42
	v_mov_b32_e32 v47, v51
	v_pk_add_f32 v[52:53], v[44:45], v[46:47] neg_lo:[0,1] neg_hi:[0,1]
	v_pk_add_f32 v[44:45], v[44:45], v[46:47]
	s_mov_b32 s4, 0x7f800000
	v_mov_b32_e32 v40, v45
	v_pk_add_f32 v[46:47], v[40:41], v[42:43] neg_lo:[0,1] neg_hi:[0,1]
	v_mov_b32_e32 v44, v51
	v_mov_b32_e32 v1, v46
	v_pk_add_f32 v[54:55], v[50:51], v[0:1] neg_lo:[0,1] neg_hi:[0,1]
	v_mov_b32_e32 v50, v43
	v_mov_b32_e32 v51, v46
	;; [unrolled: 1-line block ×3, first 2 shown]
	v_pk_add_f32 v[44:45], v[44:45], v[50:51] neg_lo:[0,1] neg_hi:[0,1]
	v_mov_b32_e32 v46, v49
	v_mov_b32_e32 v47, v42
	v_pk_add_f32 v[42:43], v[46:47], v[44:45] neg_lo:[0,1] neg_hi:[0,1]
	v_mov_b32_e32 v54, v52
	v_pk_add_f32 v[44:45], v[54:55], v[42:43]
	v_cmp_eq_f32_e32 vcc, s4, v56
	v_mov_b32_e32 v46, v45
	v_pk_add_f32 v[46:47], v[44:45], v[46:47]
	s_mov_b32 s4, 0x33800000
	v_pk_add_f32 v[48:49], v[40:41], v[46:47]
	v_mov_b32_e32 v43, v46
	v_mov_b32_e32 v45, v48
	v_pk_add_f32 v[50:51], v[44:45], v[52:53] neg_lo:[0,1] neg_hi:[0,1]
	v_cmp_gt_f32_e64 s[60:61], s4, v56
	v_sub_f32_e32 v1, v44, v50
	v_pk_add_f32 v[42:43], v[42:43], v[50:51] neg_lo:[0,1] neg_hi:[0,1]
	v_sub_f32_e32 v1, v52, v1
	v_add_f32_e32 v1, v42, v1
	v_add_f32_e32 v1, v1, v43
	;; [unrolled: 1-line block ×3, first 2 shown]
	s_or_b64 vcc, s[60:61], vcc
	v_cndmask_b32_e32 v155, v1, v56, vcc
.LBB157_85:                             ;   in Loop: Header=BB157_13 Depth=1
	s_or_b64 exec, exec, s[6:7]
	v_add_f32_e32 v156, s62, v41
	s_mov_b32 s4, 0x41a00000
	v_readlane_b32 s6, v166, 18
	v_cmp_ge_f32_e32 vcc, s4, v156
	v_readlane_b32 s7, v166, 19
	s_and_b64 s[8:9], s[6:7], vcc
	s_and_saveexec_b64 s[6:7], s[8:9]
	s_cbranch_execz .LBB157_87
; %bb.86:                               ;   in Loop: Header=BB157_13 Depth=1
	v_mul_f32_e32 v1, 0x3fb8aa3b, v156
	v_rndne_f32_e32 v29, v1
	s_mov_b32 s4, 0x3fb8aa3b
	v_sub_f32_e32 v40, v1, v29
	v_fma_f32 v1, v156, s4, -v1
	v_fmac_f32_e32 v1, 0x32a5705f, v156
	v_add_f32_e32 v1, v40, v1
	v_cvt_i32_f32_e32 v29, v29
	v_exp_f32_e32 v1, v1
	s_mov_b32 s4, 0xc2ce8ed0
	v_cmp_ngt_f32_e32 vcc, s4, v156
	s_mov_b32 s4, 0x42b17218
	v_ldexp_f32 v1, v1, v29
	v_cndmask_b32_e32 v1, 0, v1, vcc
	v_cmp_nlt_f32_e32 vcc, s4, v156
	s_mov_b32 s4, 0x3f2aaaab
	s_nop 0
	v_cndmask_b32_e32 v56, v148, v1, vcc
	v_add_f32_e32 v1, 1.0, v56
	v_add_f32_e32 v29, -1.0, v1
	v_sub_f32_e32 v40, v29, v1
	v_add_f32_e32 v40, 1.0, v40
	v_sub_f32_e32 v29, v56, v29
	v_add_f32_e32 v29, v29, v40
	v_frexp_mant_f32_e32 v42, v1
	v_cvt_f64_f32_e32 v[40:41], v1
	v_frexp_exp_i32_f64_e32 v40, v[40:41]
	v_cmp_gt_f32_e32 vcc, s4, v42
	s_mov_b32 s4, 0x3f317218
	s_nop 0
	v_subbrev_co_u32_e32 v48, vcc, 0, v40, vcc
	v_sub_u32_e32 v40, 0, v48
	v_ldexp_f32 v1, v1, v40
	v_ldexp_f32 v29, v29, v40
	v_add_f32_e32 v40, -1.0, v1
	v_add_f32_e32 v41, 1.0, v40
	v_sub_f32_e32 v41, v1, v41
	v_add_f32_e32 v42, v29, v41
	v_add_f32_e32 v41, 1.0, v1
	v_add_f32_e32 v43, -1.0, v41
	v_sub_f32_e32 v1, v1, v43
	v_add_f32_e32 v1, v29, v1
	v_add_f32_e32 v29, v41, v1
	v_rcp_f32_e32 v49, v29
	v_sub_f32_e32 v41, v41, v29
	v_add_f32_e32 v1, v1, v41
	v_add_f32_e32 v41, v40, v42
	v_sub_f32_e32 v40, v40, v41
	v_mul_f32_e32 v51, v41, v49
	v_add_f32_e32 v50, v42, v40
	v_mul_f32_e32 v42, v29, v51
	v_fma_f32 v44, v51, v29, -v42
	v_fmac_f32_e32 v44, v51, v1
	v_add_f32_e32 v40, v42, v44
	v_sub_f32_e32 v43, v41, v40
	v_pk_add_f32 v[46:47], v[40:41], v[42:43] neg_lo:[0,1] neg_hi:[0,1]
	v_mov_b32_e32 v45, v40
	v_pk_add_f32 v[40:41], v[46:47], v[44:45] neg_lo:[0,1] neg_hi:[0,1]
	s_nop 0
	v_add_f32_e32 v41, v50, v41
	v_add_f32_e32 v40, v40, v41
	;; [unrolled: 1-line block ×3, first 2 shown]
	v_mul_f32_e32 v50, v49, v41
	v_mul_f32_e32 v42, v29, v50
	v_fma_f32 v44, v50, v29, -v42
	v_fmac_f32_e32 v44, v50, v1
	v_sub_f32_e32 v1, v43, v41
	v_add_f32_e32 v1, v40, v1
	v_add_f32_e32 v40, v42, v44
	v_sub_f32_e32 v43, v41, v40
	v_pk_add_f32 v[46:47], v[40:41], v[42:43] neg_lo:[0,1] neg_hi:[0,1]
	v_mov_b32_e32 v45, v40
	v_pk_add_f32 v[40:41], v[46:47], v[44:45] neg_lo:[0,1] neg_hi:[0,1]
	s_nop 0
	v_add_f32_e32 v1, v1, v41
	v_add_f32_e32 v1, v40, v1
	;; [unrolled: 1-line block ×4, first 2 shown]
	v_sub_f32_e32 v29, v41, v51
	v_mul_f32_e32 v1, v49, v1
	v_sub_f32_e32 v29, v50, v29
	v_add_f32_e32 v1, v29, v1
	v_add_f32_e32 v42, v41, v1
	v_cvt_f32_i32_e32 v40, v48
	v_mul_f32_e32 v44, v42, v42
	v_fmamk_f32 v29, v44, 0x3e9b6dac, v147
	v_sub_f32_e32 v41, v42, v41
	v_fmaak_f32 v29, v44, v29, 0x3f2aaada
	v_sub_f32_e32 v1, v1, v41
	v_mul_f32_e32 v41, v42, v44
	v_pk_mul_f32 v[44:45], v[40:41], v[28:29]
	v_ldexp_f32 v43, v42, 1
	v_fma_f32 v42, v40, s4, -v44
	v_fmac_f32_e32 v42, 0xb102e308, v40
	v_pk_add_f32 v[40:41], v[44:45], v[42:43]
	v_ldexp_f32 v1, v1, 1
	v_sub_f32_e32 v29, v41, v43
	v_sub_f32_e32 v29, v45, v29
	v_add_f32_e32 v47, v1, v29
	v_mov_b32_e32 v46, v44
	v_pk_add_f32 v[44:45], v[40:41], v[44:45] neg_lo:[0,1] neg_hi:[0,1]
	v_pk_add_f32 v[48:49], v[40:41], v[46:47]
	v_mov_b32_e32 v43, v40
	v_mov_b32_e32 v45, v49
	v_pk_add_f32 v[50:51], v[42:43], v[44:45] neg_lo:[0,1] neg_hi:[0,1]
	v_pk_add_f32 v[42:43], v[42:43], v[44:45]
	v_mov_b32_e32 v46, v47
	v_mov_b32_e32 v44, v43
	v_pk_add_f32 v[52:53], v[44:45], v[40:41] neg_lo:[0,1] neg_hi:[0,1]
	v_mov_b32_e32 v42, v49
	v_mov_b32_e32 v1, v52
	v_pk_add_f32 v[54:55], v[48:49], v[0:1] neg_lo:[0,1] neg_hi:[0,1]
	v_mov_b32_e32 v48, v41
	v_mov_b32_e32 v49, v52
	;; [unrolled: 1-line block ×3, first 2 shown]
	v_pk_add_f32 v[42:43], v[42:43], v[48:49] neg_lo:[0,1] neg_hi:[0,1]
	v_mov_b32_e32 v47, v40
	v_pk_add_f32 v[40:41], v[46:47], v[42:43] neg_lo:[0,1] neg_hi:[0,1]
	v_mov_b32_e32 v54, v50
	v_pk_add_f32 v[42:43], v[54:55], v[40:41]
	s_mov_b32 s4, 0x7f800000
	v_mov_b32_e32 v46, v43
	v_pk_add_f32 v[46:47], v[42:43], v[46:47]
	v_cmp_eq_f32_e32 vcc, s4, v56
	v_pk_add_f32 v[44:45], v[44:45], v[46:47]
	v_mov_b32_e32 v41, v46
	v_mov_b32_e32 v43, v44
	v_pk_add_f32 v[48:49], v[42:43], v[50:51] neg_lo:[0,1] neg_hi:[0,1]
	s_mov_b32 s4, 0x33800000
	v_sub_f32_e32 v1, v42, v48
	v_pk_add_f32 v[40:41], v[40:41], v[48:49] neg_lo:[0,1] neg_hi:[0,1]
	v_sub_f32_e32 v1, v50, v1
	v_add_f32_e32 v1, v40, v1
	v_add_f32_e32 v1, v1, v41
	v_cmp_gt_f32_e64 s[60:61], s4, v56
	v_add_f32_e32 v1, v44, v1
	s_or_b64 vcc, s[60:61], vcc
	v_cndmask_b32_e32 v156, v1, v56, vcc
.LBB157_87:                             ;   in Loop: Header=BB157_13 Depth=1
	s_or_b64 exec, exec, s[6:7]
	s_waitcnt lgkmcnt(4)
	v_add_f32_e32 v157, s62, v38
	s_mov_b32 s4, 0x41a00000
	v_readlane_b32 s6, v166, 18
	v_cmp_ge_f32_e32 vcc, s4, v157
	v_readlane_b32 s7, v166, 19
	s_and_b64 s[8:9], s[6:7], vcc
	s_and_saveexec_b64 s[6:7], s[8:9]
	s_cbranch_execz .LBB157_89
; %bb.88:                               ;   in Loop: Header=BB157_13 Depth=1
	v_mul_f32_e32 v1, 0x3fb8aa3b, v157
	v_rndne_f32_e32 v29, v1
	s_mov_b32 s4, 0x3fb8aa3b
	v_sub_f32_e32 v38, v1, v29
	v_fma_f32 v1, v157, s4, -v1
	v_fmac_f32_e32 v1, 0x32a5705f, v157
	v_add_f32_e32 v1, v38, v1
	v_cvt_i32_f32_e32 v29, v29
	v_exp_f32_e32 v1, v1
	s_mov_b32 s4, 0xc2ce8ed0
	v_cmp_ngt_f32_e32 vcc, s4, v157
	s_mov_b32 s4, 0x42b17218
	v_ldexp_f32 v1, v1, v29
	v_cndmask_b32_e32 v1, 0, v1, vcc
	v_cmp_nlt_f32_e32 vcc, s4, v157
	s_mov_b32 s4, 0x3f2aaaab
	s_nop 0
	v_cndmask_b32_e32 v54, v148, v1, vcc
	v_add_f32_e32 v1, 1.0, v54
	v_add_f32_e32 v29, -1.0, v1
	v_sub_f32_e32 v38, v29, v1
	v_add_f32_e32 v38, 1.0, v38
	v_sub_f32_e32 v29, v54, v29
	v_add_f32_e32 v29, v29, v38
	v_frexp_mant_f32_e32 v38, v1
	v_cvt_f64_f32_e32 v[40:41], v1
	v_frexp_exp_i32_f64_e32 v40, v[40:41]
	v_cmp_gt_f32_e32 vcc, s4, v38
	s_mov_b32 s4, 0x3f317218
	s_nop 0
	v_subbrev_co_u32_e32 v38, vcc, 0, v40, vcc
	v_sub_u32_e32 v40, 0, v38
	v_ldexp_f32 v1, v1, v40
	v_ldexp_f32 v29, v29, v40
	v_add_f32_e32 v40, -1.0, v1
	v_add_f32_e32 v41, 1.0, v40
	v_sub_f32_e32 v41, v1, v41
	v_add_f32_e32 v42, v29, v41
	v_add_f32_e32 v41, 1.0, v1
	v_add_f32_e32 v43, -1.0, v41
	v_sub_f32_e32 v1, v1, v43
	v_add_f32_e32 v1, v29, v1
	v_add_f32_e32 v29, v41, v1
	v_rcp_f32_e32 v48, v29
	v_sub_f32_e32 v41, v41, v29
	v_add_f32_e32 v1, v1, v41
	v_add_f32_e32 v41, v40, v42
	v_sub_f32_e32 v40, v40, v41
	v_mul_f32_e32 v50, v41, v48
	v_add_f32_e32 v49, v42, v40
	v_mul_f32_e32 v42, v29, v50
	v_fma_f32 v44, v50, v29, -v42
	v_fmac_f32_e32 v44, v50, v1
	v_add_f32_e32 v40, v42, v44
	v_sub_f32_e32 v43, v41, v40
	v_pk_add_f32 v[46:47], v[40:41], v[42:43] neg_lo:[0,1] neg_hi:[0,1]
	v_mov_b32_e32 v45, v40
	v_pk_add_f32 v[40:41], v[46:47], v[44:45] neg_lo:[0,1] neg_hi:[0,1]
	s_nop 0
	v_add_f32_e32 v41, v49, v41
	v_add_f32_e32 v40, v40, v41
	;; [unrolled: 1-line block ×3, first 2 shown]
	v_mul_f32_e32 v49, v48, v41
	v_mul_f32_e32 v42, v29, v49
	v_fma_f32 v44, v49, v29, -v42
	v_fmac_f32_e32 v44, v49, v1
	v_sub_f32_e32 v1, v43, v41
	v_add_f32_e32 v1, v40, v1
	v_add_f32_e32 v40, v42, v44
	v_sub_f32_e32 v43, v41, v40
	v_pk_add_f32 v[46:47], v[40:41], v[42:43] neg_lo:[0,1] neg_hi:[0,1]
	v_mov_b32_e32 v45, v40
	v_pk_add_f32 v[40:41], v[46:47], v[44:45] neg_lo:[0,1] neg_hi:[0,1]
	s_nop 0
	v_add_f32_e32 v1, v1, v41
	v_add_f32_e32 v1, v40, v1
	;; [unrolled: 1-line block ×4, first 2 shown]
	v_sub_f32_e32 v29, v41, v50
	v_mul_f32_e32 v1, v48, v1
	v_sub_f32_e32 v29, v49, v29
	v_add_f32_e32 v1, v29, v1
	v_add_f32_e32 v42, v41, v1
	v_cvt_f32_i32_e32 v40, v38
	v_mul_f32_e32 v44, v42, v42
	v_fmamk_f32 v29, v44, 0x3e9b6dac, v147
	v_fmaak_f32 v29, v44, v29, 0x3f2aaada
	v_sub_f32_e32 v38, v42, v41
	v_mul_f32_e32 v41, v42, v44
	v_pk_mul_f32 v[44:45], v[40:41], v[28:29]
	v_ldexp_f32 v43, v42, 1
	v_fma_f32 v42, v40, s4, -v44
	v_fmac_f32_e32 v42, 0xb102e308, v40
	v_pk_add_f32 v[40:41], v[44:45], v[42:43]
	v_sub_f32_e32 v1, v1, v38
	v_sub_f32_e32 v29, v41, v43
	v_ldexp_f32 v1, v1, 1
	v_sub_f32_e32 v29, v45, v29
	v_add_f32_e32 v47, v1, v29
	v_mov_b32_e32 v46, v44
	v_pk_add_f32 v[44:45], v[40:41], v[44:45] neg_lo:[0,1] neg_hi:[0,1]
	v_pk_add_f32 v[48:49], v[40:41], v[46:47]
	v_mov_b32_e32 v43, v40
	v_mov_b32_e32 v45, v49
	v_pk_add_f32 v[50:51], v[42:43], v[44:45] neg_lo:[0,1] neg_hi:[0,1]
	v_pk_add_f32 v[42:43], v[42:43], v[44:45]
	s_mov_b32 s4, 0x7f800000
	v_mov_b32_e32 v38, v43
	v_pk_add_f32 v[44:45], v[38:39], v[40:41] neg_lo:[0,1] neg_hi:[0,1]
	v_mov_b32_e32 v42, v49
	v_mov_b32_e32 v1, v44
	v_pk_add_f32 v[52:53], v[48:49], v[0:1] neg_lo:[0,1] neg_hi:[0,1]
	v_mov_b32_e32 v48, v41
	v_mov_b32_e32 v49, v44
	;; [unrolled: 1-line block ×3, first 2 shown]
	v_pk_add_f32 v[42:43], v[42:43], v[48:49] neg_lo:[0,1] neg_hi:[0,1]
	v_mov_b32_e32 v44, v47
	v_mov_b32_e32 v45, v40
	v_pk_add_f32 v[40:41], v[44:45], v[42:43] neg_lo:[0,1] neg_hi:[0,1]
	v_mov_b32_e32 v52, v50
	v_pk_add_f32 v[42:43], v[52:53], v[40:41]
	v_cmp_eq_f32_e32 vcc, s4, v54
	v_mov_b32_e32 v44, v43
	v_pk_add_f32 v[44:45], v[42:43], v[44:45]
	s_mov_b32 s4, 0x33800000
	v_pk_add_f32 v[46:47], v[38:39], v[44:45]
	v_mov_b32_e32 v41, v44
	v_mov_b32_e32 v43, v46
	v_pk_add_f32 v[48:49], v[42:43], v[50:51] neg_lo:[0,1] neg_hi:[0,1]
	v_cmp_gt_f32_e64 s[60:61], s4, v54
	v_sub_f32_e32 v1, v42, v48
	v_pk_add_f32 v[40:41], v[40:41], v[48:49] neg_lo:[0,1] neg_hi:[0,1]
	v_sub_f32_e32 v1, v50, v1
	v_add_f32_e32 v1, v40, v1
	v_add_f32_e32 v1, v1, v41
	;; [unrolled: 1-line block ×3, first 2 shown]
	s_or_b64 vcc, s[60:61], vcc
	v_cndmask_b32_e32 v157, v1, v54, vcc
.LBB157_89:                             ;   in Loop: Header=BB157_13 Depth=1
	s_or_b64 exec, exec, s[6:7]
	v_add_f32_e32 v158, s62, v39
	s_mov_b32 s4, 0x41a00000
	v_readlane_b32 s6, v166, 18
	v_cmp_ge_f32_e32 vcc, s4, v158
	v_readlane_b32 s7, v166, 19
	s_and_b64 s[8:9], s[6:7], vcc
	s_and_saveexec_b64 s[6:7], s[8:9]
	s_cbranch_execz .LBB157_91
; %bb.90:                               ;   in Loop: Header=BB157_13 Depth=1
	v_mul_f32_e32 v1, 0x3fb8aa3b, v158
	v_rndne_f32_e32 v29, v1
	s_mov_b32 s4, 0x3fb8aa3b
	v_sub_f32_e32 v38, v1, v29
	v_fma_f32 v1, v158, s4, -v1
	v_fmac_f32_e32 v1, 0x32a5705f, v158
	v_add_f32_e32 v1, v38, v1
	v_cvt_i32_f32_e32 v29, v29
	v_exp_f32_e32 v1, v1
	s_mov_b32 s4, 0xc2ce8ed0
	v_cmp_ngt_f32_e32 vcc, s4, v158
	s_mov_b32 s4, 0x42b17218
	v_ldexp_f32 v1, v1, v29
	v_cndmask_b32_e32 v1, 0, v1, vcc
	v_cmp_nlt_f32_e32 vcc, s4, v158
	s_mov_b32 s4, 0x3f2aaaab
	s_nop 0
	v_cndmask_b32_e32 v54, v148, v1, vcc
	v_add_f32_e32 v1, 1.0, v54
	v_add_f32_e32 v29, -1.0, v1
	v_sub_f32_e32 v38, v29, v1
	v_add_f32_e32 v38, 1.0, v38
	v_sub_f32_e32 v29, v54, v29
	v_add_f32_e32 v29, v29, v38
	v_frexp_mant_f32_e32 v40, v1
	v_cvt_f64_f32_e32 v[38:39], v1
	v_frexp_exp_i32_f64_e32 v38, v[38:39]
	v_cmp_gt_f32_e32 vcc, s4, v40
	s_mov_b32 s4, 0x3f317218
	s_nop 0
	v_subbrev_co_u32_e32 v46, vcc, 0, v38, vcc
	v_sub_u32_e32 v38, 0, v46
	v_ldexp_f32 v1, v1, v38
	v_ldexp_f32 v29, v29, v38
	v_add_f32_e32 v38, -1.0, v1
	v_add_f32_e32 v39, 1.0, v38
	v_sub_f32_e32 v39, v1, v39
	v_add_f32_e32 v40, v29, v39
	v_add_f32_e32 v39, 1.0, v1
	v_add_f32_e32 v41, -1.0, v39
	v_sub_f32_e32 v1, v1, v41
	v_add_f32_e32 v1, v29, v1
	v_add_f32_e32 v29, v39, v1
	v_rcp_f32_e32 v47, v29
	v_sub_f32_e32 v39, v39, v29
	v_add_f32_e32 v1, v1, v39
	v_add_f32_e32 v39, v38, v40
	v_sub_f32_e32 v38, v38, v39
	v_mul_f32_e32 v49, v39, v47
	v_add_f32_e32 v48, v40, v38
	v_mul_f32_e32 v40, v29, v49
	v_fma_f32 v42, v49, v29, -v40
	v_fmac_f32_e32 v42, v49, v1
	v_add_f32_e32 v38, v40, v42
	v_sub_f32_e32 v41, v39, v38
	v_pk_add_f32 v[44:45], v[38:39], v[40:41] neg_lo:[0,1] neg_hi:[0,1]
	v_mov_b32_e32 v43, v38
	v_pk_add_f32 v[38:39], v[44:45], v[42:43] neg_lo:[0,1] neg_hi:[0,1]
	s_nop 0
	v_add_f32_e32 v39, v48, v39
	v_add_f32_e32 v38, v38, v39
	;; [unrolled: 1-line block ×3, first 2 shown]
	v_mul_f32_e32 v48, v47, v39
	v_mul_f32_e32 v40, v29, v48
	v_fma_f32 v42, v48, v29, -v40
	v_fmac_f32_e32 v42, v48, v1
	v_sub_f32_e32 v1, v41, v39
	v_add_f32_e32 v1, v38, v1
	v_add_f32_e32 v38, v40, v42
	v_sub_f32_e32 v41, v39, v38
	v_pk_add_f32 v[44:45], v[38:39], v[40:41] neg_lo:[0,1] neg_hi:[0,1]
	v_mov_b32_e32 v43, v38
	v_pk_add_f32 v[38:39], v[44:45], v[42:43] neg_lo:[0,1] neg_hi:[0,1]
	s_nop 0
	v_add_f32_e32 v1, v1, v39
	v_add_f32_e32 v1, v38, v1
	;; [unrolled: 1-line block ×4, first 2 shown]
	v_sub_f32_e32 v29, v39, v49
	v_mul_f32_e32 v1, v47, v1
	v_sub_f32_e32 v29, v48, v29
	v_add_f32_e32 v1, v29, v1
	v_add_f32_e32 v40, v39, v1
	v_cvt_f32_i32_e32 v38, v46
	v_mul_f32_e32 v42, v40, v40
	v_fmamk_f32 v29, v42, 0x3e9b6dac, v147
	v_sub_f32_e32 v39, v40, v39
	v_fmaak_f32 v29, v42, v29, 0x3f2aaada
	v_sub_f32_e32 v1, v1, v39
	v_mul_f32_e32 v39, v40, v42
	v_pk_mul_f32 v[42:43], v[38:39], v[28:29]
	v_ldexp_f32 v41, v40, 1
	v_fma_f32 v40, v38, s4, -v42
	v_fmac_f32_e32 v40, 0xb102e308, v38
	v_pk_add_f32 v[38:39], v[42:43], v[40:41]
	v_ldexp_f32 v1, v1, 1
	v_sub_f32_e32 v29, v39, v41
	v_sub_f32_e32 v29, v43, v29
	v_add_f32_e32 v45, v1, v29
	v_mov_b32_e32 v44, v42
	v_pk_add_f32 v[42:43], v[38:39], v[42:43] neg_lo:[0,1] neg_hi:[0,1]
	v_pk_add_f32 v[46:47], v[38:39], v[44:45]
	v_mov_b32_e32 v41, v38
	v_mov_b32_e32 v43, v47
	v_pk_add_f32 v[48:49], v[40:41], v[42:43] neg_lo:[0,1] neg_hi:[0,1]
	v_pk_add_f32 v[40:41], v[40:41], v[42:43]
	v_mov_b32_e32 v44, v45
	v_mov_b32_e32 v42, v41
	v_pk_add_f32 v[50:51], v[42:43], v[38:39] neg_lo:[0,1] neg_hi:[0,1]
	v_mov_b32_e32 v40, v47
	v_mov_b32_e32 v1, v50
	v_pk_add_f32 v[52:53], v[46:47], v[0:1] neg_lo:[0,1] neg_hi:[0,1]
	v_mov_b32_e32 v46, v39
	v_mov_b32_e32 v47, v50
	v_mov_b32_e32 v49, v41
	v_pk_add_f32 v[40:41], v[40:41], v[46:47] neg_lo:[0,1] neg_hi:[0,1]
	v_mov_b32_e32 v45, v38
	v_pk_add_f32 v[38:39], v[44:45], v[40:41] neg_lo:[0,1] neg_hi:[0,1]
	v_mov_b32_e32 v52, v48
	v_pk_add_f32 v[40:41], v[52:53], v[38:39]
	s_mov_b32 s4, 0x7f800000
	v_mov_b32_e32 v44, v41
	v_pk_add_f32 v[44:45], v[40:41], v[44:45]
	v_cmp_eq_f32_e32 vcc, s4, v54
	v_pk_add_f32 v[42:43], v[42:43], v[44:45]
	v_mov_b32_e32 v39, v44
	v_mov_b32_e32 v41, v42
	v_pk_add_f32 v[46:47], v[40:41], v[48:49] neg_lo:[0,1] neg_hi:[0,1]
	s_mov_b32 s4, 0x33800000
	v_sub_f32_e32 v1, v40, v46
	v_pk_add_f32 v[38:39], v[38:39], v[46:47] neg_lo:[0,1] neg_hi:[0,1]
	v_sub_f32_e32 v1, v48, v1
	v_add_f32_e32 v1, v38, v1
	v_add_f32_e32 v1, v1, v39
	v_cmp_gt_f32_e64 s[60:61], s4, v54
	v_add_f32_e32 v1, v42, v1
	s_or_b64 vcc, s[60:61], vcc
	v_cndmask_b32_e32 v158, v1, v54, vcc
.LBB157_91:                             ;   in Loop: Header=BB157_13 Depth=1
	s_or_b64 exec, exec, s[6:7]
	s_waitcnt lgkmcnt(3)
	v_add_f32_e32 v159, s62, v36
	s_mov_b32 s4, 0x41a00000
	v_readlane_b32 s6, v166, 18
	v_cmp_ge_f32_e32 vcc, s4, v159
	v_readlane_b32 s7, v166, 19
	s_and_b64 s[8:9], s[6:7], vcc
	s_and_saveexec_b64 s[6:7], s[8:9]
	s_cbranch_execz .LBB157_93
; %bb.92:                               ;   in Loop: Header=BB157_13 Depth=1
	v_mul_f32_e32 v1, 0x3fb8aa3b, v159
	v_rndne_f32_e32 v29, v1
	s_mov_b32 s4, 0x3fb8aa3b
	v_sub_f32_e32 v36, v1, v29
	v_fma_f32 v1, v159, s4, -v1
	v_fmac_f32_e32 v1, 0x32a5705f, v159
	v_add_f32_e32 v1, v36, v1
	v_cvt_i32_f32_e32 v29, v29
	v_exp_f32_e32 v1, v1
	s_mov_b32 s4, 0xc2ce8ed0
	v_cmp_ngt_f32_e32 vcc, s4, v159
	s_mov_b32 s4, 0x42b17218
	v_ldexp_f32 v1, v1, v29
	v_cndmask_b32_e32 v1, 0, v1, vcc
	v_cmp_nlt_f32_e32 vcc, s4, v159
	s_mov_b32 s4, 0x3f2aaaab
	s_nop 0
	v_cndmask_b32_e32 v52, v148, v1, vcc
	v_add_f32_e32 v1, 1.0, v52
	v_add_f32_e32 v29, -1.0, v1
	v_sub_f32_e32 v36, v29, v1
	v_add_f32_e32 v36, 1.0, v36
	v_sub_f32_e32 v29, v52, v29
	v_add_f32_e32 v29, v29, v36
	v_frexp_mant_f32_e32 v36, v1
	v_cvt_f64_f32_e32 v[38:39], v1
	v_frexp_exp_i32_f64_e32 v38, v[38:39]
	v_cmp_gt_f32_e32 vcc, s4, v36
	s_mov_b32 s4, 0x3f317218
	s_nop 0
	v_subbrev_co_u32_e32 v36, vcc, 0, v38, vcc
	v_sub_u32_e32 v38, 0, v36
	v_ldexp_f32 v1, v1, v38
	v_ldexp_f32 v29, v29, v38
	v_add_f32_e32 v38, -1.0, v1
	v_add_f32_e32 v39, 1.0, v38
	v_sub_f32_e32 v39, v1, v39
	v_add_f32_e32 v40, v29, v39
	v_add_f32_e32 v39, 1.0, v1
	v_add_f32_e32 v41, -1.0, v39
	v_sub_f32_e32 v1, v1, v41
	v_add_f32_e32 v1, v29, v1
	v_add_f32_e32 v29, v39, v1
	v_rcp_f32_e32 v46, v29
	v_sub_f32_e32 v39, v39, v29
	v_add_f32_e32 v1, v1, v39
	v_add_f32_e32 v39, v38, v40
	v_sub_f32_e32 v38, v38, v39
	v_mul_f32_e32 v48, v39, v46
	v_add_f32_e32 v47, v40, v38
	v_mul_f32_e32 v40, v29, v48
	v_fma_f32 v42, v48, v29, -v40
	v_fmac_f32_e32 v42, v48, v1
	v_add_f32_e32 v38, v40, v42
	v_sub_f32_e32 v41, v39, v38
	v_pk_add_f32 v[44:45], v[38:39], v[40:41] neg_lo:[0,1] neg_hi:[0,1]
	v_mov_b32_e32 v43, v38
	v_pk_add_f32 v[38:39], v[44:45], v[42:43] neg_lo:[0,1] neg_hi:[0,1]
	s_nop 0
	v_add_f32_e32 v39, v47, v39
	v_add_f32_e32 v38, v38, v39
	;; [unrolled: 1-line block ×3, first 2 shown]
	v_mul_f32_e32 v47, v46, v39
	v_mul_f32_e32 v40, v29, v47
	v_fma_f32 v42, v47, v29, -v40
	v_fmac_f32_e32 v42, v47, v1
	v_sub_f32_e32 v1, v41, v39
	v_add_f32_e32 v1, v38, v1
	v_add_f32_e32 v38, v40, v42
	v_sub_f32_e32 v41, v39, v38
	v_pk_add_f32 v[44:45], v[38:39], v[40:41] neg_lo:[0,1] neg_hi:[0,1]
	v_mov_b32_e32 v43, v38
	v_pk_add_f32 v[38:39], v[44:45], v[42:43] neg_lo:[0,1] neg_hi:[0,1]
	s_nop 0
	v_add_f32_e32 v1, v1, v39
	v_add_f32_e32 v1, v38, v1
	;; [unrolled: 1-line block ×4, first 2 shown]
	v_sub_f32_e32 v29, v39, v48
	v_mul_f32_e32 v1, v46, v1
	v_sub_f32_e32 v29, v47, v29
	v_add_f32_e32 v1, v29, v1
	v_add_f32_e32 v40, v39, v1
	v_cvt_f32_i32_e32 v38, v36
	v_mul_f32_e32 v42, v40, v40
	v_fmamk_f32 v29, v42, 0x3e9b6dac, v147
	v_fmaak_f32 v29, v42, v29, 0x3f2aaada
	v_sub_f32_e32 v36, v40, v39
	v_mul_f32_e32 v39, v40, v42
	v_pk_mul_f32 v[42:43], v[38:39], v[28:29]
	v_ldexp_f32 v41, v40, 1
	v_fma_f32 v40, v38, s4, -v42
	v_fmac_f32_e32 v40, 0xb102e308, v38
	v_pk_add_f32 v[38:39], v[42:43], v[40:41]
	v_sub_f32_e32 v1, v1, v36
	v_sub_f32_e32 v29, v39, v41
	v_ldexp_f32 v1, v1, 1
	v_sub_f32_e32 v29, v43, v29
	v_add_f32_e32 v45, v1, v29
	v_mov_b32_e32 v44, v42
	v_pk_add_f32 v[42:43], v[38:39], v[42:43] neg_lo:[0,1] neg_hi:[0,1]
	v_pk_add_f32 v[46:47], v[38:39], v[44:45]
	v_mov_b32_e32 v41, v38
	v_mov_b32_e32 v43, v47
	v_pk_add_f32 v[48:49], v[40:41], v[42:43] neg_lo:[0,1] neg_hi:[0,1]
	v_pk_add_f32 v[40:41], v[40:41], v[42:43]
	s_mov_b32 s4, 0x7f800000
	v_mov_b32_e32 v36, v41
	v_pk_add_f32 v[42:43], v[36:37], v[38:39] neg_lo:[0,1] neg_hi:[0,1]
	v_mov_b32_e32 v40, v47
	v_mov_b32_e32 v1, v42
	v_pk_add_f32 v[50:51], v[46:47], v[0:1] neg_lo:[0,1] neg_hi:[0,1]
	v_mov_b32_e32 v46, v39
	v_mov_b32_e32 v47, v42
	v_mov_b32_e32 v49, v41
	v_pk_add_f32 v[40:41], v[40:41], v[46:47] neg_lo:[0,1] neg_hi:[0,1]
	v_mov_b32_e32 v42, v45
	v_mov_b32_e32 v43, v38
	v_pk_add_f32 v[38:39], v[42:43], v[40:41] neg_lo:[0,1] neg_hi:[0,1]
	v_mov_b32_e32 v50, v48
	v_pk_add_f32 v[40:41], v[50:51], v[38:39]
	v_cmp_eq_f32_e32 vcc, s4, v52
	v_mov_b32_e32 v42, v41
	v_pk_add_f32 v[42:43], v[40:41], v[42:43]
	s_mov_b32 s4, 0x33800000
	v_pk_add_f32 v[44:45], v[36:37], v[42:43]
	v_mov_b32_e32 v39, v42
	v_mov_b32_e32 v41, v44
	v_pk_add_f32 v[46:47], v[40:41], v[48:49] neg_lo:[0,1] neg_hi:[0,1]
	v_cmp_gt_f32_e64 s[60:61], s4, v52
	v_sub_f32_e32 v1, v40, v46
	v_pk_add_f32 v[38:39], v[38:39], v[46:47] neg_lo:[0,1] neg_hi:[0,1]
	v_sub_f32_e32 v1, v48, v1
	v_add_f32_e32 v1, v38, v1
	v_add_f32_e32 v1, v1, v39
	;; [unrolled: 1-line block ×3, first 2 shown]
	s_or_b64 vcc, s[60:61], vcc
	v_cndmask_b32_e32 v159, v1, v52, vcc
.LBB157_93:                             ;   in Loop: Header=BB157_13 Depth=1
	s_or_b64 exec, exec, s[6:7]
	v_add_f32_e32 v160, s62, v37
	s_mov_b32 s4, 0x41a00000
	v_readlane_b32 s6, v166, 18
	v_cmp_ge_f32_e32 vcc, s4, v160
	v_readlane_b32 s7, v166, 19
	s_and_b64 s[8:9], s[6:7], vcc
	s_and_saveexec_b64 s[6:7], s[8:9]
	s_cbranch_execz .LBB157_95
; %bb.94:                               ;   in Loop: Header=BB157_13 Depth=1
	v_mul_f32_e32 v1, 0x3fb8aa3b, v160
	v_rndne_f32_e32 v29, v1
	s_mov_b32 s4, 0x3fb8aa3b
	v_sub_f32_e32 v36, v1, v29
	v_fma_f32 v1, v160, s4, -v1
	v_fmac_f32_e32 v1, 0x32a5705f, v160
	v_add_f32_e32 v1, v36, v1
	v_cvt_i32_f32_e32 v29, v29
	v_exp_f32_e32 v1, v1
	s_mov_b32 s4, 0xc2ce8ed0
	v_cmp_ngt_f32_e32 vcc, s4, v160
	s_mov_b32 s4, 0x42b17218
	v_ldexp_f32 v1, v1, v29
	v_cndmask_b32_e32 v1, 0, v1, vcc
	v_cmp_nlt_f32_e32 vcc, s4, v160
	s_mov_b32 s4, 0x3f2aaaab
	s_nop 0
	v_cndmask_b32_e32 v52, v148, v1, vcc
	v_add_f32_e32 v1, 1.0, v52
	v_add_f32_e32 v29, -1.0, v1
	v_sub_f32_e32 v36, v29, v1
	v_add_f32_e32 v36, 1.0, v36
	v_sub_f32_e32 v29, v52, v29
	v_add_f32_e32 v29, v29, v36
	v_frexp_mant_f32_e32 v38, v1
	v_cvt_f64_f32_e32 v[36:37], v1
	v_frexp_exp_i32_f64_e32 v36, v[36:37]
	v_cmp_gt_f32_e32 vcc, s4, v38
	s_mov_b32 s4, 0x3f317218
	s_nop 0
	v_subbrev_co_u32_e32 v44, vcc, 0, v36, vcc
	v_sub_u32_e32 v36, 0, v44
	v_ldexp_f32 v1, v1, v36
	v_ldexp_f32 v29, v29, v36
	v_add_f32_e32 v36, -1.0, v1
	v_add_f32_e32 v37, 1.0, v36
	v_sub_f32_e32 v37, v1, v37
	v_add_f32_e32 v38, v29, v37
	v_add_f32_e32 v37, 1.0, v1
	v_add_f32_e32 v39, -1.0, v37
	v_sub_f32_e32 v1, v1, v39
	v_add_f32_e32 v1, v29, v1
	v_add_f32_e32 v29, v37, v1
	v_rcp_f32_e32 v45, v29
	v_sub_f32_e32 v37, v37, v29
	v_add_f32_e32 v1, v1, v37
	v_add_f32_e32 v37, v36, v38
	v_sub_f32_e32 v36, v36, v37
	v_mul_f32_e32 v47, v37, v45
	v_add_f32_e32 v46, v38, v36
	v_mul_f32_e32 v38, v29, v47
	v_fma_f32 v40, v47, v29, -v38
	v_fmac_f32_e32 v40, v47, v1
	v_add_f32_e32 v36, v38, v40
	v_sub_f32_e32 v39, v37, v36
	v_pk_add_f32 v[42:43], v[36:37], v[38:39] neg_lo:[0,1] neg_hi:[0,1]
	v_mov_b32_e32 v41, v36
	v_pk_add_f32 v[36:37], v[42:43], v[40:41] neg_lo:[0,1] neg_hi:[0,1]
	s_nop 0
	v_add_f32_e32 v37, v46, v37
	v_add_f32_e32 v36, v36, v37
	;; [unrolled: 1-line block ×3, first 2 shown]
	v_mul_f32_e32 v46, v45, v37
	v_mul_f32_e32 v38, v29, v46
	v_fma_f32 v40, v46, v29, -v38
	v_fmac_f32_e32 v40, v46, v1
	v_sub_f32_e32 v1, v39, v37
	v_add_f32_e32 v1, v36, v1
	v_add_f32_e32 v36, v38, v40
	v_sub_f32_e32 v39, v37, v36
	v_pk_add_f32 v[42:43], v[36:37], v[38:39] neg_lo:[0,1] neg_hi:[0,1]
	v_mov_b32_e32 v41, v36
	v_pk_add_f32 v[36:37], v[42:43], v[40:41] neg_lo:[0,1] neg_hi:[0,1]
	s_nop 0
	v_add_f32_e32 v1, v1, v37
	v_add_f32_e32 v1, v36, v1
	;; [unrolled: 1-line block ×4, first 2 shown]
	v_sub_f32_e32 v29, v37, v47
	v_mul_f32_e32 v1, v45, v1
	v_sub_f32_e32 v29, v46, v29
	v_add_f32_e32 v1, v29, v1
	v_add_f32_e32 v38, v37, v1
	v_cvt_f32_i32_e32 v36, v44
	v_mul_f32_e32 v40, v38, v38
	v_fmamk_f32 v29, v40, 0x3e9b6dac, v147
	v_sub_f32_e32 v37, v38, v37
	v_fmaak_f32 v29, v40, v29, 0x3f2aaada
	v_sub_f32_e32 v1, v1, v37
	v_mul_f32_e32 v37, v38, v40
	v_pk_mul_f32 v[40:41], v[36:37], v[28:29]
	v_ldexp_f32 v39, v38, 1
	v_fma_f32 v38, v36, s4, -v40
	v_fmac_f32_e32 v38, 0xb102e308, v36
	v_pk_add_f32 v[36:37], v[40:41], v[38:39]
	v_ldexp_f32 v1, v1, 1
	v_sub_f32_e32 v29, v37, v39
	v_sub_f32_e32 v29, v41, v29
	v_add_f32_e32 v43, v1, v29
	v_mov_b32_e32 v42, v40
	v_pk_add_f32 v[40:41], v[36:37], v[40:41] neg_lo:[0,1] neg_hi:[0,1]
	v_pk_add_f32 v[44:45], v[36:37], v[42:43]
	v_mov_b32_e32 v39, v36
	v_mov_b32_e32 v41, v45
	v_pk_add_f32 v[46:47], v[38:39], v[40:41] neg_lo:[0,1] neg_hi:[0,1]
	v_pk_add_f32 v[38:39], v[38:39], v[40:41]
	v_mov_b32_e32 v42, v43
	v_mov_b32_e32 v40, v39
	v_pk_add_f32 v[48:49], v[40:41], v[36:37] neg_lo:[0,1] neg_hi:[0,1]
	v_mov_b32_e32 v38, v45
	v_mov_b32_e32 v1, v48
	v_pk_add_f32 v[50:51], v[44:45], v[0:1] neg_lo:[0,1] neg_hi:[0,1]
	v_mov_b32_e32 v44, v37
	v_mov_b32_e32 v45, v48
	;; [unrolled: 1-line block ×3, first 2 shown]
	v_pk_add_f32 v[38:39], v[38:39], v[44:45] neg_lo:[0,1] neg_hi:[0,1]
	v_mov_b32_e32 v43, v36
	v_pk_add_f32 v[36:37], v[42:43], v[38:39] neg_lo:[0,1] neg_hi:[0,1]
	v_mov_b32_e32 v50, v46
	v_pk_add_f32 v[38:39], v[50:51], v[36:37]
	s_mov_b32 s4, 0x7f800000
	v_mov_b32_e32 v42, v39
	v_pk_add_f32 v[42:43], v[38:39], v[42:43]
	v_cmp_eq_f32_e32 vcc, s4, v52
	v_pk_add_f32 v[40:41], v[40:41], v[42:43]
	v_mov_b32_e32 v37, v42
	v_mov_b32_e32 v39, v40
	v_pk_add_f32 v[44:45], v[38:39], v[46:47] neg_lo:[0,1] neg_hi:[0,1]
	s_mov_b32 s4, 0x33800000
	v_sub_f32_e32 v1, v38, v44
	v_pk_add_f32 v[36:37], v[36:37], v[44:45] neg_lo:[0,1] neg_hi:[0,1]
	v_sub_f32_e32 v1, v46, v1
	v_add_f32_e32 v1, v36, v1
	v_add_f32_e32 v1, v1, v37
	v_cmp_gt_f32_e64 s[60:61], s4, v52
	v_add_f32_e32 v1, v40, v1
	s_or_b64 vcc, s[60:61], vcc
	v_cndmask_b32_e32 v160, v1, v52, vcc
.LBB157_95:                             ;   in Loop: Header=BB157_13 Depth=1
	s_or_b64 exec, exec, s[6:7]
	s_waitcnt lgkmcnt(2)
	v_add_f32_e32 v161, s62, v34
	s_mov_b32 s4, 0x41a00000
	v_readlane_b32 s6, v166, 18
	v_cmp_ge_f32_e32 vcc, s4, v161
	v_readlane_b32 s7, v166, 19
	s_and_b64 s[8:9], s[6:7], vcc
	s_and_saveexec_b64 s[6:7], s[8:9]
	s_cbranch_execz .LBB157_97
; %bb.96:                               ;   in Loop: Header=BB157_13 Depth=1
	v_mul_f32_e32 v1, 0x3fb8aa3b, v161
	v_rndne_f32_e32 v29, v1
	s_mov_b32 s4, 0x3fb8aa3b
	v_sub_f32_e32 v34, v1, v29
	v_fma_f32 v1, v161, s4, -v1
	v_fmac_f32_e32 v1, 0x32a5705f, v161
	v_add_f32_e32 v1, v34, v1
	v_cvt_i32_f32_e32 v29, v29
	v_exp_f32_e32 v1, v1
	s_mov_b32 s4, 0xc2ce8ed0
	v_cmp_ngt_f32_e32 vcc, s4, v161
	s_mov_b32 s4, 0x42b17218
	v_ldexp_f32 v1, v1, v29
	v_cndmask_b32_e32 v1, 0, v1, vcc
	v_cmp_nlt_f32_e32 vcc, s4, v161
	s_mov_b32 s4, 0x3f2aaaab
	s_nop 0
	v_cndmask_b32_e32 v50, v148, v1, vcc
	v_add_f32_e32 v1, 1.0, v50
	v_add_f32_e32 v29, -1.0, v1
	v_sub_f32_e32 v34, v29, v1
	v_add_f32_e32 v34, 1.0, v34
	v_sub_f32_e32 v29, v50, v29
	v_add_f32_e32 v29, v29, v34
	v_frexp_mant_f32_e32 v34, v1
	v_cvt_f64_f32_e32 v[36:37], v1
	v_frexp_exp_i32_f64_e32 v36, v[36:37]
	v_cmp_gt_f32_e32 vcc, s4, v34
	s_mov_b32 s4, 0x3f317218
	s_nop 0
	v_subbrev_co_u32_e32 v34, vcc, 0, v36, vcc
	v_sub_u32_e32 v36, 0, v34
	v_ldexp_f32 v1, v1, v36
	v_ldexp_f32 v29, v29, v36
	v_add_f32_e32 v36, -1.0, v1
	v_add_f32_e32 v37, 1.0, v36
	v_sub_f32_e32 v37, v1, v37
	v_add_f32_e32 v38, v29, v37
	v_add_f32_e32 v37, 1.0, v1
	v_add_f32_e32 v39, -1.0, v37
	v_sub_f32_e32 v1, v1, v39
	v_add_f32_e32 v1, v29, v1
	v_add_f32_e32 v29, v37, v1
	v_rcp_f32_e32 v44, v29
	v_sub_f32_e32 v37, v37, v29
	v_add_f32_e32 v1, v1, v37
	v_add_f32_e32 v37, v36, v38
	v_sub_f32_e32 v36, v36, v37
	v_mul_f32_e32 v46, v37, v44
	v_add_f32_e32 v45, v38, v36
	v_mul_f32_e32 v38, v29, v46
	v_fma_f32 v40, v46, v29, -v38
	v_fmac_f32_e32 v40, v46, v1
	v_add_f32_e32 v36, v38, v40
	v_sub_f32_e32 v39, v37, v36
	v_pk_add_f32 v[42:43], v[36:37], v[38:39] neg_lo:[0,1] neg_hi:[0,1]
	v_mov_b32_e32 v41, v36
	v_pk_add_f32 v[36:37], v[42:43], v[40:41] neg_lo:[0,1] neg_hi:[0,1]
	s_nop 0
	v_add_f32_e32 v37, v45, v37
	v_add_f32_e32 v36, v36, v37
	;; [unrolled: 1-line block ×3, first 2 shown]
	v_mul_f32_e32 v45, v44, v37
	v_mul_f32_e32 v38, v29, v45
	v_fma_f32 v40, v45, v29, -v38
	v_fmac_f32_e32 v40, v45, v1
	v_sub_f32_e32 v1, v39, v37
	v_add_f32_e32 v1, v36, v1
	v_add_f32_e32 v36, v38, v40
	v_sub_f32_e32 v39, v37, v36
	v_pk_add_f32 v[42:43], v[36:37], v[38:39] neg_lo:[0,1] neg_hi:[0,1]
	v_mov_b32_e32 v41, v36
	v_pk_add_f32 v[36:37], v[42:43], v[40:41] neg_lo:[0,1] neg_hi:[0,1]
	s_nop 0
	v_add_f32_e32 v1, v1, v37
	v_add_f32_e32 v1, v36, v1
	;; [unrolled: 1-line block ×4, first 2 shown]
	v_sub_f32_e32 v29, v37, v46
	v_mul_f32_e32 v1, v44, v1
	v_sub_f32_e32 v29, v45, v29
	v_add_f32_e32 v1, v29, v1
	v_add_f32_e32 v38, v37, v1
	v_cvt_f32_i32_e32 v36, v34
	v_mul_f32_e32 v40, v38, v38
	v_fmamk_f32 v29, v40, 0x3e9b6dac, v147
	v_fmaak_f32 v29, v40, v29, 0x3f2aaada
	v_sub_f32_e32 v34, v38, v37
	v_mul_f32_e32 v37, v38, v40
	v_pk_mul_f32 v[40:41], v[36:37], v[28:29]
	v_ldexp_f32 v39, v38, 1
	v_fma_f32 v38, v36, s4, -v40
	v_fmac_f32_e32 v38, 0xb102e308, v36
	v_pk_add_f32 v[36:37], v[40:41], v[38:39]
	v_sub_f32_e32 v1, v1, v34
	v_sub_f32_e32 v29, v37, v39
	v_ldexp_f32 v1, v1, 1
	v_sub_f32_e32 v29, v41, v29
	v_add_f32_e32 v43, v1, v29
	v_mov_b32_e32 v42, v40
	v_pk_add_f32 v[40:41], v[36:37], v[40:41] neg_lo:[0,1] neg_hi:[0,1]
	v_pk_add_f32 v[44:45], v[36:37], v[42:43]
	v_mov_b32_e32 v39, v36
	v_mov_b32_e32 v41, v45
	v_pk_add_f32 v[46:47], v[38:39], v[40:41] neg_lo:[0,1] neg_hi:[0,1]
	v_pk_add_f32 v[38:39], v[38:39], v[40:41]
	s_mov_b32 s4, 0x7f800000
	v_mov_b32_e32 v34, v39
	v_pk_add_f32 v[40:41], v[34:35], v[36:37] neg_lo:[0,1] neg_hi:[0,1]
	v_mov_b32_e32 v38, v45
	v_mov_b32_e32 v1, v40
	v_pk_add_f32 v[48:49], v[44:45], v[0:1] neg_lo:[0,1] neg_hi:[0,1]
	v_mov_b32_e32 v44, v37
	v_mov_b32_e32 v45, v40
	;; [unrolled: 1-line block ×3, first 2 shown]
	v_pk_add_f32 v[38:39], v[38:39], v[44:45] neg_lo:[0,1] neg_hi:[0,1]
	v_mov_b32_e32 v40, v43
	v_mov_b32_e32 v41, v36
	v_pk_add_f32 v[36:37], v[40:41], v[38:39] neg_lo:[0,1] neg_hi:[0,1]
	v_mov_b32_e32 v48, v46
	v_pk_add_f32 v[38:39], v[48:49], v[36:37]
	v_cmp_eq_f32_e32 vcc, s4, v50
	v_mov_b32_e32 v40, v39
	v_pk_add_f32 v[40:41], v[38:39], v[40:41]
	s_mov_b32 s4, 0x33800000
	v_pk_add_f32 v[42:43], v[34:35], v[40:41]
	v_mov_b32_e32 v37, v40
	v_mov_b32_e32 v39, v42
	v_pk_add_f32 v[44:45], v[38:39], v[46:47] neg_lo:[0,1] neg_hi:[0,1]
	v_cmp_gt_f32_e64 s[60:61], s4, v50
	v_sub_f32_e32 v1, v38, v44
	v_pk_add_f32 v[36:37], v[36:37], v[44:45] neg_lo:[0,1] neg_hi:[0,1]
	v_sub_f32_e32 v1, v46, v1
	v_add_f32_e32 v1, v36, v1
	v_add_f32_e32 v1, v1, v37
	;; [unrolled: 1-line block ×3, first 2 shown]
	s_or_b64 vcc, s[60:61], vcc
	v_cndmask_b32_e32 v161, v1, v50, vcc
.LBB157_97:                             ;   in Loop: Header=BB157_13 Depth=1
	s_or_b64 exec, exec, s[6:7]
	v_add_f32_e32 v162, s62, v35
	s_mov_b32 s4, 0x41a00000
	v_readlane_b32 s6, v166, 18
	v_cmp_ge_f32_e32 vcc, s4, v162
	v_readlane_b32 s7, v166, 19
	s_and_b64 s[8:9], s[6:7], vcc
	s_and_saveexec_b64 s[6:7], s[8:9]
	s_cbranch_execz .LBB157_99
; %bb.98:                               ;   in Loop: Header=BB157_13 Depth=1
	v_mul_f32_e32 v1, 0x3fb8aa3b, v162
	v_rndne_f32_e32 v29, v1
	s_mov_b32 s4, 0x3fb8aa3b
	v_sub_f32_e32 v34, v1, v29
	v_fma_f32 v1, v162, s4, -v1
	v_fmac_f32_e32 v1, 0x32a5705f, v162
	v_add_f32_e32 v1, v34, v1
	v_cvt_i32_f32_e32 v29, v29
	v_exp_f32_e32 v1, v1
	s_mov_b32 s4, 0xc2ce8ed0
	v_cmp_ngt_f32_e32 vcc, s4, v162
	s_mov_b32 s4, 0x42b17218
	v_ldexp_f32 v1, v1, v29
	v_cndmask_b32_e32 v1, 0, v1, vcc
	v_cmp_nlt_f32_e32 vcc, s4, v162
	s_mov_b32 s4, 0x3f2aaaab
	s_nop 0
	v_cndmask_b32_e32 v50, v148, v1, vcc
	v_add_f32_e32 v1, 1.0, v50
	v_add_f32_e32 v29, -1.0, v1
	v_sub_f32_e32 v34, v29, v1
	v_add_f32_e32 v34, 1.0, v34
	v_sub_f32_e32 v29, v50, v29
	v_add_f32_e32 v29, v29, v34
	v_frexp_mant_f32_e32 v36, v1
	v_cvt_f64_f32_e32 v[34:35], v1
	v_frexp_exp_i32_f64_e32 v34, v[34:35]
	v_cmp_gt_f32_e32 vcc, s4, v36
	s_mov_b32 s4, 0x3f317218
	s_nop 0
	v_subbrev_co_u32_e32 v42, vcc, 0, v34, vcc
	v_sub_u32_e32 v34, 0, v42
	v_ldexp_f32 v1, v1, v34
	v_ldexp_f32 v29, v29, v34
	v_add_f32_e32 v34, -1.0, v1
	v_add_f32_e32 v35, 1.0, v34
	v_sub_f32_e32 v35, v1, v35
	v_add_f32_e32 v36, v29, v35
	v_add_f32_e32 v35, 1.0, v1
	v_add_f32_e32 v37, -1.0, v35
	v_sub_f32_e32 v1, v1, v37
	v_add_f32_e32 v1, v29, v1
	v_add_f32_e32 v29, v35, v1
	v_rcp_f32_e32 v43, v29
	v_sub_f32_e32 v35, v35, v29
	v_add_f32_e32 v1, v1, v35
	v_add_f32_e32 v35, v34, v36
	v_sub_f32_e32 v34, v34, v35
	v_mul_f32_e32 v45, v35, v43
	v_add_f32_e32 v44, v36, v34
	v_mul_f32_e32 v36, v29, v45
	v_fma_f32 v38, v45, v29, -v36
	v_fmac_f32_e32 v38, v45, v1
	v_add_f32_e32 v34, v36, v38
	v_sub_f32_e32 v37, v35, v34
	v_pk_add_f32 v[40:41], v[34:35], v[36:37] neg_lo:[0,1] neg_hi:[0,1]
	v_mov_b32_e32 v39, v34
	v_pk_add_f32 v[34:35], v[40:41], v[38:39] neg_lo:[0,1] neg_hi:[0,1]
	s_nop 0
	v_add_f32_e32 v35, v44, v35
	v_add_f32_e32 v34, v34, v35
	;; [unrolled: 1-line block ×3, first 2 shown]
	v_mul_f32_e32 v44, v43, v35
	v_mul_f32_e32 v36, v29, v44
	v_fma_f32 v38, v44, v29, -v36
	v_fmac_f32_e32 v38, v44, v1
	v_sub_f32_e32 v1, v37, v35
	v_add_f32_e32 v1, v34, v1
	v_add_f32_e32 v34, v36, v38
	v_sub_f32_e32 v37, v35, v34
	v_pk_add_f32 v[40:41], v[34:35], v[36:37] neg_lo:[0,1] neg_hi:[0,1]
	v_mov_b32_e32 v39, v34
	v_pk_add_f32 v[34:35], v[40:41], v[38:39] neg_lo:[0,1] neg_hi:[0,1]
	s_nop 0
	v_add_f32_e32 v1, v1, v35
	v_add_f32_e32 v1, v34, v1
	;; [unrolled: 1-line block ×4, first 2 shown]
	v_sub_f32_e32 v29, v35, v45
	v_mul_f32_e32 v1, v43, v1
	v_sub_f32_e32 v29, v44, v29
	v_add_f32_e32 v1, v29, v1
	v_add_f32_e32 v36, v35, v1
	v_cvt_f32_i32_e32 v34, v42
	v_mul_f32_e32 v38, v36, v36
	v_fmamk_f32 v29, v38, 0x3e9b6dac, v147
	v_sub_f32_e32 v35, v36, v35
	v_fmaak_f32 v29, v38, v29, 0x3f2aaada
	v_sub_f32_e32 v1, v1, v35
	v_mul_f32_e32 v35, v36, v38
	v_pk_mul_f32 v[38:39], v[34:35], v[28:29]
	v_ldexp_f32 v37, v36, 1
	v_fma_f32 v36, v34, s4, -v38
	v_fmac_f32_e32 v36, 0xb102e308, v34
	v_pk_add_f32 v[34:35], v[38:39], v[36:37]
	v_ldexp_f32 v1, v1, 1
	v_sub_f32_e32 v29, v35, v37
	v_sub_f32_e32 v29, v39, v29
	v_add_f32_e32 v41, v1, v29
	v_mov_b32_e32 v40, v38
	v_pk_add_f32 v[38:39], v[34:35], v[38:39] neg_lo:[0,1] neg_hi:[0,1]
	v_pk_add_f32 v[42:43], v[34:35], v[40:41]
	v_mov_b32_e32 v37, v34
	v_mov_b32_e32 v39, v43
	v_pk_add_f32 v[44:45], v[36:37], v[38:39] neg_lo:[0,1] neg_hi:[0,1]
	v_pk_add_f32 v[36:37], v[36:37], v[38:39]
	v_mov_b32_e32 v40, v41
	v_mov_b32_e32 v38, v37
	v_pk_add_f32 v[46:47], v[38:39], v[34:35] neg_lo:[0,1] neg_hi:[0,1]
	v_mov_b32_e32 v36, v43
	v_mov_b32_e32 v1, v46
	v_pk_add_f32 v[48:49], v[42:43], v[0:1] neg_lo:[0,1] neg_hi:[0,1]
	v_mov_b32_e32 v42, v35
	v_mov_b32_e32 v43, v46
	;; [unrolled: 1-line block ×3, first 2 shown]
	v_pk_add_f32 v[36:37], v[36:37], v[42:43] neg_lo:[0,1] neg_hi:[0,1]
	v_mov_b32_e32 v41, v34
	v_pk_add_f32 v[34:35], v[40:41], v[36:37] neg_lo:[0,1] neg_hi:[0,1]
	v_mov_b32_e32 v48, v44
	v_pk_add_f32 v[36:37], v[48:49], v[34:35]
	s_mov_b32 s4, 0x7f800000
	v_mov_b32_e32 v40, v37
	v_pk_add_f32 v[40:41], v[36:37], v[40:41]
	v_cmp_eq_f32_e32 vcc, s4, v50
	v_pk_add_f32 v[38:39], v[38:39], v[40:41]
	v_mov_b32_e32 v35, v40
	v_mov_b32_e32 v37, v38
	v_pk_add_f32 v[42:43], v[36:37], v[44:45] neg_lo:[0,1] neg_hi:[0,1]
	s_mov_b32 s4, 0x33800000
	v_sub_f32_e32 v1, v36, v42
	v_pk_add_f32 v[34:35], v[34:35], v[42:43] neg_lo:[0,1] neg_hi:[0,1]
	v_sub_f32_e32 v1, v44, v1
	v_add_f32_e32 v1, v34, v1
	v_add_f32_e32 v1, v1, v35
	v_cmp_gt_f32_e64 s[60:61], s4, v50
	v_add_f32_e32 v1, v38, v1
	s_or_b64 vcc, s[60:61], vcc
	v_cndmask_b32_e32 v162, v1, v50, vcc
.LBB157_99:                             ;   in Loop: Header=BB157_13 Depth=1
	s_or_b64 exec, exec, s[6:7]
	s_waitcnt lgkmcnt(1)
	v_add_f32_e32 v163, s62, v32
	s_mov_b32 s4, 0x41a00000
	v_readlane_b32 s6, v166, 18
	v_cmp_ge_f32_e32 vcc, s4, v163
	v_readlane_b32 s7, v166, 19
	s_and_b64 s[8:9], s[6:7], vcc
	s_and_saveexec_b64 s[6:7], s[8:9]
	s_cbranch_execz .LBB157_101
; %bb.100:                              ;   in Loop: Header=BB157_13 Depth=1
	v_mul_f32_e32 v1, 0x3fb8aa3b, v163
	v_rndne_f32_e32 v29, v1
	s_mov_b32 s4, 0x3fb8aa3b
	v_sub_f32_e32 v32, v1, v29
	v_fma_f32 v1, v163, s4, -v1
	v_fmac_f32_e32 v1, 0x32a5705f, v163
	v_add_f32_e32 v1, v32, v1
	v_cvt_i32_f32_e32 v29, v29
	v_exp_f32_e32 v1, v1
	s_mov_b32 s4, 0xc2ce8ed0
	v_cmp_ngt_f32_e32 vcc, s4, v163
	s_mov_b32 s4, 0x42b17218
	v_ldexp_f32 v1, v1, v29
	v_cndmask_b32_e32 v1, 0, v1, vcc
	v_cmp_nlt_f32_e32 vcc, s4, v163
	s_mov_b32 s4, 0x3f2aaaab
	s_nop 0
	v_cndmask_b32_e32 v48, v148, v1, vcc
	v_add_f32_e32 v1, 1.0, v48
	v_add_f32_e32 v29, -1.0, v1
	v_sub_f32_e32 v32, v29, v1
	v_add_f32_e32 v32, 1.0, v32
	v_sub_f32_e32 v29, v48, v29
	v_add_f32_e32 v29, v29, v32
	v_frexp_mant_f32_e32 v32, v1
	v_cvt_f64_f32_e32 v[34:35], v1
	v_frexp_exp_i32_f64_e32 v34, v[34:35]
	v_cmp_gt_f32_e32 vcc, s4, v32
	s_mov_b32 s4, 0x3f317218
	s_nop 0
	v_subbrev_co_u32_e32 v32, vcc, 0, v34, vcc
	v_sub_u32_e32 v34, 0, v32
	v_ldexp_f32 v1, v1, v34
	v_ldexp_f32 v29, v29, v34
	v_add_f32_e32 v34, -1.0, v1
	v_add_f32_e32 v35, 1.0, v34
	v_sub_f32_e32 v35, v1, v35
	v_add_f32_e32 v36, v29, v35
	v_add_f32_e32 v35, 1.0, v1
	v_add_f32_e32 v37, -1.0, v35
	v_sub_f32_e32 v1, v1, v37
	v_add_f32_e32 v1, v29, v1
	v_add_f32_e32 v29, v35, v1
	v_rcp_f32_e32 v42, v29
	v_sub_f32_e32 v35, v35, v29
	v_add_f32_e32 v1, v1, v35
	v_add_f32_e32 v35, v34, v36
	v_sub_f32_e32 v34, v34, v35
	v_mul_f32_e32 v44, v35, v42
	v_add_f32_e32 v43, v36, v34
	v_mul_f32_e32 v36, v29, v44
	v_fma_f32 v38, v44, v29, -v36
	v_fmac_f32_e32 v38, v44, v1
	v_add_f32_e32 v34, v36, v38
	v_sub_f32_e32 v37, v35, v34
	v_pk_add_f32 v[40:41], v[34:35], v[36:37] neg_lo:[0,1] neg_hi:[0,1]
	v_mov_b32_e32 v39, v34
	v_pk_add_f32 v[34:35], v[40:41], v[38:39] neg_lo:[0,1] neg_hi:[0,1]
	s_nop 0
	v_add_f32_e32 v35, v43, v35
	v_add_f32_e32 v34, v34, v35
	;; [unrolled: 1-line block ×3, first 2 shown]
	v_mul_f32_e32 v43, v42, v35
	v_mul_f32_e32 v36, v29, v43
	v_fma_f32 v38, v43, v29, -v36
	v_fmac_f32_e32 v38, v43, v1
	v_sub_f32_e32 v1, v37, v35
	v_add_f32_e32 v1, v34, v1
	v_add_f32_e32 v34, v36, v38
	v_sub_f32_e32 v37, v35, v34
	v_pk_add_f32 v[40:41], v[34:35], v[36:37] neg_lo:[0,1] neg_hi:[0,1]
	v_mov_b32_e32 v39, v34
	v_pk_add_f32 v[34:35], v[40:41], v[38:39] neg_lo:[0,1] neg_hi:[0,1]
	s_nop 0
	v_add_f32_e32 v1, v1, v35
	v_add_f32_e32 v1, v34, v1
	;; [unrolled: 1-line block ×4, first 2 shown]
	v_sub_f32_e32 v29, v35, v44
	v_mul_f32_e32 v1, v42, v1
	v_sub_f32_e32 v29, v43, v29
	v_add_f32_e32 v1, v29, v1
	v_add_f32_e32 v36, v35, v1
	v_cvt_f32_i32_e32 v34, v32
	v_mul_f32_e32 v38, v36, v36
	v_fmamk_f32 v29, v38, 0x3e9b6dac, v147
	v_fmaak_f32 v29, v38, v29, 0x3f2aaada
	v_sub_f32_e32 v32, v36, v35
	v_mul_f32_e32 v35, v36, v38
	v_pk_mul_f32 v[38:39], v[34:35], v[28:29]
	v_ldexp_f32 v37, v36, 1
	v_fma_f32 v36, v34, s4, -v38
	v_fmac_f32_e32 v36, 0xb102e308, v34
	v_pk_add_f32 v[34:35], v[38:39], v[36:37]
	v_sub_f32_e32 v1, v1, v32
	v_sub_f32_e32 v29, v35, v37
	v_ldexp_f32 v1, v1, 1
	v_sub_f32_e32 v29, v39, v29
	v_add_f32_e32 v41, v1, v29
	v_mov_b32_e32 v40, v38
	v_pk_add_f32 v[38:39], v[34:35], v[38:39] neg_lo:[0,1] neg_hi:[0,1]
	v_pk_add_f32 v[42:43], v[34:35], v[40:41]
	v_mov_b32_e32 v37, v34
	v_mov_b32_e32 v39, v43
	v_pk_add_f32 v[44:45], v[36:37], v[38:39] neg_lo:[0,1] neg_hi:[0,1]
	v_pk_add_f32 v[36:37], v[36:37], v[38:39]
	s_mov_b32 s4, 0x7f800000
	v_mov_b32_e32 v32, v37
	v_pk_add_f32 v[38:39], v[32:33], v[34:35] neg_lo:[0,1] neg_hi:[0,1]
	v_mov_b32_e32 v36, v43
	v_mov_b32_e32 v1, v38
	v_pk_add_f32 v[46:47], v[42:43], v[0:1] neg_lo:[0,1] neg_hi:[0,1]
	v_mov_b32_e32 v42, v35
	v_mov_b32_e32 v43, v38
	;; [unrolled: 1-line block ×3, first 2 shown]
	v_pk_add_f32 v[36:37], v[36:37], v[42:43] neg_lo:[0,1] neg_hi:[0,1]
	v_mov_b32_e32 v38, v41
	v_mov_b32_e32 v39, v34
	v_pk_add_f32 v[34:35], v[38:39], v[36:37] neg_lo:[0,1] neg_hi:[0,1]
	v_mov_b32_e32 v46, v44
	v_pk_add_f32 v[36:37], v[46:47], v[34:35]
	v_cmp_eq_f32_e32 vcc, s4, v48
	v_mov_b32_e32 v38, v37
	v_pk_add_f32 v[38:39], v[36:37], v[38:39]
	s_mov_b32 s4, 0x33800000
	v_pk_add_f32 v[40:41], v[32:33], v[38:39]
	v_mov_b32_e32 v35, v38
	v_mov_b32_e32 v37, v40
	v_pk_add_f32 v[42:43], v[36:37], v[44:45] neg_lo:[0,1] neg_hi:[0,1]
	v_cmp_gt_f32_e64 s[60:61], s4, v48
	v_sub_f32_e32 v1, v36, v42
	v_pk_add_f32 v[34:35], v[34:35], v[42:43] neg_lo:[0,1] neg_hi:[0,1]
	v_sub_f32_e32 v1, v44, v1
	v_add_f32_e32 v1, v34, v1
	v_add_f32_e32 v1, v1, v35
	;; [unrolled: 1-line block ×3, first 2 shown]
	s_or_b64 vcc, s[60:61], vcc
	v_cndmask_b32_e32 v163, v1, v48, vcc
.LBB157_101:                            ;   in Loop: Header=BB157_13 Depth=1
	s_or_b64 exec, exec, s[6:7]
	v_add_f32_e32 v164, s62, v33
	s_mov_b32 s4, 0x41a00000
	v_readlane_b32 s6, v166, 18
	v_cmp_ge_f32_e32 vcc, s4, v164
	v_readlane_b32 s7, v166, 19
	s_and_b64 s[8:9], s[6:7], vcc
	s_and_saveexec_b64 s[6:7], s[8:9]
	s_cbranch_execz .LBB157_103
; %bb.102:                              ;   in Loop: Header=BB157_13 Depth=1
	v_mul_f32_e32 v1, 0x3fb8aa3b, v164
	v_rndne_f32_e32 v29, v1
	s_mov_b32 s4, 0x3fb8aa3b
	v_sub_f32_e32 v32, v1, v29
	v_fma_f32 v1, v164, s4, -v1
	v_fmac_f32_e32 v1, 0x32a5705f, v164
	v_add_f32_e32 v1, v32, v1
	v_cvt_i32_f32_e32 v29, v29
	v_exp_f32_e32 v1, v1
	s_mov_b32 s4, 0xc2ce8ed0
	v_cmp_ngt_f32_e32 vcc, s4, v164
	s_mov_b32 s4, 0x42b17218
	v_ldexp_f32 v1, v1, v29
	v_cndmask_b32_e32 v1, 0, v1, vcc
	v_cmp_nlt_f32_e32 vcc, s4, v164
	s_mov_b32 s4, 0x3f2aaaab
	s_nop 0
	v_cndmask_b32_e32 v48, v148, v1, vcc
	v_add_f32_e32 v1, 1.0, v48
	v_add_f32_e32 v29, -1.0, v1
	v_sub_f32_e32 v32, v29, v1
	v_add_f32_e32 v32, 1.0, v32
	v_sub_f32_e32 v29, v48, v29
	v_add_f32_e32 v29, v29, v32
	v_frexp_mant_f32_e32 v34, v1
	v_cvt_f64_f32_e32 v[32:33], v1
	v_frexp_exp_i32_f64_e32 v32, v[32:33]
	v_cmp_gt_f32_e32 vcc, s4, v34
	s_mov_b32 s4, 0x3f317218
	s_nop 0
	v_subbrev_co_u32_e32 v40, vcc, 0, v32, vcc
	v_sub_u32_e32 v32, 0, v40
	v_ldexp_f32 v1, v1, v32
	v_ldexp_f32 v29, v29, v32
	v_add_f32_e32 v32, -1.0, v1
	v_add_f32_e32 v33, 1.0, v32
	v_sub_f32_e32 v33, v1, v33
	v_add_f32_e32 v34, v29, v33
	v_add_f32_e32 v33, 1.0, v1
	v_add_f32_e32 v35, -1.0, v33
	v_sub_f32_e32 v1, v1, v35
	v_add_f32_e32 v1, v29, v1
	v_add_f32_e32 v29, v33, v1
	v_rcp_f32_e32 v41, v29
	v_sub_f32_e32 v33, v33, v29
	v_add_f32_e32 v1, v1, v33
	v_add_f32_e32 v33, v32, v34
	v_sub_f32_e32 v32, v32, v33
	v_mul_f32_e32 v43, v33, v41
	v_add_f32_e32 v42, v34, v32
	v_mul_f32_e32 v34, v29, v43
	v_fma_f32 v36, v43, v29, -v34
	v_fmac_f32_e32 v36, v43, v1
	v_add_f32_e32 v32, v34, v36
	v_sub_f32_e32 v35, v33, v32
	v_pk_add_f32 v[38:39], v[32:33], v[34:35] neg_lo:[0,1] neg_hi:[0,1]
	v_mov_b32_e32 v37, v32
	v_pk_add_f32 v[32:33], v[38:39], v[36:37] neg_lo:[0,1] neg_hi:[0,1]
	s_nop 0
	v_add_f32_e32 v33, v42, v33
	v_add_f32_e32 v32, v32, v33
	;; [unrolled: 1-line block ×3, first 2 shown]
	v_mul_f32_e32 v42, v41, v33
	v_mul_f32_e32 v34, v29, v42
	v_fma_f32 v36, v42, v29, -v34
	v_fmac_f32_e32 v36, v42, v1
	v_sub_f32_e32 v1, v35, v33
	v_add_f32_e32 v1, v32, v1
	v_add_f32_e32 v32, v34, v36
	v_sub_f32_e32 v35, v33, v32
	v_pk_add_f32 v[38:39], v[32:33], v[34:35] neg_lo:[0,1] neg_hi:[0,1]
	v_mov_b32_e32 v37, v32
	v_pk_add_f32 v[32:33], v[38:39], v[36:37] neg_lo:[0,1] neg_hi:[0,1]
	s_nop 0
	v_add_f32_e32 v1, v1, v33
	v_add_f32_e32 v1, v32, v1
	;; [unrolled: 1-line block ×4, first 2 shown]
	v_sub_f32_e32 v29, v33, v43
	v_mul_f32_e32 v1, v41, v1
	v_sub_f32_e32 v29, v42, v29
	v_add_f32_e32 v1, v29, v1
	v_add_f32_e32 v34, v33, v1
	v_cvt_f32_i32_e32 v32, v40
	v_mul_f32_e32 v36, v34, v34
	v_fmamk_f32 v29, v36, 0x3e9b6dac, v147
	v_sub_f32_e32 v33, v34, v33
	v_fmaak_f32 v29, v36, v29, 0x3f2aaada
	v_sub_f32_e32 v1, v1, v33
	v_mul_f32_e32 v33, v34, v36
	v_pk_mul_f32 v[36:37], v[32:33], v[28:29]
	v_ldexp_f32 v35, v34, 1
	v_fma_f32 v34, v32, s4, -v36
	v_fmac_f32_e32 v34, 0xb102e308, v32
	v_pk_add_f32 v[32:33], v[36:37], v[34:35]
	v_ldexp_f32 v1, v1, 1
	v_sub_f32_e32 v29, v33, v35
	v_sub_f32_e32 v29, v37, v29
	v_add_f32_e32 v39, v1, v29
	v_mov_b32_e32 v38, v36
	v_pk_add_f32 v[36:37], v[32:33], v[36:37] neg_lo:[0,1] neg_hi:[0,1]
	v_pk_add_f32 v[40:41], v[32:33], v[38:39]
	v_mov_b32_e32 v35, v32
	v_mov_b32_e32 v37, v41
	v_pk_add_f32 v[42:43], v[34:35], v[36:37] neg_lo:[0,1] neg_hi:[0,1]
	v_pk_add_f32 v[34:35], v[34:35], v[36:37]
	v_mov_b32_e32 v38, v39
	v_mov_b32_e32 v36, v35
	v_pk_add_f32 v[44:45], v[36:37], v[32:33] neg_lo:[0,1] neg_hi:[0,1]
	v_mov_b32_e32 v34, v41
	v_mov_b32_e32 v1, v44
	v_pk_add_f32 v[46:47], v[40:41], v[0:1] neg_lo:[0,1] neg_hi:[0,1]
	v_mov_b32_e32 v40, v33
	v_mov_b32_e32 v41, v44
	;; [unrolled: 1-line block ×3, first 2 shown]
	v_pk_add_f32 v[34:35], v[34:35], v[40:41] neg_lo:[0,1] neg_hi:[0,1]
	v_mov_b32_e32 v39, v32
	v_pk_add_f32 v[32:33], v[38:39], v[34:35] neg_lo:[0,1] neg_hi:[0,1]
	v_mov_b32_e32 v46, v42
	v_pk_add_f32 v[34:35], v[46:47], v[32:33]
	s_mov_b32 s4, 0x7f800000
	v_mov_b32_e32 v38, v35
	v_pk_add_f32 v[38:39], v[34:35], v[38:39]
	v_cmp_eq_f32_e32 vcc, s4, v48
	v_pk_add_f32 v[36:37], v[36:37], v[38:39]
	v_mov_b32_e32 v33, v38
	v_mov_b32_e32 v35, v36
	v_pk_add_f32 v[40:41], v[34:35], v[42:43] neg_lo:[0,1] neg_hi:[0,1]
	s_mov_b32 s4, 0x33800000
	v_sub_f32_e32 v1, v34, v40
	v_pk_add_f32 v[32:33], v[32:33], v[40:41] neg_lo:[0,1] neg_hi:[0,1]
	v_sub_f32_e32 v1, v42, v1
	v_add_f32_e32 v1, v32, v1
	v_add_f32_e32 v1, v1, v33
	v_cmp_gt_f32_e64 s[60:61], s4, v48
	v_add_f32_e32 v1, v36, v1
	s_or_b64 vcc, s[60:61], vcc
	v_cndmask_b32_e32 v164, v1, v48, vcc
.LBB157_103:                            ;   in Loop: Header=BB157_13 Depth=1
	s_or_b64 exec, exec, s[6:7]
	s_waitcnt lgkmcnt(0)
	v_add_f32_e32 v46, s62, v30
	s_mov_b32 s4, 0x41a00000
	v_readlane_b32 s6, v166, 18
	v_cmp_ge_f32_e32 vcc, s4, v46
	v_readlane_b32 s7, v166, 19
	s_and_b64 s[8:9], s[6:7], vcc
	s_and_saveexec_b64 s[6:7], s[8:9]
	s_cbranch_execz .LBB157_105
; %bb.104:                              ;   in Loop: Header=BB157_13 Depth=1
	v_mul_f32_e32 v1, 0x3fb8aa3b, v46
	v_rndne_f32_e32 v29, v1
	s_mov_b32 s4, 0x3fb8aa3b
	v_sub_f32_e32 v30, v1, v29
	v_fma_f32 v1, v46, s4, -v1
	v_fmac_f32_e32 v1, 0x32a5705f, v46
	v_add_f32_e32 v1, v30, v1
	v_cvt_i32_f32_e32 v29, v29
	v_exp_f32_e32 v1, v1
	s_mov_b32 s4, 0xc2ce8ed0
	v_cmp_ngt_f32_e32 vcc, s4, v46
	s_mov_b32 s4, 0x42b17218
	v_ldexp_f32 v1, v1, v29
	v_cndmask_b32_e32 v1, 0, v1, vcc
	v_cmp_nlt_f32_e32 vcc, s4, v46
	s_mov_b32 s4, 0x3f2aaaab
	s_nop 0
	v_cndmask_b32_e32 v46, v148, v1, vcc
	v_add_f32_e32 v1, 1.0, v46
	v_add_f32_e32 v29, -1.0, v1
	v_sub_f32_e32 v30, v29, v1
	v_add_f32_e32 v30, 1.0, v30
	v_sub_f32_e32 v29, v46, v29
	v_add_f32_e32 v29, v29, v30
	v_frexp_mant_f32_e32 v30, v1
	v_cvt_f64_f32_e32 v[32:33], v1
	v_frexp_exp_i32_f64_e32 v32, v[32:33]
	v_cmp_gt_f32_e32 vcc, s4, v30
	s_mov_b32 s4, 0x3f317218
	s_nop 0
	v_subbrev_co_u32_e32 v30, vcc, 0, v32, vcc
	v_sub_u32_e32 v32, 0, v30
	v_ldexp_f32 v1, v1, v32
	v_ldexp_f32 v29, v29, v32
	v_add_f32_e32 v32, -1.0, v1
	v_add_f32_e32 v33, 1.0, v32
	v_sub_f32_e32 v33, v1, v33
	v_add_f32_e32 v34, v29, v33
	v_add_f32_e32 v33, 1.0, v1
	v_add_f32_e32 v35, -1.0, v33
	v_sub_f32_e32 v1, v1, v35
	v_add_f32_e32 v1, v29, v1
	v_add_f32_e32 v29, v33, v1
	v_rcp_f32_e32 v40, v29
	v_sub_f32_e32 v33, v33, v29
	v_add_f32_e32 v1, v1, v33
	v_add_f32_e32 v33, v32, v34
	v_sub_f32_e32 v32, v32, v33
	v_mul_f32_e32 v42, v33, v40
	v_add_f32_e32 v41, v34, v32
	v_mul_f32_e32 v34, v29, v42
	v_fma_f32 v36, v42, v29, -v34
	v_fmac_f32_e32 v36, v42, v1
	v_add_f32_e32 v32, v34, v36
	v_sub_f32_e32 v35, v33, v32
	v_pk_add_f32 v[38:39], v[32:33], v[34:35] neg_lo:[0,1] neg_hi:[0,1]
	v_mov_b32_e32 v37, v32
	v_pk_add_f32 v[32:33], v[38:39], v[36:37] neg_lo:[0,1] neg_hi:[0,1]
	s_nop 0
	v_add_f32_e32 v33, v41, v33
	v_add_f32_e32 v32, v32, v33
	;; [unrolled: 1-line block ×3, first 2 shown]
	v_mul_f32_e32 v41, v40, v33
	v_mul_f32_e32 v34, v29, v41
	v_fma_f32 v36, v41, v29, -v34
	v_fmac_f32_e32 v36, v41, v1
	v_sub_f32_e32 v1, v35, v33
	v_add_f32_e32 v1, v32, v1
	v_add_f32_e32 v32, v34, v36
	v_sub_f32_e32 v35, v33, v32
	v_pk_add_f32 v[38:39], v[32:33], v[34:35] neg_lo:[0,1] neg_hi:[0,1]
	v_mov_b32_e32 v37, v32
	v_pk_add_f32 v[32:33], v[38:39], v[36:37] neg_lo:[0,1] neg_hi:[0,1]
	s_nop 0
	v_add_f32_e32 v1, v1, v33
	v_add_f32_e32 v1, v32, v1
	;; [unrolled: 1-line block ×4, first 2 shown]
	v_sub_f32_e32 v29, v33, v42
	v_mul_f32_e32 v1, v40, v1
	v_sub_f32_e32 v29, v41, v29
	v_add_f32_e32 v1, v29, v1
	v_add_f32_e32 v34, v33, v1
	v_cvt_f32_i32_e32 v32, v30
	v_mul_f32_e32 v36, v34, v34
	v_fmamk_f32 v29, v36, 0x3e9b6dac, v147
	v_fmaak_f32 v29, v36, v29, 0x3f2aaada
	v_sub_f32_e32 v30, v34, v33
	v_mul_f32_e32 v33, v34, v36
	v_pk_mul_f32 v[36:37], v[32:33], v[28:29]
	v_ldexp_f32 v35, v34, 1
	v_fma_f32 v34, v32, s4, -v36
	v_fmac_f32_e32 v34, 0xb102e308, v32
	v_pk_add_f32 v[32:33], v[36:37], v[34:35]
	v_sub_f32_e32 v1, v1, v30
	v_sub_f32_e32 v29, v33, v35
	v_ldexp_f32 v1, v1, 1
	v_sub_f32_e32 v29, v37, v29
	v_add_f32_e32 v39, v1, v29
	v_mov_b32_e32 v38, v36
	v_pk_add_f32 v[36:37], v[32:33], v[36:37] neg_lo:[0,1] neg_hi:[0,1]
	v_pk_add_f32 v[40:41], v[32:33], v[38:39]
	v_mov_b32_e32 v35, v32
	v_mov_b32_e32 v37, v41
	v_pk_add_f32 v[42:43], v[34:35], v[36:37] neg_lo:[0,1] neg_hi:[0,1]
	v_pk_add_f32 v[34:35], v[34:35], v[36:37]
	s_mov_b32 s4, 0x7f800000
	v_mov_b32_e32 v30, v35
	v_pk_add_f32 v[36:37], v[30:31], v[32:33] neg_lo:[0,1] neg_hi:[0,1]
	v_mov_b32_e32 v34, v41
	v_mov_b32_e32 v1, v36
	v_pk_add_f32 v[44:45], v[40:41], v[0:1] neg_lo:[0,1] neg_hi:[0,1]
	v_mov_b32_e32 v40, v33
	v_mov_b32_e32 v41, v36
	v_mov_b32_e32 v43, v35
	v_pk_add_f32 v[34:35], v[34:35], v[40:41] neg_lo:[0,1] neg_hi:[0,1]
	v_mov_b32_e32 v36, v39
	v_mov_b32_e32 v37, v32
	v_pk_add_f32 v[32:33], v[36:37], v[34:35] neg_lo:[0,1] neg_hi:[0,1]
	v_mov_b32_e32 v44, v42
	v_pk_add_f32 v[34:35], v[44:45], v[32:33]
	v_cmp_eq_f32_e32 vcc, s4, v46
	v_mov_b32_e32 v36, v35
	v_pk_add_f32 v[36:37], v[34:35], v[36:37]
	s_mov_b32 s4, 0x33800000
	v_pk_add_f32 v[38:39], v[30:31], v[36:37]
	v_mov_b32_e32 v33, v36
	v_mov_b32_e32 v35, v38
	v_pk_add_f32 v[40:41], v[34:35], v[42:43] neg_lo:[0,1] neg_hi:[0,1]
	v_cmp_gt_f32_e64 s[60:61], s4, v46
	v_sub_f32_e32 v1, v34, v40
	v_pk_add_f32 v[32:33], v[32:33], v[40:41] neg_lo:[0,1] neg_hi:[0,1]
	v_sub_f32_e32 v1, v42, v1
	v_add_f32_e32 v1, v32, v1
	v_add_f32_e32 v1, v1, v33
	;; [unrolled: 1-line block ×3, first 2 shown]
	s_or_b64 vcc, s[60:61], vcc
	v_cndmask_b32_e32 v46, v1, v46, vcc
.LBB157_105:                            ;   in Loop: Header=BB157_13 Depth=1
	s_or_b64 exec, exec, s[6:7]
	v_add_f32_e32 v47, s62, v31
	s_mov_b32 s4, 0x41a00000
	v_readlane_b32 s6, v166, 18
	v_cmp_ge_f32_e32 vcc, s4, v47
	v_readlane_b32 s7, v166, 19
	s_and_b64 s[8:9], s[6:7], vcc
	s_and_saveexec_b64 s[6:7], s[8:9]
	s_cbranch_execz .LBB157_107
; %bb.106:                              ;   in Loop: Header=BB157_13 Depth=1
	v_mul_f32_e32 v1, 0x3fb8aa3b, v47
	v_rndne_f32_e32 v29, v1
	s_mov_b32 s4, 0x3fb8aa3b
	v_sub_f32_e32 v30, v1, v29
	v_fma_f32 v1, v47, s4, -v1
	v_fmac_f32_e32 v1, 0x32a5705f, v47
	v_add_f32_e32 v1, v30, v1
	v_cvt_i32_f32_e32 v29, v29
	v_exp_f32_e32 v1, v1
	s_mov_b32 s4, 0xc2ce8ed0
	v_cmp_ngt_f32_e32 vcc, s4, v47
	s_mov_b32 s4, 0x42b17218
	v_ldexp_f32 v1, v1, v29
	v_cndmask_b32_e32 v1, 0, v1, vcc
	v_cmp_nlt_f32_e32 vcc, s4, v47
	s_mov_b32 s4, 0x3f2aaaab
	s_nop 0
	v_cndmask_b32_e32 v47, v148, v1, vcc
	v_add_f32_e32 v1, 1.0, v47
	v_add_f32_e32 v29, -1.0, v1
	v_sub_f32_e32 v30, v29, v1
	v_add_f32_e32 v30, 1.0, v30
	v_sub_f32_e32 v29, v47, v29
	v_add_f32_e32 v29, v29, v30
	v_frexp_mant_f32_e32 v32, v1
	v_cvt_f64_f32_e32 v[30:31], v1
	v_frexp_exp_i32_f64_e32 v30, v[30:31]
	v_cmp_gt_f32_e32 vcc, s4, v32
	s_mov_b32 s4, 0x3f317218
	s_nop 0
	v_subbrev_co_u32_e32 v38, vcc, 0, v30, vcc
	v_sub_u32_e32 v30, 0, v38
	v_ldexp_f32 v1, v1, v30
	v_ldexp_f32 v29, v29, v30
	v_add_f32_e32 v30, -1.0, v1
	v_add_f32_e32 v31, 1.0, v30
	v_sub_f32_e32 v31, v1, v31
	v_add_f32_e32 v32, v29, v31
	v_add_f32_e32 v31, 1.0, v1
	v_add_f32_e32 v33, -1.0, v31
	v_sub_f32_e32 v1, v1, v33
	v_add_f32_e32 v1, v29, v1
	v_add_f32_e32 v29, v31, v1
	v_rcp_f32_e32 v39, v29
	v_sub_f32_e32 v31, v31, v29
	v_add_f32_e32 v1, v1, v31
	v_add_f32_e32 v31, v30, v32
	v_sub_f32_e32 v30, v30, v31
	v_mul_f32_e32 v41, v31, v39
	v_add_f32_e32 v40, v32, v30
	v_mul_f32_e32 v32, v29, v41
	v_fma_f32 v34, v41, v29, -v32
	v_fmac_f32_e32 v34, v41, v1
	v_add_f32_e32 v30, v32, v34
	v_sub_f32_e32 v33, v31, v30
	v_pk_add_f32 v[36:37], v[30:31], v[32:33] neg_lo:[0,1] neg_hi:[0,1]
	v_mov_b32_e32 v35, v30
	v_pk_add_f32 v[30:31], v[36:37], v[34:35] neg_lo:[0,1] neg_hi:[0,1]
	s_nop 0
	v_add_f32_e32 v31, v40, v31
	v_add_f32_e32 v30, v30, v31
	;; [unrolled: 1-line block ×3, first 2 shown]
	v_mul_f32_e32 v40, v39, v31
	v_mul_f32_e32 v32, v29, v40
	v_fma_f32 v34, v40, v29, -v32
	v_fmac_f32_e32 v34, v40, v1
	v_sub_f32_e32 v1, v33, v31
	v_add_f32_e32 v1, v30, v1
	v_add_f32_e32 v30, v32, v34
	v_sub_f32_e32 v33, v31, v30
	v_pk_add_f32 v[36:37], v[30:31], v[32:33] neg_lo:[0,1] neg_hi:[0,1]
	v_mov_b32_e32 v35, v30
	v_pk_add_f32 v[30:31], v[36:37], v[34:35] neg_lo:[0,1] neg_hi:[0,1]
	s_nop 0
	v_add_f32_e32 v1, v1, v31
	v_add_f32_e32 v1, v30, v1
	;; [unrolled: 1-line block ×4, first 2 shown]
	v_sub_f32_e32 v29, v31, v41
	v_mul_f32_e32 v1, v39, v1
	v_sub_f32_e32 v29, v40, v29
	v_add_f32_e32 v1, v29, v1
	v_add_f32_e32 v32, v31, v1
	v_cvt_f32_i32_e32 v30, v38
	v_mul_f32_e32 v34, v32, v32
	v_fmamk_f32 v29, v34, 0x3e9b6dac, v147
	v_sub_f32_e32 v31, v32, v31
	v_fmaak_f32 v29, v34, v29, 0x3f2aaada
	v_sub_f32_e32 v1, v1, v31
	v_mul_f32_e32 v31, v32, v34
	v_pk_mul_f32 v[34:35], v[30:31], v[28:29]
	v_ldexp_f32 v33, v32, 1
	v_fma_f32 v32, v30, s4, -v34
	v_fmac_f32_e32 v32, 0xb102e308, v30
	v_pk_add_f32 v[30:31], v[34:35], v[32:33]
	v_ldexp_f32 v1, v1, 1
	v_sub_f32_e32 v29, v31, v33
	v_sub_f32_e32 v29, v35, v29
	v_add_f32_e32 v37, v1, v29
	v_mov_b32_e32 v36, v34
	v_pk_add_f32 v[34:35], v[30:31], v[34:35] neg_lo:[0,1] neg_hi:[0,1]
	v_pk_add_f32 v[38:39], v[30:31], v[36:37]
	v_mov_b32_e32 v33, v30
	v_mov_b32_e32 v35, v39
	v_pk_add_f32 v[40:41], v[32:33], v[34:35] neg_lo:[0,1] neg_hi:[0,1]
	v_pk_add_f32 v[32:33], v[32:33], v[34:35]
	v_mov_b32_e32 v36, v37
	v_mov_b32_e32 v34, v33
	v_pk_add_f32 v[42:43], v[34:35], v[30:31] neg_lo:[0,1] neg_hi:[0,1]
	v_mov_b32_e32 v32, v39
	v_mov_b32_e32 v1, v42
	v_pk_add_f32 v[44:45], v[38:39], v[0:1] neg_lo:[0,1] neg_hi:[0,1]
	v_mov_b32_e32 v38, v31
	v_mov_b32_e32 v39, v42
	;; [unrolled: 1-line block ×3, first 2 shown]
	v_pk_add_f32 v[32:33], v[32:33], v[38:39] neg_lo:[0,1] neg_hi:[0,1]
	v_mov_b32_e32 v37, v30
	v_pk_add_f32 v[30:31], v[36:37], v[32:33] neg_lo:[0,1] neg_hi:[0,1]
	v_mov_b32_e32 v44, v40
	v_pk_add_f32 v[32:33], v[44:45], v[30:31]
	s_mov_b32 s4, 0x7f800000
	v_mov_b32_e32 v36, v33
	v_pk_add_f32 v[36:37], v[32:33], v[36:37]
	v_cmp_eq_f32_e32 vcc, s4, v47
	v_pk_add_f32 v[34:35], v[34:35], v[36:37]
	v_mov_b32_e32 v31, v36
	v_mov_b32_e32 v33, v34
	v_pk_add_f32 v[38:39], v[32:33], v[40:41] neg_lo:[0,1] neg_hi:[0,1]
	s_mov_b32 s4, 0x33800000
	v_sub_f32_e32 v1, v32, v38
	v_pk_add_f32 v[30:31], v[30:31], v[38:39] neg_lo:[0,1] neg_hi:[0,1]
	v_sub_f32_e32 v1, v40, v1
	v_add_f32_e32 v1, v30, v1
	v_add_f32_e32 v1, v1, v31
	v_cmp_gt_f32_e64 s[60:61], s4, v47
	v_add_f32_e32 v1, v34, v1
	s_or_b64 vcc, s[60:61], vcc
	v_cndmask_b32_e32 v47, v1, v47, vcc
.LBB157_107:                            ;   in Loop: Header=BB157_13 Depth=1
	s_or_b64 exec, exec, s[6:7]
	v_readlane_b32 s6, v166, 20
	v_readlane_b32 s4, v166, 2
	;; [unrolled: 1-line block ×3, first 2 shown]
	s_and_b64 vcc, exec, s[6:7]
	v_mul_f32_e32 v30, s4, v18
	v_mul_f32_e32 v33, s4, v17
	;; [unrolled: 1-line block ×16, first 2 shown]
	s_barrier
	s_cbranch_vccz .LBB157_204
; %bb.108:                              ;   in Loop: Header=BB157_13 Depth=1
	v_writelane_b32 v166, s26, 60
	s_cmp_lg_u32 s24, 0
	s_cselect_b64 s[6:7], -1, 0
	v_writelane_b32 v166, s27, 61
	v_writelane_b32 v166, s28, 62
	v_lshl_add_u64 v[48:49], s[26:27], 0, v[2:3]
	v_cmp_gt_u32_e32 vcc, s10, v21
	v_writelane_b32 v166, s29, 63
	v_lshl_add_u64 v[50:51], s[28:29], 0, v[2:3]
	v_readlane_b32 s8, v166, 23
	v_readlane_b32 s12, v166, 44
	s_cmp_eq_u32 s24, s8
	v_readlane_b32 s13, v166, 45
	v_or_b32_e32 v2, 1, v21
	s_cselect_b64 s[8:9], -1, 0
	s_or_b64 s[60:61], s[12:13], vcc
	v_cmp_gt_u32_e32 vcc, s10, v2
	v_or_b32_e32 v2, 2, v21
	s_or_b64 s[62:63], s[12:13], vcc
	v_cmp_gt_u32_e32 vcc, s10, v2
	v_or_b32_e32 v2, 3, v21
	;; [unrolled: 3-line block ×14, first 2 shown]
	v_mov_b32_e32 v1, v3
	s_mov_b32 s4, 0
                                        ; implicit-def: $vgpr167 : SGPR spill to VGPR lane
	v_cmp_gt_u32_e64 s[88:89], s10, v2
	v_mul_f32_e32 v29, v19, v47
	v_lshl_add_u64 v[48:49], v[48:49], 0, v[0:1]
	v_lshl_add_u64 v[50:51], v[50:51], 0, v[0:1]
	v_mul_f32_e32 v1, v18, v46
	v_mul_f32_e32 v165, v17, v164
	;; [unrolled: 1-line block ×15, first 2 shown]
	v_writelane_b32 v167, s24, 0
	s_or_b64 s[88:89], s[12:13], s[88:89]
	s_or_b64 s[90:91], s[12:13], vcc
	s_mov_b32 s10, s4
	s_mov_b32 s12, s4
	;; [unrolled: 1-line block ×4, first 2 shown]
	v_readlane_b32 s93, v166, 52
	s_branch .LBB157_110
.LBB157_109:                            ;   in Loop: Header=BB157_110 Depth=2
	s_or_b64 exec, exec, s[16:17]
	v_cndmask_b32_e64 v2, v2, v79, s[94:95]
	v_cndmask_b32_e64 v54, v60, v78, s[94:95]
	v_mul_f32_e32 v54, v54, v145
	v_fma_f32 v2, v2, v145, v52
	v_cndmask_b32_e64 v52, v2, v52, s[22:23]
	v_cndmask_b32_e64 v2, v54, v145, s[22:23]
	s_waitcnt lgkmcnt(0)
	v_fmac_f32_e32 v52, v73, v2
	v_fmac_f32_e32 v53, v52, v146
	;; [unrolled: 1-line block ×12, first 2 shown]
	v_readlane_b32 s24, v166, 24
	v_fmac_f32_e32 v64, v69, v72
	v_readlane_b32 s25, v166, 25
	v_readlane_b32 s26, v166, 26
	;; [unrolled: 1-line block ×7, first 2 shown]
	v_fmac_f32_e32 v65, v64, v70
	s_add_i32 s12, s12, s24
	v_readlane_b32 s24, v166, 7
	v_fmac_f32_e32 v71, v65, v74
	v_readlane_b32 s11, v166, 15
	v_readlane_b32 s25, v166, 8
	;; [unrolled: 1-line block ×3, first 2 shown]
	v_fmac_f32_e32 v61, v71, v75
	v_mov_b32_e32 v60, v71
	s_add_i32 s93, s93, 8
	s_add_i32 s92, s92, -1
	s_add_i32 s14, s14, s11
	s_add_i32 s10, s10, s28
	;; [unrolled: 1-line block ×3, first 2 shown]
	v_pk_fma_f32 v[44:45], v[18:19], v[52:53], v[44:45]
	v_pk_fma_f32 v[42:43], v[16:17], v[56:57], v[42:43]
	;; [unrolled: 1-line block ×7, first 2 shown]
	s_cmp_eq_u32 s92, 0
	v_pk_fma_f32 v[30:31], v[4:5], v[60:61], v[30:31]
	v_readlane_b32 s26, v166, 9
	v_readlane_b32 s27, v166, 10
	;; [unrolled: 1-line block ×5, first 2 shown]
	s_mov_b32 s13, s25
	s_mov_b32 s16, s28
	s_cbranch_scc1 .LBB157_203
.LBB157_110:                            ;   Parent Loop BB157_13 Depth=1
                                        ; =>  This Inner Loop Header: Depth=2
	s_lshl_b64 s[16:17], s[4:5], 2
	v_readlane_b32 s11, v166, 5
	s_add_u32 s16, s11, s16
	v_readlane_b32 s11, v166, 6
	s_addc_u32 s17, s11, s17
	global_load_dword v2, v3, s[16:17]
	s_mov_b32 s11, s5
	v_lshl_add_u64 v[4:5], s[10:11], 2, v[48:49]
	v_mov_b32_e32 v6, 0
	v_mov_b32_e32 v7, 0
	s_and_saveexec_b64 s[16:17], s[96:97]
	s_cbranch_execz .LBB157_112
; %bb.111:                              ;   in Loop: Header=BB157_110 Depth=2
	global_load_dword v7, v[4:5], off
.LBB157_112:                            ;   in Loop: Header=BB157_110 Depth=2
	s_or_b64 exec, exec, s[16:17]
	s_and_saveexec_b64 s[16:17], s[98:99]
	s_cbranch_execz .LBB157_114
; %bb.113:                              ;   in Loop: Header=BB157_110 Depth=2
	global_load_dword v6, v[4:5], off offset:256
.LBB157_114:                            ;   in Loop: Header=BB157_110 Depth=2
	s_or_b64 exec, exec, s[16:17]
	v_mov_b32_e32 v8, 0
	v_mov_b32_e32 v9, 0
	s_and_saveexec_b64 s[16:17], s[2:3]
	s_cbranch_execz .LBB157_116
; %bb.115:                              ;   in Loop: Header=BB157_110 Depth=2
	global_load_dword v9, v[4:5], off offset:512
.LBB157_116:                            ;   in Loop: Header=BB157_110 Depth=2
	s_or_b64 exec, exec, s[16:17]
	s_and_saveexec_b64 s[16:17], s[34:35]
	s_cbranch_execz .LBB157_118
; %bb.117:                              ;   in Loop: Header=BB157_110 Depth=2
	global_load_dword v8, v[4:5], off offset:768
.LBB157_118:                            ;   in Loop: Header=BB157_110 Depth=2
	s_or_b64 exec, exec, s[16:17]
	v_mov_b32_e32 v10, 0
	v_mov_b32_e32 v11, 0
	s_and_saveexec_b64 s[16:17], s[36:37]
	s_cbranch_execz .LBB157_120
; %bb.119:                              ;   in Loop: Header=BB157_110 Depth=2
	global_load_dword v11, v[4:5], off offset:1024
.LBB157_120:                            ;   in Loop: Header=BB157_110 Depth=2
	;; [unrolled: 14-line block ×7, first 2 shown]
	s_or_b64 exec, exec, s[16:17]
	s_and_saveexec_b64 s[16:17], s[58:59]
	s_cbranch_execz .LBB157_142
; %bb.141:                              ;   in Loop: Header=BB157_110 Depth=2
	global_load_dword v52, v[4:5], off offset:3840
.LBB157_142:                            ;   in Loop: Header=BB157_110 Depth=2
	s_or_b64 exec, exec, s[16:17]
	s_waitcnt vmcnt(0)
	ds_write_b32 v95, v7
	ds_write_b32 v97, v6 offset:256
	ds_write_b32 v99, v9 offset:512
	;; [unrolled: 1-line block ×15, first 2 shown]
	; wave barrier
	ds_read2_b32 v[52:53], v127 offset1:1
	ds_read2_b32 v[56:57], v127 offset0:2 offset1:3
	ds_read2_b32 v[58:59], v127 offset0:4 offset1:5
	ds_read2_b32 v[62:63], v127 offset0:6 offset1:7
	ds_read2_b32 v[66:67], v127 offset0:8 offset1:9
	ds_read2_b32 v[68:69], v127 offset0:10 offset1:11
	ds_read2_b32 v[64:65], v127 offset0:12 offset1:13
	ds_read2_b32 v[60:61], v127 offset0:14 offset1:15
	s_mov_b32 s13, s5
	v_lshl_add_u64 v[4:5], s[12:13], 2, v[50:51]
	v_mov_b32_e32 v6, 0
	v_mov_b32_e32 v7, 0
	s_and_saveexec_b64 s[16:17], s[96:97]
	s_cbranch_execz .LBB157_144
; %bb.143:                              ;   in Loop: Header=BB157_110 Depth=2
	global_load_dword v7, v[4:5], off
.LBB157_144:                            ;   in Loop: Header=BB157_110 Depth=2
	s_or_b64 exec, exec, s[16:17]
	s_and_saveexec_b64 s[16:17], s[98:99]
	s_cbranch_execz .LBB157_146
; %bb.145:                              ;   in Loop: Header=BB157_110 Depth=2
	global_load_dword v6, v[4:5], off offset:256
.LBB157_146:                            ;   in Loop: Header=BB157_110 Depth=2
	s_or_b64 exec, exec, s[16:17]
	v_mov_b32_e32 v8, 0
	v_mov_b32_e32 v9, 0
	s_and_saveexec_b64 s[16:17], s[2:3]
	s_cbranch_execz .LBB157_148
; %bb.147:                              ;   in Loop: Header=BB157_110 Depth=2
	global_load_dword v9, v[4:5], off offset:512
.LBB157_148:                            ;   in Loop: Header=BB157_110 Depth=2
	s_or_b64 exec, exec, s[16:17]
	s_and_saveexec_b64 s[16:17], s[34:35]
	s_cbranch_execz .LBB157_150
; %bb.149:                              ;   in Loop: Header=BB157_110 Depth=2
	global_load_dword v8, v[4:5], off offset:768
.LBB157_150:                            ;   in Loop: Header=BB157_110 Depth=2
	s_or_b64 exec, exec, s[16:17]
	v_mov_b32_e32 v10, 0
	v_mov_b32_e32 v11, 0
	s_and_saveexec_b64 s[16:17], s[36:37]
	s_cbranch_execz .LBB157_152
; %bb.151:                              ;   in Loop: Header=BB157_110 Depth=2
	global_load_dword v11, v[4:5], off offset:1024
.LBB157_152:                            ;   in Loop: Header=BB157_110 Depth=2
	;; [unrolled: 14-line block ×7, first 2 shown]
	s_or_b64 exec, exec, s[16:17]
	s_and_saveexec_b64 s[16:17], s[58:59]
	s_cbranch_execz .LBB157_174
; %bb.173:                              ;   in Loop: Header=BB157_110 Depth=2
	global_load_dword v54, v[4:5], off offset:3840
.LBB157_174:                            ;   in Loop: Header=BB157_110 Depth=2
	s_or_b64 exec, exec, s[16:17]
	v_add_u32_e32 v4, 0x2100, v127
	s_waitcnt vmcnt(0)
	ds_write_b32 v95, v7 offset:8448
	ds_write_b32 v98, v6 offset:256
	;; [unrolled: 1-line block ×16, first 2 shown]
	; wave barrier
	ds_read2_b32 v[16:17], v128 offset0:2 offset1:3
	ds_read2_b32 v[14:15], v128 offset0:4 offset1:5
	ds_read2_b32 v[12:13], v128 offset0:6 offset1:7
	ds_read2_b32 v[10:11], v128 offset0:8 offset1:9
	ds_read2_b32 v[8:9], v128 offset0:10 offset1:11
	ds_read2_b32 v[6:7], v128 offset0:12 offset1:13
	ds_read2_b32 v[18:19], v4 offset1:1
	ds_read2_b32 v[4:5], v128 offset0:14 offset1:15
	s_andn2_b64 vcc, exec, s[6:7]
	s_cbranch_vccnz .LBB157_176
; %bb.175:                              ;   in Loop: Header=BB157_110 Depth=2
	v_mov_b32_e32 v54, s93
	ds_read_b64 v[54:55], v54
	s_cbranch_execz .LBB157_177
	s_branch .LBB157_180
.LBB157_176:                            ;   in Loop: Header=BB157_110 Depth=2
                                        ; implicit-def: $vgpr55
.LBB157_177:                            ;   in Loop: Header=BB157_110 Depth=2
	v_readlane_b32 s16, v166, 0
	v_readlane_b32 s17, v166, 1
	s_andn2_b64 vcc, exec, s[16:17]
	s_waitcnt lgkmcnt(0)
	v_mov_b32_e32 v55, 0
	s_cbranch_vccnz .LBB157_179
; %bb.178:                              ;   in Loop: Header=BB157_110 Depth=2
	s_mov_b32 s15, s5
	s_lshl_b64 s[16:17], s[14:15], 2
	v_readlane_b32 s11, v166, 16
	s_add_u32 s16, s11, s16
	v_readlane_b32 s11, v166, 17
	s_addc_u32 s17, s11, s17
	global_load_dword v55, v3, s[16:17]
.LBB157_179:                            ;   in Loop: Header=BB157_110 Depth=2
	v_mov_b32_e32 v54, 1.0
.LBB157_180:                            ;   in Loop: Header=BB157_110 Depth=2
	v_mul_f32_e32 v2, 0x3fb8aa3b, v2
	v_mul_f32_e32 v70, v2, v151
	v_cmp_gt_f32_e32 vcc, s33, v70
	v_pk_mul_f32 v[74:75], v[2:3], v[46:47] op_sel_hi:[0,1]
	s_waitcnt lgkmcnt(14)
	v_mul_f32_e32 v52, v52, v144
	v_cndmask_b32_e32 v70, 0, v149, vcc
	v_fmac_f32_e32 v70, v2, v151
	v_exp_f32_e32 v70, v70
	v_cndmask_b32_e32 v71, 1.0, v150, vcc
	v_mul_f32_e32 v53, v53, v143
	v_cndmask_b32_e64 v52, 0, v52, s[60:61]
	v_mul_f32_e32 v70, v70, v71
	v_cndmask_b32_e64 v145, 1.0, v70, s[60:61]
	v_mul_f32_e32 v70, v2, v152
	v_cmp_gt_f32_e32 vcc, s33, v70
	v_cndmask_b32_e64 v53, 0, v53, s[62:63]
	v_mul_f32_e32 v56, v56, v142
	v_cndmask_b32_e32 v70, 0, v149, vcc
	v_fmac_f32_e32 v70, v2, v152
	v_exp_f32_e32 v70, v70
	v_cndmask_b32_e32 v71, 1.0, v150, vcc
	v_cndmask_b32_e64 v56, 0, v56, s[64:65]
	v_mul_f32_e32 v57, v57, v141
	v_mul_f32_e32 v70, v70, v71
	v_cndmask_b32_e64 v146, 1.0, v70, s[62:63]
	v_mul_f32_e32 v70, v2, v153
	v_cmp_gt_f32_e32 vcc, s33, v70
	v_cndmask_b32_e64 v57, 0, v57, s[66:67]
	v_mul_f32_e32 v58, v58, v140
	v_cndmask_b32_e32 v70, 0, v149, vcc
	v_fmac_f32_e32 v70, v2, v153
	v_exp_f32_e32 v70, v70
	v_cndmask_b32_e32 v71, 1.0, v150, vcc
	v_cndmask_b32_e64 v58, 0, v58, s[68:69]
	v_mul_f32_e32 v59, v59, v139
	;; [unrolled: 12-line block ×7, first 2 shown]
	v_cndmask_b32_e64 v86, 1.0, v70, s[74:75]
	v_mul_f32_e32 v70, v2, v159
	v_cmp_gt_f32_e32 vcc, s33, v70
	s_nop 1
	v_cndmask_b32_e32 v70, 0, v149, vcc
	v_fmac_f32_e32 v70, v2, v159
	v_exp_f32_e32 v70, v70
	v_cndmask_b32_e32 v71, 1.0, v150, vcc
	v_mul_f32_e32 v70, v70, v71
	v_cndmask_b32_e64 v87, 1.0, v70, s[76:77]
	v_mul_f32_e32 v70, v2, v160
	v_cmp_gt_f32_e32 vcc, s33, v70
	s_nop 1
	v_cndmask_b32_e32 v70, 0, v149, vcc
	v_fmac_f32_e32 v70, v2, v160
	v_exp_f32_e32 v70, v70
	v_cndmask_b32_e32 v71, 1.0, v150, vcc
	v_mul_f32_e32 v70, v70, v71
	;; [unrolled: 9-line block ×6, first 2 shown]
	v_cmp_gt_f32_e32 vcc, s33, v74
	v_mul_f32_e32 v70, v70, v71
	v_cndmask_b32_e64 v71, 0, v2, s[90:91]
	v_cndmask_b32_e32 v2, 0, v149, vcc
	v_add_f32_e32 v2, v74, v2
	v_exp_f32_e32 v2, v2
	v_cndmask_b32_e32 v60, 1.0, v150, vcc
	v_cmp_gt_f32_e32 vcc, s33, v75
	v_cndmask_b32_e64 v70, 1.0, v70, s[86:87]
	v_mul_f32_e32 v2, v2, v60
	v_cndmask_b32_e32 v60, 0, v149, vcc
	v_add_f32_e32 v60, v75, v60
	v_exp_f32_e32 v60, v60
	v_cndmask_b32_e32 v73, 1.0, v150, vcc
	v_cndmask_b32_e64 v74, 1.0, v2, s[90:91]
	v_mul_f32_e32 v2, v146, v145
	v_mul_f32_e32 v60, v60, v73
	v_cndmask_b32_e64 v75, 1.0, v60, s[88:89]
	v_fma_f32 v60, v146, v52, v53
	v_mul_f32_e32 v2, v2, v81
	v_fma_f32 v60, v60, v81, v56
	v_mul_f32_e32 v2, v2, v82
	v_fma_f32 v60, v60, v82, v57
	v_mul_f32_e32 v2, v2, v83
	v_fma_f32 v60, v60, v83, v58
	v_mul_f32_e32 v2, v2, v84
	v_fma_f32 v60, v60, v84, v59
	v_mul_f32_e32 v2, v2, v85
	v_fma_f32 v60, v60, v85, v62
	v_mul_f32_e32 v2, v2, v86
	v_fma_f32 v60, v60, v86, v63
	v_mul_f32_e32 v2, v2, v87
	v_fma_f32 v60, v60, v87, v66
	v_mul_f32_e32 v2, v2, v88
	v_fma_f32 v60, v60, v88, v67
	v_mul_f32_e32 v2, v2, v89
	v_fma_f32 v60, v60, v89, v68
	v_mul_f32_e32 v76, v2, v90
	v_fma_f32 v2, v60, v90, v69
	v_fma_f32 v2, v2, v72, v64
	;; [unrolled: 1-line block ×3, first 2 shown]
	v_mov_b32_e32 v73, v74
	v_pk_mul_f32 v[92:93], v[76:77], v[72:73]
	v_pk_fma_f32 v[76:77], v[76:77], v[72:73], v[70:71]
	v_pk_mul_f32 v[92:93], v[92:93], v[70:71]
	v_mov_b32_e32 v78, v75
	v_mov_b32_e32 v93, v77
	;; [unrolled: 1-line block ×3, first 2 shown]
	v_pk_mul_f32 v[76:77], v[92:93], v[74:75]
	v_mov_b32_e32 v60, v75
	v_pk_mul_f32 v[78:79], v[76:77], v[78:79]
	v_pk_fma_f32 v[76:77], v[92:93], v[74:75], v[60:61]
	s_nop 0
	v_mov_b32_dpp v2, v78 row_shr:1 row_mask:0xf bank_mask:0xf
	v_mov_b32_dpp v60, v77 row_shr:1 row_mask:0xf bank_mask:0xf
	v_mul_f32_e32 v73, v78, v2
	v_fma_f32 v60, v78, v60, v77
	v_cndmask_b32_e64 v76, v73, v78, s[0:1]
	v_cndmask_b32_e64 v79, v60, v77, s[0:1]
	;; [unrolled: 1-line block ×4, first 2 shown]
	v_mov_b32_dpp v73, v79 row_shr:2 row_mask:0xf bank_mask:0xf
	v_mov_b32_dpp v60, v78 row_shr:2 row_mask:0xf bank_mask:0xf
	s_mov_b64 s[16:17], exec
	v_readlane_b32 s18, v166, 32
	v_readlane_b32 s19, v166, 33
	s_and_b64 s[18:19], s[16:17], s[18:19]
	s_mov_b64 exec, s[18:19]
; %bb.181:                              ;   in Loop: Header=BB157_110 Depth=2
	v_fmac_f32_e32 v79, v78, v73
	v_mul_f32_e32 v78, v78, v60
	v_mov_b32_e32 v76, v78
	v_mov_b32_e32 v2, v79
; %bb.182:                              ;   in Loop: Header=BB157_110 Depth=2
	s_or_b64 exec, exec, s[16:17]
	v_mov_b32_dpp v60, v78 row_shr:4 row_mask:0xf bank_mask:0xf
	v_mov_b32_dpp v73, v79 row_shr:4 row_mask:0xf bank_mask:0xf
	s_mov_b64 s[16:17], exec
	v_readlane_b32 s18, v166, 34
	v_readlane_b32 s19, v166, 35
	s_and_b64 s[18:19], s[16:17], s[18:19]
	s_mov_b64 exec, s[18:19]
; %bb.183:                              ;   in Loop: Header=BB157_110 Depth=2
	v_fmac_f32_e32 v79, v78, v73
	v_mul_f32_e32 v78, v78, v60
	v_mov_b32_e32 v76, v78
	v_mov_b32_e32 v2, v79
; %bb.184:                              ;   in Loop: Header=BB157_110 Depth=2
	s_or_b64 exec, exec, s[16:17]
	;; [unrolled: 14-line block ×3, first 2 shown]
	v_mov_b32_dpp v60, v78 row_bcast:15 row_mask:0xf bank_mask:0xf
	v_mov_b32_dpp v73, v79 row_bcast:15 row_mask:0xf bank_mask:0xf
	s_mov_b64 s[16:17], exec
	v_readlane_b32 s18, v166, 38
	v_readlane_b32 s19, v166, 39
	s_and_b64 s[18:19], s[16:17], s[18:19]
	s_mov_b64 exec, s[18:19]
; %bb.187:                              ;   in Loop: Header=BB157_110 Depth=2
	v_fmac_f32_e32 v79, v78, v73
	v_mul_f32_e32 v78, v78, v60
	v_mov_b32_e32 v76, v78
	v_mov_b32_e32 v2, v79
; %bb.188:                              ;   in Loop: Header=BB157_110 Depth=2
	s_or_b64 exec, exec, s[16:17]
	v_mov_b32_dpp v73, v78 row_bcast:31 row_mask:0xf bank_mask:0xf
	v_mov_b32_dpp v60, v79 row_bcast:31 row_mask:0xf bank_mask:0xf
	s_mov_b64 s[16:17], exec
	v_readlane_b32 s18, v166, 46
	v_readlane_b32 s19, v166, 47
	s_and_b64 s[18:19], s[16:17], s[18:19]
	s_mov_b64 exec, s[18:19]
; %bb.189:                              ;   in Loop: Header=BB157_110 Depth=2
	v_fmac_f32_e32 v79, v78, v60
	v_mul_f32_e32 v76, v78, v73
	v_mov_b32_e32 v77, v79
	v_mov_b32_e32 v2, v79
	v_mov_b64_e32 v[78:79], v[76:77]
; %bb.190:                              ;   in Loop: Header=BB157_110 Depth=2
	s_or_b64 exec, exec, s[16:17]
	s_mov_b64 s[16:17], exec
	v_readlane_b32 s18, v166, 40
	v_readlane_b32 s19, v166, 41
	s_and_b64 s[18:19], s[16:17], s[18:19]
	s_mov_b64 exec, s[18:19]
	s_cbranch_execz .LBB157_192
; %bb.191:                              ;   in Loop: Header=BB157_110 Depth=2
	ds_write_b64 v129, v[78:79] offset:16896
.LBB157_192:                            ;   in Loop: Header=BB157_110 Depth=2
	s_or_b64 exec, exec, s[16:17]
	s_waitcnt lgkmcnt(0)
	s_barrier
	s_mov_b64 s[16:17], exec
	v_readlane_b32 s18, v166, 48
	v_readlane_b32 s19, v166, 49
	s_and_b64 s[18:19], s[16:17], s[18:19]
	s_mov_b64 exec, s[18:19]
	s_cbranch_execz .LBB157_194
; %bb.193:                              ;   in Loop: Header=BB157_110 Depth=2
	ds_read_b64 v[78:79], v130 offset:16896
	v_readlane_b32 s18, v166, 42
	v_readlane_b32 s19, v166, 43
	s_waitcnt lgkmcnt(0)
	v_mov_b32_dpp v60, v78 row_shr:1 row_mask:0xf bank_mask:0xf
	v_mov_b32_dpp v73, v79 row_shr:1 row_mask:0xf bank_mask:0xf
	v_fma_f32 v73, v78, v73, v79
	v_mul_f32_e32 v60, v78, v60
	v_cndmask_b32_e64 v78, v60, v78, s[18:19]
	v_cndmask_b32_e64 v79, v73, v79, s[18:19]
	ds_write_b64 v130, v[78:79] offset:16896
.LBB157_194:                            ;   in Loop: Header=BB157_110 Depth=2
	s_or_b64 exec, exec, s[16:17]
	s_waitcnt lgkmcnt(0)
	s_barrier
	s_waitcnt lgkmcnt(0)
                                        ; implicit-def: $vgpr78
	s_and_saveexec_b64 s[16:17], s[20:21]
	s_cbranch_execz .LBB157_196
; %bb.195:                              ;   in Loop: Header=BB157_110 Depth=2
	ds_read_b64 v[78:79], v129 offset:16888
	s_waitcnt lgkmcnt(0)
	v_mul_f32_e32 v60, v76, v78
	v_fmac_f32_e32 v2, v76, v79
	v_mov_b32_e32 v76, v60
.LBB157_196:                            ;   in Loop: Header=BB157_110 Depth=2
	s_or_b64 exec, exec, s[16:17]
	ds_bpermute_b32 v60, v131, v76
	ds_bpermute_b32 v2, v131, v2
	s_waitcnt vmcnt(0)
	v_mov_b32_e32 v77, v55
	s_mov_b64 s[16:17], exec
	v_readlane_b32 s18, v166, 50
	v_readlane_b32 s19, v166, 51
	s_and_b64 s[18:19], s[16:17], s[18:19]
	s_mov_b64 exec, s[18:19]
	s_cbranch_execz .LBB157_200
; %bb.197:                              ;   in Loop: Header=BB157_110 Depth=2
	ds_read_b64 v[76:77], v3 offset:16904
	s_and_saveexec_b64 s[18:19], s[22:23]
	s_cbranch_execz .LBB157_199
; %bb.198:                              ;   in Loop: Header=BB157_110 Depth=2
	ds_write_b64 v3, v[54:55] offset:16904
.LBB157_199:                            ;   in Loop: Header=BB157_110 Depth=2
	s_or_b64 exec, exec, s[18:19]
	s_waitcnt lgkmcnt(0)
	v_fmac_f32_e32 v77, v55, v76
	v_mul_f32_e32 v54, v54, v76
	v_mov_b32_e32 v55, v77
.LBB157_200:                            ;   in Loop: Header=BB157_110 Depth=2
	s_or_b64 exec, exec, s[16:17]
	s_waitcnt lgkmcnt(0)
	s_barrier
	ds_read_b32 v73, v3 offset:16908
	s_and_saveexec_b64 s[16:17], s[22:23]
	s_cbranch_execz .LBB157_109
; %bb.201:                              ;   in Loop: Header=BB157_110 Depth=2
	v_mov_b32_e32 v76, s93
	s_andn2_b64 vcc, exec, s[8:9]
	ds_write_b64 v76, v[54:55]
	s_cbranch_vccnz .LBB157_109
; %bb.202:                              ;   in Loop: Header=BB157_110 Depth=2
	s_mov_b32 s15, s5
	s_lshl_b64 s[18:19], s[14:15], 2
	v_readlane_b32 s11, v166, 16
	s_add_u32 s18, s11, s18
	v_readlane_b32 s11, v166, 17
	s_addc_u32 s19, s11, s19
	global_store_dword v3, v77, s[18:19]
	s_branch .LBB157_109
.LBB157_203:                            ;   in Loop: Header=BB157_13 Depth=1
	v_readlane_b32 s92, v166, 53
	v_readlane_b32 s26, v166, 60
	;; [unrolled: 1-line block ×8, first 2 shown]
.LBB157_204:                            ;   in Loop: Header=BB157_13 Depth=1
	s_barrier
	ds_write2_b32 v127, v44, v45 offset1:1
	ds_write2_b32 v127, v42, v43 offset0:2 offset1:3
	ds_write2_b32 v127, v40, v41 offset0:4 offset1:5
	;; [unrolled: 1-line block ×7, first 2 shown]
	; wave barrier
	ds_read_b32 v18, v97 offset:256
	ds_read_b32 v17, v99 offset:512
	;; [unrolled: 1-line block ×15, first 2 shown]
	v_readlane_b32 s6, v166, 56
	v_readlane_b32 s7, v166, 57
	s_mov_b32 s7, s5
	s_mov_b64 s[30:31], s[6:7]
	v_lshl_add_u64 v[4:5], s[6:7], 2, v[22:23]
	s_and_saveexec_b64 s[6:7], s[96:97]
	s_cbranch_execnz .LBB157_256
; %bb.205:                              ;   in Loop: Header=BB157_13 Depth=1
	s_or_b64 exec, exec, s[6:7]
	s_and_saveexec_b64 s[6:7], s[98:99]
	s_cbranch_execnz .LBB157_257
.LBB157_206:                            ;   in Loop: Header=BB157_13 Depth=1
	s_or_b64 exec, exec, s[6:7]
	s_and_saveexec_b64 s[6:7], s[2:3]
	s_cbranch_execnz .LBB157_258
.LBB157_207:                            ;   in Loop: Header=BB157_13 Depth=1
	s_or_b64 exec, exec, s[6:7]
	s_and_saveexec_b64 s[6:7], s[34:35]
	s_cbranch_execnz .LBB157_259
.LBB157_208:                            ;   in Loop: Header=BB157_13 Depth=1
	s_or_b64 exec, exec, s[6:7]
	s_and_saveexec_b64 s[6:7], s[36:37]
	s_cbranch_execnz .LBB157_260
.LBB157_209:                            ;   in Loop: Header=BB157_13 Depth=1
	s_or_b64 exec, exec, s[6:7]
	s_and_saveexec_b64 s[6:7], s[38:39]
	s_cbranch_execnz .LBB157_261
.LBB157_210:                            ;   in Loop: Header=BB157_13 Depth=1
	s_or_b64 exec, exec, s[6:7]
	s_and_saveexec_b64 s[6:7], s[40:41]
	s_cbranch_execnz .LBB157_262
.LBB157_211:                            ;   in Loop: Header=BB157_13 Depth=1
	s_or_b64 exec, exec, s[6:7]
	s_and_saveexec_b64 s[6:7], s[42:43]
	s_cbranch_execnz .LBB157_263
.LBB157_212:                            ;   in Loop: Header=BB157_13 Depth=1
	s_or_b64 exec, exec, s[6:7]
	s_and_saveexec_b64 s[6:7], s[44:45]
	s_cbranch_execnz .LBB157_264
.LBB157_213:                            ;   in Loop: Header=BB157_13 Depth=1
	s_or_b64 exec, exec, s[6:7]
	s_and_saveexec_b64 s[6:7], s[46:47]
	s_cbranch_execnz .LBB157_265
.LBB157_214:                            ;   in Loop: Header=BB157_13 Depth=1
	s_or_b64 exec, exec, s[6:7]
	s_and_saveexec_b64 s[6:7], s[48:49]
	s_cbranch_execnz .LBB157_266
.LBB157_215:                            ;   in Loop: Header=BB157_13 Depth=1
	s_or_b64 exec, exec, s[6:7]
	s_and_saveexec_b64 s[6:7], s[50:51]
	s_cbranch_execnz .LBB157_267
.LBB157_216:                            ;   in Loop: Header=BB157_13 Depth=1
	s_or_b64 exec, exec, s[6:7]
	s_and_saveexec_b64 s[6:7], s[52:53]
	s_cbranch_execnz .LBB157_268
.LBB157_217:                            ;   in Loop: Header=BB157_13 Depth=1
	s_or_b64 exec, exec, s[6:7]
	s_and_saveexec_b64 s[6:7], s[54:55]
	s_cbranch_execnz .LBB157_269
.LBB157_218:                            ;   in Loop: Header=BB157_13 Depth=1
	s_or_b64 exec, exec, s[6:7]
	s_and_saveexec_b64 s[6:7], s[56:57]
	s_cbranch_execnz .LBB157_270
.LBB157_219:                            ;   in Loop: Header=BB157_13 Depth=1
	s_or_b64 exec, exec, s[6:7]
	s_and_saveexec_b64 s[6:7], s[58:59]
	s_cbranch_execz .LBB157_221
.LBB157_220:                            ;   in Loop: Header=BB157_13 Depth=1
	s_waitcnt lgkmcnt(0)
	global_store_dword v[4:5], v1, off offset:3840
.LBB157_221:                            ;   in Loop: Header=BB157_13 Depth=1
	s_or_b64 exec, exec, s[6:7]
	s_mov_b32 s4, s5
	s_mov_b32 s6, s5
	;; [unrolled: 1-line block ×15, first 2 shown]
	s_waitcnt lgkmcnt(2)
	v_mov_b64_e32 v[4:5], s[4:5]
	v_lshl_add_u64 v[46:47], s[30:31], 2, v[24:25]
	v_mov_b64_e32 v[6:7], s[6:7]
	v_mov_b64_e32 v[8:9], s[8:9]
	;; [unrolled: 1-line block ×7, first 2 shown]
	s_waitcnt lgkmcnt(0)
	v_mov_b32_e32 v1, 0
	s_barrier
	s_and_saveexec_b64 s[6:7], s[96:97]
	s_cbranch_execnz .LBB157_271
; %bb.222:                              ;   in Loop: Header=BB157_13 Depth=1
	s_or_b64 exec, exec, s[6:7]
	s_and_saveexec_b64 s[6:7], s[98:99]
	s_cbranch_execnz .LBB157_272
.LBB157_223:                            ;   in Loop: Header=BB157_13 Depth=1
	s_or_b64 exec, exec, s[6:7]
	s_and_saveexec_b64 s[6:7], s[2:3]
	s_cbranch_execnz .LBB157_273
.LBB157_224:                            ;   in Loop: Header=BB157_13 Depth=1
	s_or_b64 exec, exec, s[6:7]
	s_and_saveexec_b64 s[6:7], s[34:35]
	s_cbranch_execnz .LBB157_274
.LBB157_225:                            ;   in Loop: Header=BB157_13 Depth=1
	s_or_b64 exec, exec, s[6:7]
	s_and_saveexec_b64 s[6:7], s[36:37]
	s_cbranch_execnz .LBB157_275
.LBB157_226:                            ;   in Loop: Header=BB157_13 Depth=1
	s_or_b64 exec, exec, s[6:7]
	s_and_saveexec_b64 s[6:7], s[38:39]
	s_cbranch_execnz .LBB157_276
.LBB157_227:                            ;   in Loop: Header=BB157_13 Depth=1
	s_or_b64 exec, exec, s[6:7]
	s_and_saveexec_b64 s[6:7], s[40:41]
	s_cbranch_execnz .LBB157_277
.LBB157_228:                            ;   in Loop: Header=BB157_13 Depth=1
	s_or_b64 exec, exec, s[6:7]
	s_and_saveexec_b64 s[6:7], s[42:43]
	s_cbranch_execnz .LBB157_278
.LBB157_229:                            ;   in Loop: Header=BB157_13 Depth=1
	s_or_b64 exec, exec, s[6:7]
	s_and_saveexec_b64 s[6:7], s[44:45]
	s_cbranch_execnz .LBB157_279
.LBB157_230:                            ;   in Loop: Header=BB157_13 Depth=1
	s_or_b64 exec, exec, s[6:7]
	s_and_saveexec_b64 s[6:7], s[46:47]
	s_cbranch_execnz .LBB157_280
.LBB157_231:                            ;   in Loop: Header=BB157_13 Depth=1
	s_or_b64 exec, exec, s[6:7]
	s_and_saveexec_b64 s[6:7], s[48:49]
	s_cbranch_execnz .LBB157_281
.LBB157_232:                            ;   in Loop: Header=BB157_13 Depth=1
	s_or_b64 exec, exec, s[6:7]
	s_and_saveexec_b64 s[6:7], s[50:51]
	s_cbranch_execnz .LBB157_282
.LBB157_233:                            ;   in Loop: Header=BB157_13 Depth=1
	s_or_b64 exec, exec, s[6:7]
	s_and_saveexec_b64 s[6:7], s[52:53]
	s_cbranch_execnz .LBB157_283
.LBB157_234:                            ;   in Loop: Header=BB157_13 Depth=1
	s_or_b64 exec, exec, s[6:7]
	s_and_saveexec_b64 s[6:7], s[54:55]
	s_cbranch_execnz .LBB157_284
.LBB157_235:                            ;   in Loop: Header=BB157_13 Depth=1
	s_or_b64 exec, exec, s[6:7]
	s_and_saveexec_b64 s[6:7], s[56:57]
	s_cbranch_execnz .LBB157_285
.LBB157_236:                            ;   in Loop: Header=BB157_13 Depth=1
	s_or_b64 exec, exec, s[6:7]
	s_and_saveexec_b64 s[6:7], s[58:59]
	s_cbranch_execz .LBB157_238
.LBB157_237:                            ;   in Loop: Header=BB157_13 Depth=1
	global_load_dword v19, v[46:47], off offset:3840
.LBB157_238:                            ;   in Loop: Header=BB157_13 Depth=1
	s_or_b64 exec, exec, s[6:7]
	s_waitcnt vmcnt(0)
	ds_write_b32 v95, v1
	ds_write_b32 v97, v5 offset:256
	ds_write_b32 v99, v6 offset:512
	ds_write_b32 v101, v7 offset:768
	ds_write_b32 v103, v8 offset:1024
	ds_write_b32 v105, v9 offset:1280
	ds_write_b32 v107, v10 offset:1536
	ds_write_b32 v109, v11 offset:1792
	ds_write_b32 v111, v12 offset:2048
	ds_write_b32 v113, v13 offset:2304
	ds_write_b32 v115, v14 offset:2560
	ds_write_b32 v117, v15 offset:2816
	ds_write_b32 v119, v16 offset:3072
	ds_write_b32 v121, v17 offset:3328
	ds_write_b32 v123, v18 offset:3584
	ds_write_b32 v125, v19 offset:3840
	; wave barrier
	ds_read2_b32 v[4:5], v127 offset1:1
	s_mov_b32 s4, 0xbfb8aa3b
	s_mov_b32 s8, 0x42ce8ed0
	;; [unrolled: 1-line block ×3, first 2 shown]
	s_waitcnt lgkmcnt(0)
	v_mul_f32_e32 v1, 0xbfb8aa3b, v5
	v_rndne_f32_e32 v2, v1
	v_sub_f32_e32 v6, v1, v2
	v_fma_f32 v1, v5, s4, -v1
	v_fmac_f32_e32 v1, 0xb2a5705f, v5
	v_add_f32_e32 v1, v6, v1
	v_exp_f32_e32 v1, v1
	v_cvt_i32_f32_e32 v2, v2
	v_cmp_nlt_f32_e32 vcc, s8, v5
	v_ldexp_f32 v1, v1, v2
	s_nop 0
	v_cndmask_b32_e32 v1, 0, v1, vcc
	v_cmp_ngt_f32_e32 vcc, s9, v5
	s_nop 1
	v_cndmask_b32_e32 v7, v148, v1, vcc
	v_mul_f32_e32 v1, 0xbfb8aa3b, v4
	v_rndne_f32_e32 v2, v1
	v_sub_f32_e32 v6, v1, v2
	v_fma_f32 v1, v4, s4, -v1
	v_fmac_f32_e32 v1, 0xb2a5705f, v4
	v_add_f32_e32 v1, v6, v1
	v_exp_f32_e32 v1, v1
	v_cvt_i32_f32_e32 v2, v2
	v_cmp_nlt_f32_e32 vcc, s8, v4
	v_ldexp_f32 v1, v1, v2
	s_nop 0
	v_cndmask_b32_e32 v1, 0, v1, vcc
	v_cmp_ngt_f32_e32 vcc, s9, v4
	s_nop 1
	v_cndmask_b32_e32 v6, v148, v1, vcc
	v_pk_add_f32 v[6:7], v[6:7], 1.0 op_sel_hi:[1,0]
	s_nop 0
	v_div_scale_f32 v1, s[6:7], v7, v7, v5
	v_rcp_f32_e32 v2, v1
	s_nop 0
	v_fma_f32 v8, -v1, v2, 1.0
	v_fmac_f32_e32 v2, v8, v2
	v_div_scale_f32 v8, vcc, v5, v7, v5
	v_mul_f32_e32 v9, v8, v2
	v_fma_f32 v10, -v1, v9, v8
	v_fmac_f32_e32 v9, v10, v2
	v_fma_f32 v1, -v1, v9, v8
	v_div_fmas_f32 v1, v1, v2, v9
	v_div_fixup_f32 v5, v1, v7, v5
	v_div_scale_f32 v1, s[6:7], v6, v6, v4
	v_rcp_f32_e32 v2, v1
	s_nop 0
	v_fma_f32 v7, -v1, v2, 1.0
	v_fmac_f32_e32 v2, v7, v2
	v_div_scale_f32 v7, vcc, v4, v6, v4
	v_mul_f32_e32 v8, v7, v2
	v_fma_f32 v9, -v1, v8, v7
	v_fmac_f32_e32 v8, v9, v2
	v_fma_f32 v1, -v1, v8, v7
	v_div_fmas_f32 v1, v1, v2, v8
	v_div_fixup_f32 v4, v1, v6, v4
	ds_read2_b32 v[6:7], v127 offset0:2 offset1:3
	v_pk_mul_f32 v[4:5], v[4:5], v[44:45]
	s_waitcnt lgkmcnt(0)
	v_mul_f32_e32 v1, 0xbfb8aa3b, v7
	v_rndne_f32_e32 v2, v1
	v_sub_f32_e32 v8, v1, v2
	v_fma_f32 v1, v7, s4, -v1
	v_fmac_f32_e32 v1, 0xb2a5705f, v7
	v_add_f32_e32 v1, v8, v1
	v_exp_f32_e32 v1, v1
	v_cvt_i32_f32_e32 v2, v2
	v_cmp_nlt_f32_e32 vcc, s8, v7
	v_ldexp_f32 v1, v1, v2
	s_nop 0
	v_cndmask_b32_e32 v1, 0, v1, vcc
	v_cmp_ngt_f32_e32 vcc, s9, v7
	s_nop 1
	v_cndmask_b32_e32 v9, v148, v1, vcc
	v_mul_f32_e32 v1, 0xbfb8aa3b, v6
	v_rndne_f32_e32 v2, v1
	v_sub_f32_e32 v8, v1, v2
	v_fma_f32 v1, v6, s4, -v1
	v_fmac_f32_e32 v1, 0xb2a5705f, v6
	v_add_f32_e32 v1, v8, v1
	v_exp_f32_e32 v1, v1
	v_cvt_i32_f32_e32 v2, v2
	v_cmp_nlt_f32_e32 vcc, s8, v6
	v_ldexp_f32 v1, v1, v2
	s_nop 0
	v_cndmask_b32_e32 v1, 0, v1, vcc
	v_cmp_ngt_f32_e32 vcc, s9, v6
	s_nop 1
	v_cndmask_b32_e32 v8, v148, v1, vcc
	v_pk_add_f32 v[8:9], v[8:9], 1.0 op_sel_hi:[1,0]
	s_nop 0
	v_div_scale_f32 v1, s[6:7], v9, v9, v7
	v_rcp_f32_e32 v2, v1
	s_nop 0
	v_fma_f32 v10, -v1, v2, 1.0
	v_fmac_f32_e32 v2, v10, v2
	v_div_scale_f32 v10, vcc, v7, v9, v7
	v_mul_f32_e32 v11, v10, v2
	v_fma_f32 v12, -v1, v11, v10
	v_fmac_f32_e32 v11, v12, v2
	v_fma_f32 v1, -v1, v11, v10
	v_div_fmas_f32 v1, v1, v2, v11
	v_div_fixup_f32 v7, v1, v9, v7
	v_div_scale_f32 v1, s[6:7], v8, v8, v6
	v_rcp_f32_e32 v2, v1
	s_nop 0
	v_fma_f32 v9, -v1, v2, 1.0
	v_fmac_f32_e32 v2, v9, v2
	v_div_scale_f32 v9, vcc, v6, v8, v6
	v_mul_f32_e32 v10, v9, v2
	v_fma_f32 v11, -v1, v10, v9
	v_fmac_f32_e32 v10, v11, v2
	v_fma_f32 v1, -v1, v10, v9
	v_div_fmas_f32 v1, v1, v2, v10
	v_div_fixup_f32 v6, v1, v8, v6
	ds_read2_b32 v[8:9], v127 offset0:4 offset1:5
	v_pk_mul_f32 v[6:7], v[6:7], v[42:43]
	;; [unrolled: 59-line block ×7, first 2 shown]
	s_waitcnt lgkmcnt(0)
	s_barrier
	v_mul_f32_e32 v1, 0xbfb8aa3b, v19
	v_rndne_f32_e32 v2, v1
	v_sub_f32_e32 v29, v1, v2
	v_fma_f32 v1, v19, s4, -v1
	v_fmac_f32_e32 v1, 0xb2a5705f, v19
	v_add_f32_e32 v1, v29, v1
	v_exp_f32_e32 v1, v1
	v_cvt_i32_f32_e32 v2, v2
	v_cmp_nlt_f32_e32 vcc, s8, v19
	v_ldexp_f32 v1, v1, v2
	s_nop 0
	v_cndmask_b32_e32 v1, 0, v1, vcc
	v_cmp_ngt_f32_e32 vcc, s9, v19
	s_nop 1
	v_cndmask_b32_e32 v33, v148, v1, vcc
	v_mul_f32_e32 v1, 0xbfb8aa3b, v18
	v_rndne_f32_e32 v2, v1
	v_sub_f32_e32 v29, v1, v2
	v_fma_f32 v1, v18, s4, -v1
	v_fmac_f32_e32 v1, 0xb2a5705f, v18
	v_add_f32_e32 v1, v29, v1
	v_exp_f32_e32 v1, v1
	v_cvt_i32_f32_e32 v2, v2
	v_cmp_nlt_f32_e32 vcc, s8, v18
	v_ldexp_f32 v1, v1, v2
	s_nop 0
	v_cndmask_b32_e32 v1, 0, v1, vcc
	v_cmp_ngt_f32_e32 vcc, s9, v18
	s_nop 1
	v_cndmask_b32_e32 v32, v148, v1, vcc
	v_pk_add_f32 v[32:33], v[32:33], 1.0 op_sel_hi:[1,0]
	s_nop 0
	v_div_scale_f32 v1, s[6:7], v33, v33, v19
	v_rcp_f32_e32 v2, v1
	s_nop 0
	v_fma_f32 v29, -v1, v2, 1.0
	v_fmac_f32_e32 v2, v29, v2
	v_div_scale_f32 v29, vcc, v19, v33, v19
	v_mul_f32_e32 v34, v29, v2
	v_fma_f32 v35, -v1, v34, v29
	v_fmac_f32_e32 v34, v35, v2
	v_fma_f32 v1, -v1, v34, v29
	v_div_fmas_f32 v1, v1, v2, v34
	v_div_fixup_f32 v19, v1, v33, v19
	v_div_scale_f32 v1, s[6:7], v32, v32, v18
	v_rcp_f32_e32 v2, v1
	s_nop 0
	v_fma_f32 v29, -v1, v2, 1.0
	v_fmac_f32_e32 v2, v29, v2
	v_div_scale_f32 v29, vcc, v18, v32, v18
	v_mul_f32_e32 v33, v29, v2
	v_fma_f32 v34, -v1, v33, v29
	v_fmac_f32_e32 v33, v34, v2
	v_fma_f32 v1, -v1, v33, v29
	v_div_fmas_f32 v1, v1, v2, v33
	v_div_fixup_f32 v18, v1, v32, v18
	v_pk_mul_f32 v[18:19], v[18:19], v[30:31]
	ds_write2_b32 v127, v4, v5 offset1:1
	ds_write2_b32 v127, v6, v7 offset0:2 offset1:3
	ds_write2_b32 v127, v8, v9 offset0:4 offset1:5
	;; [unrolled: 1-line block ×7, first 2 shown]
	; wave barrier
	ds_read_b32 v18, v97 offset:256
	ds_read_b32 v17, v99 offset:512
	;; [unrolled: 1-line block ×15, first 2 shown]
	v_lshl_add_u64 v[4:5], s[30:31], 2, v[26:27]
	s_and_saveexec_b64 s[6:7], s[96:97]
	s_cbranch_execnz .LBB157_286
; %bb.239:                              ;   in Loop: Header=BB157_13 Depth=1
	s_or_b64 exec, exec, s[6:7]
	s_and_saveexec_b64 s[6:7], s[98:99]
	s_cbranch_execnz .LBB157_287
.LBB157_240:                            ;   in Loop: Header=BB157_13 Depth=1
	s_or_b64 exec, exec, s[6:7]
	s_and_saveexec_b64 s[6:7], s[2:3]
	s_cbranch_execnz .LBB157_288
.LBB157_241:                            ;   in Loop: Header=BB157_13 Depth=1
	s_or_b64 exec, exec, s[6:7]
	s_and_saveexec_b64 s[6:7], s[34:35]
	s_cbranch_execnz .LBB157_289
.LBB157_242:                            ;   in Loop: Header=BB157_13 Depth=1
	s_or_b64 exec, exec, s[6:7]
	s_and_saveexec_b64 s[6:7], s[36:37]
	s_cbranch_execnz .LBB157_290
.LBB157_243:                            ;   in Loop: Header=BB157_13 Depth=1
	s_or_b64 exec, exec, s[6:7]
	s_and_saveexec_b64 s[6:7], s[38:39]
	s_cbranch_execnz .LBB157_291
.LBB157_244:                            ;   in Loop: Header=BB157_13 Depth=1
	s_or_b64 exec, exec, s[6:7]
	s_and_saveexec_b64 s[6:7], s[40:41]
	s_cbranch_execnz .LBB157_292
.LBB157_245:                            ;   in Loop: Header=BB157_13 Depth=1
	s_or_b64 exec, exec, s[6:7]
	s_and_saveexec_b64 s[6:7], s[42:43]
	s_cbranch_execnz .LBB157_293
.LBB157_246:                            ;   in Loop: Header=BB157_13 Depth=1
	s_or_b64 exec, exec, s[6:7]
	s_and_saveexec_b64 s[6:7], s[44:45]
	s_cbranch_execnz .LBB157_294
.LBB157_247:                            ;   in Loop: Header=BB157_13 Depth=1
	s_or_b64 exec, exec, s[6:7]
	s_and_saveexec_b64 s[6:7], s[46:47]
	s_cbranch_execnz .LBB157_295
.LBB157_248:                            ;   in Loop: Header=BB157_13 Depth=1
	s_or_b64 exec, exec, s[6:7]
	s_and_saveexec_b64 s[6:7], s[48:49]
	s_cbranch_execnz .LBB157_296
.LBB157_249:                            ;   in Loop: Header=BB157_13 Depth=1
	s_or_b64 exec, exec, s[6:7]
	s_and_saveexec_b64 s[6:7], s[50:51]
	s_cbranch_execnz .LBB157_297
.LBB157_250:                            ;   in Loop: Header=BB157_13 Depth=1
	s_or_b64 exec, exec, s[6:7]
	s_and_saveexec_b64 s[6:7], s[52:53]
	s_cbranch_execnz .LBB157_298
.LBB157_251:                            ;   in Loop: Header=BB157_13 Depth=1
	s_or_b64 exec, exec, s[6:7]
	s_and_saveexec_b64 s[6:7], s[54:55]
	s_cbranch_execnz .LBB157_299
.LBB157_252:                            ;   in Loop: Header=BB157_13 Depth=1
	s_or_b64 exec, exec, s[6:7]
	s_and_saveexec_b64 s[6:7], s[56:57]
	s_cbranch_execnz .LBB157_300
.LBB157_253:                            ;   in Loop: Header=BB157_13 Depth=1
	s_or_b64 exec, exec, s[6:7]
	s_and_saveexec_b64 s[6:7], s[58:59]
	s_cbranch_execz .LBB157_12
	s_branch .LBB157_301
.LBB157_254:                            ;   in Loop: Header=BB157_13 Depth=1
	global_load_dword v44, v[30:31], off offset:3328
	s_or_b64 exec, exec, s[6:7]
	s_and_saveexec_b64 s[6:7], s[56:57]
	s_cbranch_execz .LBB157_73
.LBB157_255:                            ;   in Loop: Header=BB157_13 Depth=1
	global_load_dword v43, v[30:31], off offset:3584
	s_or_b64 exec, exec, s[6:7]
	v_mov_b32_e32 v45, 0
	s_and_saveexec_b64 s[6:7], s[58:59]
	s_cbranch_execnz .LBB157_74
	s_branch .LBB157_75
.LBB157_256:                            ;   in Loop: Header=BB157_13 Depth=1
	ds_read_b32 v19, v95
	s_waitcnt lgkmcnt(0)
	global_store_dword v[4:5], v19, off
	s_or_b64 exec, exec, s[6:7]
	s_and_saveexec_b64 s[6:7], s[98:99]
	s_cbranch_execz .LBB157_206
.LBB157_257:                            ;   in Loop: Header=BB157_13 Depth=1
	s_waitcnt lgkmcnt(14)
	global_store_dword v[4:5], v18, off offset:256
	s_or_b64 exec, exec, s[6:7]
	s_and_saveexec_b64 s[6:7], s[2:3]
	s_cbranch_execz .LBB157_207
.LBB157_258:                            ;   in Loop: Header=BB157_13 Depth=1
	s_waitcnt lgkmcnt(13)
	global_store_dword v[4:5], v17, off offset:512
	s_or_b64 exec, exec, s[6:7]
	s_and_saveexec_b64 s[6:7], s[34:35]
	s_cbranch_execz .LBB157_208
.LBB157_259:                            ;   in Loop: Header=BB157_13 Depth=1
	s_waitcnt lgkmcnt(12)
	global_store_dword v[4:5], v16, off offset:768
	s_or_b64 exec, exec, s[6:7]
	s_and_saveexec_b64 s[6:7], s[36:37]
	s_cbranch_execz .LBB157_209
.LBB157_260:                            ;   in Loop: Header=BB157_13 Depth=1
	s_waitcnt lgkmcnt(11)
	global_store_dword v[4:5], v15, off offset:1024
	s_or_b64 exec, exec, s[6:7]
	s_and_saveexec_b64 s[6:7], s[38:39]
	s_cbranch_execz .LBB157_210
.LBB157_261:                            ;   in Loop: Header=BB157_13 Depth=1
	s_waitcnt lgkmcnt(10)
	global_store_dword v[4:5], v14, off offset:1280
	s_or_b64 exec, exec, s[6:7]
	s_and_saveexec_b64 s[6:7], s[40:41]
	s_cbranch_execz .LBB157_211
.LBB157_262:                            ;   in Loop: Header=BB157_13 Depth=1
	s_waitcnt lgkmcnt(9)
	global_store_dword v[4:5], v13, off offset:1536
	s_or_b64 exec, exec, s[6:7]
	s_and_saveexec_b64 s[6:7], s[42:43]
	s_cbranch_execz .LBB157_212
.LBB157_263:                            ;   in Loop: Header=BB157_13 Depth=1
	s_waitcnt lgkmcnt(8)
	global_store_dword v[4:5], v12, off offset:1792
	s_or_b64 exec, exec, s[6:7]
	s_and_saveexec_b64 s[6:7], s[44:45]
	s_cbranch_execz .LBB157_213
.LBB157_264:                            ;   in Loop: Header=BB157_13 Depth=1
	s_waitcnt lgkmcnt(7)
	global_store_dword v[4:5], v11, off offset:2048
	s_or_b64 exec, exec, s[6:7]
	s_and_saveexec_b64 s[6:7], s[46:47]
	s_cbranch_execz .LBB157_214
.LBB157_265:                            ;   in Loop: Header=BB157_13 Depth=1
	s_waitcnt lgkmcnt(6)
	global_store_dword v[4:5], v10, off offset:2304
	s_or_b64 exec, exec, s[6:7]
	s_and_saveexec_b64 s[6:7], s[48:49]
	s_cbranch_execz .LBB157_215
.LBB157_266:                            ;   in Loop: Header=BB157_13 Depth=1
	s_waitcnt lgkmcnt(5)
	global_store_dword v[4:5], v9, off offset:2560
	s_or_b64 exec, exec, s[6:7]
	s_and_saveexec_b64 s[6:7], s[50:51]
	s_cbranch_execz .LBB157_216
.LBB157_267:                            ;   in Loop: Header=BB157_13 Depth=1
	s_waitcnt lgkmcnt(4)
	global_store_dword v[4:5], v8, off offset:2816
	s_or_b64 exec, exec, s[6:7]
	s_and_saveexec_b64 s[6:7], s[52:53]
	s_cbranch_execz .LBB157_217
.LBB157_268:                            ;   in Loop: Header=BB157_13 Depth=1
	s_waitcnt lgkmcnt(3)
	global_store_dword v[4:5], v7, off offset:3072
	s_or_b64 exec, exec, s[6:7]
	s_and_saveexec_b64 s[6:7], s[54:55]
	s_cbranch_execz .LBB157_218
.LBB157_269:                            ;   in Loop: Header=BB157_13 Depth=1
	s_waitcnt lgkmcnt(2)
	global_store_dword v[4:5], v6, off offset:3328
	s_or_b64 exec, exec, s[6:7]
	s_and_saveexec_b64 s[6:7], s[56:57]
	s_cbranch_execz .LBB157_219
.LBB157_270:                            ;   in Loop: Header=BB157_13 Depth=1
	s_waitcnt lgkmcnt(1)
	global_store_dword v[4:5], v2, off offset:3584
	s_or_b64 exec, exec, s[6:7]
	s_and_saveexec_b64 s[6:7], s[58:59]
	s_cbranch_execnz .LBB157_220
	s_branch .LBB157_221
.LBB157_271:                            ;   in Loop: Header=BB157_13 Depth=1
	global_load_dword v1, v[46:47], off
	v_mov_b32_e32 v4, v3
	v_mov_b32_e32 v5, v3
	;; [unrolled: 1-line block ×14, first 2 shown]
	v_mov_b64_e32 v[18:19], v[16:17]
	v_mov_b64_e32 v[16:17], v[14:15]
	v_mov_b64_e32 v[14:15], v[12:13]
	v_mov_b64_e32 v[12:13], v[10:11]
	v_mov_b64_e32 v[10:11], v[8:9]
	v_mov_b64_e32 v[8:9], v[6:7]
	v_mov_b64_e32 v[6:7], v[4:5]
	v_mov_b64_e32 v[4:5], v[2:3]
	s_or_b64 exec, exec, s[6:7]
	s_and_saveexec_b64 s[6:7], s[98:99]
	s_cbranch_execz .LBB157_223
.LBB157_272:                            ;   in Loop: Header=BB157_13 Depth=1
	global_load_dword v5, v[46:47], off offset:256
	s_or_b64 exec, exec, s[6:7]
	s_and_saveexec_b64 s[6:7], s[2:3]
	s_cbranch_execz .LBB157_224
.LBB157_273:                            ;   in Loop: Header=BB157_13 Depth=1
	global_load_dword v6, v[46:47], off offset:512
	s_or_b64 exec, exec, s[6:7]
	s_and_saveexec_b64 s[6:7], s[34:35]
	s_cbranch_execz .LBB157_225
.LBB157_274:                            ;   in Loop: Header=BB157_13 Depth=1
	global_load_dword v7, v[46:47], off offset:768
	s_or_b64 exec, exec, s[6:7]
	s_and_saveexec_b64 s[6:7], s[36:37]
	s_cbranch_execz .LBB157_226
.LBB157_275:                            ;   in Loop: Header=BB157_13 Depth=1
	global_load_dword v8, v[46:47], off offset:1024
	s_or_b64 exec, exec, s[6:7]
	s_and_saveexec_b64 s[6:7], s[38:39]
	s_cbranch_execz .LBB157_227
.LBB157_276:                            ;   in Loop: Header=BB157_13 Depth=1
	global_load_dword v9, v[46:47], off offset:1280
	s_or_b64 exec, exec, s[6:7]
	s_and_saveexec_b64 s[6:7], s[40:41]
	s_cbranch_execz .LBB157_228
.LBB157_277:                            ;   in Loop: Header=BB157_13 Depth=1
	global_load_dword v10, v[46:47], off offset:1536
	s_or_b64 exec, exec, s[6:7]
	s_and_saveexec_b64 s[6:7], s[42:43]
	s_cbranch_execz .LBB157_229
.LBB157_278:                            ;   in Loop: Header=BB157_13 Depth=1
	global_load_dword v11, v[46:47], off offset:1792
	s_or_b64 exec, exec, s[6:7]
	s_and_saveexec_b64 s[6:7], s[44:45]
	s_cbranch_execz .LBB157_230
.LBB157_279:                            ;   in Loop: Header=BB157_13 Depth=1
	global_load_dword v12, v[46:47], off offset:2048
	s_or_b64 exec, exec, s[6:7]
	s_and_saveexec_b64 s[6:7], s[46:47]
	s_cbranch_execz .LBB157_231
.LBB157_280:                            ;   in Loop: Header=BB157_13 Depth=1
	global_load_dword v13, v[46:47], off offset:2304
	s_or_b64 exec, exec, s[6:7]
	s_and_saveexec_b64 s[6:7], s[48:49]
	s_cbranch_execz .LBB157_232
.LBB157_281:                            ;   in Loop: Header=BB157_13 Depth=1
	global_load_dword v14, v[46:47], off offset:2560
	s_or_b64 exec, exec, s[6:7]
	s_and_saveexec_b64 s[6:7], s[50:51]
	s_cbranch_execz .LBB157_233
.LBB157_282:                            ;   in Loop: Header=BB157_13 Depth=1
	global_load_dword v15, v[46:47], off offset:2816
	s_or_b64 exec, exec, s[6:7]
	s_and_saveexec_b64 s[6:7], s[52:53]
	s_cbranch_execz .LBB157_234
.LBB157_283:                            ;   in Loop: Header=BB157_13 Depth=1
	global_load_dword v16, v[46:47], off offset:3072
	s_or_b64 exec, exec, s[6:7]
	s_and_saveexec_b64 s[6:7], s[54:55]
	s_cbranch_execz .LBB157_235
.LBB157_284:                            ;   in Loop: Header=BB157_13 Depth=1
	global_load_dword v17, v[46:47], off offset:3328
	s_or_b64 exec, exec, s[6:7]
	s_and_saveexec_b64 s[6:7], s[56:57]
	s_cbranch_execz .LBB157_236
.LBB157_285:                            ;   in Loop: Header=BB157_13 Depth=1
	global_load_dword v18, v[46:47], off offset:3584
	s_or_b64 exec, exec, s[6:7]
	s_and_saveexec_b64 s[6:7], s[58:59]
	s_cbranch_execnz .LBB157_237
	s_branch .LBB157_238
.LBB157_286:                            ;   in Loop: Header=BB157_13 Depth=1
	ds_read_b32 v19, v95
	s_waitcnt lgkmcnt(0)
	global_store_dword v[4:5], v19, off
	s_or_b64 exec, exec, s[6:7]
	s_and_saveexec_b64 s[6:7], s[98:99]
	s_cbranch_execz .LBB157_240
.LBB157_287:                            ;   in Loop: Header=BB157_13 Depth=1
	s_waitcnt lgkmcnt(14)
	global_store_dword v[4:5], v18, off offset:256
	s_or_b64 exec, exec, s[6:7]
	s_and_saveexec_b64 s[6:7], s[2:3]
	s_cbranch_execz .LBB157_241
.LBB157_288:                            ;   in Loop: Header=BB157_13 Depth=1
	s_waitcnt lgkmcnt(13)
	global_store_dword v[4:5], v17, off offset:512
	s_or_b64 exec, exec, s[6:7]
	s_and_saveexec_b64 s[6:7], s[34:35]
	s_cbranch_execz .LBB157_242
.LBB157_289:                            ;   in Loop: Header=BB157_13 Depth=1
	s_waitcnt lgkmcnt(12)
	global_store_dword v[4:5], v16, off offset:768
	s_or_b64 exec, exec, s[6:7]
	s_and_saveexec_b64 s[6:7], s[36:37]
	s_cbranch_execz .LBB157_243
.LBB157_290:                            ;   in Loop: Header=BB157_13 Depth=1
	s_waitcnt lgkmcnt(11)
	global_store_dword v[4:5], v15, off offset:1024
	s_or_b64 exec, exec, s[6:7]
	s_and_saveexec_b64 s[6:7], s[38:39]
	s_cbranch_execz .LBB157_244
.LBB157_291:                            ;   in Loop: Header=BB157_13 Depth=1
	s_waitcnt lgkmcnt(10)
	global_store_dword v[4:5], v14, off offset:1280
	s_or_b64 exec, exec, s[6:7]
	s_and_saveexec_b64 s[6:7], s[40:41]
	s_cbranch_execz .LBB157_245
.LBB157_292:                            ;   in Loop: Header=BB157_13 Depth=1
	s_waitcnt lgkmcnt(9)
	global_store_dword v[4:5], v13, off offset:1536
	s_or_b64 exec, exec, s[6:7]
	s_and_saveexec_b64 s[6:7], s[42:43]
	s_cbranch_execz .LBB157_246
.LBB157_293:                            ;   in Loop: Header=BB157_13 Depth=1
	s_waitcnt lgkmcnt(8)
	global_store_dword v[4:5], v12, off offset:1792
	s_or_b64 exec, exec, s[6:7]
	s_and_saveexec_b64 s[6:7], s[44:45]
	s_cbranch_execz .LBB157_247
.LBB157_294:                            ;   in Loop: Header=BB157_13 Depth=1
	s_waitcnt lgkmcnt(7)
	global_store_dword v[4:5], v11, off offset:2048
	s_or_b64 exec, exec, s[6:7]
	s_and_saveexec_b64 s[6:7], s[46:47]
	s_cbranch_execz .LBB157_248
.LBB157_295:                            ;   in Loop: Header=BB157_13 Depth=1
	s_waitcnt lgkmcnt(6)
	global_store_dword v[4:5], v10, off offset:2304
	s_or_b64 exec, exec, s[6:7]
	s_and_saveexec_b64 s[6:7], s[48:49]
	s_cbranch_execz .LBB157_249
.LBB157_296:                            ;   in Loop: Header=BB157_13 Depth=1
	s_waitcnt lgkmcnt(5)
	global_store_dword v[4:5], v9, off offset:2560
	s_or_b64 exec, exec, s[6:7]
	s_and_saveexec_b64 s[6:7], s[50:51]
	s_cbranch_execz .LBB157_250
.LBB157_297:                            ;   in Loop: Header=BB157_13 Depth=1
	s_waitcnt lgkmcnt(4)
	global_store_dword v[4:5], v8, off offset:2816
	s_or_b64 exec, exec, s[6:7]
	s_and_saveexec_b64 s[6:7], s[52:53]
	s_cbranch_execz .LBB157_251
.LBB157_298:                            ;   in Loop: Header=BB157_13 Depth=1
	s_waitcnt lgkmcnt(3)
	global_store_dword v[4:5], v7, off offset:3072
	s_or_b64 exec, exec, s[6:7]
	s_and_saveexec_b64 s[6:7], s[54:55]
	s_cbranch_execz .LBB157_252
.LBB157_299:                            ;   in Loop: Header=BB157_13 Depth=1
	s_waitcnt lgkmcnt(2)
	global_store_dword v[4:5], v6, off offset:3328
	s_or_b64 exec, exec, s[6:7]
	s_and_saveexec_b64 s[6:7], s[56:57]
	s_cbranch_execz .LBB157_253
.LBB157_300:                            ;   in Loop: Header=BB157_13 Depth=1
	s_waitcnt lgkmcnt(1)
	global_store_dword v[4:5], v2, off offset:3584
	s_or_b64 exec, exec, s[6:7]
	s_and_saveexec_b64 s[6:7], s[58:59]
	s_cbranch_execz .LBB157_12
.LBB157_301:                            ;   in Loop: Header=BB157_13 Depth=1
	s_waitcnt lgkmcnt(0)
	global_store_dword v[4:5], v1, off offset:3840
	s_branch .LBB157_12
.LBB157_302:
	s_endpgm
	.section	.rodata,"a",@progbits
	.p2align	6, 0x0
	.amdhsa_kernel _Z25selective_scan_fwd_kernelI32Selective_Scan_fwd_kernel_traitsILi128ELi16ELi1ELb0ELb1ELb1ELb1ELb0EfffEEv13SSMParamsBase
		.amdhsa_group_segment_fixed_size 0
		.amdhsa_private_segment_fixed_size 0
		.amdhsa_kernarg_size 248
		.amdhsa_user_sgpr_count 2
		.amdhsa_user_sgpr_dispatch_ptr 0
		.amdhsa_user_sgpr_queue_ptr 0
		.amdhsa_user_sgpr_kernarg_segment_ptr 1
		.amdhsa_user_sgpr_dispatch_id 0
		.amdhsa_user_sgpr_kernarg_preload_length 0
		.amdhsa_user_sgpr_kernarg_preload_offset 0
		.amdhsa_user_sgpr_private_segment_size 0
		.amdhsa_uses_dynamic_stack 0
		.amdhsa_enable_private_segment 0
		.amdhsa_system_sgpr_workgroup_id_x 1
		.amdhsa_system_sgpr_workgroup_id_y 1
		.amdhsa_system_sgpr_workgroup_id_z 0
		.amdhsa_system_sgpr_workgroup_info 0
		.amdhsa_system_vgpr_workitem_id 0
		.amdhsa_next_free_vgpr 168
		.amdhsa_next_free_sgpr 100
		.amdhsa_accum_offset 168
		.amdhsa_reserve_vcc 1
		.amdhsa_float_round_mode_32 0
		.amdhsa_float_round_mode_16_64 0
		.amdhsa_float_denorm_mode_32 3
		.amdhsa_float_denorm_mode_16_64 3
		.amdhsa_dx10_clamp 1
		.amdhsa_ieee_mode 1
		.amdhsa_fp16_overflow 0
		.amdhsa_tg_split 0
		.amdhsa_exception_fp_ieee_invalid_op 0
		.amdhsa_exception_fp_denorm_src 0
		.amdhsa_exception_fp_ieee_div_zero 0
		.amdhsa_exception_fp_ieee_overflow 0
		.amdhsa_exception_fp_ieee_underflow 0
		.amdhsa_exception_fp_ieee_inexact 0
		.amdhsa_exception_int_div_zero 0
	.end_amdhsa_kernel
	.section	.text._Z25selective_scan_fwd_kernelI32Selective_Scan_fwd_kernel_traitsILi128ELi16ELi1ELb0ELb1ELb1ELb1ELb0EfffEEv13SSMParamsBase,"axG",@progbits,_Z25selective_scan_fwd_kernelI32Selective_Scan_fwd_kernel_traitsILi128ELi16ELi1ELb0ELb1ELb1ELb1ELb0EfffEEv13SSMParamsBase,comdat
.Lfunc_end157:
	.size	_Z25selective_scan_fwd_kernelI32Selective_Scan_fwd_kernel_traitsILi128ELi16ELi1ELb0ELb1ELb1ELb1ELb0EfffEEv13SSMParamsBase, .Lfunc_end157-_Z25selective_scan_fwd_kernelI32Selective_Scan_fwd_kernel_traitsILi128ELi16ELi1ELb0ELb1ELb1ELb1ELb0EfffEEv13SSMParamsBase
                                        ; -- End function
	.section	.AMDGPU.csdata,"",@progbits
; Kernel info:
; codeLenInByte = 25172
; NumSgprs: 106
; NumVgprs: 168
; NumAgprs: 0
; TotalNumVgprs: 168
; ScratchSize: 0
; MemoryBound: 0
; FloatMode: 240
; IeeeMode: 1
; LDSByteSize: 0 bytes/workgroup (compile time only)
; SGPRBlocks: 13
; VGPRBlocks: 20
; NumSGPRsForWavesPerEU: 106
; NumVGPRsForWavesPerEU: 168
; AccumOffset: 168
; Occupancy: 3
; WaveLimiterHint : 0
; COMPUTE_PGM_RSRC2:SCRATCH_EN: 0
; COMPUTE_PGM_RSRC2:USER_SGPR: 2
; COMPUTE_PGM_RSRC2:TRAP_HANDLER: 0
; COMPUTE_PGM_RSRC2:TGID_X_EN: 1
; COMPUTE_PGM_RSRC2:TGID_Y_EN: 1
; COMPUTE_PGM_RSRC2:TGID_Z_EN: 0
; COMPUTE_PGM_RSRC2:TIDIG_COMP_CNT: 0
; COMPUTE_PGM_RSRC3_GFX90A:ACCUM_OFFSET: 41
; COMPUTE_PGM_RSRC3_GFX90A:TG_SPLIT: 0
	.section	.text._Z25selective_scan_fwd_kernelI32Selective_Scan_fwd_kernel_traitsILi128ELi16ELi1ELb0ELb1ELb1ELb0ELb1EfffEEv13SSMParamsBase,"axG",@progbits,_Z25selective_scan_fwd_kernelI32Selective_Scan_fwd_kernel_traitsILi128ELi16ELi1ELb0ELb1ELb1ELb0ELb1EfffEEv13SSMParamsBase,comdat
	.protected	_Z25selective_scan_fwd_kernelI32Selective_Scan_fwd_kernel_traitsILi128ELi16ELi1ELb0ELb1ELb1ELb0ELb1EfffEEv13SSMParamsBase ; -- Begin function _Z25selective_scan_fwd_kernelI32Selective_Scan_fwd_kernel_traitsILi128ELi16ELi1ELb0ELb1ELb1ELb0ELb1EfffEEv13SSMParamsBase
	.globl	_Z25selective_scan_fwd_kernelI32Selective_Scan_fwd_kernel_traitsILi128ELi16ELi1ELb0ELb1ELb1ELb0ELb1EfffEEv13SSMParamsBase
	.p2align	8
	.type	_Z25selective_scan_fwd_kernelI32Selective_Scan_fwd_kernel_traitsILi128ELi16ELi1ELb0ELb1ELb1ELb0ELb1EfffEEv13SSMParamsBase,@function
_Z25selective_scan_fwd_kernelI32Selective_Scan_fwd_kernel_traitsILi128ELi16ELi1ELb0ELb1ELb1ELb0ELb1EfffEEv13SSMParamsBase: ; @_Z25selective_scan_fwd_kernelI32Selective_Scan_fwd_kernel_traitsILi128ELi16ELi1ELb0ELb1ELb1ELb0ELb1EfffEEv13SSMParamsBase
; %bb.0:
	s_load_dword s29, s[0:1], 0x18
	s_load_dwordx4 s[4:7], s[0:1], 0xe0
	s_load_dwordx2 s[10:11], s[0:1], 0xf0
	s_mov_b32 s24, s3
	s_ashr_i32 s3, s2, 31
	s_waitcnt lgkmcnt(0)
	s_abs_i32 s28, s29
	v_cvt_f32_u32_e32 v1, s28
	s_lshl_b64 s[8:9], s[2:3], 2
	s_add_u32 s26, s4, s8
	s_addc_u32 s27, s5, s9
	v_rcp_iflag_f32_e32 v1, v1
	s_cmp_eq_u64 s[10:11], 0
                                        ; implicit-def: $vgpr167 : SGPR spill to VGPR lane
	v_mul_f32_e32 v1, 0x4f7ffffe, v1
	v_cvt_u32_f32_e32 v1, v1
	s_nop 0
	v_readfirstlane_b32 s30, v1
	s_cbranch_scc1 .LBB158_2
; %bb.1:
	s_add_u32 s4, s10, s2
	s_addc_u32 s5, s11, s3
	v_mov_b32_e32 v1, 0
	global_load_ubyte v1, v1, s[4:5]
	s_waitcnt vmcnt(0)
	v_and_b32_e32 v1, 1, v1
	v_cmp_eq_u32_e64 s[4:5], 1, v1
	s_branch .LBB158_3
.LBB158_2:
	s_mov_b64 s[4:5], 0
.LBB158_3:
	s_nop 0
	v_writelane_b32 v167, s4, 0
	s_cmp_eq_u64 s[6:7], 0
	s_nop 0
	v_writelane_b32 v167, s5, 1
	s_load_dwordx2 s[4:5], s[0:1], 0x20
	s_cbranch_scc1 .LBB158_5
; %bb.4:
	s_add_u32 s2, s6, s8
	s_addc_u32 s3, s7, s9
	s_load_dword s2, s[2:3], 0x0
	s_waitcnt lgkmcnt(0)
	s_ashr_i32 s3, s2, 31
.LBB158_5:
	s_waitcnt lgkmcnt(0)
	s_cmp_eq_u64 s[4:5], s[2:3]
	s_cbranch_scc1 .LBB158_238
; %bb.6:
	s_load_dwordx16 s[36:51], s[0:1], 0x88
	s_load_dwordx2 s[4:5], s[26:27], 0x0
	s_mov_b32 s3, 0
	s_mov_b32 s62, 0
	v_writelane_b32 v167, s3, 2
	s_waitcnt lgkmcnt(0)
	s_cmp_eq_u64 s[42:43], 0
	s_cbranch_scc1 .LBB158_8
; %bb.7:
	s_ashr_i32 s25, s24, 31
	s_lshl_b64 s[6:7], s[24:25], 2
	s_add_u32 s6, s42, s6
	s_addc_u32 s7, s43, s7
	s_load_dword s3, s[6:7], 0x0
	s_waitcnt lgkmcnt(0)
	v_writelane_b32 v167, s3, 2
.LBB158_8:
	s_cmp_eq_u64 s[48:49], 0
	s_cbranch_scc1 .LBB158_10
; %bb.9:
	s_ashr_i32 s25, s24, 31
	s_lshl_b64 s[6:7], s[24:25], 2
	s_add_u32 s6, s48, s6
	s_addc_u32 s7, s49, s7
	s_load_dword s62, s[6:7], 0x0
.LBB158_10:
	s_sub_i32 s31, s5, s4
	s_cmp_lt_i32 s31, 1
	s_cbranch_scc1 .LBB158_238
; %bb.11:
	s_sub_i32 s3, 0, s28
	s_mul_i32 s3, s3, s30
	s_mul_hi_u32 s3, s30, s3
	s_load_dwordx8 s[8:15], s[0:1], 0x2c
	s_load_dwordx2 s[20:21], s[0:1], 0x5c
	s_load_dwordx4 s[52:55], s[0:1], 0x4c
	s_abs_i32 s5, s24
	s_add_i32 s30, s30, s3
	s_load_dwordx4 s[56:59], s[0:1], 0x7c
	s_load_dwordx2 s[18:19], s[0:1], 0x6c
	s_load_dwordx2 s[26:27], s[0:1], 0xc8
	s_mul_hi_u32 s3, s5, s30
	s_waitcnt lgkmcnt(0)
	s_load_dword s11, s[0:1], 0xc
	s_load_dword s25, s[0:1], 0x28
	s_ashr_i32 s0, s24, 31
	s_ashr_i32 s1, s29, 31
	s_xor_b32 s0, s0, s1
	s_mul_i32 s1, s3, s28
	s_sub_i32 s1, s5, s1
	s_add_i32 s5, s3, 1
	s_sub_i32 s6, s1, s28
	s_cmp_ge_u32 s1, s28
	s_cselect_b32 s3, s5, s3
	s_cselect_b32 s1, s6, s1
	s_add_i32 s5, s3, 1
	s_cmp_ge_u32 s1, s28
	s_cselect_b32 s1, s5, s3
	s_xor_b32 s1, s1, s0
	s_mul_i32 s6, s4, s54
	s_mov_b32 s7, 0
	s_sub_i32 s3, s1, s0
	s_lshl_b64 s[0:1], s[6:7], 2
	s_add_u32 s5, s44, s0
	s_mul_i32 s6, s55, s24
	s_addc_u32 s16, s45, s1
	s_lshl_b64 s[0:1], s[6:7], 2
	s_add_u32 s22, s5, s0
	s_mul_i32 s6, s4, s20
	s_addc_u32 s23, s16, s1
	;; [unrolled: 4-line block ×3, first 2 shown]
	s_lshl_b64 s[0:1], s[6:7], 2
	s_add_u32 s0, s5, s0
	s_addc_u32 s1, s16, s1
	v_writelane_b32 v167, s0, 3
	s_mul_i32 s6, s8, s24
	v_mbcnt_lo_u32_b32 v2, -1, 0
	v_writelane_b32 v167, s1, 4
	s_lshl_b64 s[0:1], s[6:7], 2
	s_add_u32 s0, s36, s0
	v_writelane_b32 v167, s0, 5
	s_addc_u32 s0, s37, s1
	s_mul_i32 s6, s4, s10
	v_writelane_b32 v167, s0, 6
	s_lshl_b64 s[0:1], s[6:7], 2
	s_add_u32 s5, s38, s0
	s_mul_i32 s6, s3, s13
	s_addc_u32 s8, s39, s1
	s_lshl_b64 s[0:1], s[6:7], 2
	s_add_u32 s16, s5, s0
	s_addc_u32 s17, s8, s1
	s_waitcnt lgkmcnt(0)
	v_writelane_b32 v167, s8, 7
	s_mul_i32 s6, s4, s14
	s_lshl_b64 s[0:1], s[6:7], 2
	v_writelane_b32 v167, s9, 8
	v_writelane_b32 v167, s10, 9
	;; [unrolled: 1-line block ×8, first 2 shown]
	s_add_u32 s5, s40, s0
	s_mul_i32 s6, s3, s53
	v_writelane_b32 v167, s53, 16
	s_addc_u32 s8, s41, s1
	v_writelane_b32 v167, s54, 17
	s_lshl_b64 s[0:1], s[6:7], 2
	v_writelane_b32 v167, s55, 18
	s_add_u32 s12, s5, s0
	s_mul_i32 s6, s2, s56
	s_addc_u32 s13, s8, s1
	s_lshl_b64 s[0:1], s[6:7], 2
	v_writelane_b32 v167, s56, 19
	s_add_u32 s2, s26, s0
	s_mul_i32 s6, s57, s24
	v_writelane_b32 v167, s57, 20
	s_addc_u32 s3, s27, s1
	v_writelane_b32 v167, s58, 21
	s_lshl_b64 s[0:1], s[6:7], 2
	v_writelane_b32 v167, s59, 22
	s_add_u32 s0, s2, s0
	v_writelane_b32 v167, s0, 23
	s_addc_u32 s0, s3, s1
	v_writelane_b32 v167, s0, 24
	s_add_i32 s0, s31, 0x7ff
	s_lshr_b32 s1, s0, 11
	s_bitcmp1_b32 s25, 0
	v_lshlrev_b32_e32 v3, 4, v0
	s_cselect_b64 s[2:3], -1, 0
	v_mbcnt_hi_u32_b32 v2, -1, v2
	v_and_b32_e32 v6, 0x400, v3
	v_writelane_b32 v167, s2, 25
	v_or_b32_e32 v76, v2, v6
	s_cmp_gt_i32 s11, 0
	v_writelane_b32 v167, s3, 26
	v_lshrrev_b32_e32 v4, 5, v76
	v_and_b32_e32 v20, 64, v0
	v_writelane_b32 v167, s11, 27
	s_cselect_b64 s[2:3], -1, 0
	v_add_u32_e32 v5, 64, v76
	v_or_b32_e32 v7, 0x80, v76
	v_add_u32_e32 v8, 0xc0, v76
	v_or_b32_e32 v9, 0x100, v76
	;; [unrolled: 2-line block ×7, first 2 shown]
	v_add_u32_e32 v91, 0x3c0, v76
	v_add_u32_e32 v4, v4, v76
	;; [unrolled: 1-line block ×3, first 2 shown]
	v_writelane_b32 v167, s2, 28
	v_lshl_add_u32 v92, v4, 2, 0
	v_lshrrev_b32_e32 v4, 5, v5
	v_lshrrev_b32_e32 v5, 5, v7
	v_lshrrev_b32_e32 v7, 5, v8
	v_lshrrev_b32_e32 v8, 5, v9
	v_lshrrev_b32_e32 v9, 5, v10
	v_lshrrev_b32_e32 v10, 5, v11
	v_lshrrev_b32_e32 v11, 5, v12
	v_lshrrev_b32_e32 v12, 5, v84
	v_lshrrev_b32_e32 v13, 5, v85
	v_lshrrev_b32_e32 v14, 5, v86
	v_lshrrev_b32_e32 v15, 5, v87
	v_lshrrev_b32_e32 v16, 5, v88
	v_lshrrev_b32_e32 v17, 5, v89
	v_lshrrev_b32_e32 v18, 5, v90
	v_lshrrev_b32_e32 v19, 5, v91
	v_lshlrev_b32_e32 v22, 4, v21
	v_bfe_u32 v21, v21, 1, 27
	v_writelane_b32 v167, s3, 29
	v_add_lshl_u32 v4, v4, v76, 2
	v_add_lshl_u32 v5, v5, v76, 2
	v_add_lshl_u32 v7, v7, v76, 2
	v_add_lshl_u32 v8, v8, v76, 2
	v_add_lshl_u32 v9, v9, v76, 2
	v_add_lshl_u32 v10, v10, v76, 2
	v_add_lshl_u32 v11, v11, v76, 2
	v_add_lshl_u32 v12, v12, v76, 2
	v_add_lshl_u32 v13, v13, v76, 2
	v_add_lshl_u32 v14, v14, v76, 2
	v_add_lshl_u32 v15, v15, v76, 2
	v_add_lshl_u32 v16, v16, v76, 2
	v_add_lshl_u32 v17, v17, v76, 2
	v_add_lshl_u32 v18, v18, v76, 2
	v_add_lshl_u32 v19, v19, v76, 2
	v_add_lshl_u32 v21, v21, v22, 2
	s_add_i32 s0, 0, 0x2100
	v_writelane_b32 v167, s31, 30
	v_add_u32_e32 v109, s0, v4
	v_add_u32_e32 v110, s0, v5
	;; [unrolled: 1-line block ×16, first 2 shown]
	v_writelane_b32 v167, s1, 31
	s_add_i32 s0, s1, -1
	s_mul_i32 s6, s4, s18
	s_and_b32 s5, s31, 0x7ff
	v_writelane_b32 v167, s0, 32
	s_lshl_b64 s[0:1], s[6:7], 2
	s_add_u32 s2, s50, s0
	s_mul_i32 s6, s19, s24
	s_addc_u32 s3, s51, s1
	s_lshl_b64 s[0:1], s[6:7], 2
	s_add_u32 s2, s2, s0
	s_addc_u32 s3, s3, s1
	s_cmp_eq_u32 s5, 0
	s_cselect_b64 s[0:1], -1, 0
	v_add_u32_e32 v93, 0, v4
	v_writelane_b32 v167, s0, 33
	v_and_b32_e32 v4, 15, v2
	v_cmp_lt_u32_e64 s[4:5], 1, v4
	v_writelane_b32 v167, s1, 34
	v_cmp_eq_u32_e64 s[0:1], 0, v4
	v_writelane_b32 v167, s4, 35
	v_add_u32_e32 v94, 0, v5
	v_and_b32_e32 v5, 64, v2
	v_writelane_b32 v167, s5, 36
	v_cmp_lt_u32_e64 s[4:5], 3, v4
	s_mov_b64 s[8:9], s[22:23]
	v_mov_b32_e32 v1, 0
	v_writelane_b32 v167, s4, 37
	v_lshl_add_u32 v126, v0, 3, 0
	v_cmp_lt_u32_e64 s[20:21], 63, v0
	v_writelane_b32 v167, s5, 38
	v_cmp_lt_u32_e64 s[4:5], 7, v4
	v_and_b32_e32 v4, 16, v2
	v_cmp_eq_u32_e64 s[22:23], 0, v0
	v_writelane_b32 v167, s4, 39
	v_add_u32_e32 v95, 0, v7
	v_add_u32_e32 v96, 0, v8
	v_writelane_b32 v167, s5, 40
	v_cmp_ne_u32_e64 s[4:5], 0, v4
	v_or_b32_e32 v4, 63, v20
	v_add_u32_e32 v97, 0, v9
	v_writelane_b32 v167, s4, 41
	v_add_u32_e32 v98, 0, v10
	v_add_u32_e32 v99, 0, v11
	v_writelane_b32 v167, s5, 42
	v_cmp_lt_u32_e64 s[4:5], 31, v2
	v_add_u32_e32 v100, 0, v12
	v_add_u32_e32 v101, 0, v13
	v_writelane_b32 v167, s4, 43
	v_add_u32_e32 v102, 0, v14
	v_add_u32_e32 v103, 0, v15
	v_writelane_b32 v167, s5, 44
	v_cmp_eq_u32_e64 s[4:5], v4, v0
	v_lshrrev_b32_e32 v4, 3, v0
	v_and_b32_e32 v4, 8, v4
	v_writelane_b32 v167, s4, 45
	v_add_u32_e32 v125, 0, v4
	v_and_b32_e32 v4, 1, v2
	v_writelane_b32 v167, s5, 46
	v_cmp_gt_u32_e64 s[4:5], 2, v0
	v_add_u32_e32 v104, 0, v16
	v_add_u32_e32 v105, 0, v17
	v_writelane_b32 v167, s4, 47
	v_add_u32_e32 v106, 0, v18
	v_add_u32_e32 v107, 0, v19
	v_writelane_b32 v167, s5, 48
	v_cmp_eq_u32_e64 s[4:5], 0, v4
	v_add_u32_e32 v4, -1, v2
	v_cmp_lt_i32_e32 vcc, v4, v5
	v_writelane_b32 v167, s4, 49
	v_add_u32_e32 v108, 0, v21
	v_cndmask_b32_e32 v4, v4, v2, vcc
	v_writelane_b32 v167, s5, 50
	v_cmp_gt_u32_e64 s[4:5], 64, v0
	v_lshlrev_b32_e32 v0, 2, v2
	v_lshlrev_b32_e32 v127, 2, v4
	v_writelane_b32 v167, s4, 51
	v_lshl_add_u64 v[4:5], s[2:3], 0, v[0:1]
	s_add_i32 s2, 0, 0x4210
	v_writelane_b32 v167, s5, 52
	v_lshlrev_b32_e32 v0, 2, v6
	v_writelane_b32 v167, s2, 53
	v_cmp_eq_u32_e64 s[24:25], 0, v2
	v_lshl_add_u64 v[4:5], v[4:5], 0, v[0:1]
	v_lshlrev_b32_e32 v6, 2, v6
	s_mov_b32 s33, 0xc2fc0000
	s_mov_b32 s10, 0
	v_mov_b32_e32 v143, 0x3ecc95a3
	v_mov_b32_e32 v144, 0x7f800000
	;; [unrolled: 1-line block ×5, first 2 shown]
	v_writelane_b32 v167, s62, 54
                                        ; implicit-def: $vgpr0
	s_branch .LBB158_13
.LBB158_12:                             ;   in Loop: Header=BB158_13 Depth=1
	s_or_b64 exec, exec, s[2:3]
	v_readlane_b32 s2, v167, 3
	v_readlane_b32 s3, v167, 4
	s_add_u32 s2, s2, 0x2000
	s_addc_u32 s3, s3, 0
	s_add_u32 s8, s8, 0x2000
	s_addc_u32 s9, s9, 0
	s_add_u32 s16, s16, 0x2000
	v_writelane_b32 v167, s2, 3
	s_addc_u32 s17, s17, 0
	s_add_u32 s12, s12, 0x2000
	v_writelane_b32 v167, s3, 4
	s_addc_u32 s13, s13, 0
	s_add_i32 s10, s10, 1
	v_readlane_b32 s2, v167, 31
	s_cmp_eq_u32 s10, s2
	s_cbranch_scc1 .LBB158_238
.LBB158_13:                             ; =>This Loop Header: Depth=1
                                        ;     Child Loop BB158_110 Depth 2
	s_lshl_b32 s6, s10, 11
	s_mov_b32 s4, s6
	v_readlane_b32 s2, v167, 30
	v_writelane_b32 v167, s4, 55
	s_waitcnt lgkmcnt(0)
	v_lshlrev_b32_e32 v0, 2, v2
	s_sub_i32 s88, s2, s6
	v_writelane_b32 v167, s5, 56
	v_writelane_b32 v167, s8, 57
	v_mov_b32_e32 v7, v1
	v_cmp_gt_u32_e64 s[26:27], s88, v76
	v_lshl_add_u64 v[10:11], s[8:9], 0, v[0:1]
	v_writelane_b32 v167, s9, 58
	v_lshl_add_u64 v[10:11], v[10:11], 0, v[6:7]
	v_mov_b32_e32 v7, 0
	s_barrier
	s_and_saveexec_b64 s[2:3], s[26:27]
	s_cbranch_execz .LBB158_15
; %bb.14:                               ;   in Loop: Header=BB158_13 Depth=1
	global_load_dword v7, v[10:11], off
.LBB158_15:                             ;   in Loop: Header=BB158_13 Depth=1
	s_or_b64 exec, exec, s[2:3]
	v_add_u32_e32 v9, 64, v76
	v_cmp_gt_u32_e64 s[28:29], s88, v9
	v_mov_b32_e32 v12, 0
	v_mov_b32_e32 v13, 0
	s_and_saveexec_b64 s[2:3], s[28:29]
	s_cbranch_execz .LBB158_17
; %bb.16:                               ;   in Loop: Header=BB158_13 Depth=1
	global_load_dword v13, v[10:11], off offset:256
.LBB158_17:                             ;   in Loop: Header=BB158_13 Depth=1
	s_or_b64 exec, exec, s[2:3]
	v_or_b32_e32 v9, 0x80, v76
	v_cmp_gt_u32_e64 s[30:31], s88, v9
	s_and_saveexec_b64 s[2:3], s[30:31]
	s_cbranch_execz .LBB158_19
; %bb.18:                               ;   in Loop: Header=BB158_13 Depth=1
	global_load_dword v12, v[10:11], off offset:512
.LBB158_19:                             ;   in Loop: Header=BB158_13 Depth=1
	s_or_b64 exec, exec, s[2:3]
	v_add_u32_e32 v9, 0xc0, v76
	v_cmp_gt_u32_e64 s[34:35], s88, v9
	v_mov_b32_e32 v14, 0
	v_mov_b32_e32 v15, 0
	s_and_saveexec_b64 s[2:3], s[34:35]
	s_cbranch_execz .LBB158_21
; %bb.20:                               ;   in Loop: Header=BB158_13 Depth=1
	global_load_dword v15, v[10:11], off offset:768
.LBB158_21:                             ;   in Loop: Header=BB158_13 Depth=1
	s_or_b64 exec, exec, s[2:3]
	v_or_b32_e32 v9, 0x100, v76
	v_cmp_gt_u32_e64 s[36:37], s88, v9
	s_and_saveexec_b64 s[2:3], s[36:37]
	s_cbranch_execz .LBB158_23
; %bb.22:                               ;   in Loop: Header=BB158_13 Depth=1
	global_load_dword v14, v[10:11], off offset:1024
.LBB158_23:                             ;   in Loop: Header=BB158_13 Depth=1
	;; [unrolled: 18-line block ×3, first 2 shown]
	s_or_b64 exec, exec, s[2:3]
	v_add_u32_e32 v9, 0x1c0, v76
	v_cmp_gt_u32_e64 s[42:43], s88, v9
	v_mov_b32_e32 v18, 0
	v_mov_b32_e32 v19, 0
	s_and_saveexec_b64 s[2:3], s[42:43]
	s_cbranch_execz .LBB158_29
; %bb.28:                               ;   in Loop: Header=BB158_13 Depth=1
	global_load_dword v19, v[10:11], off offset:1792
.LBB158_29:                             ;   in Loop: Header=BB158_13 Depth=1
	s_or_b64 exec, exec, s[2:3]
	v_cmp_gt_u32_e64 s[44:45], s88, v84
	s_and_saveexec_b64 s[2:3], s[44:45]
	s_cbranch_execz .LBB158_31
; %bb.30:                               ;   in Loop: Header=BB158_13 Depth=1
	global_load_dword v18, v[10:11], off offset:2048
.LBB158_31:                             ;   in Loop: Header=BB158_13 Depth=1
	s_or_b64 exec, exec, s[2:3]
	v_cmp_gt_u32_e64 s[46:47], s88, v85
	v_mov_b32_e32 v20, 0
	v_mov_b32_e32 v21, 0
	s_and_saveexec_b64 s[2:3], s[46:47]
	s_cbranch_execz .LBB158_33
; %bb.32:                               ;   in Loop: Header=BB158_13 Depth=1
	global_load_dword v21, v[10:11], off offset:2304
.LBB158_33:                             ;   in Loop: Header=BB158_13 Depth=1
	s_or_b64 exec, exec, s[2:3]
	v_cmp_gt_u32_e64 s[48:49], s88, v86
	s_and_saveexec_b64 s[2:3], s[48:49]
	s_cbranch_execz .LBB158_35
; %bb.34:                               ;   in Loop: Header=BB158_13 Depth=1
	global_load_dword v20, v[10:11], off offset:2560
.LBB158_35:                             ;   in Loop: Header=BB158_13 Depth=1
	s_or_b64 exec, exec, s[2:3]
	v_cmp_gt_u32_e64 s[50:51], s88, v87
	v_mov_b32_e32 v22, 0
	v_mov_b32_e32 v23, 0
	s_and_saveexec_b64 s[2:3], s[50:51]
	s_cbranch_execz .LBB158_37
; %bb.36:                               ;   in Loop: Header=BB158_13 Depth=1
	global_load_dword v23, v[10:11], off offset:2816
.LBB158_37:                             ;   in Loop: Header=BB158_13 Depth=1
	s_or_b64 exec, exec, s[2:3]
	v_cmp_gt_u32_e64 s[52:53], s88, v88
	s_and_saveexec_b64 s[2:3], s[52:53]
	s_cbranch_execz .LBB158_39
; %bb.38:                               ;   in Loop: Header=BB158_13 Depth=1
	global_load_dword v22, v[10:11], off offset:3072
.LBB158_39:                             ;   in Loop: Header=BB158_13 Depth=1
	s_or_b64 exec, exec, s[2:3]
	v_cmp_gt_u32_e64 s[54:55], s88, v89
	v_mov_b32_e32 v24, 0
	v_mov_b32_e32 v25, 0
	s_and_saveexec_b64 s[2:3], s[54:55]
	s_cbranch_execz .LBB158_41
; %bb.40:                               ;   in Loop: Header=BB158_13 Depth=1
	global_load_dword v25, v[10:11], off offset:3328
.LBB158_41:                             ;   in Loop: Header=BB158_13 Depth=1
	s_or_b64 exec, exec, s[2:3]
	v_cmp_gt_u32_e64 s[56:57], s88, v90
	s_and_saveexec_b64 s[2:3], s[56:57]
	s_cbranch_execz .LBB158_43
; %bb.42:                               ;   in Loop: Header=BB158_13 Depth=1
	global_load_dword v24, v[10:11], off offset:3584
.LBB158_43:                             ;   in Loop: Header=BB158_13 Depth=1
	s_or_b64 exec, exec, s[2:3]
	v_cmp_gt_u32_e64 s[58:59], s88, v91
	v_mov_b32_e32 v9, 0
	v_mov_b32_e32 v26, 0
	s_and_saveexec_b64 s[2:3], s[58:59]
	s_cbranch_execz .LBB158_45
; %bb.44:                               ;   in Loop: Header=BB158_13 Depth=1
	global_load_dword v26, v[10:11], off offset:3840
.LBB158_45:                             ;   in Loop: Header=BB158_13 Depth=1
	s_or_b64 exec, exec, s[2:3]
	s_waitcnt vmcnt(0)
	ds_write_b32 v92, v7
	ds_write_b32 v93, v13 offset:256
	ds_write_b32 v94, v12 offset:512
	;; [unrolled: 1-line block ×15, first 2 shown]
	; wave barrier
	ds_read2_b32 v[10:11], v108 offset1:1
	ds_read2_b32 v[12:13], v108 offset0:2 offset1:3
	ds_read2_b32 v[14:15], v108 offset0:4 offset1:5
	;; [unrolled: 1-line block ×7, first 2 shown]
	v_readlane_b32 s2, v167, 3
	v_readlane_b32 s3, v167, 4
	v_mov_b32_e32 v7, v1
	s_waitcnt lgkmcnt(0)
	v_lshl_add_u64 v[26:27], s[2:3], 0, v[0:1]
	v_lshl_add_u64 v[26:27], v[26:27], 0, v[6:7]
	s_barrier
	s_and_saveexec_b64 s[2:3], s[26:27]
	s_cbranch_execz .LBB158_47
; %bb.46:                               ;   in Loop: Header=BB158_13 Depth=1
	global_load_dword v9, v[26:27], off
.LBB158_47:                             ;   in Loop: Header=BB158_13 Depth=1
	s_or_b64 exec, exec, s[2:3]
	v_mov_b32_e32 v7, 0
	v_mov_b32_e32 v28, 0
	s_and_saveexec_b64 s[2:3], s[28:29]
	s_cbranch_execz .LBB158_49
; %bb.48:                               ;   in Loop: Header=BB158_13 Depth=1
	global_load_dword v28, v[26:27], off offset:256
.LBB158_49:                             ;   in Loop: Header=BB158_13 Depth=1
	s_or_b64 exec, exec, s[2:3]
	s_and_saveexec_b64 s[2:3], s[30:31]
	s_cbranch_execz .LBB158_51
; %bb.50:                               ;   in Loop: Header=BB158_13 Depth=1
	global_load_dword v7, v[26:27], off offset:512
.LBB158_51:                             ;   in Loop: Header=BB158_13 Depth=1
	s_or_b64 exec, exec, s[2:3]
	v_mov_b32_e32 v29, 0
	v_mov_b32_e32 v30, 0
	s_and_saveexec_b64 s[2:3], s[34:35]
	s_cbranch_execz .LBB158_53
; %bb.52:                               ;   in Loop: Header=BB158_13 Depth=1
	global_load_dword v30, v[26:27], off offset:768
.LBB158_53:                             ;   in Loop: Header=BB158_13 Depth=1
	s_or_b64 exec, exec, s[2:3]
	s_and_saveexec_b64 s[2:3], s[36:37]
	s_cbranch_execz .LBB158_55
; %bb.54:                               ;   in Loop: Header=BB158_13 Depth=1
	global_load_dword v29, v[26:27], off offset:1024
.LBB158_55:                             ;   in Loop: Header=BB158_13 Depth=1
	s_or_b64 exec, exec, s[2:3]
	v_mov_b32_e32 v31, 0
	v_mov_b32_e32 v32, 0
	s_and_saveexec_b64 s[2:3], s[38:39]
	s_cbranch_execz .LBB158_57
; %bb.56:                               ;   in Loop: Header=BB158_13 Depth=1
	global_load_dword v32, v[26:27], off offset:1280
.LBB158_57:                             ;   in Loop: Header=BB158_13 Depth=1
	s_or_b64 exec, exec, s[2:3]
	s_and_saveexec_b64 s[2:3], s[40:41]
	s_cbranch_execz .LBB158_59
; %bb.58:                               ;   in Loop: Header=BB158_13 Depth=1
	global_load_dword v31, v[26:27], off offset:1536
.LBB158_59:                             ;   in Loop: Header=BB158_13 Depth=1
	s_or_b64 exec, exec, s[2:3]
	v_mov_b32_e32 v33, 0
	v_mov_b32_e32 v34, 0
	s_and_saveexec_b64 s[2:3], s[42:43]
	s_cbranch_execz .LBB158_61
; %bb.60:                               ;   in Loop: Header=BB158_13 Depth=1
	global_load_dword v34, v[26:27], off offset:1792
.LBB158_61:                             ;   in Loop: Header=BB158_13 Depth=1
	s_or_b64 exec, exec, s[2:3]
	s_and_saveexec_b64 s[2:3], s[44:45]
	s_cbranch_execz .LBB158_63
; %bb.62:                               ;   in Loop: Header=BB158_13 Depth=1
	global_load_dword v33, v[26:27], off offset:2048
.LBB158_63:                             ;   in Loop: Header=BB158_13 Depth=1
	s_or_b64 exec, exec, s[2:3]
	v_mov_b32_e32 v35, 0
	v_mov_b32_e32 v36, 0
	s_and_saveexec_b64 s[2:3], s[46:47]
	s_cbranch_execz .LBB158_65
; %bb.64:                               ;   in Loop: Header=BB158_13 Depth=1
	global_load_dword v36, v[26:27], off offset:2304
.LBB158_65:                             ;   in Loop: Header=BB158_13 Depth=1
	s_or_b64 exec, exec, s[2:3]
	s_and_saveexec_b64 s[2:3], s[48:49]
	s_cbranch_execz .LBB158_67
; %bb.66:                               ;   in Loop: Header=BB158_13 Depth=1
	global_load_dword v35, v[26:27], off offset:2560
.LBB158_67:                             ;   in Loop: Header=BB158_13 Depth=1
	s_or_b64 exec, exec, s[2:3]
	v_mov_b32_e32 v37, 0
	v_mov_b32_e32 v38, 0
	s_and_saveexec_b64 s[2:3], s[50:51]
	s_cbranch_execz .LBB158_69
; %bb.68:                               ;   in Loop: Header=BB158_13 Depth=1
	global_load_dword v38, v[26:27], off offset:2816
.LBB158_69:                             ;   in Loop: Header=BB158_13 Depth=1
	s_or_b64 exec, exec, s[2:3]
	s_and_saveexec_b64 s[2:3], s[52:53]
	s_cbranch_execz .LBB158_71
; %bb.70:                               ;   in Loop: Header=BB158_13 Depth=1
	global_load_dword v37, v[26:27], off offset:3072
.LBB158_71:                             ;   in Loop: Header=BB158_13 Depth=1
	s_or_b64 exec, exec, s[2:3]
	v_mov_b32_e32 v39, 0
	v_mov_b32_e32 v40, 0
	s_and_saveexec_b64 s[2:3], s[54:55]
	s_cbranch_execnz .LBB158_221
; %bb.72:                               ;   in Loop: Header=BB158_13 Depth=1
	s_or_b64 exec, exec, s[2:3]
	s_and_saveexec_b64 s[2:3], s[56:57]
	s_cbranch_execnz .LBB158_222
.LBB158_73:                             ;   in Loop: Header=BB158_13 Depth=1
	s_or_b64 exec, exec, s[2:3]
	v_mov_b32_e32 v41, 0
	s_and_saveexec_b64 s[2:3], s[58:59]
	s_cbranch_execz .LBB158_75
.LBB158_74:                             ;   in Loop: Header=BB158_13 Depth=1
	global_load_dword v41, v[26:27], off offset:3840
.LBB158_75:                             ;   in Loop: Header=BB158_13 Depth=1
	s_or_b64 exec, exec, s[2:3]
	s_waitcnt vmcnt(0)
	ds_write_b32 v92, v9
	ds_write_b32 v93, v28 offset:256
	ds_write_b32 v94, v7 offset:512
	;; [unrolled: 1-line block ×15, first 2 shown]
	; wave barrier
	ds_read2_b32 v[40:41], v108 offset1:1
	ds_read2_b32 v[38:39], v108 offset0:2 offset1:3
	ds_read2_b32 v[36:37], v108 offset0:4 offset1:5
	;; [unrolled: 1-line block ×7, first 2 shown]
	s_waitcnt lgkmcnt(7)
	v_add_f32_e32 v147, s62, v40
	s_mov_b32 s2, 0x41a00000
	v_cmp_ge_f32_e32 vcc, s2, v147
	v_readlane_b32 s2, v167, 25
	v_readlane_b32 s3, v167, 26
	s_and_b64 s[2:3], s[2:3], vcc
	s_and_saveexec_b64 s[4:5], s[2:3]
	s_cbranch_execz .LBB158_77
; %bb.76:                               ;   in Loop: Header=BB158_13 Depth=1
	v_mul_f32_e32 v7, 0x3fb8aa3b, v147
	v_rndne_f32_e32 v9, v7
	s_mov_b32 s2, 0x3fb8aa3b
	v_sub_f32_e32 v40, v7, v9
	v_fma_f32 v7, v147, s2, -v7
	v_fmac_f32_e32 v7, 0x32a5705f, v147
	v_add_f32_e32 v7, v40, v7
	v_cvt_i32_f32_e32 v9, v9
	v_exp_f32_e32 v7, v7
	s_mov_b32 s2, 0xc2ce8ed0
	v_cmp_ngt_f32_e32 vcc, s2, v147
	s_mov_b32 s2, 0x42b17218
	v_ldexp_f32 v7, v7, v9
	v_cndmask_b32_e32 v7, 0, v7, vcc
	v_cmp_nlt_f32_e32 vcc, s2, v147
	s_mov_b32 s2, 0x3f2aaaab
	s_nop 0
	v_cndmask_b32_e32 v56, v144, v7, vcc
	v_add_f32_e32 v7, 1.0, v56
	v_add_f32_e32 v9, -1.0, v7
	v_sub_f32_e32 v40, v9, v7
	v_add_f32_e32 v40, 1.0, v40
	v_sub_f32_e32 v9, v56, v9
	v_add_f32_e32 v9, v9, v40
	v_frexp_mant_f32_e32 v40, v7
	v_cvt_f64_f32_e32 v[42:43], v7
	v_frexp_exp_i32_f64_e32 v42, v[42:43]
	v_cmp_gt_f32_e32 vcc, s2, v40
	s_mov_b32 s2, 0x3f317218
	s_nop 0
	v_subbrev_co_u32_e32 v40, vcc, 0, v42, vcc
	v_sub_u32_e32 v42, 0, v40
	v_ldexp_f32 v7, v7, v42
	v_ldexp_f32 v9, v9, v42
	v_add_f32_e32 v42, -1.0, v7
	v_add_f32_e32 v43, 1.0, v42
	v_sub_f32_e32 v43, v7, v43
	v_add_f32_e32 v44, v9, v43
	v_add_f32_e32 v43, 1.0, v7
	v_add_f32_e32 v45, -1.0, v43
	v_sub_f32_e32 v7, v7, v45
	v_add_f32_e32 v7, v9, v7
	v_add_f32_e32 v9, v43, v7
	v_rcp_f32_e32 v50, v9
	v_sub_f32_e32 v43, v43, v9
	v_add_f32_e32 v7, v7, v43
	v_add_f32_e32 v43, v42, v44
	v_sub_f32_e32 v42, v42, v43
	v_mul_f32_e32 v52, v43, v50
	v_add_f32_e32 v51, v44, v42
	v_mul_f32_e32 v44, v9, v52
	v_fma_f32 v46, v52, v9, -v44
	v_fmac_f32_e32 v46, v52, v7
	v_add_f32_e32 v42, v44, v46
	v_sub_f32_e32 v45, v43, v42
	v_pk_add_f32 v[48:49], v[42:43], v[44:45] neg_lo:[0,1] neg_hi:[0,1]
	v_mov_b32_e32 v47, v42
	v_pk_add_f32 v[42:43], v[48:49], v[46:47] neg_lo:[0,1] neg_hi:[0,1]
	s_nop 0
	v_add_f32_e32 v43, v51, v43
	v_add_f32_e32 v42, v42, v43
	;; [unrolled: 1-line block ×3, first 2 shown]
	v_mul_f32_e32 v51, v50, v43
	v_mul_f32_e32 v44, v9, v51
	v_fma_f32 v46, v51, v9, -v44
	v_fmac_f32_e32 v46, v51, v7
	v_sub_f32_e32 v7, v45, v43
	v_add_f32_e32 v7, v42, v7
	v_add_f32_e32 v42, v44, v46
	v_sub_f32_e32 v45, v43, v42
	v_pk_add_f32 v[48:49], v[42:43], v[44:45] neg_lo:[0,1] neg_hi:[0,1]
	v_mov_b32_e32 v47, v42
	v_pk_add_f32 v[42:43], v[48:49], v[46:47] neg_lo:[0,1] neg_hi:[0,1]
	s_nop 0
	v_add_f32_e32 v7, v7, v43
	v_add_f32_e32 v7, v42, v7
	;; [unrolled: 1-line block ×4, first 2 shown]
	v_sub_f32_e32 v9, v43, v52
	v_mul_f32_e32 v7, v50, v7
	v_sub_f32_e32 v9, v51, v9
	v_add_f32_e32 v7, v9, v7
	v_add_f32_e32 v44, v43, v7
	v_cvt_f32_i32_e32 v42, v40
	v_mul_f32_e32 v46, v44, v44
	v_fmamk_f32 v9, v46, 0x3e9b6dac, v143
	v_fmaak_f32 v9, v46, v9, 0x3f2aaada
	v_sub_f32_e32 v40, v44, v43
	v_mul_f32_e32 v43, v44, v46
	v_pk_mul_f32 v[46:47], v[42:43], v[8:9]
	v_ldexp_f32 v45, v44, 1
	v_fma_f32 v44, v42, s2, -v46
	v_fmac_f32_e32 v44, 0xb102e308, v42
	v_pk_add_f32 v[42:43], v[46:47], v[44:45]
	v_sub_f32_e32 v7, v7, v40
	v_sub_f32_e32 v9, v43, v45
	v_ldexp_f32 v7, v7, 1
	v_sub_f32_e32 v9, v47, v9
	v_add_f32_e32 v49, v7, v9
	v_mov_b32_e32 v48, v46
	v_pk_add_f32 v[46:47], v[42:43], v[46:47] neg_lo:[0,1] neg_hi:[0,1]
	v_pk_add_f32 v[50:51], v[42:43], v[48:49]
	v_mov_b32_e32 v45, v42
	v_mov_b32_e32 v47, v51
	v_pk_add_f32 v[52:53], v[44:45], v[46:47] neg_lo:[0,1] neg_hi:[0,1]
	v_pk_add_f32 v[44:45], v[44:45], v[46:47]
	s_mov_b32 s2, 0x7f800000
	v_mov_b32_e32 v40, v45
	v_pk_add_f32 v[46:47], v[40:41], v[42:43] neg_lo:[0,1] neg_hi:[0,1]
	v_mov_b32_e32 v44, v51
	v_mov_b32_e32 v7, v46
	v_pk_add_f32 v[54:55], v[50:51], v[6:7] neg_lo:[0,1] neg_hi:[0,1]
	v_mov_b32_e32 v50, v43
	v_mov_b32_e32 v51, v46
	;; [unrolled: 1-line block ×3, first 2 shown]
	v_pk_add_f32 v[44:45], v[44:45], v[50:51] neg_lo:[0,1] neg_hi:[0,1]
	v_mov_b32_e32 v46, v49
	v_mov_b32_e32 v47, v42
	v_pk_add_f32 v[42:43], v[46:47], v[44:45] neg_lo:[0,1] neg_hi:[0,1]
	v_mov_b32_e32 v54, v52
	v_pk_add_f32 v[44:45], v[54:55], v[42:43]
	v_cmp_eq_f32_e32 vcc, s2, v56
	v_mov_b32_e32 v46, v45
	v_pk_add_f32 v[46:47], v[44:45], v[46:47]
	s_mov_b32 s2, 0x33800000
	v_pk_add_f32 v[48:49], v[40:41], v[46:47]
	v_mov_b32_e32 v43, v46
	v_mov_b32_e32 v45, v48
	v_pk_add_f32 v[50:51], v[44:45], v[52:53] neg_lo:[0,1] neg_hi:[0,1]
	v_cmp_gt_f32_e64 s[60:61], s2, v56
	v_sub_f32_e32 v7, v44, v50
	v_pk_add_f32 v[42:43], v[42:43], v[50:51] neg_lo:[0,1] neg_hi:[0,1]
	v_sub_f32_e32 v7, v52, v7
	v_add_f32_e32 v7, v42, v7
	v_add_f32_e32 v7, v7, v43
	;; [unrolled: 1-line block ×3, first 2 shown]
	s_or_b64 vcc, s[60:61], vcc
	v_cndmask_b32_e32 v147, v7, v56, vcc
.LBB158_77:                             ;   in Loop: Header=BB158_13 Depth=1
	s_or_b64 exec, exec, s[4:5]
	v_add_f32_e32 v148, s62, v41
	s_mov_b32 s2, 0x41a00000
	v_cmp_ge_f32_e32 vcc, s2, v148
	v_readlane_b32 s2, v167, 25
	v_readlane_b32 s3, v167, 26
	s_and_b64 s[2:3], s[2:3], vcc
	s_and_saveexec_b64 s[4:5], s[2:3]
	s_cbranch_execz .LBB158_79
; %bb.78:                               ;   in Loop: Header=BB158_13 Depth=1
	v_mul_f32_e32 v7, 0x3fb8aa3b, v148
	v_rndne_f32_e32 v9, v7
	s_mov_b32 s2, 0x3fb8aa3b
	v_sub_f32_e32 v40, v7, v9
	v_fma_f32 v7, v148, s2, -v7
	v_fmac_f32_e32 v7, 0x32a5705f, v148
	v_add_f32_e32 v7, v40, v7
	v_cvt_i32_f32_e32 v9, v9
	v_exp_f32_e32 v7, v7
	s_mov_b32 s2, 0xc2ce8ed0
	v_cmp_ngt_f32_e32 vcc, s2, v148
	s_mov_b32 s2, 0x42b17218
	v_ldexp_f32 v7, v7, v9
	v_cndmask_b32_e32 v7, 0, v7, vcc
	v_cmp_nlt_f32_e32 vcc, s2, v148
	s_mov_b32 s2, 0x3f2aaaab
	s_nop 0
	v_cndmask_b32_e32 v56, v144, v7, vcc
	v_add_f32_e32 v7, 1.0, v56
	v_add_f32_e32 v9, -1.0, v7
	v_sub_f32_e32 v40, v9, v7
	v_add_f32_e32 v40, 1.0, v40
	v_sub_f32_e32 v9, v56, v9
	v_add_f32_e32 v9, v9, v40
	v_frexp_mant_f32_e32 v42, v7
	v_cvt_f64_f32_e32 v[40:41], v7
	v_frexp_exp_i32_f64_e32 v40, v[40:41]
	v_cmp_gt_f32_e32 vcc, s2, v42
	s_mov_b32 s2, 0x3f317218
	s_nop 0
	v_subbrev_co_u32_e32 v48, vcc, 0, v40, vcc
	v_sub_u32_e32 v40, 0, v48
	v_ldexp_f32 v7, v7, v40
	v_ldexp_f32 v9, v9, v40
	v_add_f32_e32 v40, -1.0, v7
	v_add_f32_e32 v41, 1.0, v40
	v_sub_f32_e32 v41, v7, v41
	v_add_f32_e32 v42, v9, v41
	v_add_f32_e32 v41, 1.0, v7
	v_add_f32_e32 v43, -1.0, v41
	v_sub_f32_e32 v7, v7, v43
	v_add_f32_e32 v7, v9, v7
	v_add_f32_e32 v9, v41, v7
	v_rcp_f32_e32 v49, v9
	v_sub_f32_e32 v41, v41, v9
	v_add_f32_e32 v7, v7, v41
	v_add_f32_e32 v41, v40, v42
	v_sub_f32_e32 v40, v40, v41
	v_mul_f32_e32 v51, v41, v49
	v_add_f32_e32 v50, v42, v40
	v_mul_f32_e32 v42, v9, v51
	v_fma_f32 v44, v51, v9, -v42
	v_fmac_f32_e32 v44, v51, v7
	v_add_f32_e32 v40, v42, v44
	v_sub_f32_e32 v43, v41, v40
	v_pk_add_f32 v[46:47], v[40:41], v[42:43] neg_lo:[0,1] neg_hi:[0,1]
	v_mov_b32_e32 v45, v40
	v_pk_add_f32 v[40:41], v[46:47], v[44:45] neg_lo:[0,1] neg_hi:[0,1]
	s_nop 0
	v_add_f32_e32 v41, v50, v41
	v_add_f32_e32 v40, v40, v41
	;; [unrolled: 1-line block ×3, first 2 shown]
	v_mul_f32_e32 v50, v49, v41
	v_mul_f32_e32 v42, v9, v50
	v_fma_f32 v44, v50, v9, -v42
	v_fmac_f32_e32 v44, v50, v7
	v_sub_f32_e32 v7, v43, v41
	v_add_f32_e32 v7, v40, v7
	v_add_f32_e32 v40, v42, v44
	v_sub_f32_e32 v43, v41, v40
	v_pk_add_f32 v[46:47], v[40:41], v[42:43] neg_lo:[0,1] neg_hi:[0,1]
	v_mov_b32_e32 v45, v40
	v_pk_add_f32 v[40:41], v[46:47], v[44:45] neg_lo:[0,1] neg_hi:[0,1]
	s_nop 0
	v_add_f32_e32 v7, v7, v41
	v_add_f32_e32 v7, v40, v7
	;; [unrolled: 1-line block ×4, first 2 shown]
	v_sub_f32_e32 v9, v41, v51
	v_mul_f32_e32 v7, v49, v7
	v_sub_f32_e32 v9, v50, v9
	v_add_f32_e32 v7, v9, v7
	v_add_f32_e32 v42, v41, v7
	v_cvt_f32_i32_e32 v40, v48
	v_mul_f32_e32 v44, v42, v42
	v_fmamk_f32 v9, v44, 0x3e9b6dac, v143
	v_sub_f32_e32 v41, v42, v41
	v_fmaak_f32 v9, v44, v9, 0x3f2aaada
	v_sub_f32_e32 v7, v7, v41
	v_mul_f32_e32 v41, v42, v44
	v_pk_mul_f32 v[44:45], v[40:41], v[8:9]
	v_ldexp_f32 v43, v42, 1
	v_fma_f32 v42, v40, s2, -v44
	v_fmac_f32_e32 v42, 0xb102e308, v40
	v_pk_add_f32 v[40:41], v[44:45], v[42:43]
	v_ldexp_f32 v7, v7, 1
	v_sub_f32_e32 v9, v41, v43
	v_sub_f32_e32 v9, v45, v9
	v_add_f32_e32 v47, v7, v9
	v_mov_b32_e32 v46, v44
	v_pk_add_f32 v[44:45], v[40:41], v[44:45] neg_lo:[0,1] neg_hi:[0,1]
	v_pk_add_f32 v[48:49], v[40:41], v[46:47]
	v_mov_b32_e32 v43, v40
	v_mov_b32_e32 v45, v49
	v_pk_add_f32 v[50:51], v[42:43], v[44:45] neg_lo:[0,1] neg_hi:[0,1]
	v_pk_add_f32 v[42:43], v[42:43], v[44:45]
	v_mov_b32_e32 v46, v47
	v_mov_b32_e32 v44, v43
	v_pk_add_f32 v[52:53], v[44:45], v[40:41] neg_lo:[0,1] neg_hi:[0,1]
	v_mov_b32_e32 v42, v49
	v_mov_b32_e32 v7, v52
	v_pk_add_f32 v[54:55], v[48:49], v[6:7] neg_lo:[0,1] neg_hi:[0,1]
	v_mov_b32_e32 v48, v41
	v_mov_b32_e32 v49, v52
	;; [unrolled: 1-line block ×3, first 2 shown]
	v_pk_add_f32 v[42:43], v[42:43], v[48:49] neg_lo:[0,1] neg_hi:[0,1]
	v_mov_b32_e32 v47, v40
	v_pk_add_f32 v[40:41], v[46:47], v[42:43] neg_lo:[0,1] neg_hi:[0,1]
	v_mov_b32_e32 v54, v50
	v_pk_add_f32 v[42:43], v[54:55], v[40:41]
	s_mov_b32 s2, 0x7f800000
	v_mov_b32_e32 v46, v43
	v_pk_add_f32 v[46:47], v[42:43], v[46:47]
	v_cmp_eq_f32_e32 vcc, s2, v56
	v_pk_add_f32 v[44:45], v[44:45], v[46:47]
	v_mov_b32_e32 v41, v46
	v_mov_b32_e32 v43, v44
	v_pk_add_f32 v[48:49], v[42:43], v[50:51] neg_lo:[0,1] neg_hi:[0,1]
	s_mov_b32 s2, 0x33800000
	v_sub_f32_e32 v7, v42, v48
	v_pk_add_f32 v[40:41], v[40:41], v[48:49] neg_lo:[0,1] neg_hi:[0,1]
	v_sub_f32_e32 v7, v50, v7
	v_add_f32_e32 v7, v40, v7
	v_add_f32_e32 v7, v7, v41
	v_cmp_gt_f32_e64 s[60:61], s2, v56
	v_add_f32_e32 v7, v44, v7
	s_or_b64 vcc, s[60:61], vcc
	v_cndmask_b32_e32 v148, v7, v56, vcc
.LBB158_79:                             ;   in Loop: Header=BB158_13 Depth=1
	s_or_b64 exec, exec, s[4:5]
	s_waitcnt lgkmcnt(6)
	v_add_f32_e32 v149, s62, v38
	s_mov_b32 s2, 0x41a00000
	v_cmp_ge_f32_e32 vcc, s2, v149
	v_readlane_b32 s2, v167, 25
	v_readlane_b32 s3, v167, 26
	s_and_b64 s[2:3], s[2:3], vcc
	s_and_saveexec_b64 s[4:5], s[2:3]
	s_cbranch_execz .LBB158_81
; %bb.80:                               ;   in Loop: Header=BB158_13 Depth=1
	v_mul_f32_e32 v7, 0x3fb8aa3b, v149
	v_rndne_f32_e32 v9, v7
	s_mov_b32 s2, 0x3fb8aa3b
	v_sub_f32_e32 v38, v7, v9
	v_fma_f32 v7, v149, s2, -v7
	v_fmac_f32_e32 v7, 0x32a5705f, v149
	v_add_f32_e32 v7, v38, v7
	v_cvt_i32_f32_e32 v9, v9
	v_exp_f32_e32 v7, v7
	s_mov_b32 s2, 0xc2ce8ed0
	v_cmp_ngt_f32_e32 vcc, s2, v149
	s_mov_b32 s2, 0x42b17218
	v_ldexp_f32 v7, v7, v9
	v_cndmask_b32_e32 v7, 0, v7, vcc
	v_cmp_nlt_f32_e32 vcc, s2, v149
	s_mov_b32 s2, 0x3f2aaaab
	s_nop 0
	v_cndmask_b32_e32 v54, v144, v7, vcc
	v_add_f32_e32 v7, 1.0, v54
	v_add_f32_e32 v9, -1.0, v7
	v_sub_f32_e32 v38, v9, v7
	v_add_f32_e32 v38, 1.0, v38
	v_sub_f32_e32 v9, v54, v9
	v_add_f32_e32 v9, v9, v38
	v_frexp_mant_f32_e32 v38, v7
	v_cvt_f64_f32_e32 v[40:41], v7
	v_frexp_exp_i32_f64_e32 v40, v[40:41]
	v_cmp_gt_f32_e32 vcc, s2, v38
	s_mov_b32 s2, 0x3f317218
	s_nop 0
	v_subbrev_co_u32_e32 v38, vcc, 0, v40, vcc
	v_sub_u32_e32 v40, 0, v38
	v_ldexp_f32 v7, v7, v40
	v_ldexp_f32 v9, v9, v40
	v_add_f32_e32 v40, -1.0, v7
	v_add_f32_e32 v41, 1.0, v40
	v_sub_f32_e32 v41, v7, v41
	v_add_f32_e32 v42, v9, v41
	v_add_f32_e32 v41, 1.0, v7
	v_add_f32_e32 v43, -1.0, v41
	v_sub_f32_e32 v7, v7, v43
	v_add_f32_e32 v7, v9, v7
	v_add_f32_e32 v9, v41, v7
	v_rcp_f32_e32 v48, v9
	v_sub_f32_e32 v41, v41, v9
	v_add_f32_e32 v7, v7, v41
	v_add_f32_e32 v41, v40, v42
	v_sub_f32_e32 v40, v40, v41
	v_mul_f32_e32 v50, v41, v48
	v_add_f32_e32 v49, v42, v40
	v_mul_f32_e32 v42, v9, v50
	v_fma_f32 v44, v50, v9, -v42
	v_fmac_f32_e32 v44, v50, v7
	v_add_f32_e32 v40, v42, v44
	v_sub_f32_e32 v43, v41, v40
	v_pk_add_f32 v[46:47], v[40:41], v[42:43] neg_lo:[0,1] neg_hi:[0,1]
	v_mov_b32_e32 v45, v40
	v_pk_add_f32 v[40:41], v[46:47], v[44:45] neg_lo:[0,1] neg_hi:[0,1]
	s_nop 0
	v_add_f32_e32 v41, v49, v41
	v_add_f32_e32 v40, v40, v41
	v_add_f32_e32 v41, v43, v40
	v_mul_f32_e32 v49, v48, v41
	v_mul_f32_e32 v42, v9, v49
	v_fma_f32 v44, v49, v9, -v42
	v_fmac_f32_e32 v44, v49, v7
	v_sub_f32_e32 v7, v43, v41
	v_add_f32_e32 v7, v40, v7
	v_add_f32_e32 v40, v42, v44
	v_sub_f32_e32 v43, v41, v40
	v_pk_add_f32 v[46:47], v[40:41], v[42:43] neg_lo:[0,1] neg_hi:[0,1]
	v_mov_b32_e32 v45, v40
	v_pk_add_f32 v[40:41], v[46:47], v[44:45] neg_lo:[0,1] neg_hi:[0,1]
	s_nop 0
	v_add_f32_e32 v7, v7, v41
	v_add_f32_e32 v7, v40, v7
	;; [unrolled: 1-line block ×4, first 2 shown]
	v_sub_f32_e32 v9, v41, v50
	v_mul_f32_e32 v7, v48, v7
	v_sub_f32_e32 v9, v49, v9
	v_add_f32_e32 v7, v9, v7
	v_add_f32_e32 v42, v41, v7
	v_cvt_f32_i32_e32 v40, v38
	v_mul_f32_e32 v44, v42, v42
	v_fmamk_f32 v9, v44, 0x3e9b6dac, v143
	v_fmaak_f32 v9, v44, v9, 0x3f2aaada
	v_sub_f32_e32 v38, v42, v41
	v_mul_f32_e32 v41, v42, v44
	v_pk_mul_f32 v[44:45], v[40:41], v[8:9]
	v_ldexp_f32 v43, v42, 1
	v_fma_f32 v42, v40, s2, -v44
	v_fmac_f32_e32 v42, 0xb102e308, v40
	v_pk_add_f32 v[40:41], v[44:45], v[42:43]
	v_sub_f32_e32 v7, v7, v38
	v_sub_f32_e32 v9, v41, v43
	v_ldexp_f32 v7, v7, 1
	v_sub_f32_e32 v9, v45, v9
	v_add_f32_e32 v47, v7, v9
	v_mov_b32_e32 v46, v44
	v_pk_add_f32 v[44:45], v[40:41], v[44:45] neg_lo:[0,1] neg_hi:[0,1]
	v_pk_add_f32 v[48:49], v[40:41], v[46:47]
	v_mov_b32_e32 v43, v40
	v_mov_b32_e32 v45, v49
	v_pk_add_f32 v[50:51], v[42:43], v[44:45] neg_lo:[0,1] neg_hi:[0,1]
	v_pk_add_f32 v[42:43], v[42:43], v[44:45]
	s_mov_b32 s2, 0x7f800000
	v_mov_b32_e32 v38, v43
	v_pk_add_f32 v[44:45], v[38:39], v[40:41] neg_lo:[0,1] neg_hi:[0,1]
	v_mov_b32_e32 v42, v49
	v_mov_b32_e32 v7, v44
	v_pk_add_f32 v[52:53], v[48:49], v[6:7] neg_lo:[0,1] neg_hi:[0,1]
	v_mov_b32_e32 v48, v41
	v_mov_b32_e32 v49, v44
	;; [unrolled: 1-line block ×3, first 2 shown]
	v_pk_add_f32 v[42:43], v[42:43], v[48:49] neg_lo:[0,1] neg_hi:[0,1]
	v_mov_b32_e32 v44, v47
	v_mov_b32_e32 v45, v40
	v_pk_add_f32 v[40:41], v[44:45], v[42:43] neg_lo:[0,1] neg_hi:[0,1]
	v_mov_b32_e32 v52, v50
	v_pk_add_f32 v[42:43], v[52:53], v[40:41]
	v_cmp_eq_f32_e32 vcc, s2, v54
	v_mov_b32_e32 v44, v43
	v_pk_add_f32 v[44:45], v[42:43], v[44:45]
	s_mov_b32 s2, 0x33800000
	v_pk_add_f32 v[46:47], v[38:39], v[44:45]
	v_mov_b32_e32 v41, v44
	v_mov_b32_e32 v43, v46
	v_pk_add_f32 v[48:49], v[42:43], v[50:51] neg_lo:[0,1] neg_hi:[0,1]
	v_cmp_gt_f32_e64 s[60:61], s2, v54
	v_sub_f32_e32 v7, v42, v48
	v_pk_add_f32 v[40:41], v[40:41], v[48:49] neg_lo:[0,1] neg_hi:[0,1]
	v_sub_f32_e32 v7, v50, v7
	v_add_f32_e32 v7, v40, v7
	v_add_f32_e32 v7, v7, v41
	;; [unrolled: 1-line block ×3, first 2 shown]
	s_or_b64 vcc, s[60:61], vcc
	v_cndmask_b32_e32 v149, v7, v54, vcc
.LBB158_81:                             ;   in Loop: Header=BB158_13 Depth=1
	s_or_b64 exec, exec, s[4:5]
	v_add_f32_e32 v150, s62, v39
	s_mov_b32 s2, 0x41a00000
	v_cmp_ge_f32_e32 vcc, s2, v150
	v_readlane_b32 s2, v167, 25
	v_readlane_b32 s3, v167, 26
	s_and_b64 s[2:3], s[2:3], vcc
	s_and_saveexec_b64 s[4:5], s[2:3]
	s_cbranch_execz .LBB158_83
; %bb.82:                               ;   in Loop: Header=BB158_13 Depth=1
	v_mul_f32_e32 v7, 0x3fb8aa3b, v150
	v_rndne_f32_e32 v9, v7
	s_mov_b32 s2, 0x3fb8aa3b
	v_sub_f32_e32 v38, v7, v9
	v_fma_f32 v7, v150, s2, -v7
	v_fmac_f32_e32 v7, 0x32a5705f, v150
	v_add_f32_e32 v7, v38, v7
	v_cvt_i32_f32_e32 v9, v9
	v_exp_f32_e32 v7, v7
	s_mov_b32 s2, 0xc2ce8ed0
	v_cmp_ngt_f32_e32 vcc, s2, v150
	s_mov_b32 s2, 0x42b17218
	v_ldexp_f32 v7, v7, v9
	v_cndmask_b32_e32 v7, 0, v7, vcc
	v_cmp_nlt_f32_e32 vcc, s2, v150
	s_mov_b32 s2, 0x3f2aaaab
	s_nop 0
	v_cndmask_b32_e32 v54, v144, v7, vcc
	v_add_f32_e32 v7, 1.0, v54
	v_add_f32_e32 v9, -1.0, v7
	v_sub_f32_e32 v38, v9, v7
	v_add_f32_e32 v38, 1.0, v38
	v_sub_f32_e32 v9, v54, v9
	v_add_f32_e32 v9, v9, v38
	v_frexp_mant_f32_e32 v40, v7
	v_cvt_f64_f32_e32 v[38:39], v7
	v_frexp_exp_i32_f64_e32 v38, v[38:39]
	v_cmp_gt_f32_e32 vcc, s2, v40
	s_mov_b32 s2, 0x3f317218
	s_nop 0
	v_subbrev_co_u32_e32 v46, vcc, 0, v38, vcc
	v_sub_u32_e32 v38, 0, v46
	v_ldexp_f32 v7, v7, v38
	v_ldexp_f32 v9, v9, v38
	v_add_f32_e32 v38, -1.0, v7
	v_add_f32_e32 v39, 1.0, v38
	v_sub_f32_e32 v39, v7, v39
	v_add_f32_e32 v40, v9, v39
	v_add_f32_e32 v39, 1.0, v7
	v_add_f32_e32 v41, -1.0, v39
	v_sub_f32_e32 v7, v7, v41
	v_add_f32_e32 v7, v9, v7
	v_add_f32_e32 v9, v39, v7
	v_rcp_f32_e32 v47, v9
	v_sub_f32_e32 v39, v39, v9
	v_add_f32_e32 v7, v7, v39
	v_add_f32_e32 v39, v38, v40
	v_sub_f32_e32 v38, v38, v39
	v_mul_f32_e32 v49, v39, v47
	v_add_f32_e32 v48, v40, v38
	v_mul_f32_e32 v40, v9, v49
	v_fma_f32 v42, v49, v9, -v40
	v_fmac_f32_e32 v42, v49, v7
	v_add_f32_e32 v38, v40, v42
	v_sub_f32_e32 v41, v39, v38
	v_pk_add_f32 v[44:45], v[38:39], v[40:41] neg_lo:[0,1] neg_hi:[0,1]
	v_mov_b32_e32 v43, v38
	v_pk_add_f32 v[38:39], v[44:45], v[42:43] neg_lo:[0,1] neg_hi:[0,1]
	s_nop 0
	v_add_f32_e32 v39, v48, v39
	v_add_f32_e32 v38, v38, v39
	;; [unrolled: 1-line block ×3, first 2 shown]
	v_mul_f32_e32 v48, v47, v39
	v_mul_f32_e32 v40, v9, v48
	v_fma_f32 v42, v48, v9, -v40
	v_fmac_f32_e32 v42, v48, v7
	v_sub_f32_e32 v7, v41, v39
	v_add_f32_e32 v7, v38, v7
	v_add_f32_e32 v38, v40, v42
	v_sub_f32_e32 v41, v39, v38
	v_pk_add_f32 v[44:45], v[38:39], v[40:41] neg_lo:[0,1] neg_hi:[0,1]
	v_mov_b32_e32 v43, v38
	v_pk_add_f32 v[38:39], v[44:45], v[42:43] neg_lo:[0,1] neg_hi:[0,1]
	s_nop 0
	v_add_f32_e32 v7, v7, v39
	v_add_f32_e32 v7, v38, v7
	;; [unrolled: 1-line block ×4, first 2 shown]
	v_sub_f32_e32 v9, v39, v49
	v_mul_f32_e32 v7, v47, v7
	v_sub_f32_e32 v9, v48, v9
	v_add_f32_e32 v7, v9, v7
	v_add_f32_e32 v40, v39, v7
	v_cvt_f32_i32_e32 v38, v46
	v_mul_f32_e32 v42, v40, v40
	v_fmamk_f32 v9, v42, 0x3e9b6dac, v143
	v_sub_f32_e32 v39, v40, v39
	v_fmaak_f32 v9, v42, v9, 0x3f2aaada
	v_sub_f32_e32 v7, v7, v39
	v_mul_f32_e32 v39, v40, v42
	v_pk_mul_f32 v[42:43], v[38:39], v[8:9]
	v_ldexp_f32 v41, v40, 1
	v_fma_f32 v40, v38, s2, -v42
	v_fmac_f32_e32 v40, 0xb102e308, v38
	v_pk_add_f32 v[38:39], v[42:43], v[40:41]
	v_ldexp_f32 v7, v7, 1
	v_sub_f32_e32 v9, v39, v41
	v_sub_f32_e32 v9, v43, v9
	v_add_f32_e32 v45, v7, v9
	v_mov_b32_e32 v44, v42
	v_pk_add_f32 v[42:43], v[38:39], v[42:43] neg_lo:[0,1] neg_hi:[0,1]
	v_pk_add_f32 v[46:47], v[38:39], v[44:45]
	v_mov_b32_e32 v41, v38
	v_mov_b32_e32 v43, v47
	v_pk_add_f32 v[48:49], v[40:41], v[42:43] neg_lo:[0,1] neg_hi:[0,1]
	v_pk_add_f32 v[40:41], v[40:41], v[42:43]
	v_mov_b32_e32 v44, v45
	v_mov_b32_e32 v42, v41
	v_pk_add_f32 v[50:51], v[42:43], v[38:39] neg_lo:[0,1] neg_hi:[0,1]
	v_mov_b32_e32 v40, v47
	v_mov_b32_e32 v7, v50
	v_pk_add_f32 v[52:53], v[46:47], v[6:7] neg_lo:[0,1] neg_hi:[0,1]
	v_mov_b32_e32 v46, v39
	v_mov_b32_e32 v47, v50
	;; [unrolled: 1-line block ×3, first 2 shown]
	v_pk_add_f32 v[40:41], v[40:41], v[46:47] neg_lo:[0,1] neg_hi:[0,1]
	v_mov_b32_e32 v45, v38
	v_pk_add_f32 v[38:39], v[44:45], v[40:41] neg_lo:[0,1] neg_hi:[0,1]
	v_mov_b32_e32 v52, v48
	v_pk_add_f32 v[40:41], v[52:53], v[38:39]
	s_mov_b32 s2, 0x7f800000
	v_mov_b32_e32 v44, v41
	v_pk_add_f32 v[44:45], v[40:41], v[44:45]
	v_cmp_eq_f32_e32 vcc, s2, v54
	v_pk_add_f32 v[42:43], v[42:43], v[44:45]
	v_mov_b32_e32 v39, v44
	v_mov_b32_e32 v41, v42
	v_pk_add_f32 v[46:47], v[40:41], v[48:49] neg_lo:[0,1] neg_hi:[0,1]
	s_mov_b32 s2, 0x33800000
	v_sub_f32_e32 v7, v40, v46
	v_pk_add_f32 v[38:39], v[38:39], v[46:47] neg_lo:[0,1] neg_hi:[0,1]
	v_sub_f32_e32 v7, v48, v7
	v_add_f32_e32 v7, v38, v7
	v_add_f32_e32 v7, v7, v39
	v_cmp_gt_f32_e64 s[60:61], s2, v54
	v_add_f32_e32 v7, v42, v7
	s_or_b64 vcc, s[60:61], vcc
	v_cndmask_b32_e32 v150, v7, v54, vcc
.LBB158_83:                             ;   in Loop: Header=BB158_13 Depth=1
	s_or_b64 exec, exec, s[4:5]
	s_waitcnt lgkmcnt(5)
	v_add_f32_e32 v151, s62, v36
	s_mov_b32 s2, 0x41a00000
	v_cmp_ge_f32_e32 vcc, s2, v151
	v_readlane_b32 s2, v167, 25
	v_readlane_b32 s3, v167, 26
	s_and_b64 s[2:3], s[2:3], vcc
	s_and_saveexec_b64 s[4:5], s[2:3]
	s_cbranch_execz .LBB158_85
; %bb.84:                               ;   in Loop: Header=BB158_13 Depth=1
	v_mul_f32_e32 v7, 0x3fb8aa3b, v151
	v_rndne_f32_e32 v9, v7
	s_mov_b32 s2, 0x3fb8aa3b
	v_sub_f32_e32 v36, v7, v9
	v_fma_f32 v7, v151, s2, -v7
	v_fmac_f32_e32 v7, 0x32a5705f, v151
	v_add_f32_e32 v7, v36, v7
	v_cvt_i32_f32_e32 v9, v9
	v_exp_f32_e32 v7, v7
	s_mov_b32 s2, 0xc2ce8ed0
	v_cmp_ngt_f32_e32 vcc, s2, v151
	s_mov_b32 s2, 0x42b17218
	v_ldexp_f32 v7, v7, v9
	v_cndmask_b32_e32 v7, 0, v7, vcc
	v_cmp_nlt_f32_e32 vcc, s2, v151
	s_mov_b32 s2, 0x3f2aaaab
	s_nop 0
	v_cndmask_b32_e32 v52, v144, v7, vcc
	v_add_f32_e32 v7, 1.0, v52
	v_add_f32_e32 v9, -1.0, v7
	v_sub_f32_e32 v36, v9, v7
	v_add_f32_e32 v36, 1.0, v36
	v_sub_f32_e32 v9, v52, v9
	v_add_f32_e32 v9, v9, v36
	v_frexp_mant_f32_e32 v36, v7
	v_cvt_f64_f32_e32 v[38:39], v7
	v_frexp_exp_i32_f64_e32 v38, v[38:39]
	v_cmp_gt_f32_e32 vcc, s2, v36
	s_mov_b32 s2, 0x3f317218
	s_nop 0
	v_subbrev_co_u32_e32 v36, vcc, 0, v38, vcc
	v_sub_u32_e32 v38, 0, v36
	v_ldexp_f32 v7, v7, v38
	v_ldexp_f32 v9, v9, v38
	v_add_f32_e32 v38, -1.0, v7
	v_add_f32_e32 v39, 1.0, v38
	v_sub_f32_e32 v39, v7, v39
	v_add_f32_e32 v40, v9, v39
	v_add_f32_e32 v39, 1.0, v7
	v_add_f32_e32 v41, -1.0, v39
	v_sub_f32_e32 v7, v7, v41
	v_add_f32_e32 v7, v9, v7
	v_add_f32_e32 v9, v39, v7
	v_rcp_f32_e32 v46, v9
	v_sub_f32_e32 v39, v39, v9
	v_add_f32_e32 v7, v7, v39
	v_add_f32_e32 v39, v38, v40
	v_sub_f32_e32 v38, v38, v39
	v_mul_f32_e32 v48, v39, v46
	v_add_f32_e32 v47, v40, v38
	v_mul_f32_e32 v40, v9, v48
	v_fma_f32 v42, v48, v9, -v40
	v_fmac_f32_e32 v42, v48, v7
	v_add_f32_e32 v38, v40, v42
	v_sub_f32_e32 v41, v39, v38
	v_pk_add_f32 v[44:45], v[38:39], v[40:41] neg_lo:[0,1] neg_hi:[0,1]
	v_mov_b32_e32 v43, v38
	v_pk_add_f32 v[38:39], v[44:45], v[42:43] neg_lo:[0,1] neg_hi:[0,1]
	s_nop 0
	v_add_f32_e32 v39, v47, v39
	v_add_f32_e32 v38, v38, v39
	;; [unrolled: 1-line block ×3, first 2 shown]
	v_mul_f32_e32 v47, v46, v39
	v_mul_f32_e32 v40, v9, v47
	v_fma_f32 v42, v47, v9, -v40
	v_fmac_f32_e32 v42, v47, v7
	v_sub_f32_e32 v7, v41, v39
	v_add_f32_e32 v7, v38, v7
	v_add_f32_e32 v38, v40, v42
	v_sub_f32_e32 v41, v39, v38
	v_pk_add_f32 v[44:45], v[38:39], v[40:41] neg_lo:[0,1] neg_hi:[0,1]
	v_mov_b32_e32 v43, v38
	v_pk_add_f32 v[38:39], v[44:45], v[42:43] neg_lo:[0,1] neg_hi:[0,1]
	s_nop 0
	v_add_f32_e32 v7, v7, v39
	v_add_f32_e32 v7, v38, v7
	v_add_f32_e32 v39, v48, v47
	v_add_f32_e32 v7, v41, v7
	v_sub_f32_e32 v9, v39, v48
	v_mul_f32_e32 v7, v46, v7
	v_sub_f32_e32 v9, v47, v9
	v_add_f32_e32 v7, v9, v7
	v_add_f32_e32 v40, v39, v7
	v_cvt_f32_i32_e32 v38, v36
	v_mul_f32_e32 v42, v40, v40
	v_fmamk_f32 v9, v42, 0x3e9b6dac, v143
	v_fmaak_f32 v9, v42, v9, 0x3f2aaada
	v_sub_f32_e32 v36, v40, v39
	v_mul_f32_e32 v39, v40, v42
	v_pk_mul_f32 v[42:43], v[38:39], v[8:9]
	v_ldexp_f32 v41, v40, 1
	v_fma_f32 v40, v38, s2, -v42
	v_fmac_f32_e32 v40, 0xb102e308, v38
	v_pk_add_f32 v[38:39], v[42:43], v[40:41]
	v_sub_f32_e32 v7, v7, v36
	v_sub_f32_e32 v9, v39, v41
	v_ldexp_f32 v7, v7, 1
	v_sub_f32_e32 v9, v43, v9
	v_add_f32_e32 v45, v7, v9
	v_mov_b32_e32 v44, v42
	v_pk_add_f32 v[42:43], v[38:39], v[42:43] neg_lo:[0,1] neg_hi:[0,1]
	v_pk_add_f32 v[46:47], v[38:39], v[44:45]
	v_mov_b32_e32 v41, v38
	v_mov_b32_e32 v43, v47
	v_pk_add_f32 v[48:49], v[40:41], v[42:43] neg_lo:[0,1] neg_hi:[0,1]
	v_pk_add_f32 v[40:41], v[40:41], v[42:43]
	s_mov_b32 s2, 0x7f800000
	v_mov_b32_e32 v36, v41
	v_pk_add_f32 v[42:43], v[36:37], v[38:39] neg_lo:[0,1] neg_hi:[0,1]
	v_mov_b32_e32 v40, v47
	v_mov_b32_e32 v7, v42
	v_pk_add_f32 v[50:51], v[46:47], v[6:7] neg_lo:[0,1] neg_hi:[0,1]
	v_mov_b32_e32 v46, v39
	v_mov_b32_e32 v47, v42
	;; [unrolled: 1-line block ×3, first 2 shown]
	v_pk_add_f32 v[40:41], v[40:41], v[46:47] neg_lo:[0,1] neg_hi:[0,1]
	v_mov_b32_e32 v42, v45
	v_mov_b32_e32 v43, v38
	v_pk_add_f32 v[38:39], v[42:43], v[40:41] neg_lo:[0,1] neg_hi:[0,1]
	v_mov_b32_e32 v50, v48
	v_pk_add_f32 v[40:41], v[50:51], v[38:39]
	v_cmp_eq_f32_e32 vcc, s2, v52
	v_mov_b32_e32 v42, v41
	v_pk_add_f32 v[42:43], v[40:41], v[42:43]
	s_mov_b32 s2, 0x33800000
	v_pk_add_f32 v[44:45], v[36:37], v[42:43]
	v_mov_b32_e32 v39, v42
	v_mov_b32_e32 v41, v44
	v_pk_add_f32 v[46:47], v[40:41], v[48:49] neg_lo:[0,1] neg_hi:[0,1]
	v_cmp_gt_f32_e64 s[60:61], s2, v52
	v_sub_f32_e32 v7, v40, v46
	v_pk_add_f32 v[38:39], v[38:39], v[46:47] neg_lo:[0,1] neg_hi:[0,1]
	v_sub_f32_e32 v7, v48, v7
	v_add_f32_e32 v7, v38, v7
	v_add_f32_e32 v7, v7, v39
	;; [unrolled: 1-line block ×3, first 2 shown]
	s_or_b64 vcc, s[60:61], vcc
	v_cndmask_b32_e32 v151, v7, v52, vcc
.LBB158_85:                             ;   in Loop: Header=BB158_13 Depth=1
	s_or_b64 exec, exec, s[4:5]
	v_add_f32_e32 v152, s62, v37
	s_mov_b32 s2, 0x41a00000
	v_cmp_ge_f32_e32 vcc, s2, v152
	v_readlane_b32 s2, v167, 25
	v_readlane_b32 s3, v167, 26
	s_and_b64 s[2:3], s[2:3], vcc
	s_and_saveexec_b64 s[4:5], s[2:3]
	s_cbranch_execz .LBB158_87
; %bb.86:                               ;   in Loop: Header=BB158_13 Depth=1
	v_mul_f32_e32 v7, 0x3fb8aa3b, v152
	v_rndne_f32_e32 v9, v7
	s_mov_b32 s2, 0x3fb8aa3b
	v_sub_f32_e32 v36, v7, v9
	v_fma_f32 v7, v152, s2, -v7
	v_fmac_f32_e32 v7, 0x32a5705f, v152
	v_add_f32_e32 v7, v36, v7
	v_cvt_i32_f32_e32 v9, v9
	v_exp_f32_e32 v7, v7
	s_mov_b32 s2, 0xc2ce8ed0
	v_cmp_ngt_f32_e32 vcc, s2, v152
	s_mov_b32 s2, 0x42b17218
	v_ldexp_f32 v7, v7, v9
	v_cndmask_b32_e32 v7, 0, v7, vcc
	v_cmp_nlt_f32_e32 vcc, s2, v152
	s_mov_b32 s2, 0x3f2aaaab
	s_nop 0
	v_cndmask_b32_e32 v52, v144, v7, vcc
	v_add_f32_e32 v7, 1.0, v52
	v_add_f32_e32 v9, -1.0, v7
	v_sub_f32_e32 v36, v9, v7
	v_add_f32_e32 v36, 1.0, v36
	v_sub_f32_e32 v9, v52, v9
	v_add_f32_e32 v9, v9, v36
	v_frexp_mant_f32_e32 v38, v7
	v_cvt_f64_f32_e32 v[36:37], v7
	v_frexp_exp_i32_f64_e32 v36, v[36:37]
	v_cmp_gt_f32_e32 vcc, s2, v38
	s_mov_b32 s2, 0x3f317218
	s_nop 0
	v_subbrev_co_u32_e32 v44, vcc, 0, v36, vcc
	v_sub_u32_e32 v36, 0, v44
	v_ldexp_f32 v7, v7, v36
	v_ldexp_f32 v9, v9, v36
	v_add_f32_e32 v36, -1.0, v7
	v_add_f32_e32 v37, 1.0, v36
	v_sub_f32_e32 v37, v7, v37
	v_add_f32_e32 v38, v9, v37
	v_add_f32_e32 v37, 1.0, v7
	v_add_f32_e32 v39, -1.0, v37
	v_sub_f32_e32 v7, v7, v39
	v_add_f32_e32 v7, v9, v7
	v_add_f32_e32 v9, v37, v7
	v_rcp_f32_e32 v45, v9
	v_sub_f32_e32 v37, v37, v9
	v_add_f32_e32 v7, v7, v37
	v_add_f32_e32 v37, v36, v38
	v_sub_f32_e32 v36, v36, v37
	v_mul_f32_e32 v47, v37, v45
	v_add_f32_e32 v46, v38, v36
	v_mul_f32_e32 v38, v9, v47
	v_fma_f32 v40, v47, v9, -v38
	v_fmac_f32_e32 v40, v47, v7
	v_add_f32_e32 v36, v38, v40
	v_sub_f32_e32 v39, v37, v36
	v_pk_add_f32 v[42:43], v[36:37], v[38:39] neg_lo:[0,1] neg_hi:[0,1]
	v_mov_b32_e32 v41, v36
	v_pk_add_f32 v[36:37], v[42:43], v[40:41] neg_lo:[0,1] neg_hi:[0,1]
	s_nop 0
	v_add_f32_e32 v37, v46, v37
	v_add_f32_e32 v36, v36, v37
	;; [unrolled: 1-line block ×3, first 2 shown]
	v_mul_f32_e32 v46, v45, v37
	v_mul_f32_e32 v38, v9, v46
	v_fma_f32 v40, v46, v9, -v38
	v_fmac_f32_e32 v40, v46, v7
	v_sub_f32_e32 v7, v39, v37
	v_add_f32_e32 v7, v36, v7
	v_add_f32_e32 v36, v38, v40
	v_sub_f32_e32 v39, v37, v36
	v_pk_add_f32 v[42:43], v[36:37], v[38:39] neg_lo:[0,1] neg_hi:[0,1]
	v_mov_b32_e32 v41, v36
	v_pk_add_f32 v[36:37], v[42:43], v[40:41] neg_lo:[0,1] neg_hi:[0,1]
	s_nop 0
	v_add_f32_e32 v7, v7, v37
	v_add_f32_e32 v7, v36, v7
	;; [unrolled: 1-line block ×4, first 2 shown]
	v_sub_f32_e32 v9, v37, v47
	v_mul_f32_e32 v7, v45, v7
	v_sub_f32_e32 v9, v46, v9
	v_add_f32_e32 v7, v9, v7
	v_add_f32_e32 v38, v37, v7
	v_cvt_f32_i32_e32 v36, v44
	v_mul_f32_e32 v40, v38, v38
	v_fmamk_f32 v9, v40, 0x3e9b6dac, v143
	v_sub_f32_e32 v37, v38, v37
	v_fmaak_f32 v9, v40, v9, 0x3f2aaada
	v_sub_f32_e32 v7, v7, v37
	v_mul_f32_e32 v37, v38, v40
	v_pk_mul_f32 v[40:41], v[36:37], v[8:9]
	v_ldexp_f32 v39, v38, 1
	v_fma_f32 v38, v36, s2, -v40
	v_fmac_f32_e32 v38, 0xb102e308, v36
	v_pk_add_f32 v[36:37], v[40:41], v[38:39]
	v_ldexp_f32 v7, v7, 1
	v_sub_f32_e32 v9, v37, v39
	v_sub_f32_e32 v9, v41, v9
	v_add_f32_e32 v43, v7, v9
	v_mov_b32_e32 v42, v40
	v_pk_add_f32 v[40:41], v[36:37], v[40:41] neg_lo:[0,1] neg_hi:[0,1]
	v_pk_add_f32 v[44:45], v[36:37], v[42:43]
	v_mov_b32_e32 v39, v36
	v_mov_b32_e32 v41, v45
	v_pk_add_f32 v[46:47], v[38:39], v[40:41] neg_lo:[0,1] neg_hi:[0,1]
	v_pk_add_f32 v[38:39], v[38:39], v[40:41]
	v_mov_b32_e32 v42, v43
	v_mov_b32_e32 v40, v39
	v_pk_add_f32 v[48:49], v[40:41], v[36:37] neg_lo:[0,1] neg_hi:[0,1]
	v_mov_b32_e32 v38, v45
	v_mov_b32_e32 v7, v48
	v_pk_add_f32 v[50:51], v[44:45], v[6:7] neg_lo:[0,1] neg_hi:[0,1]
	v_mov_b32_e32 v44, v37
	v_mov_b32_e32 v45, v48
	;; [unrolled: 1-line block ×3, first 2 shown]
	v_pk_add_f32 v[38:39], v[38:39], v[44:45] neg_lo:[0,1] neg_hi:[0,1]
	v_mov_b32_e32 v43, v36
	v_pk_add_f32 v[36:37], v[42:43], v[38:39] neg_lo:[0,1] neg_hi:[0,1]
	v_mov_b32_e32 v50, v46
	v_pk_add_f32 v[38:39], v[50:51], v[36:37]
	s_mov_b32 s2, 0x7f800000
	v_mov_b32_e32 v42, v39
	v_pk_add_f32 v[42:43], v[38:39], v[42:43]
	v_cmp_eq_f32_e32 vcc, s2, v52
	v_pk_add_f32 v[40:41], v[40:41], v[42:43]
	v_mov_b32_e32 v37, v42
	v_mov_b32_e32 v39, v40
	v_pk_add_f32 v[44:45], v[38:39], v[46:47] neg_lo:[0,1] neg_hi:[0,1]
	s_mov_b32 s2, 0x33800000
	v_sub_f32_e32 v7, v38, v44
	v_pk_add_f32 v[36:37], v[36:37], v[44:45] neg_lo:[0,1] neg_hi:[0,1]
	v_sub_f32_e32 v7, v46, v7
	v_add_f32_e32 v7, v36, v7
	v_add_f32_e32 v7, v7, v37
	v_cmp_gt_f32_e64 s[60:61], s2, v52
	v_add_f32_e32 v7, v40, v7
	s_or_b64 vcc, s[60:61], vcc
	v_cndmask_b32_e32 v152, v7, v52, vcc
.LBB158_87:                             ;   in Loop: Header=BB158_13 Depth=1
	s_or_b64 exec, exec, s[4:5]
	s_waitcnt lgkmcnt(4)
	v_add_f32_e32 v153, s62, v34
	s_mov_b32 s2, 0x41a00000
	v_cmp_ge_f32_e32 vcc, s2, v153
	v_readlane_b32 s2, v167, 25
	v_readlane_b32 s3, v167, 26
	s_and_b64 s[2:3], s[2:3], vcc
	s_and_saveexec_b64 s[4:5], s[2:3]
	s_cbranch_execz .LBB158_89
; %bb.88:                               ;   in Loop: Header=BB158_13 Depth=1
	v_mul_f32_e32 v7, 0x3fb8aa3b, v153
	v_rndne_f32_e32 v9, v7
	s_mov_b32 s2, 0x3fb8aa3b
	v_sub_f32_e32 v34, v7, v9
	v_fma_f32 v7, v153, s2, -v7
	v_fmac_f32_e32 v7, 0x32a5705f, v153
	v_add_f32_e32 v7, v34, v7
	v_cvt_i32_f32_e32 v9, v9
	v_exp_f32_e32 v7, v7
	s_mov_b32 s2, 0xc2ce8ed0
	v_cmp_ngt_f32_e32 vcc, s2, v153
	s_mov_b32 s2, 0x42b17218
	v_ldexp_f32 v7, v7, v9
	v_cndmask_b32_e32 v7, 0, v7, vcc
	v_cmp_nlt_f32_e32 vcc, s2, v153
	s_mov_b32 s2, 0x3f2aaaab
	s_nop 0
	v_cndmask_b32_e32 v50, v144, v7, vcc
	v_add_f32_e32 v7, 1.0, v50
	v_add_f32_e32 v9, -1.0, v7
	v_sub_f32_e32 v34, v9, v7
	v_add_f32_e32 v34, 1.0, v34
	v_sub_f32_e32 v9, v50, v9
	v_add_f32_e32 v9, v9, v34
	v_frexp_mant_f32_e32 v34, v7
	v_cvt_f64_f32_e32 v[36:37], v7
	v_frexp_exp_i32_f64_e32 v36, v[36:37]
	v_cmp_gt_f32_e32 vcc, s2, v34
	s_mov_b32 s2, 0x3f317218
	s_nop 0
	v_subbrev_co_u32_e32 v34, vcc, 0, v36, vcc
	v_sub_u32_e32 v36, 0, v34
	v_ldexp_f32 v7, v7, v36
	v_ldexp_f32 v9, v9, v36
	v_add_f32_e32 v36, -1.0, v7
	v_add_f32_e32 v37, 1.0, v36
	v_sub_f32_e32 v37, v7, v37
	v_add_f32_e32 v38, v9, v37
	v_add_f32_e32 v37, 1.0, v7
	v_add_f32_e32 v39, -1.0, v37
	v_sub_f32_e32 v7, v7, v39
	v_add_f32_e32 v7, v9, v7
	v_add_f32_e32 v9, v37, v7
	v_rcp_f32_e32 v44, v9
	v_sub_f32_e32 v37, v37, v9
	v_add_f32_e32 v7, v7, v37
	v_add_f32_e32 v37, v36, v38
	v_sub_f32_e32 v36, v36, v37
	v_mul_f32_e32 v46, v37, v44
	v_add_f32_e32 v45, v38, v36
	v_mul_f32_e32 v38, v9, v46
	v_fma_f32 v40, v46, v9, -v38
	v_fmac_f32_e32 v40, v46, v7
	v_add_f32_e32 v36, v38, v40
	v_sub_f32_e32 v39, v37, v36
	v_pk_add_f32 v[42:43], v[36:37], v[38:39] neg_lo:[0,1] neg_hi:[0,1]
	v_mov_b32_e32 v41, v36
	v_pk_add_f32 v[36:37], v[42:43], v[40:41] neg_lo:[0,1] neg_hi:[0,1]
	s_nop 0
	v_add_f32_e32 v37, v45, v37
	v_add_f32_e32 v36, v36, v37
	;; [unrolled: 1-line block ×3, first 2 shown]
	v_mul_f32_e32 v45, v44, v37
	v_mul_f32_e32 v38, v9, v45
	v_fma_f32 v40, v45, v9, -v38
	v_fmac_f32_e32 v40, v45, v7
	v_sub_f32_e32 v7, v39, v37
	v_add_f32_e32 v7, v36, v7
	v_add_f32_e32 v36, v38, v40
	v_sub_f32_e32 v39, v37, v36
	v_pk_add_f32 v[42:43], v[36:37], v[38:39] neg_lo:[0,1] neg_hi:[0,1]
	v_mov_b32_e32 v41, v36
	v_pk_add_f32 v[36:37], v[42:43], v[40:41] neg_lo:[0,1] neg_hi:[0,1]
	s_nop 0
	v_add_f32_e32 v7, v7, v37
	v_add_f32_e32 v7, v36, v7
	;; [unrolled: 1-line block ×4, first 2 shown]
	v_sub_f32_e32 v9, v37, v46
	v_mul_f32_e32 v7, v44, v7
	v_sub_f32_e32 v9, v45, v9
	v_add_f32_e32 v7, v9, v7
	v_add_f32_e32 v38, v37, v7
	v_cvt_f32_i32_e32 v36, v34
	v_mul_f32_e32 v40, v38, v38
	v_fmamk_f32 v9, v40, 0x3e9b6dac, v143
	v_fmaak_f32 v9, v40, v9, 0x3f2aaada
	v_sub_f32_e32 v34, v38, v37
	v_mul_f32_e32 v37, v38, v40
	v_pk_mul_f32 v[40:41], v[36:37], v[8:9]
	v_ldexp_f32 v39, v38, 1
	v_fma_f32 v38, v36, s2, -v40
	v_fmac_f32_e32 v38, 0xb102e308, v36
	v_pk_add_f32 v[36:37], v[40:41], v[38:39]
	v_sub_f32_e32 v7, v7, v34
	v_sub_f32_e32 v9, v37, v39
	v_ldexp_f32 v7, v7, 1
	v_sub_f32_e32 v9, v41, v9
	v_add_f32_e32 v43, v7, v9
	v_mov_b32_e32 v42, v40
	v_pk_add_f32 v[40:41], v[36:37], v[40:41] neg_lo:[0,1] neg_hi:[0,1]
	v_pk_add_f32 v[44:45], v[36:37], v[42:43]
	v_mov_b32_e32 v39, v36
	v_mov_b32_e32 v41, v45
	v_pk_add_f32 v[46:47], v[38:39], v[40:41] neg_lo:[0,1] neg_hi:[0,1]
	v_pk_add_f32 v[38:39], v[38:39], v[40:41]
	s_mov_b32 s2, 0x7f800000
	v_mov_b32_e32 v34, v39
	v_pk_add_f32 v[40:41], v[34:35], v[36:37] neg_lo:[0,1] neg_hi:[0,1]
	v_mov_b32_e32 v38, v45
	v_mov_b32_e32 v7, v40
	v_pk_add_f32 v[48:49], v[44:45], v[6:7] neg_lo:[0,1] neg_hi:[0,1]
	v_mov_b32_e32 v44, v37
	v_mov_b32_e32 v45, v40
	;; [unrolled: 1-line block ×3, first 2 shown]
	v_pk_add_f32 v[38:39], v[38:39], v[44:45] neg_lo:[0,1] neg_hi:[0,1]
	v_mov_b32_e32 v40, v43
	v_mov_b32_e32 v41, v36
	v_pk_add_f32 v[36:37], v[40:41], v[38:39] neg_lo:[0,1] neg_hi:[0,1]
	v_mov_b32_e32 v48, v46
	v_pk_add_f32 v[38:39], v[48:49], v[36:37]
	v_cmp_eq_f32_e32 vcc, s2, v50
	v_mov_b32_e32 v40, v39
	v_pk_add_f32 v[40:41], v[38:39], v[40:41]
	s_mov_b32 s2, 0x33800000
	v_pk_add_f32 v[42:43], v[34:35], v[40:41]
	v_mov_b32_e32 v37, v40
	v_mov_b32_e32 v39, v42
	v_pk_add_f32 v[44:45], v[38:39], v[46:47] neg_lo:[0,1] neg_hi:[0,1]
	v_cmp_gt_f32_e64 s[60:61], s2, v50
	v_sub_f32_e32 v7, v38, v44
	v_pk_add_f32 v[36:37], v[36:37], v[44:45] neg_lo:[0,1] neg_hi:[0,1]
	v_sub_f32_e32 v7, v46, v7
	v_add_f32_e32 v7, v36, v7
	v_add_f32_e32 v7, v7, v37
	;; [unrolled: 1-line block ×3, first 2 shown]
	s_or_b64 vcc, s[60:61], vcc
	v_cndmask_b32_e32 v153, v7, v50, vcc
.LBB158_89:                             ;   in Loop: Header=BB158_13 Depth=1
	s_or_b64 exec, exec, s[4:5]
	v_add_f32_e32 v154, s62, v35
	s_mov_b32 s2, 0x41a00000
	v_cmp_ge_f32_e32 vcc, s2, v154
	v_readlane_b32 s2, v167, 25
	v_readlane_b32 s3, v167, 26
	s_and_b64 s[2:3], s[2:3], vcc
	s_and_saveexec_b64 s[4:5], s[2:3]
	s_cbranch_execz .LBB158_91
; %bb.90:                               ;   in Loop: Header=BB158_13 Depth=1
	v_mul_f32_e32 v7, 0x3fb8aa3b, v154
	v_rndne_f32_e32 v9, v7
	s_mov_b32 s2, 0x3fb8aa3b
	v_sub_f32_e32 v34, v7, v9
	v_fma_f32 v7, v154, s2, -v7
	v_fmac_f32_e32 v7, 0x32a5705f, v154
	v_add_f32_e32 v7, v34, v7
	v_cvt_i32_f32_e32 v9, v9
	v_exp_f32_e32 v7, v7
	s_mov_b32 s2, 0xc2ce8ed0
	v_cmp_ngt_f32_e32 vcc, s2, v154
	s_mov_b32 s2, 0x42b17218
	v_ldexp_f32 v7, v7, v9
	v_cndmask_b32_e32 v7, 0, v7, vcc
	v_cmp_nlt_f32_e32 vcc, s2, v154
	s_mov_b32 s2, 0x3f2aaaab
	s_nop 0
	v_cndmask_b32_e32 v50, v144, v7, vcc
	v_add_f32_e32 v7, 1.0, v50
	v_add_f32_e32 v9, -1.0, v7
	v_sub_f32_e32 v34, v9, v7
	v_add_f32_e32 v34, 1.0, v34
	v_sub_f32_e32 v9, v50, v9
	v_add_f32_e32 v9, v9, v34
	v_frexp_mant_f32_e32 v36, v7
	v_cvt_f64_f32_e32 v[34:35], v7
	v_frexp_exp_i32_f64_e32 v34, v[34:35]
	v_cmp_gt_f32_e32 vcc, s2, v36
	s_mov_b32 s2, 0x3f317218
	s_nop 0
	v_subbrev_co_u32_e32 v42, vcc, 0, v34, vcc
	v_sub_u32_e32 v34, 0, v42
	v_ldexp_f32 v7, v7, v34
	v_ldexp_f32 v9, v9, v34
	v_add_f32_e32 v34, -1.0, v7
	v_add_f32_e32 v35, 1.0, v34
	v_sub_f32_e32 v35, v7, v35
	v_add_f32_e32 v36, v9, v35
	v_add_f32_e32 v35, 1.0, v7
	v_add_f32_e32 v37, -1.0, v35
	v_sub_f32_e32 v7, v7, v37
	v_add_f32_e32 v7, v9, v7
	v_add_f32_e32 v9, v35, v7
	v_rcp_f32_e32 v43, v9
	v_sub_f32_e32 v35, v35, v9
	v_add_f32_e32 v7, v7, v35
	v_add_f32_e32 v35, v34, v36
	v_sub_f32_e32 v34, v34, v35
	v_mul_f32_e32 v45, v35, v43
	v_add_f32_e32 v44, v36, v34
	v_mul_f32_e32 v36, v9, v45
	v_fma_f32 v38, v45, v9, -v36
	v_fmac_f32_e32 v38, v45, v7
	v_add_f32_e32 v34, v36, v38
	v_sub_f32_e32 v37, v35, v34
	v_pk_add_f32 v[40:41], v[34:35], v[36:37] neg_lo:[0,1] neg_hi:[0,1]
	v_mov_b32_e32 v39, v34
	v_pk_add_f32 v[34:35], v[40:41], v[38:39] neg_lo:[0,1] neg_hi:[0,1]
	s_nop 0
	v_add_f32_e32 v35, v44, v35
	v_add_f32_e32 v34, v34, v35
	;; [unrolled: 1-line block ×3, first 2 shown]
	v_mul_f32_e32 v44, v43, v35
	v_mul_f32_e32 v36, v9, v44
	v_fma_f32 v38, v44, v9, -v36
	v_fmac_f32_e32 v38, v44, v7
	v_sub_f32_e32 v7, v37, v35
	v_add_f32_e32 v7, v34, v7
	v_add_f32_e32 v34, v36, v38
	v_sub_f32_e32 v37, v35, v34
	v_pk_add_f32 v[40:41], v[34:35], v[36:37] neg_lo:[0,1] neg_hi:[0,1]
	v_mov_b32_e32 v39, v34
	v_pk_add_f32 v[34:35], v[40:41], v[38:39] neg_lo:[0,1] neg_hi:[0,1]
	s_nop 0
	v_add_f32_e32 v7, v7, v35
	v_add_f32_e32 v7, v34, v7
	;; [unrolled: 1-line block ×4, first 2 shown]
	v_sub_f32_e32 v9, v35, v45
	v_mul_f32_e32 v7, v43, v7
	v_sub_f32_e32 v9, v44, v9
	v_add_f32_e32 v7, v9, v7
	v_add_f32_e32 v36, v35, v7
	v_cvt_f32_i32_e32 v34, v42
	v_mul_f32_e32 v38, v36, v36
	v_fmamk_f32 v9, v38, 0x3e9b6dac, v143
	v_sub_f32_e32 v35, v36, v35
	v_fmaak_f32 v9, v38, v9, 0x3f2aaada
	v_sub_f32_e32 v7, v7, v35
	v_mul_f32_e32 v35, v36, v38
	v_pk_mul_f32 v[38:39], v[34:35], v[8:9]
	v_ldexp_f32 v37, v36, 1
	v_fma_f32 v36, v34, s2, -v38
	v_fmac_f32_e32 v36, 0xb102e308, v34
	v_pk_add_f32 v[34:35], v[38:39], v[36:37]
	v_ldexp_f32 v7, v7, 1
	v_sub_f32_e32 v9, v35, v37
	v_sub_f32_e32 v9, v39, v9
	v_add_f32_e32 v41, v7, v9
	v_mov_b32_e32 v40, v38
	v_pk_add_f32 v[38:39], v[34:35], v[38:39] neg_lo:[0,1] neg_hi:[0,1]
	v_pk_add_f32 v[42:43], v[34:35], v[40:41]
	v_mov_b32_e32 v37, v34
	v_mov_b32_e32 v39, v43
	v_pk_add_f32 v[44:45], v[36:37], v[38:39] neg_lo:[0,1] neg_hi:[0,1]
	v_pk_add_f32 v[36:37], v[36:37], v[38:39]
	v_mov_b32_e32 v40, v41
	v_mov_b32_e32 v38, v37
	v_pk_add_f32 v[46:47], v[38:39], v[34:35] neg_lo:[0,1] neg_hi:[0,1]
	v_mov_b32_e32 v36, v43
	v_mov_b32_e32 v7, v46
	v_pk_add_f32 v[48:49], v[42:43], v[6:7] neg_lo:[0,1] neg_hi:[0,1]
	v_mov_b32_e32 v42, v35
	v_mov_b32_e32 v43, v46
	;; [unrolled: 1-line block ×3, first 2 shown]
	v_pk_add_f32 v[36:37], v[36:37], v[42:43] neg_lo:[0,1] neg_hi:[0,1]
	v_mov_b32_e32 v41, v34
	v_pk_add_f32 v[34:35], v[40:41], v[36:37] neg_lo:[0,1] neg_hi:[0,1]
	v_mov_b32_e32 v48, v44
	v_pk_add_f32 v[36:37], v[48:49], v[34:35]
	s_mov_b32 s2, 0x7f800000
	v_mov_b32_e32 v40, v37
	v_pk_add_f32 v[40:41], v[36:37], v[40:41]
	v_cmp_eq_f32_e32 vcc, s2, v50
	v_pk_add_f32 v[38:39], v[38:39], v[40:41]
	v_mov_b32_e32 v35, v40
	v_mov_b32_e32 v37, v38
	v_pk_add_f32 v[42:43], v[36:37], v[44:45] neg_lo:[0,1] neg_hi:[0,1]
	s_mov_b32 s2, 0x33800000
	v_sub_f32_e32 v7, v36, v42
	v_pk_add_f32 v[34:35], v[34:35], v[42:43] neg_lo:[0,1] neg_hi:[0,1]
	v_sub_f32_e32 v7, v44, v7
	v_add_f32_e32 v7, v34, v7
	v_add_f32_e32 v7, v7, v35
	v_cmp_gt_f32_e64 s[60:61], s2, v50
	v_add_f32_e32 v7, v38, v7
	s_or_b64 vcc, s[60:61], vcc
	v_cndmask_b32_e32 v154, v7, v50, vcc
.LBB158_91:                             ;   in Loop: Header=BB158_13 Depth=1
	s_or_b64 exec, exec, s[4:5]
	s_waitcnt lgkmcnt(3)
	v_add_f32_e32 v155, s62, v32
	s_mov_b32 s2, 0x41a00000
	v_cmp_ge_f32_e32 vcc, s2, v155
	v_readlane_b32 s2, v167, 25
	v_readlane_b32 s3, v167, 26
	s_and_b64 s[2:3], s[2:3], vcc
	s_and_saveexec_b64 s[4:5], s[2:3]
	s_cbranch_execz .LBB158_93
; %bb.92:                               ;   in Loop: Header=BB158_13 Depth=1
	v_mul_f32_e32 v7, 0x3fb8aa3b, v155
	v_rndne_f32_e32 v9, v7
	s_mov_b32 s2, 0x3fb8aa3b
	v_sub_f32_e32 v32, v7, v9
	v_fma_f32 v7, v155, s2, -v7
	v_fmac_f32_e32 v7, 0x32a5705f, v155
	v_add_f32_e32 v7, v32, v7
	v_cvt_i32_f32_e32 v9, v9
	v_exp_f32_e32 v7, v7
	s_mov_b32 s2, 0xc2ce8ed0
	v_cmp_ngt_f32_e32 vcc, s2, v155
	s_mov_b32 s2, 0x42b17218
	v_ldexp_f32 v7, v7, v9
	v_cndmask_b32_e32 v7, 0, v7, vcc
	v_cmp_nlt_f32_e32 vcc, s2, v155
	s_mov_b32 s2, 0x3f2aaaab
	s_nop 0
	v_cndmask_b32_e32 v48, v144, v7, vcc
	v_add_f32_e32 v7, 1.0, v48
	v_add_f32_e32 v9, -1.0, v7
	v_sub_f32_e32 v32, v9, v7
	v_add_f32_e32 v32, 1.0, v32
	v_sub_f32_e32 v9, v48, v9
	v_add_f32_e32 v9, v9, v32
	v_frexp_mant_f32_e32 v32, v7
	v_cvt_f64_f32_e32 v[34:35], v7
	v_frexp_exp_i32_f64_e32 v34, v[34:35]
	v_cmp_gt_f32_e32 vcc, s2, v32
	s_mov_b32 s2, 0x3f317218
	s_nop 0
	v_subbrev_co_u32_e32 v32, vcc, 0, v34, vcc
	v_sub_u32_e32 v34, 0, v32
	v_ldexp_f32 v7, v7, v34
	v_ldexp_f32 v9, v9, v34
	v_add_f32_e32 v34, -1.0, v7
	v_add_f32_e32 v35, 1.0, v34
	v_sub_f32_e32 v35, v7, v35
	v_add_f32_e32 v36, v9, v35
	v_add_f32_e32 v35, 1.0, v7
	v_add_f32_e32 v37, -1.0, v35
	v_sub_f32_e32 v7, v7, v37
	v_add_f32_e32 v7, v9, v7
	v_add_f32_e32 v9, v35, v7
	v_rcp_f32_e32 v42, v9
	v_sub_f32_e32 v35, v35, v9
	v_add_f32_e32 v7, v7, v35
	v_add_f32_e32 v35, v34, v36
	v_sub_f32_e32 v34, v34, v35
	v_mul_f32_e32 v44, v35, v42
	v_add_f32_e32 v43, v36, v34
	v_mul_f32_e32 v36, v9, v44
	v_fma_f32 v38, v44, v9, -v36
	v_fmac_f32_e32 v38, v44, v7
	v_add_f32_e32 v34, v36, v38
	v_sub_f32_e32 v37, v35, v34
	v_pk_add_f32 v[40:41], v[34:35], v[36:37] neg_lo:[0,1] neg_hi:[0,1]
	v_mov_b32_e32 v39, v34
	v_pk_add_f32 v[34:35], v[40:41], v[38:39] neg_lo:[0,1] neg_hi:[0,1]
	s_nop 0
	v_add_f32_e32 v35, v43, v35
	v_add_f32_e32 v34, v34, v35
	;; [unrolled: 1-line block ×3, first 2 shown]
	v_mul_f32_e32 v43, v42, v35
	v_mul_f32_e32 v36, v9, v43
	v_fma_f32 v38, v43, v9, -v36
	v_fmac_f32_e32 v38, v43, v7
	v_sub_f32_e32 v7, v37, v35
	v_add_f32_e32 v7, v34, v7
	v_add_f32_e32 v34, v36, v38
	v_sub_f32_e32 v37, v35, v34
	v_pk_add_f32 v[40:41], v[34:35], v[36:37] neg_lo:[0,1] neg_hi:[0,1]
	v_mov_b32_e32 v39, v34
	v_pk_add_f32 v[34:35], v[40:41], v[38:39] neg_lo:[0,1] neg_hi:[0,1]
	s_nop 0
	v_add_f32_e32 v7, v7, v35
	v_add_f32_e32 v7, v34, v7
	;; [unrolled: 1-line block ×4, first 2 shown]
	v_sub_f32_e32 v9, v35, v44
	v_mul_f32_e32 v7, v42, v7
	v_sub_f32_e32 v9, v43, v9
	v_add_f32_e32 v7, v9, v7
	v_add_f32_e32 v36, v35, v7
	v_cvt_f32_i32_e32 v34, v32
	v_mul_f32_e32 v38, v36, v36
	v_fmamk_f32 v9, v38, 0x3e9b6dac, v143
	v_fmaak_f32 v9, v38, v9, 0x3f2aaada
	v_sub_f32_e32 v32, v36, v35
	v_mul_f32_e32 v35, v36, v38
	v_pk_mul_f32 v[38:39], v[34:35], v[8:9]
	v_ldexp_f32 v37, v36, 1
	v_fma_f32 v36, v34, s2, -v38
	v_fmac_f32_e32 v36, 0xb102e308, v34
	v_pk_add_f32 v[34:35], v[38:39], v[36:37]
	v_sub_f32_e32 v7, v7, v32
	v_sub_f32_e32 v9, v35, v37
	v_ldexp_f32 v7, v7, 1
	v_sub_f32_e32 v9, v39, v9
	v_add_f32_e32 v41, v7, v9
	v_mov_b32_e32 v40, v38
	v_pk_add_f32 v[38:39], v[34:35], v[38:39] neg_lo:[0,1] neg_hi:[0,1]
	v_pk_add_f32 v[42:43], v[34:35], v[40:41]
	v_mov_b32_e32 v37, v34
	v_mov_b32_e32 v39, v43
	v_pk_add_f32 v[44:45], v[36:37], v[38:39] neg_lo:[0,1] neg_hi:[0,1]
	v_pk_add_f32 v[36:37], v[36:37], v[38:39]
	s_mov_b32 s2, 0x7f800000
	v_mov_b32_e32 v32, v37
	v_pk_add_f32 v[38:39], v[32:33], v[34:35] neg_lo:[0,1] neg_hi:[0,1]
	v_mov_b32_e32 v36, v43
	v_mov_b32_e32 v7, v38
	v_pk_add_f32 v[46:47], v[42:43], v[6:7] neg_lo:[0,1] neg_hi:[0,1]
	v_mov_b32_e32 v42, v35
	v_mov_b32_e32 v43, v38
	;; [unrolled: 1-line block ×3, first 2 shown]
	v_pk_add_f32 v[36:37], v[36:37], v[42:43] neg_lo:[0,1] neg_hi:[0,1]
	v_mov_b32_e32 v38, v41
	v_mov_b32_e32 v39, v34
	v_pk_add_f32 v[34:35], v[38:39], v[36:37] neg_lo:[0,1] neg_hi:[0,1]
	v_mov_b32_e32 v46, v44
	v_pk_add_f32 v[36:37], v[46:47], v[34:35]
	v_cmp_eq_f32_e32 vcc, s2, v48
	v_mov_b32_e32 v38, v37
	v_pk_add_f32 v[38:39], v[36:37], v[38:39]
	s_mov_b32 s2, 0x33800000
	v_pk_add_f32 v[40:41], v[32:33], v[38:39]
	v_mov_b32_e32 v35, v38
	v_mov_b32_e32 v37, v40
	v_pk_add_f32 v[42:43], v[36:37], v[44:45] neg_lo:[0,1] neg_hi:[0,1]
	v_cmp_gt_f32_e64 s[60:61], s2, v48
	v_sub_f32_e32 v7, v36, v42
	v_pk_add_f32 v[34:35], v[34:35], v[42:43] neg_lo:[0,1] neg_hi:[0,1]
	v_sub_f32_e32 v7, v44, v7
	v_add_f32_e32 v7, v34, v7
	v_add_f32_e32 v7, v7, v35
	;; [unrolled: 1-line block ×3, first 2 shown]
	s_or_b64 vcc, s[60:61], vcc
	v_cndmask_b32_e32 v155, v7, v48, vcc
.LBB158_93:                             ;   in Loop: Header=BB158_13 Depth=1
	s_or_b64 exec, exec, s[4:5]
	v_add_f32_e32 v156, s62, v33
	s_mov_b32 s2, 0x41a00000
	v_cmp_ge_f32_e32 vcc, s2, v156
	v_readlane_b32 s2, v167, 25
	v_readlane_b32 s3, v167, 26
	s_and_b64 s[2:3], s[2:3], vcc
	s_and_saveexec_b64 s[4:5], s[2:3]
	s_cbranch_execz .LBB158_95
; %bb.94:                               ;   in Loop: Header=BB158_13 Depth=1
	v_mul_f32_e32 v7, 0x3fb8aa3b, v156
	v_rndne_f32_e32 v9, v7
	s_mov_b32 s2, 0x3fb8aa3b
	v_sub_f32_e32 v32, v7, v9
	v_fma_f32 v7, v156, s2, -v7
	v_fmac_f32_e32 v7, 0x32a5705f, v156
	v_add_f32_e32 v7, v32, v7
	v_cvt_i32_f32_e32 v9, v9
	v_exp_f32_e32 v7, v7
	s_mov_b32 s2, 0xc2ce8ed0
	v_cmp_ngt_f32_e32 vcc, s2, v156
	s_mov_b32 s2, 0x42b17218
	v_ldexp_f32 v7, v7, v9
	v_cndmask_b32_e32 v7, 0, v7, vcc
	v_cmp_nlt_f32_e32 vcc, s2, v156
	s_mov_b32 s2, 0x3f2aaaab
	s_nop 0
	v_cndmask_b32_e32 v48, v144, v7, vcc
	v_add_f32_e32 v7, 1.0, v48
	v_add_f32_e32 v9, -1.0, v7
	v_sub_f32_e32 v32, v9, v7
	v_add_f32_e32 v32, 1.0, v32
	v_sub_f32_e32 v9, v48, v9
	v_add_f32_e32 v9, v9, v32
	v_frexp_mant_f32_e32 v34, v7
	v_cvt_f64_f32_e32 v[32:33], v7
	v_frexp_exp_i32_f64_e32 v32, v[32:33]
	v_cmp_gt_f32_e32 vcc, s2, v34
	s_mov_b32 s2, 0x3f317218
	s_nop 0
	v_subbrev_co_u32_e32 v40, vcc, 0, v32, vcc
	v_sub_u32_e32 v32, 0, v40
	v_ldexp_f32 v7, v7, v32
	v_ldexp_f32 v9, v9, v32
	v_add_f32_e32 v32, -1.0, v7
	v_add_f32_e32 v33, 1.0, v32
	v_sub_f32_e32 v33, v7, v33
	v_add_f32_e32 v34, v9, v33
	v_add_f32_e32 v33, 1.0, v7
	v_add_f32_e32 v35, -1.0, v33
	v_sub_f32_e32 v7, v7, v35
	v_add_f32_e32 v7, v9, v7
	v_add_f32_e32 v9, v33, v7
	v_rcp_f32_e32 v41, v9
	v_sub_f32_e32 v33, v33, v9
	v_add_f32_e32 v7, v7, v33
	v_add_f32_e32 v33, v32, v34
	v_sub_f32_e32 v32, v32, v33
	v_mul_f32_e32 v43, v33, v41
	v_add_f32_e32 v42, v34, v32
	v_mul_f32_e32 v34, v9, v43
	v_fma_f32 v36, v43, v9, -v34
	v_fmac_f32_e32 v36, v43, v7
	v_add_f32_e32 v32, v34, v36
	v_sub_f32_e32 v35, v33, v32
	v_pk_add_f32 v[38:39], v[32:33], v[34:35] neg_lo:[0,1] neg_hi:[0,1]
	v_mov_b32_e32 v37, v32
	v_pk_add_f32 v[32:33], v[38:39], v[36:37] neg_lo:[0,1] neg_hi:[0,1]
	s_nop 0
	v_add_f32_e32 v33, v42, v33
	v_add_f32_e32 v32, v32, v33
	;; [unrolled: 1-line block ×3, first 2 shown]
	v_mul_f32_e32 v42, v41, v33
	v_mul_f32_e32 v34, v9, v42
	v_fma_f32 v36, v42, v9, -v34
	v_fmac_f32_e32 v36, v42, v7
	v_sub_f32_e32 v7, v35, v33
	v_add_f32_e32 v7, v32, v7
	v_add_f32_e32 v32, v34, v36
	v_sub_f32_e32 v35, v33, v32
	v_pk_add_f32 v[38:39], v[32:33], v[34:35] neg_lo:[0,1] neg_hi:[0,1]
	v_mov_b32_e32 v37, v32
	v_pk_add_f32 v[32:33], v[38:39], v[36:37] neg_lo:[0,1] neg_hi:[0,1]
	s_nop 0
	v_add_f32_e32 v7, v7, v33
	v_add_f32_e32 v7, v32, v7
	;; [unrolled: 1-line block ×4, first 2 shown]
	v_sub_f32_e32 v9, v33, v43
	v_mul_f32_e32 v7, v41, v7
	v_sub_f32_e32 v9, v42, v9
	v_add_f32_e32 v7, v9, v7
	v_add_f32_e32 v34, v33, v7
	v_cvt_f32_i32_e32 v32, v40
	v_mul_f32_e32 v36, v34, v34
	v_fmamk_f32 v9, v36, 0x3e9b6dac, v143
	v_sub_f32_e32 v33, v34, v33
	v_fmaak_f32 v9, v36, v9, 0x3f2aaada
	v_sub_f32_e32 v7, v7, v33
	v_mul_f32_e32 v33, v34, v36
	v_pk_mul_f32 v[36:37], v[32:33], v[8:9]
	v_ldexp_f32 v35, v34, 1
	v_fma_f32 v34, v32, s2, -v36
	v_fmac_f32_e32 v34, 0xb102e308, v32
	v_pk_add_f32 v[32:33], v[36:37], v[34:35]
	v_ldexp_f32 v7, v7, 1
	v_sub_f32_e32 v9, v33, v35
	v_sub_f32_e32 v9, v37, v9
	v_add_f32_e32 v39, v7, v9
	v_mov_b32_e32 v38, v36
	v_pk_add_f32 v[36:37], v[32:33], v[36:37] neg_lo:[0,1] neg_hi:[0,1]
	v_pk_add_f32 v[40:41], v[32:33], v[38:39]
	v_mov_b32_e32 v35, v32
	v_mov_b32_e32 v37, v41
	v_pk_add_f32 v[42:43], v[34:35], v[36:37] neg_lo:[0,1] neg_hi:[0,1]
	v_pk_add_f32 v[34:35], v[34:35], v[36:37]
	v_mov_b32_e32 v38, v39
	v_mov_b32_e32 v36, v35
	v_pk_add_f32 v[44:45], v[36:37], v[32:33] neg_lo:[0,1] neg_hi:[0,1]
	v_mov_b32_e32 v34, v41
	v_mov_b32_e32 v7, v44
	v_pk_add_f32 v[46:47], v[40:41], v[6:7] neg_lo:[0,1] neg_hi:[0,1]
	v_mov_b32_e32 v40, v33
	v_mov_b32_e32 v41, v44
	;; [unrolled: 1-line block ×3, first 2 shown]
	v_pk_add_f32 v[34:35], v[34:35], v[40:41] neg_lo:[0,1] neg_hi:[0,1]
	v_mov_b32_e32 v39, v32
	v_pk_add_f32 v[32:33], v[38:39], v[34:35] neg_lo:[0,1] neg_hi:[0,1]
	v_mov_b32_e32 v46, v42
	v_pk_add_f32 v[34:35], v[46:47], v[32:33]
	s_mov_b32 s2, 0x7f800000
	v_mov_b32_e32 v38, v35
	v_pk_add_f32 v[38:39], v[34:35], v[38:39]
	v_cmp_eq_f32_e32 vcc, s2, v48
	v_pk_add_f32 v[36:37], v[36:37], v[38:39]
	v_mov_b32_e32 v33, v38
	v_mov_b32_e32 v35, v36
	v_pk_add_f32 v[40:41], v[34:35], v[42:43] neg_lo:[0,1] neg_hi:[0,1]
	s_mov_b32 s2, 0x33800000
	v_sub_f32_e32 v7, v34, v40
	v_pk_add_f32 v[32:33], v[32:33], v[40:41] neg_lo:[0,1] neg_hi:[0,1]
	v_sub_f32_e32 v7, v42, v7
	v_add_f32_e32 v7, v32, v7
	v_add_f32_e32 v7, v7, v33
	v_cmp_gt_f32_e64 s[60:61], s2, v48
	v_add_f32_e32 v7, v36, v7
	s_or_b64 vcc, s[60:61], vcc
	v_cndmask_b32_e32 v156, v7, v48, vcc
.LBB158_95:                             ;   in Loop: Header=BB158_13 Depth=1
	s_or_b64 exec, exec, s[4:5]
	s_waitcnt lgkmcnt(2)
	v_add_f32_e32 v157, s62, v30
	s_mov_b32 s2, 0x41a00000
	v_cmp_ge_f32_e32 vcc, s2, v157
	v_readlane_b32 s2, v167, 25
	v_readlane_b32 s3, v167, 26
	s_and_b64 s[2:3], s[2:3], vcc
	s_and_saveexec_b64 s[4:5], s[2:3]
	s_cbranch_execz .LBB158_97
; %bb.96:                               ;   in Loop: Header=BB158_13 Depth=1
	v_mul_f32_e32 v7, 0x3fb8aa3b, v157
	v_rndne_f32_e32 v9, v7
	s_mov_b32 s2, 0x3fb8aa3b
	v_sub_f32_e32 v30, v7, v9
	v_fma_f32 v7, v157, s2, -v7
	v_fmac_f32_e32 v7, 0x32a5705f, v157
	v_add_f32_e32 v7, v30, v7
	v_cvt_i32_f32_e32 v9, v9
	v_exp_f32_e32 v7, v7
	s_mov_b32 s2, 0xc2ce8ed0
	v_cmp_ngt_f32_e32 vcc, s2, v157
	s_mov_b32 s2, 0x42b17218
	v_ldexp_f32 v7, v7, v9
	v_cndmask_b32_e32 v7, 0, v7, vcc
	v_cmp_nlt_f32_e32 vcc, s2, v157
	s_mov_b32 s2, 0x3f2aaaab
	s_nop 0
	v_cndmask_b32_e32 v46, v144, v7, vcc
	v_add_f32_e32 v7, 1.0, v46
	v_add_f32_e32 v9, -1.0, v7
	v_sub_f32_e32 v30, v9, v7
	v_add_f32_e32 v30, 1.0, v30
	v_sub_f32_e32 v9, v46, v9
	v_add_f32_e32 v9, v9, v30
	v_frexp_mant_f32_e32 v30, v7
	v_cvt_f64_f32_e32 v[32:33], v7
	v_frexp_exp_i32_f64_e32 v32, v[32:33]
	v_cmp_gt_f32_e32 vcc, s2, v30
	s_mov_b32 s2, 0x3f317218
	s_nop 0
	v_subbrev_co_u32_e32 v30, vcc, 0, v32, vcc
	v_sub_u32_e32 v32, 0, v30
	v_ldexp_f32 v7, v7, v32
	v_ldexp_f32 v9, v9, v32
	v_add_f32_e32 v32, -1.0, v7
	v_add_f32_e32 v33, 1.0, v32
	v_sub_f32_e32 v33, v7, v33
	v_add_f32_e32 v34, v9, v33
	v_add_f32_e32 v33, 1.0, v7
	v_add_f32_e32 v35, -1.0, v33
	v_sub_f32_e32 v7, v7, v35
	v_add_f32_e32 v7, v9, v7
	v_add_f32_e32 v9, v33, v7
	v_rcp_f32_e32 v40, v9
	v_sub_f32_e32 v33, v33, v9
	v_add_f32_e32 v7, v7, v33
	v_add_f32_e32 v33, v32, v34
	v_sub_f32_e32 v32, v32, v33
	v_mul_f32_e32 v42, v33, v40
	v_add_f32_e32 v41, v34, v32
	v_mul_f32_e32 v34, v9, v42
	v_fma_f32 v36, v42, v9, -v34
	v_fmac_f32_e32 v36, v42, v7
	v_add_f32_e32 v32, v34, v36
	v_sub_f32_e32 v35, v33, v32
	v_pk_add_f32 v[38:39], v[32:33], v[34:35] neg_lo:[0,1] neg_hi:[0,1]
	v_mov_b32_e32 v37, v32
	v_pk_add_f32 v[32:33], v[38:39], v[36:37] neg_lo:[0,1] neg_hi:[0,1]
	s_nop 0
	v_add_f32_e32 v33, v41, v33
	v_add_f32_e32 v32, v32, v33
	;; [unrolled: 1-line block ×3, first 2 shown]
	v_mul_f32_e32 v41, v40, v33
	v_mul_f32_e32 v34, v9, v41
	v_fma_f32 v36, v41, v9, -v34
	v_fmac_f32_e32 v36, v41, v7
	v_sub_f32_e32 v7, v35, v33
	v_add_f32_e32 v7, v32, v7
	v_add_f32_e32 v32, v34, v36
	v_sub_f32_e32 v35, v33, v32
	v_pk_add_f32 v[38:39], v[32:33], v[34:35] neg_lo:[0,1] neg_hi:[0,1]
	v_mov_b32_e32 v37, v32
	v_pk_add_f32 v[32:33], v[38:39], v[36:37] neg_lo:[0,1] neg_hi:[0,1]
	s_nop 0
	v_add_f32_e32 v7, v7, v33
	v_add_f32_e32 v7, v32, v7
	;; [unrolled: 1-line block ×4, first 2 shown]
	v_sub_f32_e32 v9, v33, v42
	v_mul_f32_e32 v7, v40, v7
	v_sub_f32_e32 v9, v41, v9
	v_add_f32_e32 v7, v9, v7
	v_add_f32_e32 v34, v33, v7
	v_cvt_f32_i32_e32 v32, v30
	v_mul_f32_e32 v36, v34, v34
	v_fmamk_f32 v9, v36, 0x3e9b6dac, v143
	v_fmaak_f32 v9, v36, v9, 0x3f2aaada
	v_sub_f32_e32 v30, v34, v33
	v_mul_f32_e32 v33, v34, v36
	v_pk_mul_f32 v[36:37], v[32:33], v[8:9]
	v_ldexp_f32 v35, v34, 1
	v_fma_f32 v34, v32, s2, -v36
	v_fmac_f32_e32 v34, 0xb102e308, v32
	v_pk_add_f32 v[32:33], v[36:37], v[34:35]
	v_sub_f32_e32 v7, v7, v30
	v_sub_f32_e32 v9, v33, v35
	v_ldexp_f32 v7, v7, 1
	v_sub_f32_e32 v9, v37, v9
	v_add_f32_e32 v39, v7, v9
	v_mov_b32_e32 v38, v36
	v_pk_add_f32 v[36:37], v[32:33], v[36:37] neg_lo:[0,1] neg_hi:[0,1]
	v_pk_add_f32 v[40:41], v[32:33], v[38:39]
	v_mov_b32_e32 v35, v32
	v_mov_b32_e32 v37, v41
	v_pk_add_f32 v[42:43], v[34:35], v[36:37] neg_lo:[0,1] neg_hi:[0,1]
	v_pk_add_f32 v[34:35], v[34:35], v[36:37]
	s_mov_b32 s2, 0x7f800000
	v_mov_b32_e32 v30, v35
	v_pk_add_f32 v[36:37], v[30:31], v[32:33] neg_lo:[0,1] neg_hi:[0,1]
	v_mov_b32_e32 v34, v41
	v_mov_b32_e32 v7, v36
	v_pk_add_f32 v[44:45], v[40:41], v[6:7] neg_lo:[0,1] neg_hi:[0,1]
	v_mov_b32_e32 v40, v33
	v_mov_b32_e32 v41, v36
	;; [unrolled: 1-line block ×3, first 2 shown]
	v_pk_add_f32 v[34:35], v[34:35], v[40:41] neg_lo:[0,1] neg_hi:[0,1]
	v_mov_b32_e32 v36, v39
	v_mov_b32_e32 v37, v32
	v_pk_add_f32 v[32:33], v[36:37], v[34:35] neg_lo:[0,1] neg_hi:[0,1]
	v_mov_b32_e32 v44, v42
	v_pk_add_f32 v[34:35], v[44:45], v[32:33]
	v_cmp_eq_f32_e32 vcc, s2, v46
	v_mov_b32_e32 v36, v35
	v_pk_add_f32 v[36:37], v[34:35], v[36:37]
	s_mov_b32 s2, 0x33800000
	v_pk_add_f32 v[38:39], v[30:31], v[36:37]
	v_mov_b32_e32 v33, v36
	v_mov_b32_e32 v35, v38
	v_pk_add_f32 v[40:41], v[34:35], v[42:43] neg_lo:[0,1] neg_hi:[0,1]
	v_cmp_gt_f32_e64 s[60:61], s2, v46
	v_sub_f32_e32 v7, v34, v40
	v_pk_add_f32 v[32:33], v[32:33], v[40:41] neg_lo:[0,1] neg_hi:[0,1]
	v_sub_f32_e32 v7, v42, v7
	v_add_f32_e32 v7, v32, v7
	v_add_f32_e32 v7, v7, v33
	v_add_f32_e32 v7, v38, v7
	s_or_b64 vcc, s[60:61], vcc
	v_cndmask_b32_e32 v157, v7, v46, vcc
.LBB158_97:                             ;   in Loop: Header=BB158_13 Depth=1
	s_or_b64 exec, exec, s[4:5]
	v_add_f32_e32 v158, s62, v31
	s_mov_b32 s2, 0x41a00000
	v_cmp_ge_f32_e32 vcc, s2, v158
	v_readlane_b32 s2, v167, 25
	v_readlane_b32 s3, v167, 26
	s_and_b64 s[2:3], s[2:3], vcc
	s_and_saveexec_b64 s[4:5], s[2:3]
	s_cbranch_execz .LBB158_99
; %bb.98:                               ;   in Loop: Header=BB158_13 Depth=1
	v_mul_f32_e32 v7, 0x3fb8aa3b, v158
	v_rndne_f32_e32 v9, v7
	s_mov_b32 s2, 0x3fb8aa3b
	v_sub_f32_e32 v30, v7, v9
	v_fma_f32 v7, v158, s2, -v7
	v_fmac_f32_e32 v7, 0x32a5705f, v158
	v_add_f32_e32 v7, v30, v7
	v_cvt_i32_f32_e32 v9, v9
	v_exp_f32_e32 v7, v7
	s_mov_b32 s2, 0xc2ce8ed0
	v_cmp_ngt_f32_e32 vcc, s2, v158
	s_mov_b32 s2, 0x42b17218
	v_ldexp_f32 v7, v7, v9
	v_cndmask_b32_e32 v7, 0, v7, vcc
	v_cmp_nlt_f32_e32 vcc, s2, v158
	s_mov_b32 s2, 0x3f2aaaab
	s_nop 0
	v_cndmask_b32_e32 v46, v144, v7, vcc
	v_add_f32_e32 v7, 1.0, v46
	v_add_f32_e32 v9, -1.0, v7
	v_sub_f32_e32 v30, v9, v7
	v_add_f32_e32 v30, 1.0, v30
	v_sub_f32_e32 v9, v46, v9
	v_add_f32_e32 v9, v9, v30
	v_frexp_mant_f32_e32 v32, v7
	v_cvt_f64_f32_e32 v[30:31], v7
	v_frexp_exp_i32_f64_e32 v30, v[30:31]
	v_cmp_gt_f32_e32 vcc, s2, v32
	s_mov_b32 s2, 0x3f317218
	s_nop 0
	v_subbrev_co_u32_e32 v38, vcc, 0, v30, vcc
	v_sub_u32_e32 v30, 0, v38
	v_ldexp_f32 v7, v7, v30
	v_ldexp_f32 v9, v9, v30
	v_add_f32_e32 v30, -1.0, v7
	v_add_f32_e32 v31, 1.0, v30
	v_sub_f32_e32 v31, v7, v31
	v_add_f32_e32 v32, v9, v31
	v_add_f32_e32 v31, 1.0, v7
	v_add_f32_e32 v33, -1.0, v31
	v_sub_f32_e32 v7, v7, v33
	v_add_f32_e32 v7, v9, v7
	v_add_f32_e32 v9, v31, v7
	v_rcp_f32_e32 v39, v9
	v_sub_f32_e32 v31, v31, v9
	v_add_f32_e32 v7, v7, v31
	v_add_f32_e32 v31, v30, v32
	v_sub_f32_e32 v30, v30, v31
	v_mul_f32_e32 v41, v31, v39
	v_add_f32_e32 v40, v32, v30
	v_mul_f32_e32 v32, v9, v41
	v_fma_f32 v34, v41, v9, -v32
	v_fmac_f32_e32 v34, v41, v7
	v_add_f32_e32 v30, v32, v34
	v_sub_f32_e32 v33, v31, v30
	v_pk_add_f32 v[36:37], v[30:31], v[32:33] neg_lo:[0,1] neg_hi:[0,1]
	v_mov_b32_e32 v35, v30
	v_pk_add_f32 v[30:31], v[36:37], v[34:35] neg_lo:[0,1] neg_hi:[0,1]
	s_nop 0
	v_add_f32_e32 v31, v40, v31
	v_add_f32_e32 v30, v30, v31
	;; [unrolled: 1-line block ×3, first 2 shown]
	v_mul_f32_e32 v40, v39, v31
	v_mul_f32_e32 v32, v9, v40
	v_fma_f32 v34, v40, v9, -v32
	v_fmac_f32_e32 v34, v40, v7
	v_sub_f32_e32 v7, v33, v31
	v_add_f32_e32 v7, v30, v7
	v_add_f32_e32 v30, v32, v34
	v_sub_f32_e32 v33, v31, v30
	v_pk_add_f32 v[36:37], v[30:31], v[32:33] neg_lo:[0,1] neg_hi:[0,1]
	v_mov_b32_e32 v35, v30
	v_pk_add_f32 v[30:31], v[36:37], v[34:35] neg_lo:[0,1] neg_hi:[0,1]
	s_nop 0
	v_add_f32_e32 v7, v7, v31
	v_add_f32_e32 v7, v30, v7
	;; [unrolled: 1-line block ×4, first 2 shown]
	v_sub_f32_e32 v9, v31, v41
	v_mul_f32_e32 v7, v39, v7
	v_sub_f32_e32 v9, v40, v9
	v_add_f32_e32 v7, v9, v7
	v_add_f32_e32 v32, v31, v7
	v_cvt_f32_i32_e32 v30, v38
	v_mul_f32_e32 v34, v32, v32
	v_fmamk_f32 v9, v34, 0x3e9b6dac, v143
	v_sub_f32_e32 v31, v32, v31
	v_fmaak_f32 v9, v34, v9, 0x3f2aaada
	v_sub_f32_e32 v7, v7, v31
	v_mul_f32_e32 v31, v32, v34
	v_pk_mul_f32 v[34:35], v[30:31], v[8:9]
	v_ldexp_f32 v33, v32, 1
	v_fma_f32 v32, v30, s2, -v34
	v_fmac_f32_e32 v32, 0xb102e308, v30
	v_pk_add_f32 v[30:31], v[34:35], v[32:33]
	v_ldexp_f32 v7, v7, 1
	v_sub_f32_e32 v9, v31, v33
	v_sub_f32_e32 v9, v35, v9
	v_add_f32_e32 v37, v7, v9
	v_mov_b32_e32 v36, v34
	v_pk_add_f32 v[34:35], v[30:31], v[34:35] neg_lo:[0,1] neg_hi:[0,1]
	v_pk_add_f32 v[38:39], v[30:31], v[36:37]
	v_mov_b32_e32 v33, v30
	v_mov_b32_e32 v35, v39
	v_pk_add_f32 v[40:41], v[32:33], v[34:35] neg_lo:[0,1] neg_hi:[0,1]
	v_pk_add_f32 v[32:33], v[32:33], v[34:35]
	v_mov_b32_e32 v36, v37
	v_mov_b32_e32 v34, v33
	v_pk_add_f32 v[42:43], v[34:35], v[30:31] neg_lo:[0,1] neg_hi:[0,1]
	v_mov_b32_e32 v32, v39
	v_mov_b32_e32 v7, v42
	v_pk_add_f32 v[44:45], v[38:39], v[6:7] neg_lo:[0,1] neg_hi:[0,1]
	v_mov_b32_e32 v38, v31
	v_mov_b32_e32 v39, v42
	;; [unrolled: 1-line block ×3, first 2 shown]
	v_pk_add_f32 v[32:33], v[32:33], v[38:39] neg_lo:[0,1] neg_hi:[0,1]
	v_mov_b32_e32 v37, v30
	v_pk_add_f32 v[30:31], v[36:37], v[32:33] neg_lo:[0,1] neg_hi:[0,1]
	v_mov_b32_e32 v44, v40
	v_pk_add_f32 v[32:33], v[44:45], v[30:31]
	s_mov_b32 s2, 0x7f800000
	v_mov_b32_e32 v36, v33
	v_pk_add_f32 v[36:37], v[32:33], v[36:37]
	v_cmp_eq_f32_e32 vcc, s2, v46
	v_pk_add_f32 v[34:35], v[34:35], v[36:37]
	v_mov_b32_e32 v31, v36
	v_mov_b32_e32 v33, v34
	v_pk_add_f32 v[38:39], v[32:33], v[40:41] neg_lo:[0,1] neg_hi:[0,1]
	s_mov_b32 s2, 0x33800000
	v_sub_f32_e32 v7, v32, v38
	v_pk_add_f32 v[30:31], v[30:31], v[38:39] neg_lo:[0,1] neg_hi:[0,1]
	v_sub_f32_e32 v7, v40, v7
	v_add_f32_e32 v7, v30, v7
	v_add_f32_e32 v7, v7, v31
	v_cmp_gt_f32_e64 s[60:61], s2, v46
	v_add_f32_e32 v7, v34, v7
	s_or_b64 vcc, s[60:61], vcc
	v_cndmask_b32_e32 v158, v7, v46, vcc
.LBB158_99:                             ;   in Loop: Header=BB158_13 Depth=1
	s_or_b64 exec, exec, s[4:5]
	s_waitcnt lgkmcnt(1)
	v_add_f32_e32 v159, s62, v28
	s_mov_b32 s2, 0x41a00000
	v_cmp_ge_f32_e32 vcc, s2, v159
	v_readlane_b32 s2, v167, 25
	v_readlane_b32 s3, v167, 26
	s_and_b64 s[2:3], s[2:3], vcc
	s_and_saveexec_b64 s[4:5], s[2:3]
	s_cbranch_execz .LBB158_101
; %bb.100:                              ;   in Loop: Header=BB158_13 Depth=1
	v_mul_f32_e32 v7, 0x3fb8aa3b, v159
	v_rndne_f32_e32 v9, v7
	s_mov_b32 s2, 0x3fb8aa3b
	v_sub_f32_e32 v28, v7, v9
	v_fma_f32 v7, v159, s2, -v7
	v_fmac_f32_e32 v7, 0x32a5705f, v159
	v_add_f32_e32 v7, v28, v7
	v_cvt_i32_f32_e32 v9, v9
	v_exp_f32_e32 v7, v7
	s_mov_b32 s2, 0xc2ce8ed0
	v_cmp_ngt_f32_e32 vcc, s2, v159
	s_mov_b32 s2, 0x42b17218
	v_ldexp_f32 v7, v7, v9
	v_cndmask_b32_e32 v7, 0, v7, vcc
	v_cmp_nlt_f32_e32 vcc, s2, v159
	s_mov_b32 s2, 0x3f2aaaab
	s_nop 0
	v_cndmask_b32_e32 v44, v144, v7, vcc
	v_add_f32_e32 v7, 1.0, v44
	v_add_f32_e32 v9, -1.0, v7
	v_sub_f32_e32 v28, v9, v7
	v_add_f32_e32 v28, 1.0, v28
	v_sub_f32_e32 v9, v44, v9
	v_add_f32_e32 v9, v9, v28
	v_frexp_mant_f32_e32 v28, v7
	v_cvt_f64_f32_e32 v[30:31], v7
	v_frexp_exp_i32_f64_e32 v30, v[30:31]
	v_cmp_gt_f32_e32 vcc, s2, v28
	s_mov_b32 s2, 0x3f317218
	s_nop 0
	v_subbrev_co_u32_e32 v28, vcc, 0, v30, vcc
	v_sub_u32_e32 v30, 0, v28
	v_ldexp_f32 v7, v7, v30
	v_ldexp_f32 v9, v9, v30
	v_add_f32_e32 v30, -1.0, v7
	v_add_f32_e32 v31, 1.0, v30
	v_sub_f32_e32 v31, v7, v31
	v_add_f32_e32 v32, v9, v31
	v_add_f32_e32 v31, 1.0, v7
	v_add_f32_e32 v33, -1.0, v31
	v_sub_f32_e32 v7, v7, v33
	v_add_f32_e32 v7, v9, v7
	v_add_f32_e32 v9, v31, v7
	v_rcp_f32_e32 v38, v9
	v_sub_f32_e32 v31, v31, v9
	v_add_f32_e32 v7, v7, v31
	v_add_f32_e32 v31, v30, v32
	v_sub_f32_e32 v30, v30, v31
	v_mul_f32_e32 v40, v31, v38
	v_add_f32_e32 v39, v32, v30
	v_mul_f32_e32 v32, v9, v40
	v_fma_f32 v34, v40, v9, -v32
	v_fmac_f32_e32 v34, v40, v7
	v_add_f32_e32 v30, v32, v34
	v_sub_f32_e32 v33, v31, v30
	v_pk_add_f32 v[36:37], v[30:31], v[32:33] neg_lo:[0,1] neg_hi:[0,1]
	v_mov_b32_e32 v35, v30
	v_pk_add_f32 v[30:31], v[36:37], v[34:35] neg_lo:[0,1] neg_hi:[0,1]
	s_nop 0
	v_add_f32_e32 v31, v39, v31
	v_add_f32_e32 v30, v30, v31
	;; [unrolled: 1-line block ×3, first 2 shown]
	v_mul_f32_e32 v39, v38, v31
	v_mul_f32_e32 v32, v9, v39
	v_fma_f32 v34, v39, v9, -v32
	v_fmac_f32_e32 v34, v39, v7
	v_sub_f32_e32 v7, v33, v31
	v_add_f32_e32 v7, v30, v7
	v_add_f32_e32 v30, v32, v34
	v_sub_f32_e32 v33, v31, v30
	v_pk_add_f32 v[36:37], v[30:31], v[32:33] neg_lo:[0,1] neg_hi:[0,1]
	v_mov_b32_e32 v35, v30
	v_pk_add_f32 v[30:31], v[36:37], v[34:35] neg_lo:[0,1] neg_hi:[0,1]
	s_nop 0
	v_add_f32_e32 v7, v7, v31
	v_add_f32_e32 v7, v30, v7
	;; [unrolled: 1-line block ×4, first 2 shown]
	v_sub_f32_e32 v9, v31, v40
	v_mul_f32_e32 v7, v38, v7
	v_sub_f32_e32 v9, v39, v9
	v_add_f32_e32 v7, v9, v7
	v_add_f32_e32 v32, v31, v7
	v_cvt_f32_i32_e32 v30, v28
	v_mul_f32_e32 v34, v32, v32
	v_fmamk_f32 v9, v34, 0x3e9b6dac, v143
	v_fmaak_f32 v9, v34, v9, 0x3f2aaada
	v_sub_f32_e32 v28, v32, v31
	v_mul_f32_e32 v31, v32, v34
	v_pk_mul_f32 v[34:35], v[30:31], v[8:9]
	v_ldexp_f32 v33, v32, 1
	v_fma_f32 v32, v30, s2, -v34
	v_fmac_f32_e32 v32, 0xb102e308, v30
	v_pk_add_f32 v[30:31], v[34:35], v[32:33]
	v_sub_f32_e32 v7, v7, v28
	v_sub_f32_e32 v9, v31, v33
	v_ldexp_f32 v7, v7, 1
	v_sub_f32_e32 v9, v35, v9
	v_add_f32_e32 v37, v7, v9
	v_mov_b32_e32 v36, v34
	v_pk_add_f32 v[34:35], v[30:31], v[34:35] neg_lo:[0,1] neg_hi:[0,1]
	v_pk_add_f32 v[38:39], v[30:31], v[36:37]
	v_mov_b32_e32 v33, v30
	v_mov_b32_e32 v35, v39
	v_pk_add_f32 v[40:41], v[32:33], v[34:35] neg_lo:[0,1] neg_hi:[0,1]
	v_pk_add_f32 v[32:33], v[32:33], v[34:35]
	s_mov_b32 s2, 0x7f800000
	v_mov_b32_e32 v28, v33
	v_pk_add_f32 v[34:35], v[28:29], v[30:31] neg_lo:[0,1] neg_hi:[0,1]
	v_mov_b32_e32 v32, v39
	v_mov_b32_e32 v7, v34
	v_pk_add_f32 v[42:43], v[38:39], v[6:7] neg_lo:[0,1] neg_hi:[0,1]
	v_mov_b32_e32 v38, v31
	v_mov_b32_e32 v39, v34
	;; [unrolled: 1-line block ×3, first 2 shown]
	v_pk_add_f32 v[32:33], v[32:33], v[38:39] neg_lo:[0,1] neg_hi:[0,1]
	v_mov_b32_e32 v34, v37
	v_mov_b32_e32 v35, v30
	v_pk_add_f32 v[30:31], v[34:35], v[32:33] neg_lo:[0,1] neg_hi:[0,1]
	v_mov_b32_e32 v42, v40
	v_pk_add_f32 v[32:33], v[42:43], v[30:31]
	v_cmp_eq_f32_e32 vcc, s2, v44
	v_mov_b32_e32 v34, v33
	v_pk_add_f32 v[34:35], v[32:33], v[34:35]
	s_mov_b32 s2, 0x33800000
	v_pk_add_f32 v[36:37], v[28:29], v[34:35]
	v_mov_b32_e32 v31, v34
	v_mov_b32_e32 v33, v36
	v_pk_add_f32 v[38:39], v[32:33], v[40:41] neg_lo:[0,1] neg_hi:[0,1]
	v_cmp_gt_f32_e64 s[60:61], s2, v44
	v_sub_f32_e32 v7, v32, v38
	v_pk_add_f32 v[30:31], v[30:31], v[38:39] neg_lo:[0,1] neg_hi:[0,1]
	v_sub_f32_e32 v7, v40, v7
	v_add_f32_e32 v7, v30, v7
	v_add_f32_e32 v7, v7, v31
	;; [unrolled: 1-line block ×3, first 2 shown]
	s_or_b64 vcc, s[60:61], vcc
	v_cndmask_b32_e32 v159, v7, v44, vcc
.LBB158_101:                            ;   in Loop: Header=BB158_13 Depth=1
	s_or_b64 exec, exec, s[4:5]
	v_add_f32_e32 v160, s62, v29
	s_mov_b32 s2, 0x41a00000
	v_cmp_ge_f32_e32 vcc, s2, v160
	v_readlane_b32 s2, v167, 25
	v_readlane_b32 s3, v167, 26
	s_and_b64 s[2:3], s[2:3], vcc
	s_and_saveexec_b64 s[4:5], s[2:3]
	s_cbranch_execz .LBB158_103
; %bb.102:                              ;   in Loop: Header=BB158_13 Depth=1
	v_mul_f32_e32 v7, 0x3fb8aa3b, v160
	v_rndne_f32_e32 v9, v7
	s_mov_b32 s2, 0x3fb8aa3b
	v_sub_f32_e32 v28, v7, v9
	v_fma_f32 v7, v160, s2, -v7
	v_fmac_f32_e32 v7, 0x32a5705f, v160
	v_add_f32_e32 v7, v28, v7
	v_cvt_i32_f32_e32 v9, v9
	v_exp_f32_e32 v7, v7
	s_mov_b32 s2, 0xc2ce8ed0
	v_cmp_ngt_f32_e32 vcc, s2, v160
	s_mov_b32 s2, 0x42b17218
	v_ldexp_f32 v7, v7, v9
	v_cndmask_b32_e32 v7, 0, v7, vcc
	v_cmp_nlt_f32_e32 vcc, s2, v160
	s_mov_b32 s2, 0x3f2aaaab
	s_nop 0
	v_cndmask_b32_e32 v44, v144, v7, vcc
	v_add_f32_e32 v7, 1.0, v44
	v_add_f32_e32 v9, -1.0, v7
	v_sub_f32_e32 v28, v9, v7
	v_add_f32_e32 v28, 1.0, v28
	v_sub_f32_e32 v9, v44, v9
	v_add_f32_e32 v9, v9, v28
	v_frexp_mant_f32_e32 v30, v7
	v_cvt_f64_f32_e32 v[28:29], v7
	v_frexp_exp_i32_f64_e32 v28, v[28:29]
	v_cmp_gt_f32_e32 vcc, s2, v30
	s_mov_b32 s2, 0x3f317218
	s_nop 0
	v_subbrev_co_u32_e32 v36, vcc, 0, v28, vcc
	v_sub_u32_e32 v28, 0, v36
	v_ldexp_f32 v7, v7, v28
	v_ldexp_f32 v9, v9, v28
	v_add_f32_e32 v28, -1.0, v7
	v_add_f32_e32 v29, 1.0, v28
	v_sub_f32_e32 v29, v7, v29
	v_add_f32_e32 v30, v9, v29
	v_add_f32_e32 v29, 1.0, v7
	v_add_f32_e32 v31, -1.0, v29
	v_sub_f32_e32 v7, v7, v31
	v_add_f32_e32 v7, v9, v7
	v_add_f32_e32 v9, v29, v7
	v_rcp_f32_e32 v37, v9
	v_sub_f32_e32 v29, v29, v9
	v_add_f32_e32 v7, v7, v29
	v_add_f32_e32 v29, v28, v30
	v_sub_f32_e32 v28, v28, v29
	v_mul_f32_e32 v39, v29, v37
	v_add_f32_e32 v38, v30, v28
	v_mul_f32_e32 v30, v9, v39
	v_fma_f32 v32, v39, v9, -v30
	v_fmac_f32_e32 v32, v39, v7
	v_add_f32_e32 v28, v30, v32
	v_sub_f32_e32 v31, v29, v28
	v_pk_add_f32 v[34:35], v[28:29], v[30:31] neg_lo:[0,1] neg_hi:[0,1]
	v_mov_b32_e32 v33, v28
	v_pk_add_f32 v[28:29], v[34:35], v[32:33] neg_lo:[0,1] neg_hi:[0,1]
	s_nop 0
	v_add_f32_e32 v29, v38, v29
	v_add_f32_e32 v28, v28, v29
	;; [unrolled: 1-line block ×3, first 2 shown]
	v_mul_f32_e32 v38, v37, v29
	v_mul_f32_e32 v30, v9, v38
	v_fma_f32 v32, v38, v9, -v30
	v_fmac_f32_e32 v32, v38, v7
	v_sub_f32_e32 v7, v31, v29
	v_add_f32_e32 v7, v28, v7
	v_add_f32_e32 v28, v30, v32
	v_sub_f32_e32 v31, v29, v28
	v_pk_add_f32 v[34:35], v[28:29], v[30:31] neg_lo:[0,1] neg_hi:[0,1]
	v_mov_b32_e32 v33, v28
	v_pk_add_f32 v[28:29], v[34:35], v[32:33] neg_lo:[0,1] neg_hi:[0,1]
	s_nop 0
	v_add_f32_e32 v7, v7, v29
	v_add_f32_e32 v7, v28, v7
	;; [unrolled: 1-line block ×4, first 2 shown]
	v_sub_f32_e32 v9, v29, v39
	v_mul_f32_e32 v7, v37, v7
	v_sub_f32_e32 v9, v38, v9
	v_add_f32_e32 v7, v9, v7
	v_add_f32_e32 v30, v29, v7
	v_cvt_f32_i32_e32 v28, v36
	v_mul_f32_e32 v32, v30, v30
	v_fmamk_f32 v9, v32, 0x3e9b6dac, v143
	v_sub_f32_e32 v29, v30, v29
	v_fmaak_f32 v9, v32, v9, 0x3f2aaada
	v_sub_f32_e32 v7, v7, v29
	v_mul_f32_e32 v29, v30, v32
	v_pk_mul_f32 v[32:33], v[28:29], v[8:9]
	v_ldexp_f32 v31, v30, 1
	v_fma_f32 v30, v28, s2, -v32
	v_fmac_f32_e32 v30, 0xb102e308, v28
	v_pk_add_f32 v[28:29], v[32:33], v[30:31]
	v_ldexp_f32 v7, v7, 1
	v_sub_f32_e32 v9, v29, v31
	v_sub_f32_e32 v9, v33, v9
	v_add_f32_e32 v35, v7, v9
	v_mov_b32_e32 v34, v32
	v_pk_add_f32 v[32:33], v[28:29], v[32:33] neg_lo:[0,1] neg_hi:[0,1]
	v_pk_add_f32 v[36:37], v[28:29], v[34:35]
	v_mov_b32_e32 v31, v28
	v_mov_b32_e32 v33, v37
	v_pk_add_f32 v[38:39], v[30:31], v[32:33] neg_lo:[0,1] neg_hi:[0,1]
	v_pk_add_f32 v[30:31], v[30:31], v[32:33]
	v_mov_b32_e32 v34, v35
	v_mov_b32_e32 v32, v31
	v_pk_add_f32 v[40:41], v[32:33], v[28:29] neg_lo:[0,1] neg_hi:[0,1]
	v_mov_b32_e32 v30, v37
	v_mov_b32_e32 v7, v40
	v_pk_add_f32 v[42:43], v[36:37], v[6:7] neg_lo:[0,1] neg_hi:[0,1]
	v_mov_b32_e32 v36, v29
	v_mov_b32_e32 v37, v40
	v_mov_b32_e32 v39, v31
	v_pk_add_f32 v[30:31], v[30:31], v[36:37] neg_lo:[0,1] neg_hi:[0,1]
	v_mov_b32_e32 v35, v28
	v_pk_add_f32 v[28:29], v[34:35], v[30:31] neg_lo:[0,1] neg_hi:[0,1]
	v_mov_b32_e32 v42, v38
	v_pk_add_f32 v[30:31], v[42:43], v[28:29]
	s_mov_b32 s2, 0x7f800000
	v_mov_b32_e32 v34, v31
	v_pk_add_f32 v[34:35], v[30:31], v[34:35]
	v_cmp_eq_f32_e32 vcc, s2, v44
	v_pk_add_f32 v[32:33], v[32:33], v[34:35]
	v_mov_b32_e32 v29, v34
	v_mov_b32_e32 v31, v32
	v_pk_add_f32 v[36:37], v[30:31], v[38:39] neg_lo:[0,1] neg_hi:[0,1]
	s_mov_b32 s2, 0x33800000
	v_sub_f32_e32 v7, v30, v36
	v_pk_add_f32 v[28:29], v[28:29], v[36:37] neg_lo:[0,1] neg_hi:[0,1]
	v_sub_f32_e32 v7, v38, v7
	v_add_f32_e32 v7, v28, v7
	v_add_f32_e32 v7, v7, v29
	v_cmp_gt_f32_e64 s[60:61], s2, v44
	v_add_f32_e32 v7, v32, v7
	s_or_b64 vcc, s[60:61], vcc
	v_cndmask_b32_e32 v160, v7, v44, vcc
.LBB158_103:                            ;   in Loop: Header=BB158_13 Depth=1
	s_or_b64 exec, exec, s[4:5]
	s_waitcnt lgkmcnt(0)
	v_add_f32_e32 v26, s62, v26
	s_mov_b32 s2, 0x41a00000
	v_cmp_ge_f32_e32 vcc, s2, v26
	v_readlane_b32 s2, v167, 25
	v_readlane_b32 s3, v167, 26
	s_and_b64 s[2:3], s[2:3], vcc
	s_and_saveexec_b64 s[4:5], s[2:3]
	s_cbranch_execz .LBB158_105
; %bb.104:                              ;   in Loop: Header=BB158_13 Depth=1
	v_mul_f32_e32 v7, 0x3fb8aa3b, v26
	v_rndne_f32_e32 v9, v7
	s_mov_b32 s2, 0x3fb8aa3b
	v_sub_f32_e32 v28, v7, v9
	v_fma_f32 v7, v26, s2, -v7
	v_fmac_f32_e32 v7, 0x32a5705f, v26
	v_add_f32_e32 v7, v28, v7
	v_cvt_i32_f32_e32 v9, v9
	v_exp_f32_e32 v7, v7
	s_mov_b32 s2, 0xc2ce8ed0
	v_cmp_ngt_f32_e32 vcc, s2, v26
	s_mov_b32 s2, 0x42b17218
	v_ldexp_f32 v7, v7, v9
	v_cndmask_b32_e32 v7, 0, v7, vcc
	v_cmp_nlt_f32_e32 vcc, s2, v26
	s_mov_b32 s2, 0x3f2aaaab
	s_nop 0
	v_cndmask_b32_e32 v42, v144, v7, vcc
	v_add_f32_e32 v7, 1.0, v42
	v_add_f32_e32 v9, -1.0, v7
	v_sub_f32_e32 v26, v9, v7
	v_add_f32_e32 v26, 1.0, v26
	v_sub_f32_e32 v9, v42, v9
	v_add_f32_e32 v9, v9, v26
	v_frexp_mant_f32_e32 v26, v7
	v_cvt_f64_f32_e32 v[28:29], v7
	v_frexp_exp_i32_f64_e32 v28, v[28:29]
	v_cmp_gt_f32_e32 vcc, s2, v26
	s_mov_b32 s2, 0x3f317218
	s_nop 0
	v_subbrev_co_u32_e32 v26, vcc, 0, v28, vcc
	v_sub_u32_e32 v28, 0, v26
	v_ldexp_f32 v7, v7, v28
	v_ldexp_f32 v9, v9, v28
	v_add_f32_e32 v28, -1.0, v7
	v_add_f32_e32 v29, 1.0, v28
	v_sub_f32_e32 v29, v7, v29
	v_add_f32_e32 v30, v9, v29
	v_add_f32_e32 v29, 1.0, v7
	v_add_f32_e32 v31, -1.0, v29
	v_sub_f32_e32 v7, v7, v31
	v_add_f32_e32 v7, v9, v7
	v_add_f32_e32 v9, v29, v7
	v_rcp_f32_e32 v36, v9
	v_sub_f32_e32 v29, v29, v9
	v_add_f32_e32 v7, v7, v29
	v_add_f32_e32 v29, v28, v30
	v_sub_f32_e32 v28, v28, v29
	v_mul_f32_e32 v38, v29, v36
	v_add_f32_e32 v37, v30, v28
	v_mul_f32_e32 v30, v9, v38
	v_fma_f32 v32, v38, v9, -v30
	v_fmac_f32_e32 v32, v38, v7
	v_add_f32_e32 v28, v30, v32
	v_sub_f32_e32 v31, v29, v28
	v_pk_add_f32 v[34:35], v[28:29], v[30:31] neg_lo:[0,1] neg_hi:[0,1]
	v_mov_b32_e32 v33, v28
	v_pk_add_f32 v[28:29], v[34:35], v[32:33] neg_lo:[0,1] neg_hi:[0,1]
	s_nop 0
	v_add_f32_e32 v29, v37, v29
	v_add_f32_e32 v28, v28, v29
	;; [unrolled: 1-line block ×3, first 2 shown]
	v_mul_f32_e32 v37, v36, v29
	v_mul_f32_e32 v30, v9, v37
	v_fma_f32 v32, v37, v9, -v30
	v_fmac_f32_e32 v32, v37, v7
	v_sub_f32_e32 v7, v31, v29
	v_add_f32_e32 v7, v28, v7
	v_add_f32_e32 v28, v30, v32
	v_sub_f32_e32 v31, v29, v28
	v_pk_add_f32 v[34:35], v[28:29], v[30:31] neg_lo:[0,1] neg_hi:[0,1]
	v_mov_b32_e32 v33, v28
	v_pk_add_f32 v[28:29], v[34:35], v[32:33] neg_lo:[0,1] neg_hi:[0,1]
	s_nop 0
	v_add_f32_e32 v7, v7, v29
	v_add_f32_e32 v7, v28, v7
	;; [unrolled: 1-line block ×4, first 2 shown]
	v_sub_f32_e32 v9, v29, v38
	v_mul_f32_e32 v7, v36, v7
	v_sub_f32_e32 v9, v37, v9
	v_add_f32_e32 v7, v9, v7
	v_add_f32_e32 v30, v29, v7
	v_cvt_f32_i32_e32 v28, v26
	v_mul_f32_e32 v32, v30, v30
	v_fmamk_f32 v9, v32, 0x3e9b6dac, v143
	v_fmaak_f32 v9, v32, v9, 0x3f2aaada
	v_sub_f32_e32 v26, v30, v29
	v_mul_f32_e32 v29, v30, v32
	v_pk_mul_f32 v[32:33], v[28:29], v[8:9]
	v_ldexp_f32 v31, v30, 1
	v_fma_f32 v30, v28, s2, -v32
	v_fmac_f32_e32 v30, 0xb102e308, v28
	v_pk_add_f32 v[28:29], v[32:33], v[30:31]
	v_sub_f32_e32 v7, v7, v26
	v_sub_f32_e32 v9, v29, v31
	v_ldexp_f32 v7, v7, 1
	v_sub_f32_e32 v9, v33, v9
	v_add_f32_e32 v35, v7, v9
	v_mov_b32_e32 v34, v32
	v_pk_add_f32 v[32:33], v[28:29], v[32:33] neg_lo:[0,1] neg_hi:[0,1]
	v_pk_add_f32 v[36:37], v[28:29], v[34:35]
	v_mov_b32_e32 v31, v28
	v_mov_b32_e32 v33, v37
	v_pk_add_f32 v[38:39], v[30:31], v[32:33] neg_lo:[0,1] neg_hi:[0,1]
	v_pk_add_f32 v[30:31], v[30:31], v[32:33]
	s_mov_b32 s2, 0x7f800000
	v_mov_b32_e32 v26, v31
	v_pk_add_f32 v[32:33], v[26:27], v[28:29] neg_lo:[0,1] neg_hi:[0,1]
	v_mov_b32_e32 v30, v37
	v_mov_b32_e32 v7, v32
	v_pk_add_f32 v[40:41], v[36:37], v[6:7] neg_lo:[0,1] neg_hi:[0,1]
	v_mov_b32_e32 v36, v29
	v_mov_b32_e32 v37, v32
	v_mov_b32_e32 v39, v31
	v_pk_add_f32 v[30:31], v[30:31], v[36:37] neg_lo:[0,1] neg_hi:[0,1]
	v_mov_b32_e32 v32, v35
	v_mov_b32_e32 v33, v28
	v_pk_add_f32 v[28:29], v[32:33], v[30:31] neg_lo:[0,1] neg_hi:[0,1]
	v_mov_b32_e32 v40, v38
	v_pk_add_f32 v[30:31], v[40:41], v[28:29]
	v_cmp_eq_f32_e32 vcc, s2, v42
	v_mov_b32_e32 v32, v31
	v_pk_add_f32 v[32:33], v[30:31], v[32:33]
	s_mov_b32 s2, 0x33800000
	v_pk_add_f32 v[34:35], v[26:27], v[32:33]
	v_mov_b32_e32 v29, v32
	v_mov_b32_e32 v31, v34
	v_pk_add_f32 v[36:37], v[30:31], v[38:39] neg_lo:[0,1] neg_hi:[0,1]
	v_cmp_gt_f32_e64 s[60:61], s2, v42
	v_sub_f32_e32 v7, v30, v36
	v_pk_add_f32 v[28:29], v[28:29], v[36:37] neg_lo:[0,1] neg_hi:[0,1]
	v_sub_f32_e32 v7, v38, v7
	v_add_f32_e32 v7, v28, v7
	v_add_f32_e32 v7, v7, v29
	;; [unrolled: 1-line block ×3, first 2 shown]
	s_or_b64 vcc, s[60:61], vcc
	v_cndmask_b32_e32 v26, v7, v42, vcc
.LBB158_105:                            ;   in Loop: Header=BB158_13 Depth=1
	s_or_b64 exec, exec, s[4:5]
	v_add_f32_e32 v27, s62, v27
	s_mov_b32 s2, 0x41a00000
	v_cmp_ge_f32_e32 vcc, s2, v27
	v_readlane_b32 s2, v167, 25
	v_readlane_b32 s3, v167, 26
	s_and_b64 s[2:3], s[2:3], vcc
	s_and_saveexec_b64 s[4:5], s[2:3]
	s_cbranch_execz .LBB158_107
; %bb.106:                              ;   in Loop: Header=BB158_13 Depth=1
	v_mul_f32_e32 v7, 0x3fb8aa3b, v27
	v_rndne_f32_e32 v9, v7
	s_mov_b32 s2, 0x3fb8aa3b
	v_sub_f32_e32 v28, v7, v9
	v_fma_f32 v7, v27, s2, -v7
	v_fmac_f32_e32 v7, 0x32a5705f, v27
	v_add_f32_e32 v7, v28, v7
	v_cvt_i32_f32_e32 v9, v9
	v_exp_f32_e32 v7, v7
	s_mov_b32 s2, 0xc2ce8ed0
	v_cmp_ngt_f32_e32 vcc, s2, v27
	s_mov_b32 s2, 0x42b17218
	v_ldexp_f32 v7, v7, v9
	v_cndmask_b32_e32 v7, 0, v7, vcc
	v_cmp_nlt_f32_e32 vcc, s2, v27
	s_mov_b32 s2, 0x3f2aaaab
	s_nop 0
	v_cndmask_b32_e32 v27, v144, v7, vcc
	v_add_f32_e32 v7, 1.0, v27
	v_add_f32_e32 v9, -1.0, v7
	v_sub_f32_e32 v28, v9, v7
	v_add_f32_e32 v28, 1.0, v28
	v_sub_f32_e32 v9, v27, v9
	v_add_f32_e32 v9, v9, v28
	v_frexp_mant_f32_e32 v30, v7
	v_cvt_f64_f32_e32 v[28:29], v7
	v_frexp_exp_i32_f64_e32 v28, v[28:29]
	v_cmp_gt_f32_e32 vcc, s2, v30
	s_mov_b32 s2, 0x3f317218
	s_nop 0
	v_subbrev_co_u32_e32 v36, vcc, 0, v28, vcc
	v_sub_u32_e32 v28, 0, v36
	v_ldexp_f32 v7, v7, v28
	v_ldexp_f32 v9, v9, v28
	v_add_f32_e32 v28, -1.0, v7
	v_add_f32_e32 v29, 1.0, v28
	v_sub_f32_e32 v29, v7, v29
	v_add_f32_e32 v30, v9, v29
	v_add_f32_e32 v29, 1.0, v7
	v_add_f32_e32 v31, -1.0, v29
	v_sub_f32_e32 v7, v7, v31
	v_add_f32_e32 v7, v9, v7
	v_add_f32_e32 v9, v29, v7
	v_rcp_f32_e32 v37, v9
	v_sub_f32_e32 v29, v29, v9
	v_add_f32_e32 v7, v7, v29
	v_add_f32_e32 v29, v28, v30
	v_sub_f32_e32 v28, v28, v29
	v_mul_f32_e32 v39, v29, v37
	v_add_f32_e32 v38, v30, v28
	v_mul_f32_e32 v30, v9, v39
	v_fma_f32 v32, v39, v9, -v30
	v_fmac_f32_e32 v32, v39, v7
	v_add_f32_e32 v28, v30, v32
	v_sub_f32_e32 v31, v29, v28
	v_pk_add_f32 v[34:35], v[28:29], v[30:31] neg_lo:[0,1] neg_hi:[0,1]
	v_mov_b32_e32 v33, v28
	v_pk_add_f32 v[28:29], v[34:35], v[32:33] neg_lo:[0,1] neg_hi:[0,1]
	s_nop 0
	v_add_f32_e32 v29, v38, v29
	v_add_f32_e32 v28, v28, v29
	;; [unrolled: 1-line block ×3, first 2 shown]
	v_mul_f32_e32 v38, v37, v29
	v_mul_f32_e32 v30, v9, v38
	v_fma_f32 v32, v38, v9, -v30
	v_fmac_f32_e32 v32, v38, v7
	v_sub_f32_e32 v7, v31, v29
	v_add_f32_e32 v7, v28, v7
	v_add_f32_e32 v28, v30, v32
	v_sub_f32_e32 v31, v29, v28
	v_pk_add_f32 v[34:35], v[28:29], v[30:31] neg_lo:[0,1] neg_hi:[0,1]
	v_mov_b32_e32 v33, v28
	v_pk_add_f32 v[28:29], v[34:35], v[32:33] neg_lo:[0,1] neg_hi:[0,1]
	s_nop 0
	v_add_f32_e32 v7, v7, v29
	v_add_f32_e32 v7, v28, v7
	;; [unrolled: 1-line block ×4, first 2 shown]
	v_sub_f32_e32 v9, v29, v39
	v_mul_f32_e32 v7, v37, v7
	v_sub_f32_e32 v9, v38, v9
	v_add_f32_e32 v7, v9, v7
	v_add_f32_e32 v30, v29, v7
	v_cvt_f32_i32_e32 v28, v36
	v_mul_f32_e32 v32, v30, v30
	v_fmamk_f32 v9, v32, 0x3e9b6dac, v143
	v_sub_f32_e32 v29, v30, v29
	v_fmaak_f32 v9, v32, v9, 0x3f2aaada
	v_sub_f32_e32 v7, v7, v29
	v_mul_f32_e32 v29, v30, v32
	v_pk_mul_f32 v[32:33], v[28:29], v[8:9]
	v_ldexp_f32 v31, v30, 1
	v_fma_f32 v30, v28, s2, -v32
	v_fmac_f32_e32 v30, 0xb102e308, v28
	v_pk_add_f32 v[28:29], v[32:33], v[30:31]
	v_ldexp_f32 v7, v7, 1
	v_sub_f32_e32 v9, v29, v31
	v_sub_f32_e32 v9, v33, v9
	v_add_f32_e32 v35, v7, v9
	v_mov_b32_e32 v34, v32
	v_pk_add_f32 v[32:33], v[28:29], v[32:33] neg_lo:[0,1] neg_hi:[0,1]
	v_pk_add_f32 v[36:37], v[28:29], v[34:35]
	v_mov_b32_e32 v31, v28
	v_mov_b32_e32 v33, v37
	v_pk_add_f32 v[38:39], v[30:31], v[32:33] neg_lo:[0,1] neg_hi:[0,1]
	v_pk_add_f32 v[30:31], v[30:31], v[32:33]
	v_mov_b32_e32 v34, v35
	v_mov_b32_e32 v32, v31
	v_pk_add_f32 v[40:41], v[32:33], v[28:29] neg_lo:[0,1] neg_hi:[0,1]
	v_mov_b32_e32 v30, v37
	v_mov_b32_e32 v7, v40
	v_pk_add_f32 v[42:43], v[36:37], v[6:7] neg_lo:[0,1] neg_hi:[0,1]
	v_mov_b32_e32 v36, v29
	v_mov_b32_e32 v37, v40
	;; [unrolled: 1-line block ×3, first 2 shown]
	v_pk_add_f32 v[30:31], v[30:31], v[36:37] neg_lo:[0,1] neg_hi:[0,1]
	v_mov_b32_e32 v35, v28
	v_pk_add_f32 v[28:29], v[34:35], v[30:31] neg_lo:[0,1] neg_hi:[0,1]
	v_mov_b32_e32 v42, v38
	v_pk_add_f32 v[30:31], v[42:43], v[28:29]
	s_mov_b32 s2, 0x7f800000
	v_mov_b32_e32 v34, v31
	v_pk_add_f32 v[34:35], v[30:31], v[34:35]
	v_cmp_eq_f32_e32 vcc, s2, v27
	v_pk_add_f32 v[32:33], v[32:33], v[34:35]
	v_mov_b32_e32 v29, v34
	v_mov_b32_e32 v31, v32
	v_pk_add_f32 v[36:37], v[30:31], v[38:39] neg_lo:[0,1] neg_hi:[0,1]
	s_mov_b32 s2, 0x33800000
	v_sub_f32_e32 v7, v30, v36
	v_pk_add_f32 v[28:29], v[28:29], v[36:37] neg_lo:[0,1] neg_hi:[0,1]
	v_sub_f32_e32 v7, v38, v7
	v_add_f32_e32 v7, v28, v7
	v_add_f32_e32 v7, v7, v29
	v_cmp_gt_f32_e64 s[60:61], s2, v27
	v_add_f32_e32 v7, v32, v7
	s_or_b64 vcc, s[60:61], vcc
	v_cndmask_b32_e32 v27, v7, v27, vcc
.LBB158_107:                            ;   in Loop: Header=BB158_13 Depth=1
	s_or_b64 exec, exec, s[4:5]
	v_readlane_b32 s2, v167, 2
	s_barrier
	s_nop 0
	v_mul_f32_e32 v28, s2, v24
	v_mul_f32_e32 v31, s2, v23
	;; [unrolled: 1-line block ×16, first 2 shown]
	v_readlane_b32 s2, v167, 28
	v_readlane_b32 s3, v167, 29
	s_and_b64 vcc, exec, s[2:3]
	s_cbranch_vccz .LBB158_204
; %bb.108:                              ;   in Loop: Header=BB158_13 Depth=1
	v_writelane_b32 v167, s16, 59
	s_cmp_lg_u32 s10, 0
	s_cselect_b64 s[94:95], -1, 0
	v_writelane_b32 v167, s17, 60
	v_writelane_b32 v167, s12, 61
	v_lshl_add_u64 v[44:45], s[16:17], 0, v[0:1]
	v_cmp_gt_u32_e32 vcc, s88, v3
	v_writelane_b32 v167, s13, 62
	v_lshl_add_u64 v[46:47], s[12:13], 0, v[0:1]
	v_readlane_b32 s2, v167, 32
	v_writelane_b32 v167, s10, 63
	s_cmp_eq_u32 s10, s2
	v_readlane_b32 s2, v167, 33
	v_readlane_b32 s3, v167, 34
	v_or_b32_e32 v0, 1, v3
	s_cselect_b64 s[96:97], -1, 0
	s_or_b64 s[60:61], s[2:3], vcc
	v_cmp_gt_u32_e32 vcc, s88, v0
	v_or_b32_e32 v0, 2, v3
	s_or_b64 s[62:63], s[2:3], vcc
	v_cmp_gt_u32_e32 vcc, s88, v0
	v_or_b32_e32 v0, 3, v3
	;; [unrolled: 3-line block ×14, first 2 shown]
	v_mov_b32_e32 v7, v1
	s_mov_b32 s6, 0
	v_cmp_gt_u32_e64 s[88:89], s88, v0
	v_mul_f32_e32 v9, v25, v27
	v_lshl_add_u64 v[44:45], v[44:45], 0, v[6:7]
	v_lshl_add_u64 v[46:47], v[46:47], 0, v[6:7]
	v_mul_f32_e32 v7, v24, v26
	v_mul_f32_e32 v161, v23, v160
	;; [unrolled: 1-line block ×15, first 2 shown]
	s_or_b64 s[88:89], s[2:3], s[88:89]
	s_or_b64 s[90:91], s[2:3], vcc
	s_mov_b32 s92, s6
	s_mov_b32 s98, s6
	;; [unrolled: 1-line block ×3, first 2 shown]
	v_readlane_b32 s8, v167, 27
	v_readlane_b32 s9, v167, 53
	s_branch .LBB158_110
.LBB158_109:                            ;   in Loop: Header=BB158_110 Depth=2
	s_or_b64 exec, exec, s[2:3]
	v_cndmask_b32_e64 v0, v0, v75, s[24:25]
	v_cndmask_b32_e64 v50, v56, v74, s[24:25]
	v_mul_f32_e32 v50, v50, v136
	v_fma_f32 v0, v0, v136, v48
	v_cndmask_b32_e64 v48, v0, v48, s[22:23]
	v_cndmask_b32_e64 v0, v50, v136, s[22:23]
	s_waitcnt lgkmcnt(0)
	v_fmac_f32_e32 v48, v69, v0
	v_fmac_f32_e32 v49, v48, v137
	;; [unrolled: 1-line block ×10, first 2 shown]
	v_readlane_b32 s12, v167, 19
	v_fmac_f32_e32 v64, v63, v80
	v_readlane_b32 s13, v167, 20
	v_readlane_b32 s14, v167, 21
	;; [unrolled: 1-line block ×3, first 2 shown]
	v_fmac_f32_e32 v65, v64, v81
	s_add_i32 s4, s4, s14
	v_readlane_b32 s12, v167, 15
	v_fmac_f32_e32 v60, v65, v68
	v_readlane_b32 s13, v167, 16
	v_readlane_b32 s14, v167, 17
	;; [unrolled: 1-line block ×3, first 2 shown]
	v_fmac_f32_e32 v61, v60, v66
	s_add_i32 s98, s98, s12
	v_readlane_b32 s12, v167, 7
	v_fmac_f32_e32 v67, v61, v70
	v_readlane_b32 s13, v167, 8
	v_readlane_b32 s16, v167, 11
	v_fmac_f32_e32 v57, v67, v71
	v_mov_b32_e32 v56, v67
	s_add_i32 s9, s9, 8
	s_add_i32 s8, s8, -1
	s_add_i32 s92, s92, s16
	s_add_i32 s6, s6, s13
	v_pk_fma_f32 v[42:43], v[24:25], v[48:49], v[42:43]
	v_pk_fma_f32 v[40:41], v[22:23], v[52:53], v[40:41]
	;; [unrolled: 1-line block ×7, first 2 shown]
	s_cmp_eq_u32 s8, 0
	v_pk_fma_f32 v[28:29], v[10:11], v[56:57], v[28:29]
	v_readlane_b32 s14, v167, 9
	v_readlane_b32 s15, v167, 10
	;; [unrolled: 1-line block ×5, first 2 shown]
	s_cbranch_scc1 .LBB158_203
.LBB158_110:                            ;   Parent Loop BB158_13 Depth=1
                                        ; =>  This Inner Loop Header: Depth=2
	s_lshl_b64 s[2:3], s[6:7], 2
	v_readlane_b32 s5, v167, 5
	s_add_u32 s2, s5, s2
	v_readlane_b32 s5, v167, 6
	s_addc_u32 s3, s5, s3
	global_load_dword v0, v1, s[2:3]
	s_mov_b32 s93, s7
	v_lshl_add_u64 v[10:11], s[92:93], 2, v[44:45]
	v_mov_b32_e32 v12, 0
	v_mov_b32_e32 v13, 0
	s_and_saveexec_b64 s[2:3], s[26:27]
	s_cbranch_execz .LBB158_112
; %bb.111:                              ;   in Loop: Header=BB158_110 Depth=2
	global_load_dword v13, v[10:11], off
.LBB158_112:                            ;   in Loop: Header=BB158_110 Depth=2
	s_or_b64 exec, exec, s[2:3]
	s_and_saveexec_b64 s[2:3], s[28:29]
	s_cbranch_execz .LBB158_114
; %bb.113:                              ;   in Loop: Header=BB158_110 Depth=2
	global_load_dword v12, v[10:11], off offset:256
.LBB158_114:                            ;   in Loop: Header=BB158_110 Depth=2
	s_or_b64 exec, exec, s[2:3]
	v_mov_b32_e32 v14, 0
	v_mov_b32_e32 v15, 0
	s_and_saveexec_b64 s[2:3], s[30:31]
	s_cbranch_execz .LBB158_116
; %bb.115:                              ;   in Loop: Header=BB158_110 Depth=2
	global_load_dword v15, v[10:11], off offset:512
.LBB158_116:                            ;   in Loop: Header=BB158_110 Depth=2
	s_or_b64 exec, exec, s[2:3]
	s_and_saveexec_b64 s[2:3], s[34:35]
	s_cbranch_execz .LBB158_118
; %bb.117:                              ;   in Loop: Header=BB158_110 Depth=2
	global_load_dword v14, v[10:11], off offset:768
.LBB158_118:                            ;   in Loop: Header=BB158_110 Depth=2
	s_or_b64 exec, exec, s[2:3]
	v_mov_b32_e32 v16, 0
	v_mov_b32_e32 v17, 0
	s_and_saveexec_b64 s[2:3], s[36:37]
	s_cbranch_execz .LBB158_120
; %bb.119:                              ;   in Loop: Header=BB158_110 Depth=2
	global_load_dword v17, v[10:11], off offset:1024
.LBB158_120:                            ;   in Loop: Header=BB158_110 Depth=2
	;; [unrolled: 14-line block ×7, first 2 shown]
	s_or_b64 exec, exec, s[2:3]
	s_and_saveexec_b64 s[2:3], s[58:59]
	s_cbranch_execz .LBB158_142
; %bb.141:                              ;   in Loop: Header=BB158_110 Depth=2
	global_load_dword v48, v[10:11], off offset:3840
.LBB158_142:                            ;   in Loop: Header=BB158_110 Depth=2
	s_or_b64 exec, exec, s[2:3]
	s_waitcnt vmcnt(0)
	ds_write_b32 v92, v13
	ds_write_b32 v93, v12 offset:256
	ds_write_b32 v94, v15 offset:512
	;; [unrolled: 1-line block ×15, first 2 shown]
	; wave barrier
	ds_read2_b32 v[48:49], v108 offset1:1
	ds_read2_b32 v[52:53], v108 offset0:2 offset1:3
	ds_read2_b32 v[54:55], v108 offset0:4 offset1:5
	;; [unrolled: 1-line block ×7, first 2 shown]
	s_mov_b32 s99, s7
	v_lshl_add_u64 v[10:11], s[98:99], 2, v[46:47]
	v_mov_b32_e32 v12, 0
	v_mov_b32_e32 v13, 0
	s_and_saveexec_b64 s[2:3], s[26:27]
	s_cbranch_execz .LBB158_144
; %bb.143:                              ;   in Loop: Header=BB158_110 Depth=2
	global_load_dword v13, v[10:11], off
.LBB158_144:                            ;   in Loop: Header=BB158_110 Depth=2
	s_or_b64 exec, exec, s[2:3]
	s_and_saveexec_b64 s[2:3], s[28:29]
	s_cbranch_execz .LBB158_146
; %bb.145:                              ;   in Loop: Header=BB158_110 Depth=2
	global_load_dword v12, v[10:11], off offset:256
.LBB158_146:                            ;   in Loop: Header=BB158_110 Depth=2
	s_or_b64 exec, exec, s[2:3]
	v_mov_b32_e32 v14, 0
	v_mov_b32_e32 v15, 0
	s_and_saveexec_b64 s[2:3], s[30:31]
	s_cbranch_execz .LBB158_148
; %bb.147:                              ;   in Loop: Header=BB158_110 Depth=2
	global_load_dword v15, v[10:11], off offset:512
.LBB158_148:                            ;   in Loop: Header=BB158_110 Depth=2
	s_or_b64 exec, exec, s[2:3]
	s_and_saveexec_b64 s[2:3], s[34:35]
	s_cbranch_execz .LBB158_150
; %bb.149:                              ;   in Loop: Header=BB158_110 Depth=2
	global_load_dword v14, v[10:11], off offset:768
.LBB158_150:                            ;   in Loop: Header=BB158_110 Depth=2
	s_or_b64 exec, exec, s[2:3]
	v_mov_b32_e32 v16, 0
	v_mov_b32_e32 v17, 0
	s_and_saveexec_b64 s[2:3], s[36:37]
	s_cbranch_execz .LBB158_152
; %bb.151:                              ;   in Loop: Header=BB158_110 Depth=2
	global_load_dword v17, v[10:11], off offset:1024
.LBB158_152:                            ;   in Loop: Header=BB158_110 Depth=2
	;; [unrolled: 14-line block ×7, first 2 shown]
	s_or_b64 exec, exec, s[2:3]
	s_and_saveexec_b64 s[2:3], s[58:59]
	s_cbranch_execz .LBB158_174
; %bb.173:                              ;   in Loop: Header=BB158_110 Depth=2
	global_load_dword v50, v[10:11], off offset:3840
.LBB158_174:                            ;   in Loop: Header=BB158_110 Depth=2
	s_or_b64 exec, exec, s[2:3]
	v_add_u32_e32 v10, 0x2100, v108
	s_waitcnt vmcnt(0)
	ds_write_b32 v92, v13 offset:8448
	ds_write_b32 v109, v12 offset:256
	;; [unrolled: 1-line block ×16, first 2 shown]
	; wave barrier
	ds_read2_b32 v[22:23], v124 offset0:2 offset1:3
	ds_read2_b32 v[20:21], v124 offset0:4 offset1:5
	;; [unrolled: 1-line block ×6, first 2 shown]
	ds_read2_b32 v[24:25], v10 offset1:1
	ds_read2_b32 v[10:11], v124 offset0:14 offset1:15
	s_andn2_b64 vcc, exec, s[94:95]
	s_cbranch_vccnz .LBB158_176
; %bb.175:                              ;   in Loop: Header=BB158_110 Depth=2
	v_mov_b32_e32 v50, s9
	ds_read_b64 v[50:51], v50
	s_cbranch_execz .LBB158_177
	s_branch .LBB158_180
.LBB158_176:                            ;   in Loop: Header=BB158_110 Depth=2
                                        ; implicit-def: $vgpr51
.LBB158_177:                            ;   in Loop: Header=BB158_110 Depth=2
	v_readlane_b32 s2, v167, 0
	v_readlane_b32 s3, v167, 1
	s_andn2_b64 vcc, exec, s[2:3]
	s_waitcnt lgkmcnt(0)
	v_mov_b32_e32 v51, 0
	s_cbranch_vccnz .LBB158_179
; %bb.178:                              ;   in Loop: Header=BB158_110 Depth=2
	s_mov_b32 s5, s7
	s_lshl_b64 s[2:3], s[4:5], 2
	v_readlane_b32 s5, v167, 23
	s_add_u32 s2, s5, s2
	v_readlane_b32 s5, v167, 24
	s_addc_u32 s3, s5, s3
	global_load_dword v51, v1, s[2:3]
.LBB158_179:                            ;   in Loop: Header=BB158_110 Depth=2
	v_mov_b32_e32 v50, 1.0
.LBB158_180:                            ;   in Loop: Header=BB158_110 Depth=2
	v_mul_f32_e32 v0, 0x3fb8aa3b, v0
	v_mul_f32_e32 v66, v0, v147
	v_cmp_gt_f32_e32 vcc, s33, v66
	v_pk_mul_f32 v[70:71], v[0:1], v[26:27] op_sel_hi:[0,1]
	s_waitcnt lgkmcnt(14)
	v_mul_f32_e32 v48, v48, v135
	v_cndmask_b32_e32 v66, 0, v145, vcc
	v_fmac_f32_e32 v66, v0, v147
	v_exp_f32_e32 v66, v66
	v_cndmask_b32_e32 v67, 1.0, v146, vcc
	v_mul_f32_e32 v49, v49, v134
	v_cndmask_b32_e64 v48, 0, v48, s[60:61]
	v_mul_f32_e32 v66, v66, v67
	v_cndmask_b32_e64 v136, 1.0, v66, s[60:61]
	v_mul_f32_e32 v66, v0, v148
	v_cmp_gt_f32_e32 vcc, s33, v66
	v_cndmask_b32_e64 v49, 0, v49, s[62:63]
	v_mul_f32_e32 v52, v52, v133
	v_cndmask_b32_e32 v66, 0, v145, vcc
	v_fmac_f32_e32 v66, v0, v148
	v_exp_f32_e32 v66, v66
	v_cndmask_b32_e32 v67, 1.0, v146, vcc
	v_cndmask_b32_e64 v52, 0, v52, s[64:65]
	v_mul_f32_e32 v53, v53, v132
	v_mul_f32_e32 v66, v66, v67
	v_cndmask_b32_e64 v137, 1.0, v66, s[62:63]
	v_mul_f32_e32 v66, v0, v149
	v_cmp_gt_f32_e32 vcc, s33, v66
	v_cndmask_b32_e64 v53, 0, v53, s[66:67]
	v_mul_f32_e32 v54, v54, v131
	v_cndmask_b32_e32 v66, 0, v145, vcc
	v_fmac_f32_e32 v66, v0, v149
	v_exp_f32_e32 v66, v66
	v_cndmask_b32_e32 v67, 1.0, v146, vcc
	v_cndmask_b32_e64 v54, 0, v54, s[68:69]
	v_mul_f32_e32 v55, v55, v130
	;; [unrolled: 12-line block ×6, first 2 shown]
	v_mul_f32_e32 v66, v66, v67
	v_cndmask_b32_e64 v142, 1.0, v66, s[72:73]
	v_mul_f32_e32 v66, v0, v154
	v_cmp_gt_f32_e32 vcc, s33, v66
	v_cndmask_b32_e64 v61, 0, v61, s[86:87]
	v_mul_f32_e32 v57, v57, v9
	v_cndmask_b32_e32 v66, 0, v145, vcc
	v_fmac_f32_e32 v66, v0, v154
	v_exp_f32_e32 v66, v66
	v_cndmask_b32_e32 v67, 1.0, v146, vcc
	v_cndmask_b32_e64 v57, 0, v57, s[88:89]
	v_readlane_b32 s10, v167, 35
	v_mul_f32_e32 v66, v66, v67
	v_cndmask_b32_e64 v77, 1.0, v66, s[74:75]
	v_mul_f32_e32 v66, v0, v155
	v_cmp_gt_f32_e32 vcc, s33, v66
	v_readlane_b32 s11, v167, 36
	s_nop 0
	v_cndmask_b32_e32 v66, 0, v145, vcc
	v_fmac_f32_e32 v66, v0, v155
	v_exp_f32_e32 v66, v66
	v_cndmask_b32_e32 v67, 1.0, v146, vcc
	v_mul_f32_e32 v66, v66, v67
	v_cndmask_b32_e64 v78, 1.0, v66, s[76:77]
	v_mul_f32_e32 v66, v0, v156
	v_cmp_gt_f32_e32 vcc, s33, v66
	s_nop 1
	v_cndmask_b32_e32 v66, 0, v145, vcc
	v_fmac_f32_e32 v66, v0, v156
	v_exp_f32_e32 v66, v66
	v_cndmask_b32_e32 v67, 1.0, v146, vcc
	v_mul_f32_e32 v66, v66, v67
	v_cndmask_b32_e64 v79, 1.0, v66, s[78:79]
	v_mul_f32_e32 v66, v0, v157
	v_cmp_gt_f32_e32 vcc, s33, v66
	;; [unrolled: 9-line block ×5, first 2 shown]
	s_nop 1
	v_cndmask_b32_e32 v66, 0, v145, vcc
	v_fmac_f32_e32 v66, v0, v160
	v_exp_f32_e32 v66, v66
	v_cndmask_b32_e32 v67, 1.0, v146, vcc
	v_mul_f32_e32 v0, v56, v7
	v_cmp_gt_f32_e32 vcc, s33, v70
	v_mul_f32_e32 v66, v66, v67
	v_cndmask_b32_e64 v67, 0, v0, s[90:91]
	v_cndmask_b32_e32 v0, 0, v145, vcc
	v_add_f32_e32 v0, v70, v0
	v_exp_f32_e32 v0, v0
	v_cndmask_b32_e32 v56, 1.0, v146, vcc
	v_cmp_gt_f32_e32 vcc, s33, v71
	v_cndmask_b32_e64 v66, 1.0, v66, s[86:87]
	v_mul_f32_e32 v0, v0, v56
	v_cndmask_b32_e32 v56, 0, v145, vcc
	v_add_f32_e32 v56, v71, v56
	v_exp_f32_e32 v56, v56
	v_cndmask_b32_e32 v69, 1.0, v146, vcc
	v_cndmask_b32_e64 v70, 1.0, v0, s[90:91]
	v_mul_f32_e32 v0, v137, v136
	v_mul_f32_e32 v56, v56, v69
	v_cndmask_b32_e64 v71, 1.0, v56, s[88:89]
	v_fma_f32 v56, v137, v48, v49
	v_mul_f32_e32 v0, v0, v138
	v_fma_f32 v56, v56, v138, v52
	v_mul_f32_e32 v0, v0, v139
	;; [unrolled: 2-line block ×10, first 2 shown]
	v_fma_f32 v0, v56, v81, v65
	v_fma_f32 v0, v0, v68, v60
	;; [unrolled: 1-line block ×3, first 2 shown]
	v_mov_b32_e32 v69, v70
	v_pk_mul_f32 v[82:83], v[72:73], v[68:69]
	v_pk_fma_f32 v[72:73], v[72:73], v[68:69], v[66:67]
	v_pk_mul_f32 v[82:83], v[82:83], v[66:67]
	v_mov_b32_e32 v74, v71
	v_mov_b32_e32 v83, v73
	;; [unrolled: 1-line block ×3, first 2 shown]
	v_pk_mul_f32 v[72:73], v[82:83], v[70:71]
	v_mov_b32_e32 v56, v71
	v_pk_mul_f32 v[74:75], v[72:73], v[74:75]
	v_pk_fma_f32 v[72:73], v[82:83], v[70:71], v[56:57]
	s_nop 0
	v_mov_b32_dpp v0, v74 row_shr:1 row_mask:0xf bank_mask:0xf
	v_mov_b32_dpp v56, v73 row_shr:1 row_mask:0xf bank_mask:0xf
	v_mul_f32_e32 v69, v74, v0
	v_fma_f32 v56, v74, v56, v73
	v_cndmask_b32_e64 v72, v69, v74, s[0:1]
	v_cndmask_b32_e64 v75, v56, v73, s[0:1]
	;; [unrolled: 1-line block ×4, first 2 shown]
	v_mov_b32_dpp v69, v75 row_shr:2 row_mask:0xf bank_mask:0xf
	v_mov_b32_dpp v56, v74 row_shr:2 row_mask:0xf bank_mask:0xf
	s_and_saveexec_b64 s[2:3], s[10:11]
; %bb.181:                              ;   in Loop: Header=BB158_110 Depth=2
	v_fmac_f32_e32 v75, v74, v69
	v_mul_f32_e32 v74, v74, v56
	v_mov_b32_e32 v72, v74
	v_mov_b32_e32 v0, v75
; %bb.182:                              ;   in Loop: Header=BB158_110 Depth=2
	s_or_b64 exec, exec, s[2:3]
	v_readlane_b32 s10, v167, 37
	v_mov_b32_dpp v56, v74 row_shr:4 row_mask:0xf bank_mask:0xf
	v_mov_b32_dpp v69, v75 row_shr:4 row_mask:0xf bank_mask:0xf
	v_readlane_b32 s11, v167, 38
	s_and_saveexec_b64 s[2:3], s[10:11]
; %bb.183:                              ;   in Loop: Header=BB158_110 Depth=2
	v_fmac_f32_e32 v75, v74, v69
	v_mul_f32_e32 v74, v74, v56
	v_mov_b32_e32 v72, v74
	v_mov_b32_e32 v0, v75
; %bb.184:                              ;   in Loop: Header=BB158_110 Depth=2
	s_or_b64 exec, exec, s[2:3]
	v_readlane_b32 s10, v167, 39
	v_mov_b32_dpp v56, v74 row_shr:8 row_mask:0xf bank_mask:0xf
	v_mov_b32_dpp v69, v75 row_shr:8 row_mask:0xf bank_mask:0xf
	v_readlane_b32 s11, v167, 40
	s_and_saveexec_b64 s[2:3], s[10:11]
; %bb.185:                              ;   in Loop: Header=BB158_110 Depth=2
	v_fmac_f32_e32 v75, v74, v69
	v_mul_f32_e32 v74, v74, v56
	v_mov_b32_e32 v72, v74
	v_mov_b32_e32 v0, v75
; %bb.186:                              ;   in Loop: Header=BB158_110 Depth=2
	s_or_b64 exec, exec, s[2:3]
	v_readlane_b32 s10, v167, 41
	v_mov_b32_dpp v56, v74 row_bcast:15 row_mask:0xf bank_mask:0xf
	v_mov_b32_dpp v69, v75 row_bcast:15 row_mask:0xf bank_mask:0xf
	v_readlane_b32 s11, v167, 42
	s_and_saveexec_b64 s[2:3], s[10:11]
; %bb.187:                              ;   in Loop: Header=BB158_110 Depth=2
	v_fmac_f32_e32 v75, v74, v69
	v_mul_f32_e32 v74, v74, v56
	v_mov_b32_e32 v72, v74
	v_mov_b32_e32 v0, v75
; %bb.188:                              ;   in Loop: Header=BB158_110 Depth=2
	s_or_b64 exec, exec, s[2:3]
	v_readlane_b32 s10, v167, 43
	v_mov_b32_dpp v69, v74 row_bcast:31 row_mask:0xf bank_mask:0xf
	v_mov_b32_dpp v56, v75 row_bcast:31 row_mask:0xf bank_mask:0xf
	v_readlane_b32 s11, v167, 44
	s_and_saveexec_b64 s[2:3], s[10:11]
; %bb.189:                              ;   in Loop: Header=BB158_110 Depth=2
	v_fmac_f32_e32 v75, v74, v56
	v_mul_f32_e32 v72, v74, v69
	v_mov_b32_e32 v73, v75
	v_mov_b32_e32 v0, v75
	v_mov_b64_e32 v[74:75], v[72:73]
; %bb.190:                              ;   in Loop: Header=BB158_110 Depth=2
	s_or_b64 exec, exec, s[2:3]
	v_readlane_b32 s10, v167, 45
	v_readlane_b32 s11, v167, 46
	s_and_saveexec_b64 s[2:3], s[10:11]
	s_cbranch_execz .LBB158_192
; %bb.191:                              ;   in Loop: Header=BB158_110 Depth=2
	ds_write_b64 v125, v[74:75] offset:16896
.LBB158_192:                            ;   in Loop: Header=BB158_110 Depth=2
	s_or_b64 exec, exec, s[2:3]
	v_readlane_b32 s10, v167, 47
	v_readlane_b32 s11, v167, 48
	s_waitcnt lgkmcnt(0)
	s_barrier
	s_and_saveexec_b64 s[2:3], s[10:11]
	s_cbranch_execz .LBB158_194
; %bb.193:                              ;   in Loop: Header=BB158_110 Depth=2
	ds_read_b64 v[74:75], v126 offset:16896
	v_readlane_b32 s10, v167, 49
	v_readlane_b32 s11, v167, 50
	s_waitcnt lgkmcnt(0)
	v_mov_b32_dpp v56, v74 row_shr:1 row_mask:0xf bank_mask:0xf
	v_mov_b32_dpp v69, v75 row_shr:1 row_mask:0xf bank_mask:0xf
	v_fma_f32 v69, v74, v69, v75
	v_mul_f32_e32 v56, v74, v56
	v_cndmask_b32_e64 v74, v56, v74, s[10:11]
	v_cndmask_b32_e64 v75, v69, v75, s[10:11]
	ds_write_b64 v126, v[74:75] offset:16896
.LBB158_194:                            ;   in Loop: Header=BB158_110 Depth=2
	s_or_b64 exec, exec, s[2:3]
	s_waitcnt lgkmcnt(0)
	s_barrier
	s_waitcnt lgkmcnt(0)
                                        ; implicit-def: $vgpr74
	s_and_saveexec_b64 s[2:3], s[20:21]
	s_cbranch_execz .LBB158_196
; %bb.195:                              ;   in Loop: Header=BB158_110 Depth=2
	ds_read_b64 v[74:75], v125 offset:16888
	s_waitcnt lgkmcnt(0)
	v_mul_f32_e32 v56, v72, v74
	v_fmac_f32_e32 v0, v72, v75
	v_mov_b32_e32 v72, v56
.LBB158_196:                            ;   in Loop: Header=BB158_110 Depth=2
	s_or_b64 exec, exec, s[2:3]
	ds_bpermute_b32 v56, v127, v72
	ds_bpermute_b32 v0, v127, v0
	v_readlane_b32 s10, v167, 51
	s_waitcnt vmcnt(0)
	v_mov_b32_e32 v73, v51
	v_readlane_b32 s11, v167, 52
	s_and_saveexec_b64 s[2:3], s[10:11]
	s_cbranch_execz .LBB158_200
; %bb.197:                              ;   in Loop: Header=BB158_110 Depth=2
	ds_read_b64 v[72:73], v1 offset:16904
	s_and_saveexec_b64 vcc, s[22:23]
	s_cbranch_execz .LBB158_199
; %bb.198:                              ;   in Loop: Header=BB158_110 Depth=2
	ds_write_b64 v1, v[50:51] offset:16904
.LBB158_199:                            ;   in Loop: Header=BB158_110 Depth=2
	s_or_b64 exec, exec, vcc
	s_waitcnt lgkmcnt(0)
	v_fmac_f32_e32 v73, v51, v72
	v_mul_f32_e32 v50, v50, v72
	v_mov_b32_e32 v51, v73
.LBB158_200:                            ;   in Loop: Header=BB158_110 Depth=2
	s_or_b64 exec, exec, s[2:3]
	s_waitcnt lgkmcnt(0)
	s_barrier
	ds_read_b32 v69, v1 offset:16908
	s_and_saveexec_b64 s[2:3], s[22:23]
	s_cbranch_execz .LBB158_109
; %bb.201:                              ;   in Loop: Header=BB158_110 Depth=2
	v_mov_b32_e32 v72, s9
	s_andn2_b64 vcc, exec, s[96:97]
	ds_write_b64 v72, v[50:51]
	s_cbranch_vccnz .LBB158_109
; %bb.202:                              ;   in Loop: Header=BB158_110 Depth=2
	s_mov_b32 s5, s7
	s_lshl_b64 s[10:11], s[4:5], 2
	v_readlane_b32 s5, v167, 23
	s_add_u32 s10, s5, s10
	v_readlane_b32 s5, v167, 24
	s_addc_u32 s11, s5, s11
	global_store_dword v1, v73, s[10:11]
	s_branch .LBB158_109
.LBB158_203:                            ;   in Loop: Header=BB158_13 Depth=1
	v_readlane_b32 s16, v167, 59
	v_readlane_b32 s12, v167, 61
	;; [unrolled: 1-line block ×6, first 2 shown]
.LBB158_204:                            ;   in Loop: Header=BB158_13 Depth=1
	s_barrier
	ds_write2_b32 v108, v42, v43 offset1:1
	ds_write2_b32 v108, v40, v41 offset0:2 offset1:3
	ds_write2_b32 v108, v38, v39 offset0:4 offset1:5
	;; [unrolled: 1-line block ×7, first 2 shown]
	; wave barrier
	ds_read_b32 v23, v93 offset:256
	ds_read_b32 v22, v94 offset:512
	;; [unrolled: 1-line block ×15, first 2 shown]
	v_readlane_b32 s2, v167, 55
	v_readlane_b32 s3, v167, 56
	s_mov_b32 s3, s7
	s_nop 0
	v_lshl_add_u64 v[10:11], s[2:3], 2, v[4:5]
	s_and_saveexec_b64 s[2:3], s[26:27]
	s_cbranch_execz .LBB158_206
; %bb.205:                              ;   in Loop: Header=BB158_13 Depth=1
	ds_read_b32 v24, v92
	s_waitcnt lgkmcnt(0)
	global_store_dword v[10:11], v24, off
.LBB158_206:                            ;   in Loop: Header=BB158_13 Depth=1
	s_or_b64 exec, exec, s[2:3]
	s_and_saveexec_b64 s[2:3], s[28:29]
	v_readlane_b32 s8, v167, 57
	v_readlane_b32 s9, v167, 58
	s_cbranch_execnz .LBB158_223
; %bb.207:                              ;   in Loop: Header=BB158_13 Depth=1
	s_or_b64 exec, exec, s[2:3]
	s_and_saveexec_b64 s[2:3], s[30:31]
	s_cbranch_execnz .LBB158_224
.LBB158_208:                            ;   in Loop: Header=BB158_13 Depth=1
	s_or_b64 exec, exec, s[2:3]
	s_and_saveexec_b64 s[2:3], s[34:35]
	s_cbranch_execnz .LBB158_225
.LBB158_209:                            ;   in Loop: Header=BB158_13 Depth=1
	s_or_b64 exec, exec, s[2:3]
	s_and_saveexec_b64 s[2:3], s[36:37]
	s_cbranch_execnz .LBB158_226
.LBB158_210:                            ;   in Loop: Header=BB158_13 Depth=1
	s_or_b64 exec, exec, s[2:3]
	s_and_saveexec_b64 s[2:3], s[38:39]
	s_cbranch_execnz .LBB158_227
.LBB158_211:                            ;   in Loop: Header=BB158_13 Depth=1
	s_or_b64 exec, exec, s[2:3]
	s_and_saveexec_b64 s[2:3], s[40:41]
	s_cbranch_execnz .LBB158_228
.LBB158_212:                            ;   in Loop: Header=BB158_13 Depth=1
	s_or_b64 exec, exec, s[2:3]
	s_and_saveexec_b64 s[2:3], s[42:43]
	s_cbranch_execnz .LBB158_229
.LBB158_213:                            ;   in Loop: Header=BB158_13 Depth=1
	s_or_b64 exec, exec, s[2:3]
	s_and_saveexec_b64 s[2:3], s[44:45]
	s_cbranch_execnz .LBB158_230
.LBB158_214:                            ;   in Loop: Header=BB158_13 Depth=1
	s_or_b64 exec, exec, s[2:3]
	s_and_saveexec_b64 s[2:3], s[46:47]
	s_cbranch_execnz .LBB158_231
.LBB158_215:                            ;   in Loop: Header=BB158_13 Depth=1
	s_or_b64 exec, exec, s[2:3]
	s_and_saveexec_b64 s[2:3], s[48:49]
	s_cbranch_execnz .LBB158_232
.LBB158_216:                            ;   in Loop: Header=BB158_13 Depth=1
	s_or_b64 exec, exec, s[2:3]
	s_and_saveexec_b64 s[2:3], s[50:51]
	s_cbranch_execnz .LBB158_233
.LBB158_217:                            ;   in Loop: Header=BB158_13 Depth=1
	s_or_b64 exec, exec, s[2:3]
	s_and_saveexec_b64 s[2:3], s[52:53]
	s_cbranch_execnz .LBB158_234
.LBB158_218:                            ;   in Loop: Header=BB158_13 Depth=1
	s_or_b64 exec, exec, s[2:3]
	s_and_saveexec_b64 s[2:3], s[54:55]
	s_cbranch_execnz .LBB158_235
.LBB158_219:                            ;   in Loop: Header=BB158_13 Depth=1
	s_or_b64 exec, exec, s[2:3]
	s_and_saveexec_b64 s[2:3], s[56:57]
	s_cbranch_execnz .LBB158_236
.LBB158_220:                            ;   in Loop: Header=BB158_13 Depth=1
	s_or_b64 exec, exec, s[2:3]
	s_and_saveexec_b64 s[2:3], s[58:59]
	s_cbranch_execz .LBB158_12
	s_branch .LBB158_237
.LBB158_221:                            ;   in Loop: Header=BB158_13 Depth=1
	global_load_dword v40, v[26:27], off offset:3328
	s_or_b64 exec, exec, s[2:3]
	s_and_saveexec_b64 s[2:3], s[56:57]
	s_cbranch_execz .LBB158_73
.LBB158_222:                            ;   in Loop: Header=BB158_13 Depth=1
	global_load_dword v39, v[26:27], off offset:3584
	s_or_b64 exec, exec, s[2:3]
	v_mov_b32_e32 v41, 0
	s_and_saveexec_b64 s[2:3], s[58:59]
	s_cbranch_execnz .LBB158_74
	s_branch .LBB158_75
.LBB158_223:                            ;   in Loop: Header=BB158_13 Depth=1
	s_waitcnt lgkmcnt(14)
	global_store_dword v[10:11], v23, off offset:256
	s_or_b64 exec, exec, s[2:3]
	s_and_saveexec_b64 s[2:3], s[30:31]
	s_cbranch_execz .LBB158_208
.LBB158_224:                            ;   in Loop: Header=BB158_13 Depth=1
	s_waitcnt lgkmcnt(13)
	global_store_dword v[10:11], v22, off offset:512
	s_or_b64 exec, exec, s[2:3]
	s_and_saveexec_b64 s[2:3], s[34:35]
	s_cbranch_execz .LBB158_209
.LBB158_225:                            ;   in Loop: Header=BB158_13 Depth=1
	s_waitcnt lgkmcnt(12)
	global_store_dword v[10:11], v21, off offset:768
	s_or_b64 exec, exec, s[2:3]
	s_and_saveexec_b64 s[2:3], s[36:37]
	s_cbranch_execz .LBB158_210
.LBB158_226:                            ;   in Loop: Header=BB158_13 Depth=1
	s_waitcnt lgkmcnt(11)
	global_store_dword v[10:11], v20, off offset:1024
	s_or_b64 exec, exec, s[2:3]
	s_and_saveexec_b64 s[2:3], s[38:39]
	s_cbranch_execz .LBB158_211
.LBB158_227:                            ;   in Loop: Header=BB158_13 Depth=1
	s_waitcnt lgkmcnt(10)
	global_store_dword v[10:11], v19, off offset:1280
	s_or_b64 exec, exec, s[2:3]
	s_and_saveexec_b64 s[2:3], s[40:41]
	s_cbranch_execz .LBB158_212
.LBB158_228:                            ;   in Loop: Header=BB158_13 Depth=1
	s_waitcnt lgkmcnt(9)
	global_store_dword v[10:11], v18, off offset:1536
	s_or_b64 exec, exec, s[2:3]
	s_and_saveexec_b64 s[2:3], s[42:43]
	s_cbranch_execz .LBB158_213
.LBB158_229:                            ;   in Loop: Header=BB158_13 Depth=1
	s_waitcnt lgkmcnt(8)
	global_store_dword v[10:11], v17, off offset:1792
	s_or_b64 exec, exec, s[2:3]
	s_and_saveexec_b64 s[2:3], s[44:45]
	s_cbranch_execz .LBB158_214
.LBB158_230:                            ;   in Loop: Header=BB158_13 Depth=1
	s_waitcnt lgkmcnt(7)
	global_store_dword v[10:11], v16, off offset:2048
	s_or_b64 exec, exec, s[2:3]
	s_and_saveexec_b64 s[2:3], s[46:47]
	s_cbranch_execz .LBB158_215
.LBB158_231:                            ;   in Loop: Header=BB158_13 Depth=1
	s_waitcnt lgkmcnt(6)
	global_store_dword v[10:11], v15, off offset:2304
	s_or_b64 exec, exec, s[2:3]
	s_and_saveexec_b64 s[2:3], s[48:49]
	s_cbranch_execz .LBB158_216
.LBB158_232:                            ;   in Loop: Header=BB158_13 Depth=1
	s_waitcnt lgkmcnt(5)
	global_store_dword v[10:11], v14, off offset:2560
	s_or_b64 exec, exec, s[2:3]
	s_and_saveexec_b64 s[2:3], s[50:51]
	s_cbranch_execz .LBB158_217
.LBB158_233:                            ;   in Loop: Header=BB158_13 Depth=1
	s_waitcnt lgkmcnt(4)
	global_store_dword v[10:11], v13, off offset:2816
	s_or_b64 exec, exec, s[2:3]
	s_and_saveexec_b64 s[2:3], s[52:53]
	s_cbranch_execz .LBB158_218
.LBB158_234:                            ;   in Loop: Header=BB158_13 Depth=1
	s_waitcnt lgkmcnt(3)
	global_store_dword v[10:11], v12, off offset:3072
	s_or_b64 exec, exec, s[2:3]
	s_and_saveexec_b64 s[2:3], s[54:55]
	s_cbranch_execz .LBB158_219
.LBB158_235:                            ;   in Loop: Header=BB158_13 Depth=1
	s_waitcnt lgkmcnt(2)
	global_store_dword v[10:11], v9, off offset:3328
	s_or_b64 exec, exec, s[2:3]
	s_and_saveexec_b64 s[2:3], s[56:57]
	s_cbranch_execz .LBB158_220
.LBB158_236:                            ;   in Loop: Header=BB158_13 Depth=1
	s_waitcnt lgkmcnt(1)
	global_store_dword v[10:11], v7, off offset:3584
	s_or_b64 exec, exec, s[2:3]
	s_and_saveexec_b64 s[2:3], s[58:59]
	s_cbranch_execz .LBB158_12
.LBB158_237:                            ;   in Loop: Header=BB158_13 Depth=1
	s_waitcnt lgkmcnt(0)
	global_store_dword v[10:11], v0, off offset:3840
	s_branch .LBB158_12
.LBB158_238:
	s_endpgm
	.section	.rodata,"a",@progbits
	.p2align	6, 0x0
	.amdhsa_kernel _Z25selective_scan_fwd_kernelI32Selective_Scan_fwd_kernel_traitsILi128ELi16ELi1ELb0ELb1ELb1ELb0ELb1EfffEEv13SSMParamsBase
		.amdhsa_group_segment_fixed_size 0
		.amdhsa_private_segment_fixed_size 0
		.amdhsa_kernarg_size 248
		.amdhsa_user_sgpr_count 2
		.amdhsa_user_sgpr_dispatch_ptr 0
		.amdhsa_user_sgpr_queue_ptr 0
		.amdhsa_user_sgpr_kernarg_segment_ptr 1
		.amdhsa_user_sgpr_dispatch_id 0
		.amdhsa_user_sgpr_kernarg_preload_length 0
		.amdhsa_user_sgpr_kernarg_preload_offset 0
		.amdhsa_user_sgpr_private_segment_size 0
		.amdhsa_uses_dynamic_stack 0
		.amdhsa_enable_private_segment 0
		.amdhsa_system_sgpr_workgroup_id_x 1
		.amdhsa_system_sgpr_workgroup_id_y 1
		.amdhsa_system_sgpr_workgroup_id_z 0
		.amdhsa_system_sgpr_workgroup_info 0
		.amdhsa_system_vgpr_workitem_id 0
		.amdhsa_next_free_vgpr 168
		.amdhsa_next_free_sgpr 100
		.amdhsa_accum_offset 168
		.amdhsa_reserve_vcc 1
		.amdhsa_float_round_mode_32 0
		.amdhsa_float_round_mode_16_64 0
		.amdhsa_float_denorm_mode_32 3
		.amdhsa_float_denorm_mode_16_64 3
		.amdhsa_dx10_clamp 1
		.amdhsa_ieee_mode 1
		.amdhsa_fp16_overflow 0
		.amdhsa_tg_split 0
		.amdhsa_exception_fp_ieee_invalid_op 0
		.amdhsa_exception_fp_denorm_src 0
		.amdhsa_exception_fp_ieee_div_zero 0
		.amdhsa_exception_fp_ieee_overflow 0
		.amdhsa_exception_fp_ieee_underflow 0
		.amdhsa_exception_fp_ieee_inexact 0
		.amdhsa_exception_int_div_zero 0
	.end_amdhsa_kernel
	.section	.text._Z25selective_scan_fwd_kernelI32Selective_Scan_fwd_kernel_traitsILi128ELi16ELi1ELb0ELb1ELb1ELb0ELb1EfffEEv13SSMParamsBase,"axG",@progbits,_Z25selective_scan_fwd_kernelI32Selective_Scan_fwd_kernel_traitsILi128ELi16ELi1ELb0ELb1ELb1ELb0ELb1EfffEEv13SSMParamsBase,comdat
.Lfunc_end158:
	.size	_Z25selective_scan_fwd_kernelI32Selective_Scan_fwd_kernel_traitsILi128ELi16ELi1ELb0ELb1ELb1ELb0ELb1EfffEEv13SSMParamsBase, .Lfunc_end158-_Z25selective_scan_fwd_kernelI32Selective_Scan_fwd_kernel_traitsILi128ELi16ELi1ELb0ELb1ELb1ELb0ELb1EfffEEv13SSMParamsBase
                                        ; -- End function
	.section	.AMDGPU.csdata,"",@progbits
; Kernel info:
; codeLenInByte = 20584
; NumSgprs: 106
; NumVgprs: 168
; NumAgprs: 0
; TotalNumVgprs: 168
; ScratchSize: 0
; MemoryBound: 0
; FloatMode: 240
; IeeeMode: 1
; LDSByteSize: 0 bytes/workgroup (compile time only)
; SGPRBlocks: 13
; VGPRBlocks: 20
; NumSGPRsForWavesPerEU: 106
; NumVGPRsForWavesPerEU: 168
; AccumOffset: 168
; Occupancy: 3
; WaveLimiterHint : 1
; COMPUTE_PGM_RSRC2:SCRATCH_EN: 0
; COMPUTE_PGM_RSRC2:USER_SGPR: 2
; COMPUTE_PGM_RSRC2:TRAP_HANDLER: 0
; COMPUTE_PGM_RSRC2:TGID_X_EN: 1
; COMPUTE_PGM_RSRC2:TGID_Y_EN: 1
; COMPUTE_PGM_RSRC2:TGID_Z_EN: 0
; COMPUTE_PGM_RSRC2:TIDIG_COMP_CNT: 0
; COMPUTE_PGM_RSRC3_GFX90A:ACCUM_OFFSET: 41
; COMPUTE_PGM_RSRC3_GFX90A:TG_SPLIT: 0
	.section	.text._Z25selective_scan_fwd_kernelI32Selective_Scan_fwd_kernel_traitsILi128ELi16ELi1ELb0ELb1ELb1ELb0ELb0EfffEEv13SSMParamsBase,"axG",@progbits,_Z25selective_scan_fwd_kernelI32Selective_Scan_fwd_kernel_traitsILi128ELi16ELi1ELb0ELb1ELb1ELb0ELb0EfffEEv13SSMParamsBase,comdat
	.protected	_Z25selective_scan_fwd_kernelI32Selective_Scan_fwd_kernel_traitsILi128ELi16ELi1ELb0ELb1ELb1ELb0ELb0EfffEEv13SSMParamsBase ; -- Begin function _Z25selective_scan_fwd_kernelI32Selective_Scan_fwd_kernel_traitsILi128ELi16ELi1ELb0ELb1ELb1ELb0ELb0EfffEEv13SSMParamsBase
	.globl	_Z25selective_scan_fwd_kernelI32Selective_Scan_fwd_kernel_traitsILi128ELi16ELi1ELb0ELb1ELb1ELb0ELb0EfffEEv13SSMParamsBase
	.p2align	8
	.type	_Z25selective_scan_fwd_kernelI32Selective_Scan_fwd_kernel_traitsILi128ELi16ELi1ELb0ELb1ELb1ELb0ELb0EfffEEv13SSMParamsBase,@function
_Z25selective_scan_fwd_kernelI32Selective_Scan_fwd_kernel_traitsILi128ELi16ELi1ELb0ELb1ELb1ELb0ELb0EfffEEv13SSMParamsBase: ; @_Z25selective_scan_fwd_kernelI32Selective_Scan_fwd_kernel_traitsILi128ELi16ELi1ELb0ELb1ELb1ELb0ELb0EfffEEv13SSMParamsBase
; %bb.0:
	s_load_dword s29, s[0:1], 0x18
	s_load_dwordx4 s[4:7], s[0:1], 0xe8
	s_mov_b32 s24, s3
                                        ; implicit-def: $vgpr167 : SGPR spill to VGPR lane
	s_waitcnt lgkmcnt(0)
	s_abs_i32 s28, s29
	v_cvt_f32_u32_e32 v1, s28
	s_cmp_eq_u64 s[6:7], 0
	v_rcp_iflag_f32_e32 v1, v1
	s_nop 0
	v_mul_f32_e32 v1, 0x4f7ffffe, v1
	v_cvt_u32_f32_e32 v1, v1
	s_nop 0
	v_readfirstlane_b32 s30, v1
	s_cbranch_scc1 .LBB159_2
; %bb.1:
	s_ashr_i32 s3, s2, 31
	s_add_u32 s6, s6, s2
	s_addc_u32 s7, s7, s3
	v_mov_b32_e32 v1, 0
	global_load_ubyte v1, v1, s[6:7]
	s_waitcnt vmcnt(0)
	v_and_b32_e32 v1, 1, v1
	v_cmp_eq_u32_e64 s[6:7], 1, v1
	s_branch .LBB159_3
.LBB159_2:
	s_mov_b64 s[6:7], 0
.LBB159_3:
	s_nop 0
	v_writelane_b32 v167, s6, 0
	s_cmp_eq_u64 s[4:5], 0
	s_nop 0
	v_writelane_b32 v167, s7, 1
	s_load_dwordx2 s[6:7], s[0:1], 0x20
	s_cbranch_scc1 .LBB159_5
; %bb.4:
	s_ashr_i32 s3, s2, 31
	s_lshl_b64 s[8:9], s[2:3], 2
	s_add_u32 s4, s4, s8
	s_addc_u32 s5, s5, s9
	s_load_dword s26, s[4:5], 0x0
	s_waitcnt lgkmcnt(0)
	s_ashr_i32 s27, s26, 31
	s_cmp_eq_u64 s[6:7], s[26:27]
	s_cbranch_scc0 .LBB159_6
	s_branch .LBB159_238
.LBB159_5:
	s_mov_b32 s26, s2
	s_ashr_i32 s27, s26, 31
	s_waitcnt lgkmcnt(0)
	s_cmp_eq_u64 s[6:7], s[26:27]
	s_cbranch_scc1 .LBB159_238
.LBB159_6:
	s_load_dwordx16 s[36:51], s[0:1], 0x88
	s_load_dwordx2 s[4:5], s[0:1], 0x8
	s_mov_b32 s3, 0
	s_mov_b32 s62, 0
	s_waitcnt lgkmcnt(0)
	s_cmp_eq_u64 s[42:43], 0
	v_writelane_b32 v167, s4, 2
	s_nop 1
	v_writelane_b32 v167, s5, 3
	v_writelane_b32 v167, s3, 4
	s_cbranch_scc1 .LBB159_8
; %bb.7:
	s_ashr_i32 s25, s24, 31
	s_lshl_b64 s[4:5], s[24:25], 2
	s_add_u32 s4, s42, s4
	s_addc_u32 s5, s43, s5
	s_load_dword s3, s[4:5], 0x0
	s_waitcnt lgkmcnt(0)
	v_writelane_b32 v167, s3, 4
.LBB159_8:
	s_cmp_eq_u64 s[48:49], 0
	s_cbranch_scc1 .LBB159_10
; %bb.9:
	s_ashr_i32 s25, s24, 31
	s_lshl_b64 s[4:5], s[24:25], 2
	s_add_u32 s4, s48, s4
	s_addc_u32 s5, s49, s5
	s_load_dword s62, s[4:5], 0x0
.LBB159_10:
	s_load_dwordx2 s[34:35], s[0:1], 0x8
	s_waitcnt lgkmcnt(0)
	s_cmp_lt_i32 s34, 1
	s_cbranch_scc1 .LBB159_238
; %bb.11:
	s_sub_i32 s3, 0, s28
	s_mul_i32 s3, s3, s30
	s_mul_hi_u32 s3, s30, s3
	s_abs_i32 s6, s24
	s_add_i32 s30, s30, s3
	s_load_dwordx8 s[52:59], s[0:1], 0x2c
	s_load_dwordx2 s[14:15], s[0:1], 0x5c
	s_load_dwordx4 s[64:67], s[0:1], 0x4c
	s_load_dwordx4 s[68:71], s[0:1], 0x7c
	s_load_dwordx2 s[4:5], s[0:1], 0x6c
	s_load_dwordx2 s[20:21], s[0:1], 0xc8
	s_mul_hi_u32 s3, s6, s30
	s_load_dword s25, s[0:1], 0x28
	s_ashr_i32 s0, s24, 31
	s_ashr_i32 s1, s29, 31
	s_xor_b32 s0, s0, s1
	s_mul_i32 s1, s3, s28
	s_sub_i32 s1, s6, s1
	s_add_i32 s6, s3, 1
	s_sub_i32 s7, s1, s28
	s_cmp_ge_u32 s1, s28
	s_cselect_b32 s3, s6, s3
	s_cselect_b32 s1, s7, s1
	s_add_i32 s6, s3, 1
	s_cmp_ge_u32 s1, s28
	s_cselect_b32 s1, s6, s3
	s_xor_b32 s1, s1, s0
	s_waitcnt lgkmcnt(0)
	s_mul_i32 s6, s66, s2
	s_mov_b32 s7, 0
	s_sub_i32 s3, s1, s0
	s_lshl_b64 s[0:1], s[6:7], 2
	s_add_u32 s16, s44, s0
	s_mul_i32 s6, s67, s24
	s_addc_u32 s17, s45, s1
	s_lshl_b64 s[0:1], s[6:7], 2
	s_add_u32 s10, s16, s0
	s_mul_i32 s6, s14, s2
	s_addc_u32 s11, s17, s1
	;; [unrolled: 4-line block ×3, first 2 shown]
	s_lshl_b64 s[0:1], s[6:7], 2
	s_add_u32 s0, s14, s0
	s_addc_u32 s1, s16, s1
	v_writelane_b32 v167, s0, 5
	s_mul_i32 s6, s52, s24
	v_mbcnt_lo_u32_b32 v2, -1, 0
	v_writelane_b32 v167, s1, 6
	s_lshl_b64 s[0:1], s[6:7], 2
	s_add_u32 s0, s36, s0
	v_writelane_b32 v167, s0, 7
	s_addc_u32 s0, s37, s1
	v_writelane_b32 v167, s0, 8
	s_mul_i32 s6, s54, s2
	s_lshl_b64 s[0:1], s[6:7], 2
	s_mul_i32 s6, s3, s57
	v_writelane_b32 v167, s52, 9
	s_add_u32 s8, s38, s0
	s_addc_u32 s9, s39, s1
	v_writelane_b32 v167, s53, 10
	v_writelane_b32 v167, s54, 11
	;; [unrolled: 1-line block ×5, first 2 shown]
	s_lshl_b64 s[0:1], s[6:7], 2
	v_writelane_b32 v167, s58, 15
	s_add_u32 s12, s8, s0
	v_writelane_b32 v167, s59, 16
	s_mul_i32 s6, s58, s2
	s_addc_u32 s13, s9, s1
	s_lshl_b64 s[0:1], s[6:7], 2
	v_writelane_b32 v167, s64, 17
	s_add_u32 s8, s40, s0
	s_mul_i32 s6, s3, s65
	v_writelane_b32 v167, s65, 18
	s_addc_u32 s9, s41, s1
	v_writelane_b32 v167, s66, 19
	s_lshl_b64 s[0:1], s[6:7], 2
	v_writelane_b32 v167, s67, 20
	s_add_u32 s14, s8, s0
	s_mul_i32 s6, s26, s68
	s_addc_u32 s15, s9, s1
	s_lshl_b64 s[0:1], s[6:7], 2
	v_writelane_b32 v167, s68, 21
	s_add_u32 s3, s20, s0
	s_mul_i32 s6, s69, s24
	v_writelane_b32 v167, s69, 22
	s_addc_u32 s8, s21, s1
	v_writelane_b32 v167, s70, 23
	s_lshl_b64 s[0:1], s[6:7], 2
	v_writelane_b32 v167, s71, 24
	s_add_u32 s0, s3, s0
	v_writelane_b32 v167, s0, 25
	s_addc_u32 s0, s8, s1
	v_writelane_b32 v167, s0, 26
	s_add_i32 s0, s34, 0x7ff
	s_lshr_b32 s1, s0, 11
	v_lshlrev_b32_e32 v3, 4, v0
	v_mbcnt_hi_u32_b32 v2, -1, v2
	v_and_b32_e32 v6, 0x400, v3
	s_bitcmp1_b32 s25, 0
	v_or_b32_e32 v76, v2, v6
	s_cselect_b64 s[8:9], -1, 0
	v_lshrrev_b32_e32 v4, 5, v76
	v_and_b32_e32 v20, 64, v0
	v_writelane_b32 v167, s8, 27
	s_cmp_gt_i32 s35, 0
	v_add_u32_e32 v5, 64, v76
	v_or_b32_e32 v7, 0x80, v76
	v_add_u32_e32 v8, 0xc0, v76
	v_or_b32_e32 v9, 0x100, v76
	;; [unrolled: 2-line block ×7, first 2 shown]
	v_add_u32_e32 v91, 0x3c0, v76
	v_add_u32_e32 v4, v4, v76
	;; [unrolled: 1-line block ×3, first 2 shown]
	v_writelane_b32 v167, s9, 28
	s_cselect_b64 s[8:9], -1, 0
	v_lshl_add_u32 v92, v4, 2, 0
	v_lshrrev_b32_e32 v4, 5, v5
	v_lshrrev_b32_e32 v5, 5, v7
	;; [unrolled: 1-line block ×15, first 2 shown]
	v_lshlrev_b32_e32 v22, 4, v21
	v_bfe_u32 v21, v21, 1, 27
	v_writelane_b32 v167, s8, 29
	v_add_lshl_u32 v4, v4, v76, 2
	v_add_lshl_u32 v5, v5, v76, 2
	;; [unrolled: 1-line block ×16, first 2 shown]
	v_writelane_b32 v167, s9, 30
	s_add_i32 s0, 0, 0x2100
	v_add_u32_e32 v109, s0, v4
	v_add_u32_e32 v110, s0, v5
	;; [unrolled: 1-line block ×16, first 2 shown]
	v_writelane_b32 v167, s1, 31
	s_add_i32 s0, s1, -1
	s_mul_i32 s6, s4, s2
	s_and_b32 s8, s34, 0x7ff
	v_writelane_b32 v167, s0, 32
	s_lshl_b64 s[0:1], s[6:7], 2
	s_add_u32 s2, s50, s0
	s_mul_i32 s6, s5, s24
	s_addc_u32 s3, s51, s1
	s_lshl_b64 s[0:1], s[6:7], 2
	s_add_u32 s2, s2, s0
	s_addc_u32 s3, s3, s1
	s_cmp_eq_u32 s8, 0
	s_cselect_b64 s[0:1], -1, 0
	v_add_u32_e32 v93, 0, v4
	v_writelane_b32 v167, s0, 33
	v_and_b32_e32 v4, 15, v2
	v_cmp_lt_u32_e64 s[4:5], 1, v4
	v_writelane_b32 v167, s1, 34
	v_cmp_eq_u32_e64 s[0:1], 0, v4
	v_writelane_b32 v167, s4, 35
	v_add_u32_e32 v94, 0, v5
	v_and_b32_e32 v5, 64, v2
	v_writelane_b32 v167, s5, 36
	v_cmp_lt_u32_e64 s[4:5], 3, v4
	v_mov_b32_e32 v1, 0
	v_lshl_add_u32 v126, v0, 3, 0
	v_writelane_b32 v167, s4, 37
	v_cmp_lt_u32_e64 s[20:21], 63, v0
	v_cmp_eq_u32_e64 s[22:23], 0, v0
	v_writelane_b32 v167, s5, 38
	v_cmp_lt_u32_e64 s[4:5], 7, v4
	v_and_b32_e32 v4, 16, v2
	v_add_u32_e32 v95, 0, v7
	v_writelane_b32 v167, s4, 39
	v_add_u32_e32 v96, 0, v8
	v_add_u32_e32 v97, 0, v9
	v_writelane_b32 v167, s5, 40
	v_cmp_ne_u32_e64 s[4:5], 0, v4
	v_or_b32_e32 v4, 63, v20
	v_add_u32_e32 v98, 0, v10
	v_writelane_b32 v167, s4, 41
	v_add_u32_e32 v99, 0, v11
	v_add_u32_e32 v100, 0, v12
	v_writelane_b32 v167, s5, 42
	v_cmp_lt_u32_e64 s[4:5], 31, v2
	v_add_u32_e32 v101, 0, v13
	v_add_u32_e32 v102, 0, v14
	v_writelane_b32 v167, s4, 43
	v_add_u32_e32 v103, 0, v15
	v_add_u32_e32 v104, 0, v16
	v_writelane_b32 v167, s5, 44
	v_cmp_eq_u32_e64 s[4:5], v4, v0
	v_lshrrev_b32_e32 v4, 3, v0
	v_and_b32_e32 v4, 8, v4
	v_writelane_b32 v167, s4, 45
	v_add_u32_e32 v125, 0, v4
	v_and_b32_e32 v4, 1, v2
	v_writelane_b32 v167, s5, 46
	v_cmp_gt_u32_e64 s[4:5], 2, v0
	v_add_u32_e32 v105, 0, v17
	v_add_u32_e32 v106, 0, v18
	v_writelane_b32 v167, s4, 47
	v_add_u32_e32 v107, 0, v19
	v_add_u32_e32 v108, 0, v21
	v_writelane_b32 v167, s5, 48
	v_cmp_eq_u32_e64 s[4:5], 0, v4
	v_add_u32_e32 v4, -1, v2
	v_cmp_lt_i32_e32 vcc, v4, v5
	v_writelane_b32 v167, s4, 49
	v_cmp_eq_u32_e64 s[24:25], 0, v2
	v_cndmask_b32_e32 v4, v4, v2, vcc
	v_writelane_b32 v167, s5, 50
	v_cmp_gt_u32_e64 s[4:5], 64, v0
	v_lshlrev_b32_e32 v0, 2, v2
	v_lshlrev_b32_e32 v127, 2, v4
	v_writelane_b32 v167, s4, 51
	v_lshl_add_u64 v[4:5], s[2:3], 0, v[0:1]
	s_add_i32 s2, 0, 0x4210
	v_writelane_b32 v167, s5, 52
	v_lshlrev_b32_e32 v0, 2, v6
	v_writelane_b32 v167, s2, 53
	v_lshl_add_u64 v[4:5], v[4:5], 0, v[0:1]
	v_lshlrev_b32_e32 v6, 2, v6
	s_mov_b32 s33, 0xc2fc0000
	s_mov_b32 s16, 0
	v_mov_b32_e32 v143, 0x3ecc95a3
	v_mov_b32_e32 v144, 0x7f800000
	v_mov_b32_e32 v145, 0x42800000
	v_mov_b32_e32 v146, 0x1f800000
	v_mov_b32_e32 v8, 0x3f317218
	s_mov_b64 s[8:9], s[34:35]
	v_writelane_b32 v167, s62, 54
                                        ; implicit-def: $vgpr0
	s_branch .LBB159_13
.LBB159_12:                             ;   in Loop: Header=BB159_13 Depth=1
	s_or_b64 exec, exec, s[2:3]
	v_readlane_b32 s2, v167, 5
	v_readlane_b32 s3, v167, 6
	s_add_u32 s2, s2, 0x2000
	s_addc_u32 s3, s3, 0
	v_writelane_b32 v167, s2, 5
	s_nop 1
	v_writelane_b32 v167, s3, 6
	s_nop 0
	v_readlane_b32 s10, v167, 57
	v_readlane_b32 s11, v167, 58
	s_add_u32 s10, s10, 0x2000
	s_addc_u32 s11, s11, 0
	s_add_u32 s12, s12, 0x2000
	s_addc_u32 s13, s13, 0
	;; [unrolled: 2-line block ×3, first 2 shown]
	s_add_i32 s16, s16, 1
	v_readlane_b32 s2, v167, 31
	s_cmp_eq_u32 s16, s2
	s_cbranch_scc1 .LBB159_238
.LBB159_13:                             ; =>This Loop Header: Depth=1
                                        ;     Child Loop BB159_110 Depth 2
	s_lshl_b32 s4, s16, 11
	s_mov_b32 s2, s4
	v_writelane_b32 v167, s2, 55
	s_waitcnt lgkmcnt(0)
	v_lshlrev_b32_e32 v0, 2, v2
	s_sub_i32 s88, s8, s4
	v_writelane_b32 v167, s3, 56
	v_writelane_b32 v167, s10, 57
	v_mov_b32_e32 v7, v1
	v_cmp_gt_u32_e64 s[26:27], s88, v76
	v_lshl_add_u64 v[10:11], s[10:11], 0, v[0:1]
	v_writelane_b32 v167, s11, 58
	v_lshl_add_u64 v[10:11], v[10:11], 0, v[6:7]
	v_mov_b32_e32 v7, 0
	s_barrier
	s_and_saveexec_b64 s[2:3], s[26:27]
	s_cbranch_execz .LBB159_15
; %bb.14:                               ;   in Loop: Header=BB159_13 Depth=1
	global_load_dword v7, v[10:11], off
.LBB159_15:                             ;   in Loop: Header=BB159_13 Depth=1
	s_or_b64 exec, exec, s[2:3]
	v_add_u32_e32 v9, 64, v76
	v_cmp_gt_u32_e64 s[28:29], s88, v9
	v_mov_b32_e32 v12, 0
	v_mov_b32_e32 v13, 0
	s_and_saveexec_b64 s[2:3], s[28:29]
	s_cbranch_execz .LBB159_17
; %bb.16:                               ;   in Loop: Header=BB159_13 Depth=1
	global_load_dword v13, v[10:11], off offset:256
.LBB159_17:                             ;   in Loop: Header=BB159_13 Depth=1
	s_or_b64 exec, exec, s[2:3]
	v_or_b32_e32 v9, 0x80, v76
	v_cmp_gt_u32_e64 s[30:31], s88, v9
	s_and_saveexec_b64 s[2:3], s[30:31]
	s_cbranch_execz .LBB159_19
; %bb.18:                               ;   in Loop: Header=BB159_13 Depth=1
	global_load_dword v12, v[10:11], off offset:512
.LBB159_19:                             ;   in Loop: Header=BB159_13 Depth=1
	s_or_b64 exec, exec, s[2:3]
	v_add_u32_e32 v9, 0xc0, v76
	v_cmp_gt_u32_e64 s[34:35], s88, v9
	v_mov_b32_e32 v14, 0
	v_mov_b32_e32 v15, 0
	s_and_saveexec_b64 s[2:3], s[34:35]
	s_cbranch_execz .LBB159_21
; %bb.20:                               ;   in Loop: Header=BB159_13 Depth=1
	global_load_dword v15, v[10:11], off offset:768
.LBB159_21:                             ;   in Loop: Header=BB159_13 Depth=1
	s_or_b64 exec, exec, s[2:3]
	v_or_b32_e32 v9, 0x100, v76
	v_cmp_gt_u32_e64 s[36:37], s88, v9
	s_and_saveexec_b64 s[2:3], s[36:37]
	s_cbranch_execz .LBB159_23
; %bb.22:                               ;   in Loop: Header=BB159_13 Depth=1
	global_load_dword v14, v[10:11], off offset:1024
.LBB159_23:                             ;   in Loop: Header=BB159_13 Depth=1
	;; [unrolled: 18-line block ×3, first 2 shown]
	s_or_b64 exec, exec, s[2:3]
	v_add_u32_e32 v9, 0x1c0, v76
	v_cmp_gt_u32_e64 s[42:43], s88, v9
	v_mov_b32_e32 v18, 0
	v_mov_b32_e32 v19, 0
	s_and_saveexec_b64 s[2:3], s[42:43]
	s_cbranch_execz .LBB159_29
; %bb.28:                               ;   in Loop: Header=BB159_13 Depth=1
	global_load_dword v19, v[10:11], off offset:1792
.LBB159_29:                             ;   in Loop: Header=BB159_13 Depth=1
	s_or_b64 exec, exec, s[2:3]
	v_cmp_gt_u32_e64 s[44:45], s88, v84
	s_and_saveexec_b64 s[2:3], s[44:45]
	s_cbranch_execz .LBB159_31
; %bb.30:                               ;   in Loop: Header=BB159_13 Depth=1
	global_load_dword v18, v[10:11], off offset:2048
.LBB159_31:                             ;   in Loop: Header=BB159_13 Depth=1
	s_or_b64 exec, exec, s[2:3]
	v_cmp_gt_u32_e64 s[46:47], s88, v85
	v_mov_b32_e32 v20, 0
	v_mov_b32_e32 v21, 0
	s_and_saveexec_b64 s[2:3], s[46:47]
	s_cbranch_execz .LBB159_33
; %bb.32:                               ;   in Loop: Header=BB159_13 Depth=1
	global_load_dword v21, v[10:11], off offset:2304
.LBB159_33:                             ;   in Loop: Header=BB159_13 Depth=1
	s_or_b64 exec, exec, s[2:3]
	v_cmp_gt_u32_e64 s[48:49], s88, v86
	s_and_saveexec_b64 s[2:3], s[48:49]
	s_cbranch_execz .LBB159_35
; %bb.34:                               ;   in Loop: Header=BB159_13 Depth=1
	global_load_dword v20, v[10:11], off offset:2560
.LBB159_35:                             ;   in Loop: Header=BB159_13 Depth=1
	s_or_b64 exec, exec, s[2:3]
	;; [unrolled: 16-line block ×4, first 2 shown]
	v_cmp_gt_u32_e64 s[58:59], s88, v91
	v_mov_b32_e32 v9, 0
	v_mov_b32_e32 v26, 0
	s_and_saveexec_b64 s[2:3], s[58:59]
	s_cbranch_execz .LBB159_45
; %bb.44:                               ;   in Loop: Header=BB159_13 Depth=1
	global_load_dword v26, v[10:11], off offset:3840
.LBB159_45:                             ;   in Loop: Header=BB159_13 Depth=1
	s_or_b64 exec, exec, s[2:3]
	s_waitcnt vmcnt(0)
	ds_write_b32 v92, v7
	ds_write_b32 v93, v13 offset:256
	ds_write_b32 v94, v12 offset:512
	ds_write_b32 v95, v15 offset:768
	ds_write_b32 v96, v14 offset:1024
	ds_write_b32 v97, v17 offset:1280
	ds_write_b32 v98, v16 offset:1536
	ds_write_b32 v99, v19 offset:1792
	ds_write_b32 v100, v18 offset:2048
	ds_write_b32 v101, v21 offset:2304
	ds_write_b32 v102, v20 offset:2560
	ds_write_b32 v103, v23 offset:2816
	ds_write_b32 v104, v22 offset:3072
	ds_write_b32 v105, v25 offset:3328
	ds_write_b32 v106, v24 offset:3584
	ds_write_b32 v107, v26 offset:3840
	; wave barrier
	ds_read2_b32 v[10:11], v108 offset1:1
	ds_read2_b32 v[12:13], v108 offset0:2 offset1:3
	ds_read2_b32 v[14:15], v108 offset0:4 offset1:5
	;; [unrolled: 1-line block ×7, first 2 shown]
	v_readlane_b32 s2, v167, 5
	v_readlane_b32 s3, v167, 6
	v_mov_b32_e32 v7, v1
	s_waitcnt lgkmcnt(0)
	v_lshl_add_u64 v[26:27], s[2:3], 0, v[0:1]
	v_lshl_add_u64 v[26:27], v[26:27], 0, v[6:7]
	s_barrier
	s_and_saveexec_b64 s[2:3], s[26:27]
	s_cbranch_execz .LBB159_47
; %bb.46:                               ;   in Loop: Header=BB159_13 Depth=1
	global_load_dword v9, v[26:27], off
.LBB159_47:                             ;   in Loop: Header=BB159_13 Depth=1
	s_or_b64 exec, exec, s[2:3]
	v_mov_b32_e32 v7, 0
	v_mov_b32_e32 v28, 0
	s_and_saveexec_b64 s[2:3], s[28:29]
	s_cbranch_execz .LBB159_49
; %bb.48:                               ;   in Loop: Header=BB159_13 Depth=1
	global_load_dword v28, v[26:27], off offset:256
.LBB159_49:                             ;   in Loop: Header=BB159_13 Depth=1
	s_or_b64 exec, exec, s[2:3]
	s_and_saveexec_b64 s[2:3], s[30:31]
	s_cbranch_execz .LBB159_51
; %bb.50:                               ;   in Loop: Header=BB159_13 Depth=1
	global_load_dword v7, v[26:27], off offset:512
.LBB159_51:                             ;   in Loop: Header=BB159_13 Depth=1
	s_or_b64 exec, exec, s[2:3]
	v_mov_b32_e32 v29, 0
	v_mov_b32_e32 v30, 0
	s_and_saveexec_b64 s[2:3], s[34:35]
	s_cbranch_execz .LBB159_53
; %bb.52:                               ;   in Loop: Header=BB159_13 Depth=1
	global_load_dword v30, v[26:27], off offset:768
.LBB159_53:                             ;   in Loop: Header=BB159_13 Depth=1
	s_or_b64 exec, exec, s[2:3]
	s_and_saveexec_b64 s[2:3], s[36:37]
	s_cbranch_execz .LBB159_55
; %bb.54:                               ;   in Loop: Header=BB159_13 Depth=1
	global_load_dword v29, v[26:27], off offset:1024
.LBB159_55:                             ;   in Loop: Header=BB159_13 Depth=1
	;; [unrolled: 14-line block ×6, first 2 shown]
	s_or_b64 exec, exec, s[2:3]
	v_mov_b32_e32 v39, 0
	v_mov_b32_e32 v40, 0
	s_and_saveexec_b64 s[2:3], s[54:55]
	s_cbranch_execnz .LBB159_220
; %bb.72:                               ;   in Loop: Header=BB159_13 Depth=1
	s_or_b64 exec, exec, s[2:3]
	s_and_saveexec_b64 s[2:3], s[56:57]
	s_cbranch_execnz .LBB159_221
.LBB159_73:                             ;   in Loop: Header=BB159_13 Depth=1
	s_or_b64 exec, exec, s[2:3]
	v_mov_b32_e32 v41, 0
	s_and_saveexec_b64 s[2:3], s[58:59]
	s_cbranch_execz .LBB159_75
.LBB159_74:                             ;   in Loop: Header=BB159_13 Depth=1
	global_load_dword v41, v[26:27], off offset:3840
.LBB159_75:                             ;   in Loop: Header=BB159_13 Depth=1
	s_or_b64 exec, exec, s[2:3]
	s_waitcnt vmcnt(0)
	ds_write_b32 v92, v9
	ds_write_b32 v93, v28 offset:256
	ds_write_b32 v94, v7 offset:512
	;; [unrolled: 1-line block ×15, first 2 shown]
	; wave barrier
	ds_read2_b32 v[40:41], v108 offset1:1
	ds_read2_b32 v[38:39], v108 offset0:2 offset1:3
	ds_read2_b32 v[36:37], v108 offset0:4 offset1:5
	;; [unrolled: 1-line block ×7, first 2 shown]
	s_waitcnt lgkmcnt(7)
	v_add_f32_e32 v147, s62, v40
	s_mov_b32 s2, 0x41a00000
	v_cmp_ge_f32_e32 vcc, s2, v147
	v_readlane_b32 s2, v167, 27
	v_readlane_b32 s3, v167, 28
	s_and_b64 s[2:3], s[2:3], vcc
	s_and_saveexec_b64 s[4:5], s[2:3]
	s_cbranch_execz .LBB159_77
; %bb.76:                               ;   in Loop: Header=BB159_13 Depth=1
	v_mul_f32_e32 v7, 0x3fb8aa3b, v147
	v_rndne_f32_e32 v9, v7
	s_mov_b32 s2, 0x3fb8aa3b
	v_sub_f32_e32 v40, v7, v9
	v_fma_f32 v7, v147, s2, -v7
	v_fmac_f32_e32 v7, 0x32a5705f, v147
	v_add_f32_e32 v7, v40, v7
	v_cvt_i32_f32_e32 v9, v9
	v_exp_f32_e32 v7, v7
	s_mov_b32 s2, 0xc2ce8ed0
	v_cmp_ngt_f32_e32 vcc, s2, v147
	s_mov_b32 s2, 0x42b17218
	v_ldexp_f32 v7, v7, v9
	v_cndmask_b32_e32 v7, 0, v7, vcc
	v_cmp_nlt_f32_e32 vcc, s2, v147
	s_mov_b32 s2, 0x3f2aaaab
	s_nop 0
	v_cndmask_b32_e32 v56, v144, v7, vcc
	v_add_f32_e32 v7, 1.0, v56
	v_add_f32_e32 v9, -1.0, v7
	v_sub_f32_e32 v40, v9, v7
	v_add_f32_e32 v40, 1.0, v40
	v_sub_f32_e32 v9, v56, v9
	v_add_f32_e32 v9, v9, v40
	v_frexp_mant_f32_e32 v40, v7
	v_cvt_f64_f32_e32 v[42:43], v7
	v_frexp_exp_i32_f64_e32 v42, v[42:43]
	v_cmp_gt_f32_e32 vcc, s2, v40
	s_mov_b32 s2, 0x3f317218
	s_nop 0
	v_subbrev_co_u32_e32 v40, vcc, 0, v42, vcc
	v_sub_u32_e32 v42, 0, v40
	v_ldexp_f32 v7, v7, v42
	v_ldexp_f32 v9, v9, v42
	v_add_f32_e32 v42, -1.0, v7
	v_add_f32_e32 v43, 1.0, v42
	v_sub_f32_e32 v43, v7, v43
	v_add_f32_e32 v44, v9, v43
	v_add_f32_e32 v43, 1.0, v7
	v_add_f32_e32 v45, -1.0, v43
	v_sub_f32_e32 v7, v7, v45
	v_add_f32_e32 v7, v9, v7
	v_add_f32_e32 v9, v43, v7
	v_rcp_f32_e32 v50, v9
	v_sub_f32_e32 v43, v43, v9
	v_add_f32_e32 v7, v7, v43
	v_add_f32_e32 v43, v42, v44
	v_sub_f32_e32 v42, v42, v43
	v_mul_f32_e32 v52, v43, v50
	v_add_f32_e32 v51, v44, v42
	v_mul_f32_e32 v44, v9, v52
	v_fma_f32 v46, v52, v9, -v44
	v_fmac_f32_e32 v46, v52, v7
	v_add_f32_e32 v42, v44, v46
	v_sub_f32_e32 v45, v43, v42
	v_pk_add_f32 v[48:49], v[42:43], v[44:45] neg_lo:[0,1] neg_hi:[0,1]
	v_mov_b32_e32 v47, v42
	v_pk_add_f32 v[42:43], v[48:49], v[46:47] neg_lo:[0,1] neg_hi:[0,1]
	s_nop 0
	v_add_f32_e32 v43, v51, v43
	v_add_f32_e32 v42, v42, v43
	;; [unrolled: 1-line block ×3, first 2 shown]
	v_mul_f32_e32 v51, v50, v43
	v_mul_f32_e32 v44, v9, v51
	v_fma_f32 v46, v51, v9, -v44
	v_fmac_f32_e32 v46, v51, v7
	v_sub_f32_e32 v7, v45, v43
	v_add_f32_e32 v7, v42, v7
	v_add_f32_e32 v42, v44, v46
	v_sub_f32_e32 v45, v43, v42
	v_pk_add_f32 v[48:49], v[42:43], v[44:45] neg_lo:[0,1] neg_hi:[0,1]
	v_mov_b32_e32 v47, v42
	v_pk_add_f32 v[42:43], v[48:49], v[46:47] neg_lo:[0,1] neg_hi:[0,1]
	s_nop 0
	v_add_f32_e32 v7, v7, v43
	v_add_f32_e32 v7, v42, v7
	;; [unrolled: 1-line block ×4, first 2 shown]
	v_sub_f32_e32 v9, v43, v52
	v_mul_f32_e32 v7, v50, v7
	v_sub_f32_e32 v9, v51, v9
	v_add_f32_e32 v7, v9, v7
	v_add_f32_e32 v44, v43, v7
	v_cvt_f32_i32_e32 v42, v40
	v_mul_f32_e32 v46, v44, v44
	v_fmamk_f32 v9, v46, 0x3e9b6dac, v143
	v_fmaak_f32 v9, v46, v9, 0x3f2aaada
	v_sub_f32_e32 v40, v44, v43
	v_mul_f32_e32 v43, v44, v46
	v_pk_mul_f32 v[46:47], v[42:43], v[8:9]
	v_ldexp_f32 v45, v44, 1
	v_fma_f32 v44, v42, s2, -v46
	v_fmac_f32_e32 v44, 0xb102e308, v42
	v_pk_add_f32 v[42:43], v[46:47], v[44:45]
	v_sub_f32_e32 v7, v7, v40
	v_sub_f32_e32 v9, v43, v45
	v_ldexp_f32 v7, v7, 1
	v_sub_f32_e32 v9, v47, v9
	v_add_f32_e32 v49, v7, v9
	v_mov_b32_e32 v48, v46
	v_pk_add_f32 v[46:47], v[42:43], v[46:47] neg_lo:[0,1] neg_hi:[0,1]
	v_pk_add_f32 v[50:51], v[42:43], v[48:49]
	v_mov_b32_e32 v45, v42
	v_mov_b32_e32 v47, v51
	v_pk_add_f32 v[52:53], v[44:45], v[46:47] neg_lo:[0,1] neg_hi:[0,1]
	v_pk_add_f32 v[44:45], v[44:45], v[46:47]
	s_mov_b32 s2, 0x7f800000
	v_mov_b32_e32 v40, v45
	v_pk_add_f32 v[46:47], v[40:41], v[42:43] neg_lo:[0,1] neg_hi:[0,1]
	v_mov_b32_e32 v44, v51
	v_mov_b32_e32 v7, v46
	v_pk_add_f32 v[54:55], v[50:51], v[6:7] neg_lo:[0,1] neg_hi:[0,1]
	v_mov_b32_e32 v50, v43
	v_mov_b32_e32 v51, v46
	;; [unrolled: 1-line block ×3, first 2 shown]
	v_pk_add_f32 v[44:45], v[44:45], v[50:51] neg_lo:[0,1] neg_hi:[0,1]
	v_mov_b32_e32 v46, v49
	v_mov_b32_e32 v47, v42
	v_pk_add_f32 v[42:43], v[46:47], v[44:45] neg_lo:[0,1] neg_hi:[0,1]
	v_mov_b32_e32 v54, v52
	v_pk_add_f32 v[44:45], v[54:55], v[42:43]
	v_cmp_eq_f32_e32 vcc, s2, v56
	v_mov_b32_e32 v46, v45
	v_pk_add_f32 v[46:47], v[44:45], v[46:47]
	s_mov_b32 s2, 0x33800000
	v_pk_add_f32 v[48:49], v[40:41], v[46:47]
	v_mov_b32_e32 v43, v46
	v_mov_b32_e32 v45, v48
	v_pk_add_f32 v[50:51], v[44:45], v[52:53] neg_lo:[0,1] neg_hi:[0,1]
	v_cmp_gt_f32_e64 s[60:61], s2, v56
	v_sub_f32_e32 v7, v44, v50
	v_pk_add_f32 v[42:43], v[42:43], v[50:51] neg_lo:[0,1] neg_hi:[0,1]
	v_sub_f32_e32 v7, v52, v7
	v_add_f32_e32 v7, v42, v7
	v_add_f32_e32 v7, v7, v43
	;; [unrolled: 1-line block ×3, first 2 shown]
	s_or_b64 vcc, s[60:61], vcc
	v_cndmask_b32_e32 v147, v7, v56, vcc
.LBB159_77:                             ;   in Loop: Header=BB159_13 Depth=1
	s_or_b64 exec, exec, s[4:5]
	v_add_f32_e32 v148, s62, v41
	s_mov_b32 s2, 0x41a00000
	v_cmp_ge_f32_e32 vcc, s2, v148
	v_readlane_b32 s2, v167, 27
	v_readlane_b32 s3, v167, 28
	s_and_b64 s[2:3], s[2:3], vcc
	s_and_saveexec_b64 s[4:5], s[2:3]
	s_cbranch_execz .LBB159_79
; %bb.78:                               ;   in Loop: Header=BB159_13 Depth=1
	v_mul_f32_e32 v7, 0x3fb8aa3b, v148
	v_rndne_f32_e32 v9, v7
	s_mov_b32 s2, 0x3fb8aa3b
	v_sub_f32_e32 v40, v7, v9
	v_fma_f32 v7, v148, s2, -v7
	v_fmac_f32_e32 v7, 0x32a5705f, v148
	v_add_f32_e32 v7, v40, v7
	v_cvt_i32_f32_e32 v9, v9
	v_exp_f32_e32 v7, v7
	s_mov_b32 s2, 0xc2ce8ed0
	v_cmp_ngt_f32_e32 vcc, s2, v148
	s_mov_b32 s2, 0x42b17218
	v_ldexp_f32 v7, v7, v9
	v_cndmask_b32_e32 v7, 0, v7, vcc
	v_cmp_nlt_f32_e32 vcc, s2, v148
	s_mov_b32 s2, 0x3f2aaaab
	s_nop 0
	v_cndmask_b32_e32 v56, v144, v7, vcc
	v_add_f32_e32 v7, 1.0, v56
	v_add_f32_e32 v9, -1.0, v7
	v_sub_f32_e32 v40, v9, v7
	v_add_f32_e32 v40, 1.0, v40
	v_sub_f32_e32 v9, v56, v9
	v_add_f32_e32 v9, v9, v40
	v_frexp_mant_f32_e32 v42, v7
	v_cvt_f64_f32_e32 v[40:41], v7
	v_frexp_exp_i32_f64_e32 v40, v[40:41]
	v_cmp_gt_f32_e32 vcc, s2, v42
	s_mov_b32 s2, 0x3f317218
	s_nop 0
	v_subbrev_co_u32_e32 v48, vcc, 0, v40, vcc
	v_sub_u32_e32 v40, 0, v48
	v_ldexp_f32 v7, v7, v40
	v_ldexp_f32 v9, v9, v40
	v_add_f32_e32 v40, -1.0, v7
	v_add_f32_e32 v41, 1.0, v40
	v_sub_f32_e32 v41, v7, v41
	v_add_f32_e32 v42, v9, v41
	v_add_f32_e32 v41, 1.0, v7
	v_add_f32_e32 v43, -1.0, v41
	v_sub_f32_e32 v7, v7, v43
	v_add_f32_e32 v7, v9, v7
	v_add_f32_e32 v9, v41, v7
	v_rcp_f32_e32 v49, v9
	v_sub_f32_e32 v41, v41, v9
	v_add_f32_e32 v7, v7, v41
	v_add_f32_e32 v41, v40, v42
	v_sub_f32_e32 v40, v40, v41
	v_mul_f32_e32 v51, v41, v49
	v_add_f32_e32 v50, v42, v40
	v_mul_f32_e32 v42, v9, v51
	v_fma_f32 v44, v51, v9, -v42
	v_fmac_f32_e32 v44, v51, v7
	v_add_f32_e32 v40, v42, v44
	v_sub_f32_e32 v43, v41, v40
	v_pk_add_f32 v[46:47], v[40:41], v[42:43] neg_lo:[0,1] neg_hi:[0,1]
	v_mov_b32_e32 v45, v40
	v_pk_add_f32 v[40:41], v[46:47], v[44:45] neg_lo:[0,1] neg_hi:[0,1]
	s_nop 0
	v_add_f32_e32 v41, v50, v41
	v_add_f32_e32 v40, v40, v41
	;; [unrolled: 1-line block ×3, first 2 shown]
	v_mul_f32_e32 v50, v49, v41
	v_mul_f32_e32 v42, v9, v50
	v_fma_f32 v44, v50, v9, -v42
	v_fmac_f32_e32 v44, v50, v7
	v_sub_f32_e32 v7, v43, v41
	v_add_f32_e32 v7, v40, v7
	v_add_f32_e32 v40, v42, v44
	v_sub_f32_e32 v43, v41, v40
	v_pk_add_f32 v[46:47], v[40:41], v[42:43] neg_lo:[0,1] neg_hi:[0,1]
	v_mov_b32_e32 v45, v40
	v_pk_add_f32 v[40:41], v[46:47], v[44:45] neg_lo:[0,1] neg_hi:[0,1]
	s_nop 0
	v_add_f32_e32 v7, v7, v41
	v_add_f32_e32 v7, v40, v7
	;; [unrolled: 1-line block ×4, first 2 shown]
	v_sub_f32_e32 v9, v41, v51
	v_mul_f32_e32 v7, v49, v7
	v_sub_f32_e32 v9, v50, v9
	v_add_f32_e32 v7, v9, v7
	v_add_f32_e32 v42, v41, v7
	v_cvt_f32_i32_e32 v40, v48
	v_mul_f32_e32 v44, v42, v42
	v_fmamk_f32 v9, v44, 0x3e9b6dac, v143
	v_sub_f32_e32 v41, v42, v41
	v_fmaak_f32 v9, v44, v9, 0x3f2aaada
	v_sub_f32_e32 v7, v7, v41
	v_mul_f32_e32 v41, v42, v44
	v_pk_mul_f32 v[44:45], v[40:41], v[8:9]
	v_ldexp_f32 v43, v42, 1
	v_fma_f32 v42, v40, s2, -v44
	v_fmac_f32_e32 v42, 0xb102e308, v40
	v_pk_add_f32 v[40:41], v[44:45], v[42:43]
	v_ldexp_f32 v7, v7, 1
	v_sub_f32_e32 v9, v41, v43
	v_sub_f32_e32 v9, v45, v9
	v_add_f32_e32 v47, v7, v9
	v_mov_b32_e32 v46, v44
	v_pk_add_f32 v[44:45], v[40:41], v[44:45] neg_lo:[0,1] neg_hi:[0,1]
	v_pk_add_f32 v[48:49], v[40:41], v[46:47]
	v_mov_b32_e32 v43, v40
	v_mov_b32_e32 v45, v49
	v_pk_add_f32 v[50:51], v[42:43], v[44:45] neg_lo:[0,1] neg_hi:[0,1]
	v_pk_add_f32 v[42:43], v[42:43], v[44:45]
	v_mov_b32_e32 v46, v47
	v_mov_b32_e32 v44, v43
	v_pk_add_f32 v[52:53], v[44:45], v[40:41] neg_lo:[0,1] neg_hi:[0,1]
	v_mov_b32_e32 v42, v49
	v_mov_b32_e32 v7, v52
	v_pk_add_f32 v[54:55], v[48:49], v[6:7] neg_lo:[0,1] neg_hi:[0,1]
	v_mov_b32_e32 v48, v41
	v_mov_b32_e32 v49, v52
	v_mov_b32_e32 v51, v43
	v_pk_add_f32 v[42:43], v[42:43], v[48:49] neg_lo:[0,1] neg_hi:[0,1]
	v_mov_b32_e32 v47, v40
	v_pk_add_f32 v[40:41], v[46:47], v[42:43] neg_lo:[0,1] neg_hi:[0,1]
	v_mov_b32_e32 v54, v50
	v_pk_add_f32 v[42:43], v[54:55], v[40:41]
	s_mov_b32 s2, 0x7f800000
	v_mov_b32_e32 v46, v43
	v_pk_add_f32 v[46:47], v[42:43], v[46:47]
	v_cmp_eq_f32_e32 vcc, s2, v56
	v_pk_add_f32 v[44:45], v[44:45], v[46:47]
	v_mov_b32_e32 v41, v46
	v_mov_b32_e32 v43, v44
	v_pk_add_f32 v[48:49], v[42:43], v[50:51] neg_lo:[0,1] neg_hi:[0,1]
	s_mov_b32 s2, 0x33800000
	v_sub_f32_e32 v7, v42, v48
	v_pk_add_f32 v[40:41], v[40:41], v[48:49] neg_lo:[0,1] neg_hi:[0,1]
	v_sub_f32_e32 v7, v50, v7
	v_add_f32_e32 v7, v40, v7
	v_add_f32_e32 v7, v7, v41
	v_cmp_gt_f32_e64 s[60:61], s2, v56
	v_add_f32_e32 v7, v44, v7
	s_or_b64 vcc, s[60:61], vcc
	v_cndmask_b32_e32 v148, v7, v56, vcc
.LBB159_79:                             ;   in Loop: Header=BB159_13 Depth=1
	s_or_b64 exec, exec, s[4:5]
	s_waitcnt lgkmcnt(6)
	v_add_f32_e32 v149, s62, v38
	s_mov_b32 s2, 0x41a00000
	v_cmp_ge_f32_e32 vcc, s2, v149
	v_readlane_b32 s2, v167, 27
	v_readlane_b32 s3, v167, 28
	s_and_b64 s[2:3], s[2:3], vcc
	s_and_saveexec_b64 s[4:5], s[2:3]
	s_cbranch_execz .LBB159_81
; %bb.80:                               ;   in Loop: Header=BB159_13 Depth=1
	v_mul_f32_e32 v7, 0x3fb8aa3b, v149
	v_rndne_f32_e32 v9, v7
	s_mov_b32 s2, 0x3fb8aa3b
	v_sub_f32_e32 v38, v7, v9
	v_fma_f32 v7, v149, s2, -v7
	v_fmac_f32_e32 v7, 0x32a5705f, v149
	v_add_f32_e32 v7, v38, v7
	v_cvt_i32_f32_e32 v9, v9
	v_exp_f32_e32 v7, v7
	s_mov_b32 s2, 0xc2ce8ed0
	v_cmp_ngt_f32_e32 vcc, s2, v149
	s_mov_b32 s2, 0x42b17218
	v_ldexp_f32 v7, v7, v9
	v_cndmask_b32_e32 v7, 0, v7, vcc
	v_cmp_nlt_f32_e32 vcc, s2, v149
	s_mov_b32 s2, 0x3f2aaaab
	s_nop 0
	v_cndmask_b32_e32 v54, v144, v7, vcc
	v_add_f32_e32 v7, 1.0, v54
	v_add_f32_e32 v9, -1.0, v7
	v_sub_f32_e32 v38, v9, v7
	v_add_f32_e32 v38, 1.0, v38
	v_sub_f32_e32 v9, v54, v9
	v_add_f32_e32 v9, v9, v38
	v_frexp_mant_f32_e32 v38, v7
	v_cvt_f64_f32_e32 v[40:41], v7
	v_frexp_exp_i32_f64_e32 v40, v[40:41]
	v_cmp_gt_f32_e32 vcc, s2, v38
	s_mov_b32 s2, 0x3f317218
	s_nop 0
	v_subbrev_co_u32_e32 v38, vcc, 0, v40, vcc
	v_sub_u32_e32 v40, 0, v38
	v_ldexp_f32 v7, v7, v40
	v_ldexp_f32 v9, v9, v40
	v_add_f32_e32 v40, -1.0, v7
	v_add_f32_e32 v41, 1.0, v40
	v_sub_f32_e32 v41, v7, v41
	v_add_f32_e32 v42, v9, v41
	v_add_f32_e32 v41, 1.0, v7
	v_add_f32_e32 v43, -1.0, v41
	v_sub_f32_e32 v7, v7, v43
	v_add_f32_e32 v7, v9, v7
	v_add_f32_e32 v9, v41, v7
	v_rcp_f32_e32 v48, v9
	v_sub_f32_e32 v41, v41, v9
	v_add_f32_e32 v7, v7, v41
	v_add_f32_e32 v41, v40, v42
	v_sub_f32_e32 v40, v40, v41
	v_mul_f32_e32 v50, v41, v48
	v_add_f32_e32 v49, v42, v40
	v_mul_f32_e32 v42, v9, v50
	v_fma_f32 v44, v50, v9, -v42
	v_fmac_f32_e32 v44, v50, v7
	v_add_f32_e32 v40, v42, v44
	v_sub_f32_e32 v43, v41, v40
	v_pk_add_f32 v[46:47], v[40:41], v[42:43] neg_lo:[0,1] neg_hi:[0,1]
	v_mov_b32_e32 v45, v40
	v_pk_add_f32 v[40:41], v[46:47], v[44:45] neg_lo:[0,1] neg_hi:[0,1]
	s_nop 0
	v_add_f32_e32 v41, v49, v41
	v_add_f32_e32 v40, v40, v41
	;; [unrolled: 1-line block ×3, first 2 shown]
	v_mul_f32_e32 v49, v48, v41
	v_mul_f32_e32 v42, v9, v49
	v_fma_f32 v44, v49, v9, -v42
	v_fmac_f32_e32 v44, v49, v7
	v_sub_f32_e32 v7, v43, v41
	v_add_f32_e32 v7, v40, v7
	v_add_f32_e32 v40, v42, v44
	v_sub_f32_e32 v43, v41, v40
	v_pk_add_f32 v[46:47], v[40:41], v[42:43] neg_lo:[0,1] neg_hi:[0,1]
	v_mov_b32_e32 v45, v40
	v_pk_add_f32 v[40:41], v[46:47], v[44:45] neg_lo:[0,1] neg_hi:[0,1]
	s_nop 0
	v_add_f32_e32 v7, v7, v41
	v_add_f32_e32 v7, v40, v7
	;; [unrolled: 1-line block ×4, first 2 shown]
	v_sub_f32_e32 v9, v41, v50
	v_mul_f32_e32 v7, v48, v7
	v_sub_f32_e32 v9, v49, v9
	v_add_f32_e32 v7, v9, v7
	v_add_f32_e32 v42, v41, v7
	v_cvt_f32_i32_e32 v40, v38
	v_mul_f32_e32 v44, v42, v42
	v_fmamk_f32 v9, v44, 0x3e9b6dac, v143
	v_fmaak_f32 v9, v44, v9, 0x3f2aaada
	v_sub_f32_e32 v38, v42, v41
	v_mul_f32_e32 v41, v42, v44
	v_pk_mul_f32 v[44:45], v[40:41], v[8:9]
	v_ldexp_f32 v43, v42, 1
	v_fma_f32 v42, v40, s2, -v44
	v_fmac_f32_e32 v42, 0xb102e308, v40
	v_pk_add_f32 v[40:41], v[44:45], v[42:43]
	v_sub_f32_e32 v7, v7, v38
	v_sub_f32_e32 v9, v41, v43
	v_ldexp_f32 v7, v7, 1
	v_sub_f32_e32 v9, v45, v9
	v_add_f32_e32 v47, v7, v9
	v_mov_b32_e32 v46, v44
	v_pk_add_f32 v[44:45], v[40:41], v[44:45] neg_lo:[0,1] neg_hi:[0,1]
	v_pk_add_f32 v[48:49], v[40:41], v[46:47]
	v_mov_b32_e32 v43, v40
	v_mov_b32_e32 v45, v49
	v_pk_add_f32 v[50:51], v[42:43], v[44:45] neg_lo:[0,1] neg_hi:[0,1]
	v_pk_add_f32 v[42:43], v[42:43], v[44:45]
	s_mov_b32 s2, 0x7f800000
	v_mov_b32_e32 v38, v43
	v_pk_add_f32 v[44:45], v[38:39], v[40:41] neg_lo:[0,1] neg_hi:[0,1]
	v_mov_b32_e32 v42, v49
	v_mov_b32_e32 v7, v44
	v_pk_add_f32 v[52:53], v[48:49], v[6:7] neg_lo:[0,1] neg_hi:[0,1]
	v_mov_b32_e32 v48, v41
	v_mov_b32_e32 v49, v44
	;; [unrolled: 1-line block ×3, first 2 shown]
	v_pk_add_f32 v[42:43], v[42:43], v[48:49] neg_lo:[0,1] neg_hi:[0,1]
	v_mov_b32_e32 v44, v47
	v_mov_b32_e32 v45, v40
	v_pk_add_f32 v[40:41], v[44:45], v[42:43] neg_lo:[0,1] neg_hi:[0,1]
	v_mov_b32_e32 v52, v50
	v_pk_add_f32 v[42:43], v[52:53], v[40:41]
	v_cmp_eq_f32_e32 vcc, s2, v54
	v_mov_b32_e32 v44, v43
	v_pk_add_f32 v[44:45], v[42:43], v[44:45]
	s_mov_b32 s2, 0x33800000
	v_pk_add_f32 v[46:47], v[38:39], v[44:45]
	v_mov_b32_e32 v41, v44
	v_mov_b32_e32 v43, v46
	v_pk_add_f32 v[48:49], v[42:43], v[50:51] neg_lo:[0,1] neg_hi:[0,1]
	v_cmp_gt_f32_e64 s[60:61], s2, v54
	v_sub_f32_e32 v7, v42, v48
	v_pk_add_f32 v[40:41], v[40:41], v[48:49] neg_lo:[0,1] neg_hi:[0,1]
	v_sub_f32_e32 v7, v50, v7
	v_add_f32_e32 v7, v40, v7
	v_add_f32_e32 v7, v7, v41
	;; [unrolled: 1-line block ×3, first 2 shown]
	s_or_b64 vcc, s[60:61], vcc
	v_cndmask_b32_e32 v149, v7, v54, vcc
.LBB159_81:                             ;   in Loop: Header=BB159_13 Depth=1
	s_or_b64 exec, exec, s[4:5]
	v_add_f32_e32 v150, s62, v39
	s_mov_b32 s2, 0x41a00000
	v_cmp_ge_f32_e32 vcc, s2, v150
	v_readlane_b32 s2, v167, 27
	v_readlane_b32 s3, v167, 28
	s_and_b64 s[2:3], s[2:3], vcc
	s_and_saveexec_b64 s[4:5], s[2:3]
	s_cbranch_execz .LBB159_83
; %bb.82:                               ;   in Loop: Header=BB159_13 Depth=1
	v_mul_f32_e32 v7, 0x3fb8aa3b, v150
	v_rndne_f32_e32 v9, v7
	s_mov_b32 s2, 0x3fb8aa3b
	v_sub_f32_e32 v38, v7, v9
	v_fma_f32 v7, v150, s2, -v7
	v_fmac_f32_e32 v7, 0x32a5705f, v150
	v_add_f32_e32 v7, v38, v7
	v_cvt_i32_f32_e32 v9, v9
	v_exp_f32_e32 v7, v7
	s_mov_b32 s2, 0xc2ce8ed0
	v_cmp_ngt_f32_e32 vcc, s2, v150
	s_mov_b32 s2, 0x42b17218
	v_ldexp_f32 v7, v7, v9
	v_cndmask_b32_e32 v7, 0, v7, vcc
	v_cmp_nlt_f32_e32 vcc, s2, v150
	s_mov_b32 s2, 0x3f2aaaab
	s_nop 0
	v_cndmask_b32_e32 v54, v144, v7, vcc
	v_add_f32_e32 v7, 1.0, v54
	v_add_f32_e32 v9, -1.0, v7
	v_sub_f32_e32 v38, v9, v7
	v_add_f32_e32 v38, 1.0, v38
	v_sub_f32_e32 v9, v54, v9
	v_add_f32_e32 v9, v9, v38
	v_frexp_mant_f32_e32 v40, v7
	v_cvt_f64_f32_e32 v[38:39], v7
	v_frexp_exp_i32_f64_e32 v38, v[38:39]
	v_cmp_gt_f32_e32 vcc, s2, v40
	s_mov_b32 s2, 0x3f317218
	s_nop 0
	v_subbrev_co_u32_e32 v46, vcc, 0, v38, vcc
	v_sub_u32_e32 v38, 0, v46
	v_ldexp_f32 v7, v7, v38
	v_ldexp_f32 v9, v9, v38
	v_add_f32_e32 v38, -1.0, v7
	v_add_f32_e32 v39, 1.0, v38
	v_sub_f32_e32 v39, v7, v39
	v_add_f32_e32 v40, v9, v39
	v_add_f32_e32 v39, 1.0, v7
	v_add_f32_e32 v41, -1.0, v39
	v_sub_f32_e32 v7, v7, v41
	v_add_f32_e32 v7, v9, v7
	v_add_f32_e32 v9, v39, v7
	v_rcp_f32_e32 v47, v9
	v_sub_f32_e32 v39, v39, v9
	v_add_f32_e32 v7, v7, v39
	v_add_f32_e32 v39, v38, v40
	v_sub_f32_e32 v38, v38, v39
	v_mul_f32_e32 v49, v39, v47
	v_add_f32_e32 v48, v40, v38
	v_mul_f32_e32 v40, v9, v49
	v_fma_f32 v42, v49, v9, -v40
	v_fmac_f32_e32 v42, v49, v7
	v_add_f32_e32 v38, v40, v42
	v_sub_f32_e32 v41, v39, v38
	v_pk_add_f32 v[44:45], v[38:39], v[40:41] neg_lo:[0,1] neg_hi:[0,1]
	v_mov_b32_e32 v43, v38
	v_pk_add_f32 v[38:39], v[44:45], v[42:43] neg_lo:[0,1] neg_hi:[0,1]
	s_nop 0
	v_add_f32_e32 v39, v48, v39
	v_add_f32_e32 v38, v38, v39
	;; [unrolled: 1-line block ×3, first 2 shown]
	v_mul_f32_e32 v48, v47, v39
	v_mul_f32_e32 v40, v9, v48
	v_fma_f32 v42, v48, v9, -v40
	v_fmac_f32_e32 v42, v48, v7
	v_sub_f32_e32 v7, v41, v39
	v_add_f32_e32 v7, v38, v7
	v_add_f32_e32 v38, v40, v42
	v_sub_f32_e32 v41, v39, v38
	v_pk_add_f32 v[44:45], v[38:39], v[40:41] neg_lo:[0,1] neg_hi:[0,1]
	v_mov_b32_e32 v43, v38
	v_pk_add_f32 v[38:39], v[44:45], v[42:43] neg_lo:[0,1] neg_hi:[0,1]
	s_nop 0
	v_add_f32_e32 v7, v7, v39
	v_add_f32_e32 v7, v38, v7
	;; [unrolled: 1-line block ×4, first 2 shown]
	v_sub_f32_e32 v9, v39, v49
	v_mul_f32_e32 v7, v47, v7
	v_sub_f32_e32 v9, v48, v9
	v_add_f32_e32 v7, v9, v7
	v_add_f32_e32 v40, v39, v7
	v_cvt_f32_i32_e32 v38, v46
	v_mul_f32_e32 v42, v40, v40
	v_fmamk_f32 v9, v42, 0x3e9b6dac, v143
	v_sub_f32_e32 v39, v40, v39
	v_fmaak_f32 v9, v42, v9, 0x3f2aaada
	v_sub_f32_e32 v7, v7, v39
	v_mul_f32_e32 v39, v40, v42
	v_pk_mul_f32 v[42:43], v[38:39], v[8:9]
	v_ldexp_f32 v41, v40, 1
	v_fma_f32 v40, v38, s2, -v42
	v_fmac_f32_e32 v40, 0xb102e308, v38
	v_pk_add_f32 v[38:39], v[42:43], v[40:41]
	v_ldexp_f32 v7, v7, 1
	v_sub_f32_e32 v9, v39, v41
	v_sub_f32_e32 v9, v43, v9
	v_add_f32_e32 v45, v7, v9
	v_mov_b32_e32 v44, v42
	v_pk_add_f32 v[42:43], v[38:39], v[42:43] neg_lo:[0,1] neg_hi:[0,1]
	v_pk_add_f32 v[46:47], v[38:39], v[44:45]
	v_mov_b32_e32 v41, v38
	v_mov_b32_e32 v43, v47
	v_pk_add_f32 v[48:49], v[40:41], v[42:43] neg_lo:[0,1] neg_hi:[0,1]
	v_pk_add_f32 v[40:41], v[40:41], v[42:43]
	v_mov_b32_e32 v44, v45
	v_mov_b32_e32 v42, v41
	v_pk_add_f32 v[50:51], v[42:43], v[38:39] neg_lo:[0,1] neg_hi:[0,1]
	v_mov_b32_e32 v40, v47
	v_mov_b32_e32 v7, v50
	v_pk_add_f32 v[52:53], v[46:47], v[6:7] neg_lo:[0,1] neg_hi:[0,1]
	v_mov_b32_e32 v46, v39
	v_mov_b32_e32 v47, v50
	;; [unrolled: 1-line block ×3, first 2 shown]
	v_pk_add_f32 v[40:41], v[40:41], v[46:47] neg_lo:[0,1] neg_hi:[0,1]
	v_mov_b32_e32 v45, v38
	v_pk_add_f32 v[38:39], v[44:45], v[40:41] neg_lo:[0,1] neg_hi:[0,1]
	v_mov_b32_e32 v52, v48
	v_pk_add_f32 v[40:41], v[52:53], v[38:39]
	s_mov_b32 s2, 0x7f800000
	v_mov_b32_e32 v44, v41
	v_pk_add_f32 v[44:45], v[40:41], v[44:45]
	v_cmp_eq_f32_e32 vcc, s2, v54
	v_pk_add_f32 v[42:43], v[42:43], v[44:45]
	v_mov_b32_e32 v39, v44
	v_mov_b32_e32 v41, v42
	v_pk_add_f32 v[46:47], v[40:41], v[48:49] neg_lo:[0,1] neg_hi:[0,1]
	s_mov_b32 s2, 0x33800000
	v_sub_f32_e32 v7, v40, v46
	v_pk_add_f32 v[38:39], v[38:39], v[46:47] neg_lo:[0,1] neg_hi:[0,1]
	v_sub_f32_e32 v7, v48, v7
	v_add_f32_e32 v7, v38, v7
	v_add_f32_e32 v7, v7, v39
	v_cmp_gt_f32_e64 s[60:61], s2, v54
	v_add_f32_e32 v7, v42, v7
	s_or_b64 vcc, s[60:61], vcc
	v_cndmask_b32_e32 v150, v7, v54, vcc
.LBB159_83:                             ;   in Loop: Header=BB159_13 Depth=1
	s_or_b64 exec, exec, s[4:5]
	s_waitcnt lgkmcnt(5)
	v_add_f32_e32 v151, s62, v36
	s_mov_b32 s2, 0x41a00000
	v_cmp_ge_f32_e32 vcc, s2, v151
	v_readlane_b32 s2, v167, 27
	v_readlane_b32 s3, v167, 28
	s_and_b64 s[2:3], s[2:3], vcc
	s_and_saveexec_b64 s[4:5], s[2:3]
	s_cbranch_execz .LBB159_85
; %bb.84:                               ;   in Loop: Header=BB159_13 Depth=1
	v_mul_f32_e32 v7, 0x3fb8aa3b, v151
	v_rndne_f32_e32 v9, v7
	s_mov_b32 s2, 0x3fb8aa3b
	v_sub_f32_e32 v36, v7, v9
	v_fma_f32 v7, v151, s2, -v7
	v_fmac_f32_e32 v7, 0x32a5705f, v151
	v_add_f32_e32 v7, v36, v7
	v_cvt_i32_f32_e32 v9, v9
	v_exp_f32_e32 v7, v7
	s_mov_b32 s2, 0xc2ce8ed0
	v_cmp_ngt_f32_e32 vcc, s2, v151
	s_mov_b32 s2, 0x42b17218
	v_ldexp_f32 v7, v7, v9
	v_cndmask_b32_e32 v7, 0, v7, vcc
	v_cmp_nlt_f32_e32 vcc, s2, v151
	s_mov_b32 s2, 0x3f2aaaab
	s_nop 0
	v_cndmask_b32_e32 v52, v144, v7, vcc
	v_add_f32_e32 v7, 1.0, v52
	v_add_f32_e32 v9, -1.0, v7
	v_sub_f32_e32 v36, v9, v7
	v_add_f32_e32 v36, 1.0, v36
	v_sub_f32_e32 v9, v52, v9
	v_add_f32_e32 v9, v9, v36
	v_frexp_mant_f32_e32 v36, v7
	v_cvt_f64_f32_e32 v[38:39], v7
	v_frexp_exp_i32_f64_e32 v38, v[38:39]
	v_cmp_gt_f32_e32 vcc, s2, v36
	s_mov_b32 s2, 0x3f317218
	s_nop 0
	v_subbrev_co_u32_e32 v36, vcc, 0, v38, vcc
	v_sub_u32_e32 v38, 0, v36
	v_ldexp_f32 v7, v7, v38
	v_ldexp_f32 v9, v9, v38
	v_add_f32_e32 v38, -1.0, v7
	v_add_f32_e32 v39, 1.0, v38
	v_sub_f32_e32 v39, v7, v39
	v_add_f32_e32 v40, v9, v39
	v_add_f32_e32 v39, 1.0, v7
	v_add_f32_e32 v41, -1.0, v39
	v_sub_f32_e32 v7, v7, v41
	v_add_f32_e32 v7, v9, v7
	v_add_f32_e32 v9, v39, v7
	v_rcp_f32_e32 v46, v9
	v_sub_f32_e32 v39, v39, v9
	v_add_f32_e32 v7, v7, v39
	v_add_f32_e32 v39, v38, v40
	v_sub_f32_e32 v38, v38, v39
	v_mul_f32_e32 v48, v39, v46
	v_add_f32_e32 v47, v40, v38
	v_mul_f32_e32 v40, v9, v48
	v_fma_f32 v42, v48, v9, -v40
	v_fmac_f32_e32 v42, v48, v7
	v_add_f32_e32 v38, v40, v42
	v_sub_f32_e32 v41, v39, v38
	v_pk_add_f32 v[44:45], v[38:39], v[40:41] neg_lo:[0,1] neg_hi:[0,1]
	v_mov_b32_e32 v43, v38
	v_pk_add_f32 v[38:39], v[44:45], v[42:43] neg_lo:[0,1] neg_hi:[0,1]
	s_nop 0
	v_add_f32_e32 v39, v47, v39
	v_add_f32_e32 v38, v38, v39
	;; [unrolled: 1-line block ×3, first 2 shown]
	v_mul_f32_e32 v47, v46, v39
	v_mul_f32_e32 v40, v9, v47
	v_fma_f32 v42, v47, v9, -v40
	v_fmac_f32_e32 v42, v47, v7
	v_sub_f32_e32 v7, v41, v39
	v_add_f32_e32 v7, v38, v7
	v_add_f32_e32 v38, v40, v42
	v_sub_f32_e32 v41, v39, v38
	v_pk_add_f32 v[44:45], v[38:39], v[40:41] neg_lo:[0,1] neg_hi:[0,1]
	v_mov_b32_e32 v43, v38
	v_pk_add_f32 v[38:39], v[44:45], v[42:43] neg_lo:[0,1] neg_hi:[0,1]
	s_nop 0
	v_add_f32_e32 v7, v7, v39
	v_add_f32_e32 v7, v38, v7
	;; [unrolled: 1-line block ×4, first 2 shown]
	v_sub_f32_e32 v9, v39, v48
	v_mul_f32_e32 v7, v46, v7
	v_sub_f32_e32 v9, v47, v9
	v_add_f32_e32 v7, v9, v7
	v_add_f32_e32 v40, v39, v7
	v_cvt_f32_i32_e32 v38, v36
	v_mul_f32_e32 v42, v40, v40
	v_fmamk_f32 v9, v42, 0x3e9b6dac, v143
	v_fmaak_f32 v9, v42, v9, 0x3f2aaada
	v_sub_f32_e32 v36, v40, v39
	v_mul_f32_e32 v39, v40, v42
	v_pk_mul_f32 v[42:43], v[38:39], v[8:9]
	v_ldexp_f32 v41, v40, 1
	v_fma_f32 v40, v38, s2, -v42
	v_fmac_f32_e32 v40, 0xb102e308, v38
	v_pk_add_f32 v[38:39], v[42:43], v[40:41]
	v_sub_f32_e32 v7, v7, v36
	v_sub_f32_e32 v9, v39, v41
	v_ldexp_f32 v7, v7, 1
	v_sub_f32_e32 v9, v43, v9
	v_add_f32_e32 v45, v7, v9
	v_mov_b32_e32 v44, v42
	v_pk_add_f32 v[42:43], v[38:39], v[42:43] neg_lo:[0,1] neg_hi:[0,1]
	v_pk_add_f32 v[46:47], v[38:39], v[44:45]
	v_mov_b32_e32 v41, v38
	v_mov_b32_e32 v43, v47
	v_pk_add_f32 v[48:49], v[40:41], v[42:43] neg_lo:[0,1] neg_hi:[0,1]
	v_pk_add_f32 v[40:41], v[40:41], v[42:43]
	s_mov_b32 s2, 0x7f800000
	v_mov_b32_e32 v36, v41
	v_pk_add_f32 v[42:43], v[36:37], v[38:39] neg_lo:[0,1] neg_hi:[0,1]
	v_mov_b32_e32 v40, v47
	v_mov_b32_e32 v7, v42
	v_pk_add_f32 v[50:51], v[46:47], v[6:7] neg_lo:[0,1] neg_hi:[0,1]
	v_mov_b32_e32 v46, v39
	v_mov_b32_e32 v47, v42
	;; [unrolled: 1-line block ×3, first 2 shown]
	v_pk_add_f32 v[40:41], v[40:41], v[46:47] neg_lo:[0,1] neg_hi:[0,1]
	v_mov_b32_e32 v42, v45
	v_mov_b32_e32 v43, v38
	v_pk_add_f32 v[38:39], v[42:43], v[40:41] neg_lo:[0,1] neg_hi:[0,1]
	v_mov_b32_e32 v50, v48
	v_pk_add_f32 v[40:41], v[50:51], v[38:39]
	v_cmp_eq_f32_e32 vcc, s2, v52
	v_mov_b32_e32 v42, v41
	v_pk_add_f32 v[42:43], v[40:41], v[42:43]
	s_mov_b32 s2, 0x33800000
	v_pk_add_f32 v[44:45], v[36:37], v[42:43]
	v_mov_b32_e32 v39, v42
	v_mov_b32_e32 v41, v44
	v_pk_add_f32 v[46:47], v[40:41], v[48:49] neg_lo:[0,1] neg_hi:[0,1]
	v_cmp_gt_f32_e64 s[60:61], s2, v52
	v_sub_f32_e32 v7, v40, v46
	v_pk_add_f32 v[38:39], v[38:39], v[46:47] neg_lo:[0,1] neg_hi:[0,1]
	v_sub_f32_e32 v7, v48, v7
	v_add_f32_e32 v7, v38, v7
	v_add_f32_e32 v7, v7, v39
	v_add_f32_e32 v7, v44, v7
	s_or_b64 vcc, s[60:61], vcc
	v_cndmask_b32_e32 v151, v7, v52, vcc
.LBB159_85:                             ;   in Loop: Header=BB159_13 Depth=1
	s_or_b64 exec, exec, s[4:5]
	v_add_f32_e32 v152, s62, v37
	s_mov_b32 s2, 0x41a00000
	v_cmp_ge_f32_e32 vcc, s2, v152
	v_readlane_b32 s2, v167, 27
	v_readlane_b32 s3, v167, 28
	s_and_b64 s[2:3], s[2:3], vcc
	s_and_saveexec_b64 s[4:5], s[2:3]
	s_cbranch_execz .LBB159_87
; %bb.86:                               ;   in Loop: Header=BB159_13 Depth=1
	v_mul_f32_e32 v7, 0x3fb8aa3b, v152
	v_rndne_f32_e32 v9, v7
	s_mov_b32 s2, 0x3fb8aa3b
	v_sub_f32_e32 v36, v7, v9
	v_fma_f32 v7, v152, s2, -v7
	v_fmac_f32_e32 v7, 0x32a5705f, v152
	v_add_f32_e32 v7, v36, v7
	v_cvt_i32_f32_e32 v9, v9
	v_exp_f32_e32 v7, v7
	s_mov_b32 s2, 0xc2ce8ed0
	v_cmp_ngt_f32_e32 vcc, s2, v152
	s_mov_b32 s2, 0x42b17218
	v_ldexp_f32 v7, v7, v9
	v_cndmask_b32_e32 v7, 0, v7, vcc
	v_cmp_nlt_f32_e32 vcc, s2, v152
	s_mov_b32 s2, 0x3f2aaaab
	s_nop 0
	v_cndmask_b32_e32 v52, v144, v7, vcc
	v_add_f32_e32 v7, 1.0, v52
	v_add_f32_e32 v9, -1.0, v7
	v_sub_f32_e32 v36, v9, v7
	v_add_f32_e32 v36, 1.0, v36
	v_sub_f32_e32 v9, v52, v9
	v_add_f32_e32 v9, v9, v36
	v_frexp_mant_f32_e32 v38, v7
	v_cvt_f64_f32_e32 v[36:37], v7
	v_frexp_exp_i32_f64_e32 v36, v[36:37]
	v_cmp_gt_f32_e32 vcc, s2, v38
	s_mov_b32 s2, 0x3f317218
	s_nop 0
	v_subbrev_co_u32_e32 v44, vcc, 0, v36, vcc
	v_sub_u32_e32 v36, 0, v44
	v_ldexp_f32 v7, v7, v36
	v_ldexp_f32 v9, v9, v36
	v_add_f32_e32 v36, -1.0, v7
	v_add_f32_e32 v37, 1.0, v36
	v_sub_f32_e32 v37, v7, v37
	v_add_f32_e32 v38, v9, v37
	v_add_f32_e32 v37, 1.0, v7
	v_add_f32_e32 v39, -1.0, v37
	v_sub_f32_e32 v7, v7, v39
	v_add_f32_e32 v7, v9, v7
	v_add_f32_e32 v9, v37, v7
	v_rcp_f32_e32 v45, v9
	v_sub_f32_e32 v37, v37, v9
	v_add_f32_e32 v7, v7, v37
	v_add_f32_e32 v37, v36, v38
	v_sub_f32_e32 v36, v36, v37
	v_mul_f32_e32 v47, v37, v45
	v_add_f32_e32 v46, v38, v36
	v_mul_f32_e32 v38, v9, v47
	v_fma_f32 v40, v47, v9, -v38
	v_fmac_f32_e32 v40, v47, v7
	v_add_f32_e32 v36, v38, v40
	v_sub_f32_e32 v39, v37, v36
	v_pk_add_f32 v[42:43], v[36:37], v[38:39] neg_lo:[0,1] neg_hi:[0,1]
	v_mov_b32_e32 v41, v36
	v_pk_add_f32 v[36:37], v[42:43], v[40:41] neg_lo:[0,1] neg_hi:[0,1]
	s_nop 0
	v_add_f32_e32 v37, v46, v37
	v_add_f32_e32 v36, v36, v37
	;; [unrolled: 1-line block ×3, first 2 shown]
	v_mul_f32_e32 v46, v45, v37
	v_mul_f32_e32 v38, v9, v46
	v_fma_f32 v40, v46, v9, -v38
	v_fmac_f32_e32 v40, v46, v7
	v_sub_f32_e32 v7, v39, v37
	v_add_f32_e32 v7, v36, v7
	v_add_f32_e32 v36, v38, v40
	v_sub_f32_e32 v39, v37, v36
	v_pk_add_f32 v[42:43], v[36:37], v[38:39] neg_lo:[0,1] neg_hi:[0,1]
	v_mov_b32_e32 v41, v36
	v_pk_add_f32 v[36:37], v[42:43], v[40:41] neg_lo:[0,1] neg_hi:[0,1]
	s_nop 0
	v_add_f32_e32 v7, v7, v37
	v_add_f32_e32 v7, v36, v7
	;; [unrolled: 1-line block ×4, first 2 shown]
	v_sub_f32_e32 v9, v37, v47
	v_mul_f32_e32 v7, v45, v7
	v_sub_f32_e32 v9, v46, v9
	v_add_f32_e32 v7, v9, v7
	v_add_f32_e32 v38, v37, v7
	v_cvt_f32_i32_e32 v36, v44
	v_mul_f32_e32 v40, v38, v38
	v_fmamk_f32 v9, v40, 0x3e9b6dac, v143
	v_sub_f32_e32 v37, v38, v37
	v_fmaak_f32 v9, v40, v9, 0x3f2aaada
	v_sub_f32_e32 v7, v7, v37
	v_mul_f32_e32 v37, v38, v40
	v_pk_mul_f32 v[40:41], v[36:37], v[8:9]
	v_ldexp_f32 v39, v38, 1
	v_fma_f32 v38, v36, s2, -v40
	v_fmac_f32_e32 v38, 0xb102e308, v36
	v_pk_add_f32 v[36:37], v[40:41], v[38:39]
	v_ldexp_f32 v7, v7, 1
	v_sub_f32_e32 v9, v37, v39
	v_sub_f32_e32 v9, v41, v9
	v_add_f32_e32 v43, v7, v9
	v_mov_b32_e32 v42, v40
	v_pk_add_f32 v[40:41], v[36:37], v[40:41] neg_lo:[0,1] neg_hi:[0,1]
	v_pk_add_f32 v[44:45], v[36:37], v[42:43]
	v_mov_b32_e32 v39, v36
	v_mov_b32_e32 v41, v45
	v_pk_add_f32 v[46:47], v[38:39], v[40:41] neg_lo:[0,1] neg_hi:[0,1]
	v_pk_add_f32 v[38:39], v[38:39], v[40:41]
	v_mov_b32_e32 v42, v43
	v_mov_b32_e32 v40, v39
	v_pk_add_f32 v[48:49], v[40:41], v[36:37] neg_lo:[0,1] neg_hi:[0,1]
	v_mov_b32_e32 v38, v45
	v_mov_b32_e32 v7, v48
	v_pk_add_f32 v[50:51], v[44:45], v[6:7] neg_lo:[0,1] neg_hi:[0,1]
	v_mov_b32_e32 v44, v37
	v_mov_b32_e32 v45, v48
	v_mov_b32_e32 v47, v39
	v_pk_add_f32 v[38:39], v[38:39], v[44:45] neg_lo:[0,1] neg_hi:[0,1]
	v_mov_b32_e32 v43, v36
	v_pk_add_f32 v[36:37], v[42:43], v[38:39] neg_lo:[0,1] neg_hi:[0,1]
	v_mov_b32_e32 v50, v46
	v_pk_add_f32 v[38:39], v[50:51], v[36:37]
	s_mov_b32 s2, 0x7f800000
	v_mov_b32_e32 v42, v39
	v_pk_add_f32 v[42:43], v[38:39], v[42:43]
	v_cmp_eq_f32_e32 vcc, s2, v52
	v_pk_add_f32 v[40:41], v[40:41], v[42:43]
	v_mov_b32_e32 v37, v42
	v_mov_b32_e32 v39, v40
	v_pk_add_f32 v[44:45], v[38:39], v[46:47] neg_lo:[0,1] neg_hi:[0,1]
	s_mov_b32 s2, 0x33800000
	v_sub_f32_e32 v7, v38, v44
	v_pk_add_f32 v[36:37], v[36:37], v[44:45] neg_lo:[0,1] neg_hi:[0,1]
	v_sub_f32_e32 v7, v46, v7
	v_add_f32_e32 v7, v36, v7
	v_add_f32_e32 v7, v7, v37
	v_cmp_gt_f32_e64 s[60:61], s2, v52
	v_add_f32_e32 v7, v40, v7
	s_or_b64 vcc, s[60:61], vcc
	v_cndmask_b32_e32 v152, v7, v52, vcc
.LBB159_87:                             ;   in Loop: Header=BB159_13 Depth=1
	s_or_b64 exec, exec, s[4:5]
	s_waitcnt lgkmcnt(4)
	v_add_f32_e32 v153, s62, v34
	s_mov_b32 s2, 0x41a00000
	v_cmp_ge_f32_e32 vcc, s2, v153
	v_readlane_b32 s2, v167, 27
	v_readlane_b32 s3, v167, 28
	s_and_b64 s[2:3], s[2:3], vcc
	s_and_saveexec_b64 s[4:5], s[2:3]
	s_cbranch_execz .LBB159_89
; %bb.88:                               ;   in Loop: Header=BB159_13 Depth=1
	v_mul_f32_e32 v7, 0x3fb8aa3b, v153
	v_rndne_f32_e32 v9, v7
	s_mov_b32 s2, 0x3fb8aa3b
	v_sub_f32_e32 v34, v7, v9
	v_fma_f32 v7, v153, s2, -v7
	v_fmac_f32_e32 v7, 0x32a5705f, v153
	v_add_f32_e32 v7, v34, v7
	v_cvt_i32_f32_e32 v9, v9
	v_exp_f32_e32 v7, v7
	s_mov_b32 s2, 0xc2ce8ed0
	v_cmp_ngt_f32_e32 vcc, s2, v153
	s_mov_b32 s2, 0x42b17218
	v_ldexp_f32 v7, v7, v9
	v_cndmask_b32_e32 v7, 0, v7, vcc
	v_cmp_nlt_f32_e32 vcc, s2, v153
	s_mov_b32 s2, 0x3f2aaaab
	s_nop 0
	v_cndmask_b32_e32 v50, v144, v7, vcc
	v_add_f32_e32 v7, 1.0, v50
	v_add_f32_e32 v9, -1.0, v7
	v_sub_f32_e32 v34, v9, v7
	v_add_f32_e32 v34, 1.0, v34
	v_sub_f32_e32 v9, v50, v9
	v_add_f32_e32 v9, v9, v34
	v_frexp_mant_f32_e32 v34, v7
	v_cvt_f64_f32_e32 v[36:37], v7
	v_frexp_exp_i32_f64_e32 v36, v[36:37]
	v_cmp_gt_f32_e32 vcc, s2, v34
	s_mov_b32 s2, 0x3f317218
	s_nop 0
	v_subbrev_co_u32_e32 v34, vcc, 0, v36, vcc
	v_sub_u32_e32 v36, 0, v34
	v_ldexp_f32 v7, v7, v36
	v_ldexp_f32 v9, v9, v36
	v_add_f32_e32 v36, -1.0, v7
	v_add_f32_e32 v37, 1.0, v36
	v_sub_f32_e32 v37, v7, v37
	v_add_f32_e32 v38, v9, v37
	v_add_f32_e32 v37, 1.0, v7
	v_add_f32_e32 v39, -1.0, v37
	v_sub_f32_e32 v7, v7, v39
	v_add_f32_e32 v7, v9, v7
	v_add_f32_e32 v9, v37, v7
	v_rcp_f32_e32 v44, v9
	v_sub_f32_e32 v37, v37, v9
	v_add_f32_e32 v7, v7, v37
	v_add_f32_e32 v37, v36, v38
	v_sub_f32_e32 v36, v36, v37
	v_mul_f32_e32 v46, v37, v44
	v_add_f32_e32 v45, v38, v36
	v_mul_f32_e32 v38, v9, v46
	v_fma_f32 v40, v46, v9, -v38
	v_fmac_f32_e32 v40, v46, v7
	v_add_f32_e32 v36, v38, v40
	v_sub_f32_e32 v39, v37, v36
	v_pk_add_f32 v[42:43], v[36:37], v[38:39] neg_lo:[0,1] neg_hi:[0,1]
	v_mov_b32_e32 v41, v36
	v_pk_add_f32 v[36:37], v[42:43], v[40:41] neg_lo:[0,1] neg_hi:[0,1]
	s_nop 0
	v_add_f32_e32 v37, v45, v37
	v_add_f32_e32 v36, v36, v37
	;; [unrolled: 1-line block ×3, first 2 shown]
	v_mul_f32_e32 v45, v44, v37
	v_mul_f32_e32 v38, v9, v45
	v_fma_f32 v40, v45, v9, -v38
	v_fmac_f32_e32 v40, v45, v7
	v_sub_f32_e32 v7, v39, v37
	v_add_f32_e32 v7, v36, v7
	v_add_f32_e32 v36, v38, v40
	v_sub_f32_e32 v39, v37, v36
	v_pk_add_f32 v[42:43], v[36:37], v[38:39] neg_lo:[0,1] neg_hi:[0,1]
	v_mov_b32_e32 v41, v36
	v_pk_add_f32 v[36:37], v[42:43], v[40:41] neg_lo:[0,1] neg_hi:[0,1]
	s_nop 0
	v_add_f32_e32 v7, v7, v37
	v_add_f32_e32 v7, v36, v7
	;; [unrolled: 1-line block ×4, first 2 shown]
	v_sub_f32_e32 v9, v37, v46
	v_mul_f32_e32 v7, v44, v7
	v_sub_f32_e32 v9, v45, v9
	v_add_f32_e32 v7, v9, v7
	v_add_f32_e32 v38, v37, v7
	v_cvt_f32_i32_e32 v36, v34
	v_mul_f32_e32 v40, v38, v38
	v_fmamk_f32 v9, v40, 0x3e9b6dac, v143
	v_fmaak_f32 v9, v40, v9, 0x3f2aaada
	v_sub_f32_e32 v34, v38, v37
	v_mul_f32_e32 v37, v38, v40
	v_pk_mul_f32 v[40:41], v[36:37], v[8:9]
	v_ldexp_f32 v39, v38, 1
	v_fma_f32 v38, v36, s2, -v40
	v_fmac_f32_e32 v38, 0xb102e308, v36
	v_pk_add_f32 v[36:37], v[40:41], v[38:39]
	v_sub_f32_e32 v7, v7, v34
	v_sub_f32_e32 v9, v37, v39
	v_ldexp_f32 v7, v7, 1
	v_sub_f32_e32 v9, v41, v9
	v_add_f32_e32 v43, v7, v9
	v_mov_b32_e32 v42, v40
	v_pk_add_f32 v[40:41], v[36:37], v[40:41] neg_lo:[0,1] neg_hi:[0,1]
	v_pk_add_f32 v[44:45], v[36:37], v[42:43]
	v_mov_b32_e32 v39, v36
	v_mov_b32_e32 v41, v45
	v_pk_add_f32 v[46:47], v[38:39], v[40:41] neg_lo:[0,1] neg_hi:[0,1]
	v_pk_add_f32 v[38:39], v[38:39], v[40:41]
	s_mov_b32 s2, 0x7f800000
	v_mov_b32_e32 v34, v39
	v_pk_add_f32 v[40:41], v[34:35], v[36:37] neg_lo:[0,1] neg_hi:[0,1]
	v_mov_b32_e32 v38, v45
	v_mov_b32_e32 v7, v40
	v_pk_add_f32 v[48:49], v[44:45], v[6:7] neg_lo:[0,1] neg_hi:[0,1]
	v_mov_b32_e32 v44, v37
	v_mov_b32_e32 v45, v40
	;; [unrolled: 1-line block ×3, first 2 shown]
	v_pk_add_f32 v[38:39], v[38:39], v[44:45] neg_lo:[0,1] neg_hi:[0,1]
	v_mov_b32_e32 v40, v43
	v_mov_b32_e32 v41, v36
	v_pk_add_f32 v[36:37], v[40:41], v[38:39] neg_lo:[0,1] neg_hi:[0,1]
	v_mov_b32_e32 v48, v46
	v_pk_add_f32 v[38:39], v[48:49], v[36:37]
	v_cmp_eq_f32_e32 vcc, s2, v50
	v_mov_b32_e32 v40, v39
	v_pk_add_f32 v[40:41], v[38:39], v[40:41]
	s_mov_b32 s2, 0x33800000
	v_pk_add_f32 v[42:43], v[34:35], v[40:41]
	v_mov_b32_e32 v37, v40
	v_mov_b32_e32 v39, v42
	v_pk_add_f32 v[44:45], v[38:39], v[46:47] neg_lo:[0,1] neg_hi:[0,1]
	v_cmp_gt_f32_e64 s[60:61], s2, v50
	v_sub_f32_e32 v7, v38, v44
	v_pk_add_f32 v[36:37], v[36:37], v[44:45] neg_lo:[0,1] neg_hi:[0,1]
	v_sub_f32_e32 v7, v46, v7
	v_add_f32_e32 v7, v36, v7
	v_add_f32_e32 v7, v7, v37
	;; [unrolled: 1-line block ×3, first 2 shown]
	s_or_b64 vcc, s[60:61], vcc
	v_cndmask_b32_e32 v153, v7, v50, vcc
.LBB159_89:                             ;   in Loop: Header=BB159_13 Depth=1
	s_or_b64 exec, exec, s[4:5]
	v_add_f32_e32 v154, s62, v35
	s_mov_b32 s2, 0x41a00000
	v_cmp_ge_f32_e32 vcc, s2, v154
	v_readlane_b32 s2, v167, 27
	v_readlane_b32 s3, v167, 28
	s_and_b64 s[2:3], s[2:3], vcc
	s_and_saveexec_b64 s[4:5], s[2:3]
	s_cbranch_execz .LBB159_91
; %bb.90:                               ;   in Loop: Header=BB159_13 Depth=1
	v_mul_f32_e32 v7, 0x3fb8aa3b, v154
	v_rndne_f32_e32 v9, v7
	s_mov_b32 s2, 0x3fb8aa3b
	v_sub_f32_e32 v34, v7, v9
	v_fma_f32 v7, v154, s2, -v7
	v_fmac_f32_e32 v7, 0x32a5705f, v154
	v_add_f32_e32 v7, v34, v7
	v_cvt_i32_f32_e32 v9, v9
	v_exp_f32_e32 v7, v7
	s_mov_b32 s2, 0xc2ce8ed0
	v_cmp_ngt_f32_e32 vcc, s2, v154
	s_mov_b32 s2, 0x42b17218
	v_ldexp_f32 v7, v7, v9
	v_cndmask_b32_e32 v7, 0, v7, vcc
	v_cmp_nlt_f32_e32 vcc, s2, v154
	s_mov_b32 s2, 0x3f2aaaab
	s_nop 0
	v_cndmask_b32_e32 v50, v144, v7, vcc
	v_add_f32_e32 v7, 1.0, v50
	v_add_f32_e32 v9, -1.0, v7
	v_sub_f32_e32 v34, v9, v7
	v_add_f32_e32 v34, 1.0, v34
	v_sub_f32_e32 v9, v50, v9
	v_add_f32_e32 v9, v9, v34
	v_frexp_mant_f32_e32 v36, v7
	v_cvt_f64_f32_e32 v[34:35], v7
	v_frexp_exp_i32_f64_e32 v34, v[34:35]
	v_cmp_gt_f32_e32 vcc, s2, v36
	s_mov_b32 s2, 0x3f317218
	s_nop 0
	v_subbrev_co_u32_e32 v42, vcc, 0, v34, vcc
	v_sub_u32_e32 v34, 0, v42
	v_ldexp_f32 v7, v7, v34
	v_ldexp_f32 v9, v9, v34
	v_add_f32_e32 v34, -1.0, v7
	v_add_f32_e32 v35, 1.0, v34
	v_sub_f32_e32 v35, v7, v35
	v_add_f32_e32 v36, v9, v35
	v_add_f32_e32 v35, 1.0, v7
	v_add_f32_e32 v37, -1.0, v35
	v_sub_f32_e32 v7, v7, v37
	v_add_f32_e32 v7, v9, v7
	v_add_f32_e32 v9, v35, v7
	v_rcp_f32_e32 v43, v9
	v_sub_f32_e32 v35, v35, v9
	v_add_f32_e32 v7, v7, v35
	v_add_f32_e32 v35, v34, v36
	v_sub_f32_e32 v34, v34, v35
	v_mul_f32_e32 v45, v35, v43
	v_add_f32_e32 v44, v36, v34
	v_mul_f32_e32 v36, v9, v45
	v_fma_f32 v38, v45, v9, -v36
	v_fmac_f32_e32 v38, v45, v7
	v_add_f32_e32 v34, v36, v38
	v_sub_f32_e32 v37, v35, v34
	v_pk_add_f32 v[40:41], v[34:35], v[36:37] neg_lo:[0,1] neg_hi:[0,1]
	v_mov_b32_e32 v39, v34
	v_pk_add_f32 v[34:35], v[40:41], v[38:39] neg_lo:[0,1] neg_hi:[0,1]
	s_nop 0
	v_add_f32_e32 v35, v44, v35
	v_add_f32_e32 v34, v34, v35
	v_add_f32_e32 v35, v37, v34
	v_mul_f32_e32 v44, v43, v35
	v_mul_f32_e32 v36, v9, v44
	v_fma_f32 v38, v44, v9, -v36
	v_fmac_f32_e32 v38, v44, v7
	v_sub_f32_e32 v7, v37, v35
	v_add_f32_e32 v7, v34, v7
	v_add_f32_e32 v34, v36, v38
	v_sub_f32_e32 v37, v35, v34
	v_pk_add_f32 v[40:41], v[34:35], v[36:37] neg_lo:[0,1] neg_hi:[0,1]
	v_mov_b32_e32 v39, v34
	v_pk_add_f32 v[34:35], v[40:41], v[38:39] neg_lo:[0,1] neg_hi:[0,1]
	s_nop 0
	v_add_f32_e32 v7, v7, v35
	v_add_f32_e32 v7, v34, v7
	;; [unrolled: 1-line block ×4, first 2 shown]
	v_sub_f32_e32 v9, v35, v45
	v_mul_f32_e32 v7, v43, v7
	v_sub_f32_e32 v9, v44, v9
	v_add_f32_e32 v7, v9, v7
	v_add_f32_e32 v36, v35, v7
	v_cvt_f32_i32_e32 v34, v42
	v_mul_f32_e32 v38, v36, v36
	v_fmamk_f32 v9, v38, 0x3e9b6dac, v143
	v_sub_f32_e32 v35, v36, v35
	v_fmaak_f32 v9, v38, v9, 0x3f2aaada
	v_sub_f32_e32 v7, v7, v35
	v_mul_f32_e32 v35, v36, v38
	v_pk_mul_f32 v[38:39], v[34:35], v[8:9]
	v_ldexp_f32 v37, v36, 1
	v_fma_f32 v36, v34, s2, -v38
	v_fmac_f32_e32 v36, 0xb102e308, v34
	v_pk_add_f32 v[34:35], v[38:39], v[36:37]
	v_ldexp_f32 v7, v7, 1
	v_sub_f32_e32 v9, v35, v37
	v_sub_f32_e32 v9, v39, v9
	v_add_f32_e32 v41, v7, v9
	v_mov_b32_e32 v40, v38
	v_pk_add_f32 v[38:39], v[34:35], v[38:39] neg_lo:[0,1] neg_hi:[0,1]
	v_pk_add_f32 v[42:43], v[34:35], v[40:41]
	v_mov_b32_e32 v37, v34
	v_mov_b32_e32 v39, v43
	v_pk_add_f32 v[44:45], v[36:37], v[38:39] neg_lo:[0,1] neg_hi:[0,1]
	v_pk_add_f32 v[36:37], v[36:37], v[38:39]
	v_mov_b32_e32 v40, v41
	v_mov_b32_e32 v38, v37
	v_pk_add_f32 v[46:47], v[38:39], v[34:35] neg_lo:[0,1] neg_hi:[0,1]
	v_mov_b32_e32 v36, v43
	v_mov_b32_e32 v7, v46
	v_pk_add_f32 v[48:49], v[42:43], v[6:7] neg_lo:[0,1] neg_hi:[0,1]
	v_mov_b32_e32 v42, v35
	v_mov_b32_e32 v43, v46
	;; [unrolled: 1-line block ×3, first 2 shown]
	v_pk_add_f32 v[36:37], v[36:37], v[42:43] neg_lo:[0,1] neg_hi:[0,1]
	v_mov_b32_e32 v41, v34
	v_pk_add_f32 v[34:35], v[40:41], v[36:37] neg_lo:[0,1] neg_hi:[0,1]
	v_mov_b32_e32 v48, v44
	v_pk_add_f32 v[36:37], v[48:49], v[34:35]
	s_mov_b32 s2, 0x7f800000
	v_mov_b32_e32 v40, v37
	v_pk_add_f32 v[40:41], v[36:37], v[40:41]
	v_cmp_eq_f32_e32 vcc, s2, v50
	v_pk_add_f32 v[38:39], v[38:39], v[40:41]
	v_mov_b32_e32 v35, v40
	v_mov_b32_e32 v37, v38
	v_pk_add_f32 v[42:43], v[36:37], v[44:45] neg_lo:[0,1] neg_hi:[0,1]
	s_mov_b32 s2, 0x33800000
	v_sub_f32_e32 v7, v36, v42
	v_pk_add_f32 v[34:35], v[34:35], v[42:43] neg_lo:[0,1] neg_hi:[0,1]
	v_sub_f32_e32 v7, v44, v7
	v_add_f32_e32 v7, v34, v7
	v_add_f32_e32 v7, v7, v35
	v_cmp_gt_f32_e64 s[60:61], s2, v50
	v_add_f32_e32 v7, v38, v7
	s_or_b64 vcc, s[60:61], vcc
	v_cndmask_b32_e32 v154, v7, v50, vcc
.LBB159_91:                             ;   in Loop: Header=BB159_13 Depth=1
	s_or_b64 exec, exec, s[4:5]
	s_waitcnt lgkmcnt(3)
	v_add_f32_e32 v155, s62, v32
	s_mov_b32 s2, 0x41a00000
	v_cmp_ge_f32_e32 vcc, s2, v155
	v_readlane_b32 s2, v167, 27
	v_readlane_b32 s3, v167, 28
	s_and_b64 s[2:3], s[2:3], vcc
	s_and_saveexec_b64 s[4:5], s[2:3]
	s_cbranch_execz .LBB159_93
; %bb.92:                               ;   in Loop: Header=BB159_13 Depth=1
	v_mul_f32_e32 v7, 0x3fb8aa3b, v155
	v_rndne_f32_e32 v9, v7
	s_mov_b32 s2, 0x3fb8aa3b
	v_sub_f32_e32 v32, v7, v9
	v_fma_f32 v7, v155, s2, -v7
	v_fmac_f32_e32 v7, 0x32a5705f, v155
	v_add_f32_e32 v7, v32, v7
	v_cvt_i32_f32_e32 v9, v9
	v_exp_f32_e32 v7, v7
	s_mov_b32 s2, 0xc2ce8ed0
	v_cmp_ngt_f32_e32 vcc, s2, v155
	s_mov_b32 s2, 0x42b17218
	v_ldexp_f32 v7, v7, v9
	v_cndmask_b32_e32 v7, 0, v7, vcc
	v_cmp_nlt_f32_e32 vcc, s2, v155
	s_mov_b32 s2, 0x3f2aaaab
	s_nop 0
	v_cndmask_b32_e32 v48, v144, v7, vcc
	v_add_f32_e32 v7, 1.0, v48
	v_add_f32_e32 v9, -1.0, v7
	v_sub_f32_e32 v32, v9, v7
	v_add_f32_e32 v32, 1.0, v32
	v_sub_f32_e32 v9, v48, v9
	v_add_f32_e32 v9, v9, v32
	v_frexp_mant_f32_e32 v32, v7
	v_cvt_f64_f32_e32 v[34:35], v7
	v_frexp_exp_i32_f64_e32 v34, v[34:35]
	v_cmp_gt_f32_e32 vcc, s2, v32
	s_mov_b32 s2, 0x3f317218
	s_nop 0
	v_subbrev_co_u32_e32 v32, vcc, 0, v34, vcc
	v_sub_u32_e32 v34, 0, v32
	v_ldexp_f32 v7, v7, v34
	v_ldexp_f32 v9, v9, v34
	v_add_f32_e32 v34, -1.0, v7
	v_add_f32_e32 v35, 1.0, v34
	v_sub_f32_e32 v35, v7, v35
	v_add_f32_e32 v36, v9, v35
	v_add_f32_e32 v35, 1.0, v7
	v_add_f32_e32 v37, -1.0, v35
	v_sub_f32_e32 v7, v7, v37
	v_add_f32_e32 v7, v9, v7
	v_add_f32_e32 v9, v35, v7
	v_rcp_f32_e32 v42, v9
	v_sub_f32_e32 v35, v35, v9
	v_add_f32_e32 v7, v7, v35
	v_add_f32_e32 v35, v34, v36
	v_sub_f32_e32 v34, v34, v35
	v_mul_f32_e32 v44, v35, v42
	v_add_f32_e32 v43, v36, v34
	v_mul_f32_e32 v36, v9, v44
	v_fma_f32 v38, v44, v9, -v36
	v_fmac_f32_e32 v38, v44, v7
	v_add_f32_e32 v34, v36, v38
	v_sub_f32_e32 v37, v35, v34
	v_pk_add_f32 v[40:41], v[34:35], v[36:37] neg_lo:[0,1] neg_hi:[0,1]
	v_mov_b32_e32 v39, v34
	v_pk_add_f32 v[34:35], v[40:41], v[38:39] neg_lo:[0,1] neg_hi:[0,1]
	s_nop 0
	v_add_f32_e32 v35, v43, v35
	v_add_f32_e32 v34, v34, v35
	;; [unrolled: 1-line block ×3, first 2 shown]
	v_mul_f32_e32 v43, v42, v35
	v_mul_f32_e32 v36, v9, v43
	v_fma_f32 v38, v43, v9, -v36
	v_fmac_f32_e32 v38, v43, v7
	v_sub_f32_e32 v7, v37, v35
	v_add_f32_e32 v7, v34, v7
	v_add_f32_e32 v34, v36, v38
	v_sub_f32_e32 v37, v35, v34
	v_pk_add_f32 v[40:41], v[34:35], v[36:37] neg_lo:[0,1] neg_hi:[0,1]
	v_mov_b32_e32 v39, v34
	v_pk_add_f32 v[34:35], v[40:41], v[38:39] neg_lo:[0,1] neg_hi:[0,1]
	s_nop 0
	v_add_f32_e32 v7, v7, v35
	v_add_f32_e32 v7, v34, v7
	;; [unrolled: 1-line block ×4, first 2 shown]
	v_sub_f32_e32 v9, v35, v44
	v_mul_f32_e32 v7, v42, v7
	v_sub_f32_e32 v9, v43, v9
	v_add_f32_e32 v7, v9, v7
	v_add_f32_e32 v36, v35, v7
	v_cvt_f32_i32_e32 v34, v32
	v_mul_f32_e32 v38, v36, v36
	v_fmamk_f32 v9, v38, 0x3e9b6dac, v143
	v_fmaak_f32 v9, v38, v9, 0x3f2aaada
	v_sub_f32_e32 v32, v36, v35
	v_mul_f32_e32 v35, v36, v38
	v_pk_mul_f32 v[38:39], v[34:35], v[8:9]
	v_ldexp_f32 v37, v36, 1
	v_fma_f32 v36, v34, s2, -v38
	v_fmac_f32_e32 v36, 0xb102e308, v34
	v_pk_add_f32 v[34:35], v[38:39], v[36:37]
	v_sub_f32_e32 v7, v7, v32
	v_sub_f32_e32 v9, v35, v37
	v_ldexp_f32 v7, v7, 1
	v_sub_f32_e32 v9, v39, v9
	v_add_f32_e32 v41, v7, v9
	v_mov_b32_e32 v40, v38
	v_pk_add_f32 v[38:39], v[34:35], v[38:39] neg_lo:[0,1] neg_hi:[0,1]
	v_pk_add_f32 v[42:43], v[34:35], v[40:41]
	v_mov_b32_e32 v37, v34
	v_mov_b32_e32 v39, v43
	v_pk_add_f32 v[44:45], v[36:37], v[38:39] neg_lo:[0,1] neg_hi:[0,1]
	v_pk_add_f32 v[36:37], v[36:37], v[38:39]
	s_mov_b32 s2, 0x7f800000
	v_mov_b32_e32 v32, v37
	v_pk_add_f32 v[38:39], v[32:33], v[34:35] neg_lo:[0,1] neg_hi:[0,1]
	v_mov_b32_e32 v36, v43
	v_mov_b32_e32 v7, v38
	v_pk_add_f32 v[46:47], v[42:43], v[6:7] neg_lo:[0,1] neg_hi:[0,1]
	v_mov_b32_e32 v42, v35
	v_mov_b32_e32 v43, v38
	;; [unrolled: 1-line block ×3, first 2 shown]
	v_pk_add_f32 v[36:37], v[36:37], v[42:43] neg_lo:[0,1] neg_hi:[0,1]
	v_mov_b32_e32 v38, v41
	v_mov_b32_e32 v39, v34
	v_pk_add_f32 v[34:35], v[38:39], v[36:37] neg_lo:[0,1] neg_hi:[0,1]
	v_mov_b32_e32 v46, v44
	v_pk_add_f32 v[36:37], v[46:47], v[34:35]
	v_cmp_eq_f32_e32 vcc, s2, v48
	v_mov_b32_e32 v38, v37
	v_pk_add_f32 v[38:39], v[36:37], v[38:39]
	s_mov_b32 s2, 0x33800000
	v_pk_add_f32 v[40:41], v[32:33], v[38:39]
	v_mov_b32_e32 v35, v38
	v_mov_b32_e32 v37, v40
	v_pk_add_f32 v[42:43], v[36:37], v[44:45] neg_lo:[0,1] neg_hi:[0,1]
	v_cmp_gt_f32_e64 s[60:61], s2, v48
	v_sub_f32_e32 v7, v36, v42
	v_pk_add_f32 v[34:35], v[34:35], v[42:43] neg_lo:[0,1] neg_hi:[0,1]
	v_sub_f32_e32 v7, v44, v7
	v_add_f32_e32 v7, v34, v7
	v_add_f32_e32 v7, v7, v35
	;; [unrolled: 1-line block ×3, first 2 shown]
	s_or_b64 vcc, s[60:61], vcc
	v_cndmask_b32_e32 v155, v7, v48, vcc
.LBB159_93:                             ;   in Loop: Header=BB159_13 Depth=1
	s_or_b64 exec, exec, s[4:5]
	v_add_f32_e32 v156, s62, v33
	s_mov_b32 s2, 0x41a00000
	v_cmp_ge_f32_e32 vcc, s2, v156
	v_readlane_b32 s2, v167, 27
	v_readlane_b32 s3, v167, 28
	s_and_b64 s[2:3], s[2:3], vcc
	s_and_saveexec_b64 s[4:5], s[2:3]
	s_cbranch_execz .LBB159_95
; %bb.94:                               ;   in Loop: Header=BB159_13 Depth=1
	v_mul_f32_e32 v7, 0x3fb8aa3b, v156
	v_rndne_f32_e32 v9, v7
	s_mov_b32 s2, 0x3fb8aa3b
	v_sub_f32_e32 v32, v7, v9
	v_fma_f32 v7, v156, s2, -v7
	v_fmac_f32_e32 v7, 0x32a5705f, v156
	v_add_f32_e32 v7, v32, v7
	v_cvt_i32_f32_e32 v9, v9
	v_exp_f32_e32 v7, v7
	s_mov_b32 s2, 0xc2ce8ed0
	v_cmp_ngt_f32_e32 vcc, s2, v156
	s_mov_b32 s2, 0x42b17218
	v_ldexp_f32 v7, v7, v9
	v_cndmask_b32_e32 v7, 0, v7, vcc
	v_cmp_nlt_f32_e32 vcc, s2, v156
	s_mov_b32 s2, 0x3f2aaaab
	s_nop 0
	v_cndmask_b32_e32 v48, v144, v7, vcc
	v_add_f32_e32 v7, 1.0, v48
	v_add_f32_e32 v9, -1.0, v7
	v_sub_f32_e32 v32, v9, v7
	v_add_f32_e32 v32, 1.0, v32
	v_sub_f32_e32 v9, v48, v9
	v_add_f32_e32 v9, v9, v32
	v_frexp_mant_f32_e32 v34, v7
	v_cvt_f64_f32_e32 v[32:33], v7
	v_frexp_exp_i32_f64_e32 v32, v[32:33]
	v_cmp_gt_f32_e32 vcc, s2, v34
	s_mov_b32 s2, 0x3f317218
	s_nop 0
	v_subbrev_co_u32_e32 v40, vcc, 0, v32, vcc
	v_sub_u32_e32 v32, 0, v40
	v_ldexp_f32 v7, v7, v32
	v_ldexp_f32 v9, v9, v32
	v_add_f32_e32 v32, -1.0, v7
	v_add_f32_e32 v33, 1.0, v32
	v_sub_f32_e32 v33, v7, v33
	v_add_f32_e32 v34, v9, v33
	v_add_f32_e32 v33, 1.0, v7
	v_add_f32_e32 v35, -1.0, v33
	v_sub_f32_e32 v7, v7, v35
	v_add_f32_e32 v7, v9, v7
	v_add_f32_e32 v9, v33, v7
	v_rcp_f32_e32 v41, v9
	v_sub_f32_e32 v33, v33, v9
	v_add_f32_e32 v7, v7, v33
	v_add_f32_e32 v33, v32, v34
	v_sub_f32_e32 v32, v32, v33
	v_mul_f32_e32 v43, v33, v41
	v_add_f32_e32 v42, v34, v32
	v_mul_f32_e32 v34, v9, v43
	v_fma_f32 v36, v43, v9, -v34
	v_fmac_f32_e32 v36, v43, v7
	v_add_f32_e32 v32, v34, v36
	v_sub_f32_e32 v35, v33, v32
	v_pk_add_f32 v[38:39], v[32:33], v[34:35] neg_lo:[0,1] neg_hi:[0,1]
	v_mov_b32_e32 v37, v32
	v_pk_add_f32 v[32:33], v[38:39], v[36:37] neg_lo:[0,1] neg_hi:[0,1]
	s_nop 0
	v_add_f32_e32 v33, v42, v33
	v_add_f32_e32 v32, v32, v33
	;; [unrolled: 1-line block ×3, first 2 shown]
	v_mul_f32_e32 v42, v41, v33
	v_mul_f32_e32 v34, v9, v42
	v_fma_f32 v36, v42, v9, -v34
	v_fmac_f32_e32 v36, v42, v7
	v_sub_f32_e32 v7, v35, v33
	v_add_f32_e32 v7, v32, v7
	v_add_f32_e32 v32, v34, v36
	v_sub_f32_e32 v35, v33, v32
	v_pk_add_f32 v[38:39], v[32:33], v[34:35] neg_lo:[0,1] neg_hi:[0,1]
	v_mov_b32_e32 v37, v32
	v_pk_add_f32 v[32:33], v[38:39], v[36:37] neg_lo:[0,1] neg_hi:[0,1]
	s_nop 0
	v_add_f32_e32 v7, v7, v33
	v_add_f32_e32 v7, v32, v7
	;; [unrolled: 1-line block ×4, first 2 shown]
	v_sub_f32_e32 v9, v33, v43
	v_mul_f32_e32 v7, v41, v7
	v_sub_f32_e32 v9, v42, v9
	v_add_f32_e32 v7, v9, v7
	v_add_f32_e32 v34, v33, v7
	v_cvt_f32_i32_e32 v32, v40
	v_mul_f32_e32 v36, v34, v34
	v_fmamk_f32 v9, v36, 0x3e9b6dac, v143
	v_sub_f32_e32 v33, v34, v33
	v_fmaak_f32 v9, v36, v9, 0x3f2aaada
	v_sub_f32_e32 v7, v7, v33
	v_mul_f32_e32 v33, v34, v36
	v_pk_mul_f32 v[36:37], v[32:33], v[8:9]
	v_ldexp_f32 v35, v34, 1
	v_fma_f32 v34, v32, s2, -v36
	v_fmac_f32_e32 v34, 0xb102e308, v32
	v_pk_add_f32 v[32:33], v[36:37], v[34:35]
	v_ldexp_f32 v7, v7, 1
	v_sub_f32_e32 v9, v33, v35
	v_sub_f32_e32 v9, v37, v9
	v_add_f32_e32 v39, v7, v9
	v_mov_b32_e32 v38, v36
	v_pk_add_f32 v[36:37], v[32:33], v[36:37] neg_lo:[0,1] neg_hi:[0,1]
	v_pk_add_f32 v[40:41], v[32:33], v[38:39]
	v_mov_b32_e32 v35, v32
	v_mov_b32_e32 v37, v41
	v_pk_add_f32 v[42:43], v[34:35], v[36:37] neg_lo:[0,1] neg_hi:[0,1]
	v_pk_add_f32 v[34:35], v[34:35], v[36:37]
	v_mov_b32_e32 v38, v39
	v_mov_b32_e32 v36, v35
	v_pk_add_f32 v[44:45], v[36:37], v[32:33] neg_lo:[0,1] neg_hi:[0,1]
	v_mov_b32_e32 v34, v41
	v_mov_b32_e32 v7, v44
	v_pk_add_f32 v[46:47], v[40:41], v[6:7] neg_lo:[0,1] neg_hi:[0,1]
	v_mov_b32_e32 v40, v33
	v_mov_b32_e32 v41, v44
	v_mov_b32_e32 v43, v35
	v_pk_add_f32 v[34:35], v[34:35], v[40:41] neg_lo:[0,1] neg_hi:[0,1]
	v_mov_b32_e32 v39, v32
	v_pk_add_f32 v[32:33], v[38:39], v[34:35] neg_lo:[0,1] neg_hi:[0,1]
	v_mov_b32_e32 v46, v42
	v_pk_add_f32 v[34:35], v[46:47], v[32:33]
	s_mov_b32 s2, 0x7f800000
	v_mov_b32_e32 v38, v35
	v_pk_add_f32 v[38:39], v[34:35], v[38:39]
	v_cmp_eq_f32_e32 vcc, s2, v48
	v_pk_add_f32 v[36:37], v[36:37], v[38:39]
	v_mov_b32_e32 v33, v38
	v_mov_b32_e32 v35, v36
	v_pk_add_f32 v[40:41], v[34:35], v[42:43] neg_lo:[0,1] neg_hi:[0,1]
	s_mov_b32 s2, 0x33800000
	v_sub_f32_e32 v7, v34, v40
	v_pk_add_f32 v[32:33], v[32:33], v[40:41] neg_lo:[0,1] neg_hi:[0,1]
	v_sub_f32_e32 v7, v42, v7
	v_add_f32_e32 v7, v32, v7
	v_add_f32_e32 v7, v7, v33
	v_cmp_gt_f32_e64 s[60:61], s2, v48
	v_add_f32_e32 v7, v36, v7
	s_or_b64 vcc, s[60:61], vcc
	v_cndmask_b32_e32 v156, v7, v48, vcc
.LBB159_95:                             ;   in Loop: Header=BB159_13 Depth=1
	s_or_b64 exec, exec, s[4:5]
	s_waitcnt lgkmcnt(2)
	v_add_f32_e32 v157, s62, v30
	s_mov_b32 s2, 0x41a00000
	v_cmp_ge_f32_e32 vcc, s2, v157
	v_readlane_b32 s2, v167, 27
	v_readlane_b32 s3, v167, 28
	s_and_b64 s[2:3], s[2:3], vcc
	s_and_saveexec_b64 s[4:5], s[2:3]
	s_cbranch_execz .LBB159_97
; %bb.96:                               ;   in Loop: Header=BB159_13 Depth=1
	v_mul_f32_e32 v7, 0x3fb8aa3b, v157
	v_rndne_f32_e32 v9, v7
	s_mov_b32 s2, 0x3fb8aa3b
	v_sub_f32_e32 v30, v7, v9
	v_fma_f32 v7, v157, s2, -v7
	v_fmac_f32_e32 v7, 0x32a5705f, v157
	v_add_f32_e32 v7, v30, v7
	v_cvt_i32_f32_e32 v9, v9
	v_exp_f32_e32 v7, v7
	s_mov_b32 s2, 0xc2ce8ed0
	v_cmp_ngt_f32_e32 vcc, s2, v157
	s_mov_b32 s2, 0x42b17218
	v_ldexp_f32 v7, v7, v9
	v_cndmask_b32_e32 v7, 0, v7, vcc
	v_cmp_nlt_f32_e32 vcc, s2, v157
	s_mov_b32 s2, 0x3f2aaaab
	s_nop 0
	v_cndmask_b32_e32 v46, v144, v7, vcc
	v_add_f32_e32 v7, 1.0, v46
	v_add_f32_e32 v9, -1.0, v7
	v_sub_f32_e32 v30, v9, v7
	v_add_f32_e32 v30, 1.0, v30
	v_sub_f32_e32 v9, v46, v9
	v_add_f32_e32 v9, v9, v30
	v_frexp_mant_f32_e32 v30, v7
	v_cvt_f64_f32_e32 v[32:33], v7
	v_frexp_exp_i32_f64_e32 v32, v[32:33]
	v_cmp_gt_f32_e32 vcc, s2, v30
	s_mov_b32 s2, 0x3f317218
	s_nop 0
	v_subbrev_co_u32_e32 v30, vcc, 0, v32, vcc
	v_sub_u32_e32 v32, 0, v30
	v_ldexp_f32 v7, v7, v32
	v_ldexp_f32 v9, v9, v32
	v_add_f32_e32 v32, -1.0, v7
	v_add_f32_e32 v33, 1.0, v32
	v_sub_f32_e32 v33, v7, v33
	v_add_f32_e32 v34, v9, v33
	v_add_f32_e32 v33, 1.0, v7
	v_add_f32_e32 v35, -1.0, v33
	v_sub_f32_e32 v7, v7, v35
	v_add_f32_e32 v7, v9, v7
	v_add_f32_e32 v9, v33, v7
	v_rcp_f32_e32 v40, v9
	v_sub_f32_e32 v33, v33, v9
	v_add_f32_e32 v7, v7, v33
	v_add_f32_e32 v33, v32, v34
	v_sub_f32_e32 v32, v32, v33
	v_mul_f32_e32 v42, v33, v40
	v_add_f32_e32 v41, v34, v32
	v_mul_f32_e32 v34, v9, v42
	v_fma_f32 v36, v42, v9, -v34
	v_fmac_f32_e32 v36, v42, v7
	v_add_f32_e32 v32, v34, v36
	v_sub_f32_e32 v35, v33, v32
	v_pk_add_f32 v[38:39], v[32:33], v[34:35] neg_lo:[0,1] neg_hi:[0,1]
	v_mov_b32_e32 v37, v32
	v_pk_add_f32 v[32:33], v[38:39], v[36:37] neg_lo:[0,1] neg_hi:[0,1]
	s_nop 0
	v_add_f32_e32 v33, v41, v33
	v_add_f32_e32 v32, v32, v33
	;; [unrolled: 1-line block ×3, first 2 shown]
	v_mul_f32_e32 v41, v40, v33
	v_mul_f32_e32 v34, v9, v41
	v_fma_f32 v36, v41, v9, -v34
	v_fmac_f32_e32 v36, v41, v7
	v_sub_f32_e32 v7, v35, v33
	v_add_f32_e32 v7, v32, v7
	v_add_f32_e32 v32, v34, v36
	v_sub_f32_e32 v35, v33, v32
	v_pk_add_f32 v[38:39], v[32:33], v[34:35] neg_lo:[0,1] neg_hi:[0,1]
	v_mov_b32_e32 v37, v32
	v_pk_add_f32 v[32:33], v[38:39], v[36:37] neg_lo:[0,1] neg_hi:[0,1]
	s_nop 0
	v_add_f32_e32 v7, v7, v33
	v_add_f32_e32 v7, v32, v7
	;; [unrolled: 1-line block ×4, first 2 shown]
	v_sub_f32_e32 v9, v33, v42
	v_mul_f32_e32 v7, v40, v7
	v_sub_f32_e32 v9, v41, v9
	v_add_f32_e32 v7, v9, v7
	v_add_f32_e32 v34, v33, v7
	v_cvt_f32_i32_e32 v32, v30
	v_mul_f32_e32 v36, v34, v34
	v_fmamk_f32 v9, v36, 0x3e9b6dac, v143
	v_fmaak_f32 v9, v36, v9, 0x3f2aaada
	v_sub_f32_e32 v30, v34, v33
	v_mul_f32_e32 v33, v34, v36
	v_pk_mul_f32 v[36:37], v[32:33], v[8:9]
	v_ldexp_f32 v35, v34, 1
	v_fma_f32 v34, v32, s2, -v36
	v_fmac_f32_e32 v34, 0xb102e308, v32
	v_pk_add_f32 v[32:33], v[36:37], v[34:35]
	v_sub_f32_e32 v7, v7, v30
	v_sub_f32_e32 v9, v33, v35
	v_ldexp_f32 v7, v7, 1
	v_sub_f32_e32 v9, v37, v9
	v_add_f32_e32 v39, v7, v9
	v_mov_b32_e32 v38, v36
	v_pk_add_f32 v[36:37], v[32:33], v[36:37] neg_lo:[0,1] neg_hi:[0,1]
	v_pk_add_f32 v[40:41], v[32:33], v[38:39]
	v_mov_b32_e32 v35, v32
	v_mov_b32_e32 v37, v41
	v_pk_add_f32 v[42:43], v[34:35], v[36:37] neg_lo:[0,1] neg_hi:[0,1]
	v_pk_add_f32 v[34:35], v[34:35], v[36:37]
	s_mov_b32 s2, 0x7f800000
	v_mov_b32_e32 v30, v35
	v_pk_add_f32 v[36:37], v[30:31], v[32:33] neg_lo:[0,1] neg_hi:[0,1]
	v_mov_b32_e32 v34, v41
	v_mov_b32_e32 v7, v36
	v_pk_add_f32 v[44:45], v[40:41], v[6:7] neg_lo:[0,1] neg_hi:[0,1]
	v_mov_b32_e32 v40, v33
	v_mov_b32_e32 v41, v36
	;; [unrolled: 1-line block ×3, first 2 shown]
	v_pk_add_f32 v[34:35], v[34:35], v[40:41] neg_lo:[0,1] neg_hi:[0,1]
	v_mov_b32_e32 v36, v39
	v_mov_b32_e32 v37, v32
	v_pk_add_f32 v[32:33], v[36:37], v[34:35] neg_lo:[0,1] neg_hi:[0,1]
	v_mov_b32_e32 v44, v42
	v_pk_add_f32 v[34:35], v[44:45], v[32:33]
	v_cmp_eq_f32_e32 vcc, s2, v46
	v_mov_b32_e32 v36, v35
	v_pk_add_f32 v[36:37], v[34:35], v[36:37]
	s_mov_b32 s2, 0x33800000
	v_pk_add_f32 v[38:39], v[30:31], v[36:37]
	v_mov_b32_e32 v33, v36
	v_mov_b32_e32 v35, v38
	v_pk_add_f32 v[40:41], v[34:35], v[42:43] neg_lo:[0,1] neg_hi:[0,1]
	v_cmp_gt_f32_e64 s[60:61], s2, v46
	v_sub_f32_e32 v7, v34, v40
	v_pk_add_f32 v[32:33], v[32:33], v[40:41] neg_lo:[0,1] neg_hi:[0,1]
	v_sub_f32_e32 v7, v42, v7
	v_add_f32_e32 v7, v32, v7
	v_add_f32_e32 v7, v7, v33
	;; [unrolled: 1-line block ×3, first 2 shown]
	s_or_b64 vcc, s[60:61], vcc
	v_cndmask_b32_e32 v157, v7, v46, vcc
.LBB159_97:                             ;   in Loop: Header=BB159_13 Depth=1
	s_or_b64 exec, exec, s[4:5]
	v_add_f32_e32 v158, s62, v31
	s_mov_b32 s2, 0x41a00000
	v_cmp_ge_f32_e32 vcc, s2, v158
	v_readlane_b32 s2, v167, 27
	v_readlane_b32 s3, v167, 28
	s_and_b64 s[2:3], s[2:3], vcc
	s_and_saveexec_b64 s[4:5], s[2:3]
	s_cbranch_execz .LBB159_99
; %bb.98:                               ;   in Loop: Header=BB159_13 Depth=1
	v_mul_f32_e32 v7, 0x3fb8aa3b, v158
	v_rndne_f32_e32 v9, v7
	s_mov_b32 s2, 0x3fb8aa3b
	v_sub_f32_e32 v30, v7, v9
	v_fma_f32 v7, v158, s2, -v7
	v_fmac_f32_e32 v7, 0x32a5705f, v158
	v_add_f32_e32 v7, v30, v7
	v_cvt_i32_f32_e32 v9, v9
	v_exp_f32_e32 v7, v7
	s_mov_b32 s2, 0xc2ce8ed0
	v_cmp_ngt_f32_e32 vcc, s2, v158
	s_mov_b32 s2, 0x42b17218
	v_ldexp_f32 v7, v7, v9
	v_cndmask_b32_e32 v7, 0, v7, vcc
	v_cmp_nlt_f32_e32 vcc, s2, v158
	s_mov_b32 s2, 0x3f2aaaab
	s_nop 0
	v_cndmask_b32_e32 v46, v144, v7, vcc
	v_add_f32_e32 v7, 1.0, v46
	v_add_f32_e32 v9, -1.0, v7
	v_sub_f32_e32 v30, v9, v7
	v_add_f32_e32 v30, 1.0, v30
	v_sub_f32_e32 v9, v46, v9
	v_add_f32_e32 v9, v9, v30
	v_frexp_mant_f32_e32 v32, v7
	v_cvt_f64_f32_e32 v[30:31], v7
	v_frexp_exp_i32_f64_e32 v30, v[30:31]
	v_cmp_gt_f32_e32 vcc, s2, v32
	s_mov_b32 s2, 0x3f317218
	s_nop 0
	v_subbrev_co_u32_e32 v38, vcc, 0, v30, vcc
	v_sub_u32_e32 v30, 0, v38
	v_ldexp_f32 v7, v7, v30
	v_ldexp_f32 v9, v9, v30
	v_add_f32_e32 v30, -1.0, v7
	v_add_f32_e32 v31, 1.0, v30
	v_sub_f32_e32 v31, v7, v31
	v_add_f32_e32 v32, v9, v31
	v_add_f32_e32 v31, 1.0, v7
	v_add_f32_e32 v33, -1.0, v31
	v_sub_f32_e32 v7, v7, v33
	v_add_f32_e32 v7, v9, v7
	v_add_f32_e32 v9, v31, v7
	v_rcp_f32_e32 v39, v9
	v_sub_f32_e32 v31, v31, v9
	v_add_f32_e32 v7, v7, v31
	v_add_f32_e32 v31, v30, v32
	v_sub_f32_e32 v30, v30, v31
	v_mul_f32_e32 v41, v31, v39
	v_add_f32_e32 v40, v32, v30
	v_mul_f32_e32 v32, v9, v41
	v_fma_f32 v34, v41, v9, -v32
	v_fmac_f32_e32 v34, v41, v7
	v_add_f32_e32 v30, v32, v34
	v_sub_f32_e32 v33, v31, v30
	v_pk_add_f32 v[36:37], v[30:31], v[32:33] neg_lo:[0,1] neg_hi:[0,1]
	v_mov_b32_e32 v35, v30
	v_pk_add_f32 v[30:31], v[36:37], v[34:35] neg_lo:[0,1] neg_hi:[0,1]
	s_nop 0
	v_add_f32_e32 v31, v40, v31
	v_add_f32_e32 v30, v30, v31
	;; [unrolled: 1-line block ×3, first 2 shown]
	v_mul_f32_e32 v40, v39, v31
	v_mul_f32_e32 v32, v9, v40
	v_fma_f32 v34, v40, v9, -v32
	v_fmac_f32_e32 v34, v40, v7
	v_sub_f32_e32 v7, v33, v31
	v_add_f32_e32 v7, v30, v7
	v_add_f32_e32 v30, v32, v34
	v_sub_f32_e32 v33, v31, v30
	v_pk_add_f32 v[36:37], v[30:31], v[32:33] neg_lo:[0,1] neg_hi:[0,1]
	v_mov_b32_e32 v35, v30
	v_pk_add_f32 v[30:31], v[36:37], v[34:35] neg_lo:[0,1] neg_hi:[0,1]
	s_nop 0
	v_add_f32_e32 v7, v7, v31
	v_add_f32_e32 v7, v30, v7
	v_add_f32_e32 v31, v41, v40
	v_add_f32_e32 v7, v33, v7
	v_sub_f32_e32 v9, v31, v41
	v_mul_f32_e32 v7, v39, v7
	v_sub_f32_e32 v9, v40, v9
	v_add_f32_e32 v7, v9, v7
	v_add_f32_e32 v32, v31, v7
	v_cvt_f32_i32_e32 v30, v38
	v_mul_f32_e32 v34, v32, v32
	v_fmamk_f32 v9, v34, 0x3e9b6dac, v143
	v_sub_f32_e32 v31, v32, v31
	v_fmaak_f32 v9, v34, v9, 0x3f2aaada
	v_sub_f32_e32 v7, v7, v31
	v_mul_f32_e32 v31, v32, v34
	v_pk_mul_f32 v[34:35], v[30:31], v[8:9]
	v_ldexp_f32 v33, v32, 1
	v_fma_f32 v32, v30, s2, -v34
	v_fmac_f32_e32 v32, 0xb102e308, v30
	v_pk_add_f32 v[30:31], v[34:35], v[32:33]
	v_ldexp_f32 v7, v7, 1
	v_sub_f32_e32 v9, v31, v33
	v_sub_f32_e32 v9, v35, v9
	v_add_f32_e32 v37, v7, v9
	v_mov_b32_e32 v36, v34
	v_pk_add_f32 v[34:35], v[30:31], v[34:35] neg_lo:[0,1] neg_hi:[0,1]
	v_pk_add_f32 v[38:39], v[30:31], v[36:37]
	v_mov_b32_e32 v33, v30
	v_mov_b32_e32 v35, v39
	v_pk_add_f32 v[40:41], v[32:33], v[34:35] neg_lo:[0,1] neg_hi:[0,1]
	v_pk_add_f32 v[32:33], v[32:33], v[34:35]
	v_mov_b32_e32 v36, v37
	v_mov_b32_e32 v34, v33
	v_pk_add_f32 v[42:43], v[34:35], v[30:31] neg_lo:[0,1] neg_hi:[0,1]
	v_mov_b32_e32 v32, v39
	v_mov_b32_e32 v7, v42
	v_pk_add_f32 v[44:45], v[38:39], v[6:7] neg_lo:[0,1] neg_hi:[0,1]
	v_mov_b32_e32 v38, v31
	v_mov_b32_e32 v39, v42
	;; [unrolled: 1-line block ×3, first 2 shown]
	v_pk_add_f32 v[32:33], v[32:33], v[38:39] neg_lo:[0,1] neg_hi:[0,1]
	v_mov_b32_e32 v37, v30
	v_pk_add_f32 v[30:31], v[36:37], v[32:33] neg_lo:[0,1] neg_hi:[0,1]
	v_mov_b32_e32 v44, v40
	v_pk_add_f32 v[32:33], v[44:45], v[30:31]
	s_mov_b32 s2, 0x7f800000
	v_mov_b32_e32 v36, v33
	v_pk_add_f32 v[36:37], v[32:33], v[36:37]
	v_cmp_eq_f32_e32 vcc, s2, v46
	v_pk_add_f32 v[34:35], v[34:35], v[36:37]
	v_mov_b32_e32 v31, v36
	v_mov_b32_e32 v33, v34
	v_pk_add_f32 v[38:39], v[32:33], v[40:41] neg_lo:[0,1] neg_hi:[0,1]
	s_mov_b32 s2, 0x33800000
	v_sub_f32_e32 v7, v32, v38
	v_pk_add_f32 v[30:31], v[30:31], v[38:39] neg_lo:[0,1] neg_hi:[0,1]
	v_sub_f32_e32 v7, v40, v7
	v_add_f32_e32 v7, v30, v7
	v_add_f32_e32 v7, v7, v31
	v_cmp_gt_f32_e64 s[60:61], s2, v46
	v_add_f32_e32 v7, v34, v7
	s_or_b64 vcc, s[60:61], vcc
	v_cndmask_b32_e32 v158, v7, v46, vcc
.LBB159_99:                             ;   in Loop: Header=BB159_13 Depth=1
	s_or_b64 exec, exec, s[4:5]
	s_waitcnt lgkmcnt(1)
	v_add_f32_e32 v159, s62, v28
	s_mov_b32 s2, 0x41a00000
	v_cmp_ge_f32_e32 vcc, s2, v159
	v_readlane_b32 s2, v167, 27
	v_readlane_b32 s3, v167, 28
	s_and_b64 s[2:3], s[2:3], vcc
	s_and_saveexec_b64 s[4:5], s[2:3]
	s_cbranch_execz .LBB159_101
; %bb.100:                              ;   in Loop: Header=BB159_13 Depth=1
	v_mul_f32_e32 v7, 0x3fb8aa3b, v159
	v_rndne_f32_e32 v9, v7
	s_mov_b32 s2, 0x3fb8aa3b
	v_sub_f32_e32 v28, v7, v9
	v_fma_f32 v7, v159, s2, -v7
	v_fmac_f32_e32 v7, 0x32a5705f, v159
	v_add_f32_e32 v7, v28, v7
	v_cvt_i32_f32_e32 v9, v9
	v_exp_f32_e32 v7, v7
	s_mov_b32 s2, 0xc2ce8ed0
	v_cmp_ngt_f32_e32 vcc, s2, v159
	s_mov_b32 s2, 0x42b17218
	v_ldexp_f32 v7, v7, v9
	v_cndmask_b32_e32 v7, 0, v7, vcc
	v_cmp_nlt_f32_e32 vcc, s2, v159
	s_mov_b32 s2, 0x3f2aaaab
	s_nop 0
	v_cndmask_b32_e32 v44, v144, v7, vcc
	v_add_f32_e32 v7, 1.0, v44
	v_add_f32_e32 v9, -1.0, v7
	v_sub_f32_e32 v28, v9, v7
	v_add_f32_e32 v28, 1.0, v28
	v_sub_f32_e32 v9, v44, v9
	v_add_f32_e32 v9, v9, v28
	v_frexp_mant_f32_e32 v28, v7
	v_cvt_f64_f32_e32 v[30:31], v7
	v_frexp_exp_i32_f64_e32 v30, v[30:31]
	v_cmp_gt_f32_e32 vcc, s2, v28
	s_mov_b32 s2, 0x3f317218
	s_nop 0
	v_subbrev_co_u32_e32 v28, vcc, 0, v30, vcc
	v_sub_u32_e32 v30, 0, v28
	v_ldexp_f32 v7, v7, v30
	v_ldexp_f32 v9, v9, v30
	v_add_f32_e32 v30, -1.0, v7
	v_add_f32_e32 v31, 1.0, v30
	v_sub_f32_e32 v31, v7, v31
	v_add_f32_e32 v32, v9, v31
	v_add_f32_e32 v31, 1.0, v7
	v_add_f32_e32 v33, -1.0, v31
	v_sub_f32_e32 v7, v7, v33
	v_add_f32_e32 v7, v9, v7
	v_add_f32_e32 v9, v31, v7
	v_rcp_f32_e32 v38, v9
	v_sub_f32_e32 v31, v31, v9
	v_add_f32_e32 v7, v7, v31
	v_add_f32_e32 v31, v30, v32
	v_sub_f32_e32 v30, v30, v31
	v_mul_f32_e32 v40, v31, v38
	v_add_f32_e32 v39, v32, v30
	v_mul_f32_e32 v32, v9, v40
	v_fma_f32 v34, v40, v9, -v32
	v_fmac_f32_e32 v34, v40, v7
	v_add_f32_e32 v30, v32, v34
	v_sub_f32_e32 v33, v31, v30
	v_pk_add_f32 v[36:37], v[30:31], v[32:33] neg_lo:[0,1] neg_hi:[0,1]
	v_mov_b32_e32 v35, v30
	v_pk_add_f32 v[30:31], v[36:37], v[34:35] neg_lo:[0,1] neg_hi:[0,1]
	s_nop 0
	v_add_f32_e32 v31, v39, v31
	v_add_f32_e32 v30, v30, v31
	;; [unrolled: 1-line block ×3, first 2 shown]
	v_mul_f32_e32 v39, v38, v31
	v_mul_f32_e32 v32, v9, v39
	v_fma_f32 v34, v39, v9, -v32
	v_fmac_f32_e32 v34, v39, v7
	v_sub_f32_e32 v7, v33, v31
	v_add_f32_e32 v7, v30, v7
	v_add_f32_e32 v30, v32, v34
	v_sub_f32_e32 v33, v31, v30
	v_pk_add_f32 v[36:37], v[30:31], v[32:33] neg_lo:[0,1] neg_hi:[0,1]
	v_mov_b32_e32 v35, v30
	v_pk_add_f32 v[30:31], v[36:37], v[34:35] neg_lo:[0,1] neg_hi:[0,1]
	s_nop 0
	v_add_f32_e32 v7, v7, v31
	v_add_f32_e32 v7, v30, v7
	;; [unrolled: 1-line block ×4, first 2 shown]
	v_sub_f32_e32 v9, v31, v40
	v_mul_f32_e32 v7, v38, v7
	v_sub_f32_e32 v9, v39, v9
	v_add_f32_e32 v7, v9, v7
	v_add_f32_e32 v32, v31, v7
	v_cvt_f32_i32_e32 v30, v28
	v_mul_f32_e32 v34, v32, v32
	v_fmamk_f32 v9, v34, 0x3e9b6dac, v143
	v_fmaak_f32 v9, v34, v9, 0x3f2aaada
	v_sub_f32_e32 v28, v32, v31
	v_mul_f32_e32 v31, v32, v34
	v_pk_mul_f32 v[34:35], v[30:31], v[8:9]
	v_ldexp_f32 v33, v32, 1
	v_fma_f32 v32, v30, s2, -v34
	v_fmac_f32_e32 v32, 0xb102e308, v30
	v_pk_add_f32 v[30:31], v[34:35], v[32:33]
	v_sub_f32_e32 v7, v7, v28
	v_sub_f32_e32 v9, v31, v33
	v_ldexp_f32 v7, v7, 1
	v_sub_f32_e32 v9, v35, v9
	v_add_f32_e32 v37, v7, v9
	v_mov_b32_e32 v36, v34
	v_pk_add_f32 v[34:35], v[30:31], v[34:35] neg_lo:[0,1] neg_hi:[0,1]
	v_pk_add_f32 v[38:39], v[30:31], v[36:37]
	v_mov_b32_e32 v33, v30
	v_mov_b32_e32 v35, v39
	v_pk_add_f32 v[40:41], v[32:33], v[34:35] neg_lo:[0,1] neg_hi:[0,1]
	v_pk_add_f32 v[32:33], v[32:33], v[34:35]
	s_mov_b32 s2, 0x7f800000
	v_mov_b32_e32 v28, v33
	v_pk_add_f32 v[34:35], v[28:29], v[30:31] neg_lo:[0,1] neg_hi:[0,1]
	v_mov_b32_e32 v32, v39
	v_mov_b32_e32 v7, v34
	v_pk_add_f32 v[42:43], v[38:39], v[6:7] neg_lo:[0,1] neg_hi:[0,1]
	v_mov_b32_e32 v38, v31
	v_mov_b32_e32 v39, v34
	;; [unrolled: 1-line block ×3, first 2 shown]
	v_pk_add_f32 v[32:33], v[32:33], v[38:39] neg_lo:[0,1] neg_hi:[0,1]
	v_mov_b32_e32 v34, v37
	v_mov_b32_e32 v35, v30
	v_pk_add_f32 v[30:31], v[34:35], v[32:33] neg_lo:[0,1] neg_hi:[0,1]
	v_mov_b32_e32 v42, v40
	v_pk_add_f32 v[32:33], v[42:43], v[30:31]
	v_cmp_eq_f32_e32 vcc, s2, v44
	v_mov_b32_e32 v34, v33
	v_pk_add_f32 v[34:35], v[32:33], v[34:35]
	s_mov_b32 s2, 0x33800000
	v_pk_add_f32 v[36:37], v[28:29], v[34:35]
	v_mov_b32_e32 v31, v34
	v_mov_b32_e32 v33, v36
	v_pk_add_f32 v[38:39], v[32:33], v[40:41] neg_lo:[0,1] neg_hi:[0,1]
	v_cmp_gt_f32_e64 s[60:61], s2, v44
	v_sub_f32_e32 v7, v32, v38
	v_pk_add_f32 v[30:31], v[30:31], v[38:39] neg_lo:[0,1] neg_hi:[0,1]
	v_sub_f32_e32 v7, v40, v7
	v_add_f32_e32 v7, v30, v7
	v_add_f32_e32 v7, v7, v31
	;; [unrolled: 1-line block ×3, first 2 shown]
	s_or_b64 vcc, s[60:61], vcc
	v_cndmask_b32_e32 v159, v7, v44, vcc
.LBB159_101:                            ;   in Loop: Header=BB159_13 Depth=1
	s_or_b64 exec, exec, s[4:5]
	v_add_f32_e32 v160, s62, v29
	s_mov_b32 s2, 0x41a00000
	v_cmp_ge_f32_e32 vcc, s2, v160
	v_readlane_b32 s2, v167, 27
	v_readlane_b32 s3, v167, 28
	s_and_b64 s[2:3], s[2:3], vcc
	s_and_saveexec_b64 s[4:5], s[2:3]
	s_cbranch_execz .LBB159_103
; %bb.102:                              ;   in Loop: Header=BB159_13 Depth=1
	v_mul_f32_e32 v7, 0x3fb8aa3b, v160
	v_rndne_f32_e32 v9, v7
	s_mov_b32 s2, 0x3fb8aa3b
	v_sub_f32_e32 v28, v7, v9
	v_fma_f32 v7, v160, s2, -v7
	v_fmac_f32_e32 v7, 0x32a5705f, v160
	v_add_f32_e32 v7, v28, v7
	v_cvt_i32_f32_e32 v9, v9
	v_exp_f32_e32 v7, v7
	s_mov_b32 s2, 0xc2ce8ed0
	v_cmp_ngt_f32_e32 vcc, s2, v160
	s_mov_b32 s2, 0x42b17218
	v_ldexp_f32 v7, v7, v9
	v_cndmask_b32_e32 v7, 0, v7, vcc
	v_cmp_nlt_f32_e32 vcc, s2, v160
	s_mov_b32 s2, 0x3f2aaaab
	s_nop 0
	v_cndmask_b32_e32 v44, v144, v7, vcc
	v_add_f32_e32 v7, 1.0, v44
	v_add_f32_e32 v9, -1.0, v7
	v_sub_f32_e32 v28, v9, v7
	v_add_f32_e32 v28, 1.0, v28
	v_sub_f32_e32 v9, v44, v9
	v_add_f32_e32 v9, v9, v28
	v_frexp_mant_f32_e32 v30, v7
	v_cvt_f64_f32_e32 v[28:29], v7
	v_frexp_exp_i32_f64_e32 v28, v[28:29]
	v_cmp_gt_f32_e32 vcc, s2, v30
	s_mov_b32 s2, 0x3f317218
	s_nop 0
	v_subbrev_co_u32_e32 v36, vcc, 0, v28, vcc
	v_sub_u32_e32 v28, 0, v36
	v_ldexp_f32 v7, v7, v28
	v_ldexp_f32 v9, v9, v28
	v_add_f32_e32 v28, -1.0, v7
	v_add_f32_e32 v29, 1.0, v28
	v_sub_f32_e32 v29, v7, v29
	v_add_f32_e32 v30, v9, v29
	v_add_f32_e32 v29, 1.0, v7
	v_add_f32_e32 v31, -1.0, v29
	v_sub_f32_e32 v7, v7, v31
	v_add_f32_e32 v7, v9, v7
	v_add_f32_e32 v9, v29, v7
	v_rcp_f32_e32 v37, v9
	v_sub_f32_e32 v29, v29, v9
	v_add_f32_e32 v7, v7, v29
	v_add_f32_e32 v29, v28, v30
	v_sub_f32_e32 v28, v28, v29
	v_mul_f32_e32 v39, v29, v37
	v_add_f32_e32 v38, v30, v28
	v_mul_f32_e32 v30, v9, v39
	v_fma_f32 v32, v39, v9, -v30
	v_fmac_f32_e32 v32, v39, v7
	v_add_f32_e32 v28, v30, v32
	v_sub_f32_e32 v31, v29, v28
	v_pk_add_f32 v[34:35], v[28:29], v[30:31] neg_lo:[0,1] neg_hi:[0,1]
	v_mov_b32_e32 v33, v28
	v_pk_add_f32 v[28:29], v[34:35], v[32:33] neg_lo:[0,1] neg_hi:[0,1]
	s_nop 0
	v_add_f32_e32 v29, v38, v29
	v_add_f32_e32 v28, v28, v29
	;; [unrolled: 1-line block ×3, first 2 shown]
	v_mul_f32_e32 v38, v37, v29
	v_mul_f32_e32 v30, v9, v38
	v_fma_f32 v32, v38, v9, -v30
	v_fmac_f32_e32 v32, v38, v7
	v_sub_f32_e32 v7, v31, v29
	v_add_f32_e32 v7, v28, v7
	v_add_f32_e32 v28, v30, v32
	v_sub_f32_e32 v31, v29, v28
	v_pk_add_f32 v[34:35], v[28:29], v[30:31] neg_lo:[0,1] neg_hi:[0,1]
	v_mov_b32_e32 v33, v28
	v_pk_add_f32 v[28:29], v[34:35], v[32:33] neg_lo:[0,1] neg_hi:[0,1]
	s_nop 0
	v_add_f32_e32 v7, v7, v29
	v_add_f32_e32 v7, v28, v7
	v_add_f32_e32 v29, v39, v38
	v_add_f32_e32 v7, v31, v7
	v_sub_f32_e32 v9, v29, v39
	v_mul_f32_e32 v7, v37, v7
	v_sub_f32_e32 v9, v38, v9
	v_add_f32_e32 v7, v9, v7
	v_add_f32_e32 v30, v29, v7
	v_cvt_f32_i32_e32 v28, v36
	v_mul_f32_e32 v32, v30, v30
	v_fmamk_f32 v9, v32, 0x3e9b6dac, v143
	v_sub_f32_e32 v29, v30, v29
	v_fmaak_f32 v9, v32, v9, 0x3f2aaada
	v_sub_f32_e32 v7, v7, v29
	v_mul_f32_e32 v29, v30, v32
	v_pk_mul_f32 v[32:33], v[28:29], v[8:9]
	v_ldexp_f32 v31, v30, 1
	v_fma_f32 v30, v28, s2, -v32
	v_fmac_f32_e32 v30, 0xb102e308, v28
	v_pk_add_f32 v[28:29], v[32:33], v[30:31]
	v_ldexp_f32 v7, v7, 1
	v_sub_f32_e32 v9, v29, v31
	v_sub_f32_e32 v9, v33, v9
	v_add_f32_e32 v35, v7, v9
	v_mov_b32_e32 v34, v32
	v_pk_add_f32 v[32:33], v[28:29], v[32:33] neg_lo:[0,1] neg_hi:[0,1]
	v_pk_add_f32 v[36:37], v[28:29], v[34:35]
	v_mov_b32_e32 v31, v28
	v_mov_b32_e32 v33, v37
	v_pk_add_f32 v[38:39], v[30:31], v[32:33] neg_lo:[0,1] neg_hi:[0,1]
	v_pk_add_f32 v[30:31], v[30:31], v[32:33]
	v_mov_b32_e32 v34, v35
	v_mov_b32_e32 v32, v31
	v_pk_add_f32 v[40:41], v[32:33], v[28:29] neg_lo:[0,1] neg_hi:[0,1]
	v_mov_b32_e32 v30, v37
	v_mov_b32_e32 v7, v40
	v_pk_add_f32 v[42:43], v[36:37], v[6:7] neg_lo:[0,1] neg_hi:[0,1]
	v_mov_b32_e32 v36, v29
	v_mov_b32_e32 v37, v40
	;; [unrolled: 1-line block ×3, first 2 shown]
	v_pk_add_f32 v[30:31], v[30:31], v[36:37] neg_lo:[0,1] neg_hi:[0,1]
	v_mov_b32_e32 v35, v28
	v_pk_add_f32 v[28:29], v[34:35], v[30:31] neg_lo:[0,1] neg_hi:[0,1]
	v_mov_b32_e32 v42, v38
	v_pk_add_f32 v[30:31], v[42:43], v[28:29]
	s_mov_b32 s2, 0x7f800000
	v_mov_b32_e32 v34, v31
	v_pk_add_f32 v[34:35], v[30:31], v[34:35]
	v_cmp_eq_f32_e32 vcc, s2, v44
	v_pk_add_f32 v[32:33], v[32:33], v[34:35]
	v_mov_b32_e32 v29, v34
	v_mov_b32_e32 v31, v32
	v_pk_add_f32 v[36:37], v[30:31], v[38:39] neg_lo:[0,1] neg_hi:[0,1]
	s_mov_b32 s2, 0x33800000
	v_sub_f32_e32 v7, v30, v36
	v_pk_add_f32 v[28:29], v[28:29], v[36:37] neg_lo:[0,1] neg_hi:[0,1]
	v_sub_f32_e32 v7, v38, v7
	v_add_f32_e32 v7, v28, v7
	v_add_f32_e32 v7, v7, v29
	v_cmp_gt_f32_e64 s[60:61], s2, v44
	v_add_f32_e32 v7, v32, v7
	s_or_b64 vcc, s[60:61], vcc
	v_cndmask_b32_e32 v160, v7, v44, vcc
.LBB159_103:                            ;   in Loop: Header=BB159_13 Depth=1
	s_or_b64 exec, exec, s[4:5]
	s_waitcnt lgkmcnt(0)
	v_add_f32_e32 v26, s62, v26
	s_mov_b32 s2, 0x41a00000
	v_cmp_ge_f32_e32 vcc, s2, v26
	v_readlane_b32 s2, v167, 27
	v_readlane_b32 s3, v167, 28
	s_and_b64 s[2:3], s[2:3], vcc
	s_and_saveexec_b64 s[4:5], s[2:3]
	s_cbranch_execz .LBB159_105
; %bb.104:                              ;   in Loop: Header=BB159_13 Depth=1
	v_mul_f32_e32 v7, 0x3fb8aa3b, v26
	v_rndne_f32_e32 v9, v7
	s_mov_b32 s2, 0x3fb8aa3b
	v_sub_f32_e32 v28, v7, v9
	v_fma_f32 v7, v26, s2, -v7
	v_fmac_f32_e32 v7, 0x32a5705f, v26
	v_add_f32_e32 v7, v28, v7
	v_cvt_i32_f32_e32 v9, v9
	v_exp_f32_e32 v7, v7
	s_mov_b32 s2, 0xc2ce8ed0
	v_cmp_ngt_f32_e32 vcc, s2, v26
	s_mov_b32 s2, 0x42b17218
	v_ldexp_f32 v7, v7, v9
	v_cndmask_b32_e32 v7, 0, v7, vcc
	v_cmp_nlt_f32_e32 vcc, s2, v26
	s_mov_b32 s2, 0x3f2aaaab
	s_nop 0
	v_cndmask_b32_e32 v42, v144, v7, vcc
	v_add_f32_e32 v7, 1.0, v42
	v_add_f32_e32 v9, -1.0, v7
	v_sub_f32_e32 v26, v9, v7
	v_add_f32_e32 v26, 1.0, v26
	v_sub_f32_e32 v9, v42, v9
	v_add_f32_e32 v9, v9, v26
	v_frexp_mant_f32_e32 v26, v7
	v_cvt_f64_f32_e32 v[28:29], v7
	v_frexp_exp_i32_f64_e32 v28, v[28:29]
	v_cmp_gt_f32_e32 vcc, s2, v26
	s_mov_b32 s2, 0x3f317218
	s_nop 0
	v_subbrev_co_u32_e32 v26, vcc, 0, v28, vcc
	v_sub_u32_e32 v28, 0, v26
	v_ldexp_f32 v7, v7, v28
	v_ldexp_f32 v9, v9, v28
	v_add_f32_e32 v28, -1.0, v7
	v_add_f32_e32 v29, 1.0, v28
	v_sub_f32_e32 v29, v7, v29
	v_add_f32_e32 v30, v9, v29
	v_add_f32_e32 v29, 1.0, v7
	v_add_f32_e32 v31, -1.0, v29
	v_sub_f32_e32 v7, v7, v31
	v_add_f32_e32 v7, v9, v7
	v_add_f32_e32 v9, v29, v7
	v_rcp_f32_e32 v36, v9
	v_sub_f32_e32 v29, v29, v9
	v_add_f32_e32 v7, v7, v29
	v_add_f32_e32 v29, v28, v30
	v_sub_f32_e32 v28, v28, v29
	v_mul_f32_e32 v38, v29, v36
	v_add_f32_e32 v37, v30, v28
	v_mul_f32_e32 v30, v9, v38
	v_fma_f32 v32, v38, v9, -v30
	v_fmac_f32_e32 v32, v38, v7
	v_add_f32_e32 v28, v30, v32
	v_sub_f32_e32 v31, v29, v28
	v_pk_add_f32 v[34:35], v[28:29], v[30:31] neg_lo:[0,1] neg_hi:[0,1]
	v_mov_b32_e32 v33, v28
	v_pk_add_f32 v[28:29], v[34:35], v[32:33] neg_lo:[0,1] neg_hi:[0,1]
	s_nop 0
	v_add_f32_e32 v29, v37, v29
	v_add_f32_e32 v28, v28, v29
	;; [unrolled: 1-line block ×3, first 2 shown]
	v_mul_f32_e32 v37, v36, v29
	v_mul_f32_e32 v30, v9, v37
	v_fma_f32 v32, v37, v9, -v30
	v_fmac_f32_e32 v32, v37, v7
	v_sub_f32_e32 v7, v31, v29
	v_add_f32_e32 v7, v28, v7
	v_add_f32_e32 v28, v30, v32
	v_sub_f32_e32 v31, v29, v28
	v_pk_add_f32 v[34:35], v[28:29], v[30:31] neg_lo:[0,1] neg_hi:[0,1]
	v_mov_b32_e32 v33, v28
	v_pk_add_f32 v[28:29], v[34:35], v[32:33] neg_lo:[0,1] neg_hi:[0,1]
	s_nop 0
	v_add_f32_e32 v7, v7, v29
	v_add_f32_e32 v7, v28, v7
	;; [unrolled: 1-line block ×4, first 2 shown]
	v_sub_f32_e32 v9, v29, v38
	v_mul_f32_e32 v7, v36, v7
	v_sub_f32_e32 v9, v37, v9
	v_add_f32_e32 v7, v9, v7
	v_add_f32_e32 v30, v29, v7
	v_cvt_f32_i32_e32 v28, v26
	v_mul_f32_e32 v32, v30, v30
	v_fmamk_f32 v9, v32, 0x3e9b6dac, v143
	v_fmaak_f32 v9, v32, v9, 0x3f2aaada
	v_sub_f32_e32 v26, v30, v29
	v_mul_f32_e32 v29, v30, v32
	v_pk_mul_f32 v[32:33], v[28:29], v[8:9]
	v_ldexp_f32 v31, v30, 1
	v_fma_f32 v30, v28, s2, -v32
	v_fmac_f32_e32 v30, 0xb102e308, v28
	v_pk_add_f32 v[28:29], v[32:33], v[30:31]
	v_sub_f32_e32 v7, v7, v26
	v_sub_f32_e32 v9, v29, v31
	v_ldexp_f32 v7, v7, 1
	v_sub_f32_e32 v9, v33, v9
	v_add_f32_e32 v35, v7, v9
	v_mov_b32_e32 v34, v32
	v_pk_add_f32 v[32:33], v[28:29], v[32:33] neg_lo:[0,1] neg_hi:[0,1]
	v_pk_add_f32 v[36:37], v[28:29], v[34:35]
	v_mov_b32_e32 v31, v28
	v_mov_b32_e32 v33, v37
	v_pk_add_f32 v[38:39], v[30:31], v[32:33] neg_lo:[0,1] neg_hi:[0,1]
	v_pk_add_f32 v[30:31], v[30:31], v[32:33]
	s_mov_b32 s2, 0x7f800000
	v_mov_b32_e32 v26, v31
	v_pk_add_f32 v[32:33], v[26:27], v[28:29] neg_lo:[0,1] neg_hi:[0,1]
	v_mov_b32_e32 v30, v37
	v_mov_b32_e32 v7, v32
	v_pk_add_f32 v[40:41], v[36:37], v[6:7] neg_lo:[0,1] neg_hi:[0,1]
	v_mov_b32_e32 v36, v29
	v_mov_b32_e32 v37, v32
	;; [unrolled: 1-line block ×3, first 2 shown]
	v_pk_add_f32 v[30:31], v[30:31], v[36:37] neg_lo:[0,1] neg_hi:[0,1]
	v_mov_b32_e32 v32, v35
	v_mov_b32_e32 v33, v28
	v_pk_add_f32 v[28:29], v[32:33], v[30:31] neg_lo:[0,1] neg_hi:[0,1]
	v_mov_b32_e32 v40, v38
	v_pk_add_f32 v[30:31], v[40:41], v[28:29]
	v_cmp_eq_f32_e32 vcc, s2, v42
	v_mov_b32_e32 v32, v31
	v_pk_add_f32 v[32:33], v[30:31], v[32:33]
	s_mov_b32 s2, 0x33800000
	v_pk_add_f32 v[34:35], v[26:27], v[32:33]
	v_mov_b32_e32 v29, v32
	v_mov_b32_e32 v31, v34
	v_pk_add_f32 v[36:37], v[30:31], v[38:39] neg_lo:[0,1] neg_hi:[0,1]
	v_cmp_gt_f32_e64 s[60:61], s2, v42
	v_sub_f32_e32 v7, v30, v36
	v_pk_add_f32 v[28:29], v[28:29], v[36:37] neg_lo:[0,1] neg_hi:[0,1]
	v_sub_f32_e32 v7, v38, v7
	v_add_f32_e32 v7, v28, v7
	v_add_f32_e32 v7, v7, v29
	;; [unrolled: 1-line block ×3, first 2 shown]
	s_or_b64 vcc, s[60:61], vcc
	v_cndmask_b32_e32 v26, v7, v42, vcc
.LBB159_105:                            ;   in Loop: Header=BB159_13 Depth=1
	s_or_b64 exec, exec, s[4:5]
	v_add_f32_e32 v27, s62, v27
	s_mov_b32 s2, 0x41a00000
	v_cmp_ge_f32_e32 vcc, s2, v27
	v_readlane_b32 s2, v167, 27
	v_readlane_b32 s3, v167, 28
	s_and_b64 s[2:3], s[2:3], vcc
	s_and_saveexec_b64 s[4:5], s[2:3]
	s_cbranch_execz .LBB159_107
; %bb.106:                              ;   in Loop: Header=BB159_13 Depth=1
	v_mul_f32_e32 v7, 0x3fb8aa3b, v27
	v_rndne_f32_e32 v9, v7
	s_mov_b32 s2, 0x3fb8aa3b
	v_sub_f32_e32 v28, v7, v9
	v_fma_f32 v7, v27, s2, -v7
	v_fmac_f32_e32 v7, 0x32a5705f, v27
	v_add_f32_e32 v7, v28, v7
	v_cvt_i32_f32_e32 v9, v9
	v_exp_f32_e32 v7, v7
	s_mov_b32 s2, 0xc2ce8ed0
	v_cmp_ngt_f32_e32 vcc, s2, v27
	s_mov_b32 s2, 0x42b17218
	v_ldexp_f32 v7, v7, v9
	v_cndmask_b32_e32 v7, 0, v7, vcc
	v_cmp_nlt_f32_e32 vcc, s2, v27
	s_mov_b32 s2, 0x3f2aaaab
	s_nop 0
	v_cndmask_b32_e32 v27, v144, v7, vcc
	v_add_f32_e32 v7, 1.0, v27
	v_add_f32_e32 v9, -1.0, v7
	v_sub_f32_e32 v28, v9, v7
	v_add_f32_e32 v28, 1.0, v28
	v_sub_f32_e32 v9, v27, v9
	v_add_f32_e32 v9, v9, v28
	v_frexp_mant_f32_e32 v30, v7
	v_cvt_f64_f32_e32 v[28:29], v7
	v_frexp_exp_i32_f64_e32 v28, v[28:29]
	v_cmp_gt_f32_e32 vcc, s2, v30
	s_mov_b32 s2, 0x3f317218
	s_nop 0
	v_subbrev_co_u32_e32 v36, vcc, 0, v28, vcc
	v_sub_u32_e32 v28, 0, v36
	v_ldexp_f32 v7, v7, v28
	v_ldexp_f32 v9, v9, v28
	v_add_f32_e32 v28, -1.0, v7
	v_add_f32_e32 v29, 1.0, v28
	v_sub_f32_e32 v29, v7, v29
	v_add_f32_e32 v30, v9, v29
	v_add_f32_e32 v29, 1.0, v7
	v_add_f32_e32 v31, -1.0, v29
	v_sub_f32_e32 v7, v7, v31
	v_add_f32_e32 v7, v9, v7
	v_add_f32_e32 v9, v29, v7
	v_rcp_f32_e32 v37, v9
	v_sub_f32_e32 v29, v29, v9
	v_add_f32_e32 v7, v7, v29
	v_add_f32_e32 v29, v28, v30
	v_sub_f32_e32 v28, v28, v29
	v_mul_f32_e32 v39, v29, v37
	v_add_f32_e32 v38, v30, v28
	v_mul_f32_e32 v30, v9, v39
	v_fma_f32 v32, v39, v9, -v30
	v_fmac_f32_e32 v32, v39, v7
	v_add_f32_e32 v28, v30, v32
	v_sub_f32_e32 v31, v29, v28
	v_pk_add_f32 v[34:35], v[28:29], v[30:31] neg_lo:[0,1] neg_hi:[0,1]
	v_mov_b32_e32 v33, v28
	v_pk_add_f32 v[28:29], v[34:35], v[32:33] neg_lo:[0,1] neg_hi:[0,1]
	s_nop 0
	v_add_f32_e32 v29, v38, v29
	v_add_f32_e32 v28, v28, v29
	;; [unrolled: 1-line block ×3, first 2 shown]
	v_mul_f32_e32 v38, v37, v29
	v_mul_f32_e32 v30, v9, v38
	v_fma_f32 v32, v38, v9, -v30
	v_fmac_f32_e32 v32, v38, v7
	v_sub_f32_e32 v7, v31, v29
	v_add_f32_e32 v7, v28, v7
	v_add_f32_e32 v28, v30, v32
	v_sub_f32_e32 v31, v29, v28
	v_pk_add_f32 v[34:35], v[28:29], v[30:31] neg_lo:[0,1] neg_hi:[0,1]
	v_mov_b32_e32 v33, v28
	v_pk_add_f32 v[28:29], v[34:35], v[32:33] neg_lo:[0,1] neg_hi:[0,1]
	s_nop 0
	v_add_f32_e32 v7, v7, v29
	v_add_f32_e32 v7, v28, v7
	;; [unrolled: 1-line block ×4, first 2 shown]
	v_sub_f32_e32 v9, v29, v39
	v_mul_f32_e32 v7, v37, v7
	v_sub_f32_e32 v9, v38, v9
	v_add_f32_e32 v7, v9, v7
	v_add_f32_e32 v30, v29, v7
	v_cvt_f32_i32_e32 v28, v36
	v_mul_f32_e32 v32, v30, v30
	v_fmamk_f32 v9, v32, 0x3e9b6dac, v143
	v_sub_f32_e32 v29, v30, v29
	v_fmaak_f32 v9, v32, v9, 0x3f2aaada
	v_sub_f32_e32 v7, v7, v29
	v_mul_f32_e32 v29, v30, v32
	v_pk_mul_f32 v[32:33], v[28:29], v[8:9]
	v_ldexp_f32 v31, v30, 1
	v_fma_f32 v30, v28, s2, -v32
	v_fmac_f32_e32 v30, 0xb102e308, v28
	v_pk_add_f32 v[28:29], v[32:33], v[30:31]
	v_ldexp_f32 v7, v7, 1
	v_sub_f32_e32 v9, v29, v31
	v_sub_f32_e32 v9, v33, v9
	v_add_f32_e32 v35, v7, v9
	v_mov_b32_e32 v34, v32
	v_pk_add_f32 v[32:33], v[28:29], v[32:33] neg_lo:[0,1] neg_hi:[0,1]
	v_pk_add_f32 v[36:37], v[28:29], v[34:35]
	v_mov_b32_e32 v31, v28
	v_mov_b32_e32 v33, v37
	v_pk_add_f32 v[38:39], v[30:31], v[32:33] neg_lo:[0,1] neg_hi:[0,1]
	v_pk_add_f32 v[30:31], v[30:31], v[32:33]
	v_mov_b32_e32 v34, v35
	v_mov_b32_e32 v32, v31
	v_pk_add_f32 v[40:41], v[32:33], v[28:29] neg_lo:[0,1] neg_hi:[0,1]
	v_mov_b32_e32 v30, v37
	v_mov_b32_e32 v7, v40
	v_pk_add_f32 v[42:43], v[36:37], v[6:7] neg_lo:[0,1] neg_hi:[0,1]
	v_mov_b32_e32 v36, v29
	v_mov_b32_e32 v37, v40
	;; [unrolled: 1-line block ×3, first 2 shown]
	v_pk_add_f32 v[30:31], v[30:31], v[36:37] neg_lo:[0,1] neg_hi:[0,1]
	v_mov_b32_e32 v35, v28
	v_pk_add_f32 v[28:29], v[34:35], v[30:31] neg_lo:[0,1] neg_hi:[0,1]
	v_mov_b32_e32 v42, v38
	v_pk_add_f32 v[30:31], v[42:43], v[28:29]
	s_mov_b32 s2, 0x7f800000
	v_mov_b32_e32 v34, v31
	v_pk_add_f32 v[34:35], v[30:31], v[34:35]
	v_cmp_eq_f32_e32 vcc, s2, v27
	v_pk_add_f32 v[32:33], v[32:33], v[34:35]
	v_mov_b32_e32 v29, v34
	v_mov_b32_e32 v31, v32
	v_pk_add_f32 v[36:37], v[30:31], v[38:39] neg_lo:[0,1] neg_hi:[0,1]
	s_mov_b32 s2, 0x33800000
	v_sub_f32_e32 v7, v30, v36
	v_pk_add_f32 v[28:29], v[28:29], v[36:37] neg_lo:[0,1] neg_hi:[0,1]
	v_sub_f32_e32 v7, v38, v7
	v_add_f32_e32 v7, v28, v7
	v_add_f32_e32 v7, v7, v29
	v_cmp_gt_f32_e64 s[60:61], s2, v27
	v_add_f32_e32 v7, v32, v7
	s_or_b64 vcc, s[60:61], vcc
	v_cndmask_b32_e32 v27, v7, v27, vcc
.LBB159_107:                            ;   in Loop: Header=BB159_13 Depth=1
	s_or_b64 exec, exec, s[4:5]
	v_readlane_b32 s2, v167, 4
	s_barrier
	s_nop 0
	v_mul_f32_e32 v28, s2, v24
	v_mul_f32_e32 v31, s2, v23
	;; [unrolled: 1-line block ×16, first 2 shown]
	v_readlane_b32 s2, v167, 29
	v_readlane_b32 s3, v167, 30
	s_and_b64 vcc, exec, s[2:3]
	s_cbranch_vccz .LBB159_204
; %bb.108:                              ;   in Loop: Header=BB159_13 Depth=1
	v_writelane_b32 v167, s12, 59
	s_cmp_lg_u32 s16, 0
	s_cselect_b64 s[94:95], -1, 0
	v_writelane_b32 v167, s13, 60
	v_writelane_b32 v167, s14, 61
	v_lshl_add_u64 v[44:45], s[12:13], 0, v[0:1]
	v_cmp_gt_u32_e32 vcc, s88, v3
	v_writelane_b32 v167, s15, 62
	v_lshl_add_u64 v[46:47], s[14:15], 0, v[0:1]
	v_readlane_b32 s2, v167, 32
	v_writelane_b32 v167, s16, 63
	s_cmp_eq_u32 s16, s2
	v_readlane_b32 s2, v167, 33
	v_readlane_b32 s3, v167, 34
	v_or_b32_e32 v0, 1, v3
	s_cselect_b64 s[96:97], -1, 0
	s_or_b64 s[60:61], s[2:3], vcc
	v_cmp_gt_u32_e32 vcc, s88, v0
	v_or_b32_e32 v0, 2, v3
	s_or_b64 s[62:63], s[2:3], vcc
	v_cmp_gt_u32_e32 vcc, s88, v0
	v_or_b32_e32 v0, 3, v3
	;; [unrolled: 3-line block ×14, first 2 shown]
	v_mov_b32_e32 v7, v1
	s_mov_b32 s6, 0
	v_cmp_gt_u32_e64 s[88:89], s88, v0
	v_mul_f32_e32 v9, v25, v27
	v_lshl_add_u64 v[44:45], v[44:45], 0, v[6:7]
	v_lshl_add_u64 v[46:47], v[46:47], 0, v[6:7]
	v_mul_f32_e32 v7, v24, v26
	v_mul_f32_e32 v161, v23, v160
	;; [unrolled: 1-line block ×15, first 2 shown]
	s_or_b64 s[88:89], s[2:3], s[88:89]
	s_or_b64 s[90:91], s[2:3], vcc
	s_mov_b32 s92, s6
	s_mov_b32 s98, s6
	;; [unrolled: 1-line block ×4, first 2 shown]
	v_readlane_b32 s9, v167, 53
	s_branch .LBB159_110
.LBB159_109:                            ;   in Loop: Header=BB159_110 Depth=2
	s_or_b64 exec, exec, s[2:3]
	v_cndmask_b32_e64 v0, v0, v75, s[24:25]
	v_cndmask_b32_e64 v50, v56, v74, s[24:25]
	v_mul_f32_e32 v50, v50, v136
	v_fma_f32 v0, v0, v136, v48
	v_cndmask_b32_e64 v48, v0, v48, s[22:23]
	v_cndmask_b32_e64 v0, v50, v136, s[22:23]
	s_waitcnt lgkmcnt(0)
	v_fmac_f32_e32 v48, v69, v0
	v_fmac_f32_e32 v49, v48, v137
	;; [unrolled: 1-line block ×10, first 2 shown]
	v_readlane_b32 s12, v167, 21
	v_fmac_f32_e32 v64, v63, v80
	v_readlane_b32 s13, v167, 22
	v_readlane_b32 s14, v167, 23
	v_readlane_b32 s15, v167, 24
	v_fmac_f32_e32 v65, v64, v81
	s_add_i32 s4, s4, s14
	v_readlane_b32 s12, v167, 17
	v_fmac_f32_e32 v60, v65, v68
	v_readlane_b32 s13, v167, 18
	v_readlane_b32 s14, v167, 19
	;; [unrolled: 1-line block ×3, first 2 shown]
	v_fmac_f32_e32 v61, v60, v66
	s_add_i32 s98, s98, s12
	v_readlane_b32 s12, v167, 9
	v_fmac_f32_e32 v67, v61, v70
	v_readlane_b32 s13, v167, 10
	v_readlane_b32 s16, v167, 13
	v_fmac_f32_e32 v57, v67, v71
	v_mov_b32_e32 v56, v67
	s_add_i32 s9, s9, 8
	s_add_i32 s8, s8, -1
	s_add_i32 s92, s92, s16
	s_add_i32 s6, s6, s13
	v_pk_fma_f32 v[42:43], v[24:25], v[48:49], v[42:43]
	v_pk_fma_f32 v[40:41], v[22:23], v[52:53], v[40:41]
	;; [unrolled: 1-line block ×7, first 2 shown]
	s_cmp_eq_u32 s8, 0
	v_pk_fma_f32 v[28:29], v[10:11], v[56:57], v[28:29]
	v_readlane_b32 s14, v167, 11
	v_readlane_b32 s15, v167, 12
	;; [unrolled: 1-line block ×5, first 2 shown]
	s_cbranch_scc1 .LBB159_203
.LBB159_110:                            ;   Parent Loop BB159_13 Depth=1
                                        ; =>  This Inner Loop Header: Depth=2
	s_lshl_b64 s[2:3], s[6:7], 2
	v_readlane_b32 s5, v167, 7
	s_add_u32 s2, s5, s2
	v_readlane_b32 s5, v167, 8
	s_addc_u32 s3, s5, s3
	global_load_dword v0, v1, s[2:3]
	s_mov_b32 s93, s7
	v_lshl_add_u64 v[10:11], s[92:93], 2, v[44:45]
	v_mov_b32_e32 v12, 0
	v_mov_b32_e32 v13, 0
	s_and_saveexec_b64 s[2:3], s[26:27]
	s_cbranch_execz .LBB159_112
; %bb.111:                              ;   in Loop: Header=BB159_110 Depth=2
	global_load_dword v13, v[10:11], off
.LBB159_112:                            ;   in Loop: Header=BB159_110 Depth=2
	s_or_b64 exec, exec, s[2:3]
	s_and_saveexec_b64 s[2:3], s[28:29]
	s_cbranch_execz .LBB159_114
; %bb.113:                              ;   in Loop: Header=BB159_110 Depth=2
	global_load_dword v12, v[10:11], off offset:256
.LBB159_114:                            ;   in Loop: Header=BB159_110 Depth=2
	s_or_b64 exec, exec, s[2:3]
	v_mov_b32_e32 v14, 0
	v_mov_b32_e32 v15, 0
	s_and_saveexec_b64 s[2:3], s[30:31]
	s_cbranch_execz .LBB159_116
; %bb.115:                              ;   in Loop: Header=BB159_110 Depth=2
	global_load_dword v15, v[10:11], off offset:512
.LBB159_116:                            ;   in Loop: Header=BB159_110 Depth=2
	s_or_b64 exec, exec, s[2:3]
	s_and_saveexec_b64 s[2:3], s[34:35]
	s_cbranch_execz .LBB159_118
; %bb.117:                              ;   in Loop: Header=BB159_110 Depth=2
	global_load_dword v14, v[10:11], off offset:768
.LBB159_118:                            ;   in Loop: Header=BB159_110 Depth=2
	s_or_b64 exec, exec, s[2:3]
	v_mov_b32_e32 v16, 0
	v_mov_b32_e32 v17, 0
	s_and_saveexec_b64 s[2:3], s[36:37]
	s_cbranch_execz .LBB159_120
; %bb.119:                              ;   in Loop: Header=BB159_110 Depth=2
	global_load_dword v17, v[10:11], off offset:1024
.LBB159_120:                            ;   in Loop: Header=BB159_110 Depth=2
	;; [unrolled: 14-line block ×7, first 2 shown]
	s_or_b64 exec, exec, s[2:3]
	s_and_saveexec_b64 s[2:3], s[58:59]
	s_cbranch_execz .LBB159_142
; %bb.141:                              ;   in Loop: Header=BB159_110 Depth=2
	global_load_dword v48, v[10:11], off offset:3840
.LBB159_142:                            ;   in Loop: Header=BB159_110 Depth=2
	s_or_b64 exec, exec, s[2:3]
	s_waitcnt vmcnt(0)
	ds_write_b32 v92, v13
	ds_write_b32 v93, v12 offset:256
	ds_write_b32 v94, v15 offset:512
	;; [unrolled: 1-line block ×15, first 2 shown]
	; wave barrier
	ds_read2_b32 v[48:49], v108 offset1:1
	ds_read2_b32 v[52:53], v108 offset0:2 offset1:3
	ds_read2_b32 v[54:55], v108 offset0:4 offset1:5
	;; [unrolled: 1-line block ×7, first 2 shown]
	s_mov_b32 s99, s7
	v_lshl_add_u64 v[10:11], s[98:99], 2, v[46:47]
	v_mov_b32_e32 v12, 0
	v_mov_b32_e32 v13, 0
	s_and_saveexec_b64 s[2:3], s[26:27]
	s_cbranch_execz .LBB159_144
; %bb.143:                              ;   in Loop: Header=BB159_110 Depth=2
	global_load_dword v13, v[10:11], off
.LBB159_144:                            ;   in Loop: Header=BB159_110 Depth=2
	s_or_b64 exec, exec, s[2:3]
	s_and_saveexec_b64 s[2:3], s[28:29]
	s_cbranch_execz .LBB159_146
; %bb.145:                              ;   in Loop: Header=BB159_110 Depth=2
	global_load_dword v12, v[10:11], off offset:256
.LBB159_146:                            ;   in Loop: Header=BB159_110 Depth=2
	s_or_b64 exec, exec, s[2:3]
	v_mov_b32_e32 v14, 0
	v_mov_b32_e32 v15, 0
	s_and_saveexec_b64 s[2:3], s[30:31]
	s_cbranch_execz .LBB159_148
; %bb.147:                              ;   in Loop: Header=BB159_110 Depth=2
	global_load_dword v15, v[10:11], off offset:512
.LBB159_148:                            ;   in Loop: Header=BB159_110 Depth=2
	s_or_b64 exec, exec, s[2:3]
	s_and_saveexec_b64 s[2:3], s[34:35]
	s_cbranch_execz .LBB159_150
; %bb.149:                              ;   in Loop: Header=BB159_110 Depth=2
	global_load_dword v14, v[10:11], off offset:768
.LBB159_150:                            ;   in Loop: Header=BB159_110 Depth=2
	s_or_b64 exec, exec, s[2:3]
	v_mov_b32_e32 v16, 0
	v_mov_b32_e32 v17, 0
	s_and_saveexec_b64 s[2:3], s[36:37]
	s_cbranch_execz .LBB159_152
; %bb.151:                              ;   in Loop: Header=BB159_110 Depth=2
	global_load_dword v17, v[10:11], off offset:1024
.LBB159_152:                            ;   in Loop: Header=BB159_110 Depth=2
	;; [unrolled: 14-line block ×7, first 2 shown]
	s_or_b64 exec, exec, s[2:3]
	s_and_saveexec_b64 s[2:3], s[58:59]
	s_cbranch_execz .LBB159_174
; %bb.173:                              ;   in Loop: Header=BB159_110 Depth=2
	global_load_dword v50, v[10:11], off offset:3840
.LBB159_174:                            ;   in Loop: Header=BB159_110 Depth=2
	s_or_b64 exec, exec, s[2:3]
	v_add_u32_e32 v10, 0x2100, v108
	s_waitcnt vmcnt(0)
	ds_write_b32 v92, v13 offset:8448
	ds_write_b32 v109, v12 offset:256
	;; [unrolled: 1-line block ×16, first 2 shown]
	; wave barrier
	ds_read2_b32 v[22:23], v124 offset0:2 offset1:3
	ds_read2_b32 v[20:21], v124 offset0:4 offset1:5
	;; [unrolled: 1-line block ×6, first 2 shown]
	ds_read2_b32 v[24:25], v10 offset1:1
	ds_read2_b32 v[10:11], v124 offset0:14 offset1:15
	s_andn2_b64 vcc, exec, s[94:95]
	s_cbranch_vccnz .LBB159_176
; %bb.175:                              ;   in Loop: Header=BB159_110 Depth=2
	v_mov_b32_e32 v50, s9
	ds_read_b64 v[50:51], v50
	s_cbranch_execz .LBB159_177
	s_branch .LBB159_180
.LBB159_176:                            ;   in Loop: Header=BB159_110 Depth=2
                                        ; implicit-def: $vgpr51
.LBB159_177:                            ;   in Loop: Header=BB159_110 Depth=2
	v_readlane_b32 s2, v167, 0
	v_readlane_b32 s3, v167, 1
	s_andn2_b64 vcc, exec, s[2:3]
	s_waitcnt lgkmcnt(0)
	v_mov_b32_e32 v51, 0
	s_cbranch_vccnz .LBB159_179
; %bb.178:                              ;   in Loop: Header=BB159_110 Depth=2
	s_mov_b32 s5, s7
	s_lshl_b64 s[2:3], s[4:5], 2
	v_readlane_b32 s5, v167, 25
	s_add_u32 s2, s5, s2
	v_readlane_b32 s5, v167, 26
	s_addc_u32 s3, s5, s3
	global_load_dword v51, v1, s[2:3]
.LBB159_179:                            ;   in Loop: Header=BB159_110 Depth=2
	v_mov_b32_e32 v50, 1.0
.LBB159_180:                            ;   in Loop: Header=BB159_110 Depth=2
	v_mul_f32_e32 v0, 0x3fb8aa3b, v0
	v_mul_f32_e32 v66, v0, v147
	v_cmp_gt_f32_e32 vcc, s33, v66
	v_pk_mul_f32 v[70:71], v[0:1], v[26:27] op_sel_hi:[0,1]
	s_waitcnt lgkmcnt(14)
	v_mul_f32_e32 v48, v48, v135
	v_cndmask_b32_e32 v66, 0, v145, vcc
	v_fmac_f32_e32 v66, v0, v147
	v_exp_f32_e32 v66, v66
	v_cndmask_b32_e32 v67, 1.0, v146, vcc
	v_mul_f32_e32 v49, v49, v134
	v_cndmask_b32_e64 v48, 0, v48, s[60:61]
	v_mul_f32_e32 v66, v66, v67
	v_cndmask_b32_e64 v136, 1.0, v66, s[60:61]
	v_mul_f32_e32 v66, v0, v148
	v_cmp_gt_f32_e32 vcc, s33, v66
	v_cndmask_b32_e64 v49, 0, v49, s[62:63]
	v_mul_f32_e32 v52, v52, v133
	v_cndmask_b32_e32 v66, 0, v145, vcc
	v_fmac_f32_e32 v66, v0, v148
	v_exp_f32_e32 v66, v66
	v_cndmask_b32_e32 v67, 1.0, v146, vcc
	v_cndmask_b32_e64 v52, 0, v52, s[64:65]
	v_mul_f32_e32 v53, v53, v132
	v_mul_f32_e32 v66, v66, v67
	v_cndmask_b32_e64 v137, 1.0, v66, s[62:63]
	v_mul_f32_e32 v66, v0, v149
	v_cmp_gt_f32_e32 vcc, s33, v66
	v_cndmask_b32_e64 v53, 0, v53, s[66:67]
	v_mul_f32_e32 v54, v54, v131
	v_cndmask_b32_e32 v66, 0, v145, vcc
	v_fmac_f32_e32 v66, v0, v149
	v_exp_f32_e32 v66, v66
	v_cndmask_b32_e32 v67, 1.0, v146, vcc
	v_cndmask_b32_e64 v54, 0, v54, s[68:69]
	v_mul_f32_e32 v55, v55, v130
	;; [unrolled: 12-line block ×6, first 2 shown]
	v_mul_f32_e32 v66, v66, v67
	v_cndmask_b32_e64 v142, 1.0, v66, s[72:73]
	v_mul_f32_e32 v66, v0, v154
	v_cmp_gt_f32_e32 vcc, s33, v66
	v_cndmask_b32_e64 v61, 0, v61, s[86:87]
	v_mul_f32_e32 v57, v57, v9
	v_cndmask_b32_e32 v66, 0, v145, vcc
	v_fmac_f32_e32 v66, v0, v154
	v_exp_f32_e32 v66, v66
	v_cndmask_b32_e32 v67, 1.0, v146, vcc
	v_cndmask_b32_e64 v57, 0, v57, s[88:89]
	v_readlane_b32 s10, v167, 35
	v_mul_f32_e32 v66, v66, v67
	v_cndmask_b32_e64 v77, 1.0, v66, s[74:75]
	v_mul_f32_e32 v66, v0, v155
	v_cmp_gt_f32_e32 vcc, s33, v66
	v_readlane_b32 s11, v167, 36
	s_nop 0
	v_cndmask_b32_e32 v66, 0, v145, vcc
	v_fmac_f32_e32 v66, v0, v155
	v_exp_f32_e32 v66, v66
	v_cndmask_b32_e32 v67, 1.0, v146, vcc
	v_mul_f32_e32 v66, v66, v67
	v_cndmask_b32_e64 v78, 1.0, v66, s[76:77]
	v_mul_f32_e32 v66, v0, v156
	v_cmp_gt_f32_e32 vcc, s33, v66
	s_nop 1
	v_cndmask_b32_e32 v66, 0, v145, vcc
	v_fmac_f32_e32 v66, v0, v156
	v_exp_f32_e32 v66, v66
	v_cndmask_b32_e32 v67, 1.0, v146, vcc
	v_mul_f32_e32 v66, v66, v67
	v_cndmask_b32_e64 v79, 1.0, v66, s[78:79]
	v_mul_f32_e32 v66, v0, v157
	v_cmp_gt_f32_e32 vcc, s33, v66
	;; [unrolled: 9-line block ×5, first 2 shown]
	s_nop 1
	v_cndmask_b32_e32 v66, 0, v145, vcc
	v_fmac_f32_e32 v66, v0, v160
	v_exp_f32_e32 v66, v66
	v_cndmask_b32_e32 v67, 1.0, v146, vcc
	v_mul_f32_e32 v0, v56, v7
	v_cmp_gt_f32_e32 vcc, s33, v70
	v_mul_f32_e32 v66, v66, v67
	v_cndmask_b32_e64 v67, 0, v0, s[90:91]
	v_cndmask_b32_e32 v0, 0, v145, vcc
	v_add_f32_e32 v0, v70, v0
	v_exp_f32_e32 v0, v0
	v_cndmask_b32_e32 v56, 1.0, v146, vcc
	v_cmp_gt_f32_e32 vcc, s33, v71
	v_cndmask_b32_e64 v66, 1.0, v66, s[86:87]
	v_mul_f32_e32 v0, v0, v56
	v_cndmask_b32_e32 v56, 0, v145, vcc
	v_add_f32_e32 v56, v71, v56
	v_exp_f32_e32 v56, v56
	v_cndmask_b32_e32 v69, 1.0, v146, vcc
	v_cndmask_b32_e64 v70, 1.0, v0, s[90:91]
	v_mul_f32_e32 v0, v137, v136
	v_mul_f32_e32 v56, v56, v69
	v_cndmask_b32_e64 v71, 1.0, v56, s[88:89]
	v_fma_f32 v56, v137, v48, v49
	v_mul_f32_e32 v0, v0, v138
	v_fma_f32 v56, v56, v138, v52
	v_mul_f32_e32 v0, v0, v139
	;; [unrolled: 2-line block ×10, first 2 shown]
	v_fma_f32 v0, v56, v81, v65
	v_fma_f32 v0, v0, v68, v60
	;; [unrolled: 1-line block ×3, first 2 shown]
	v_mov_b32_e32 v69, v70
	v_pk_mul_f32 v[82:83], v[72:73], v[68:69]
	v_pk_fma_f32 v[72:73], v[72:73], v[68:69], v[66:67]
	v_pk_mul_f32 v[82:83], v[82:83], v[66:67]
	v_mov_b32_e32 v74, v71
	v_mov_b32_e32 v83, v73
	;; [unrolled: 1-line block ×3, first 2 shown]
	v_pk_mul_f32 v[72:73], v[82:83], v[70:71]
	v_mov_b32_e32 v56, v71
	v_pk_mul_f32 v[74:75], v[72:73], v[74:75]
	v_pk_fma_f32 v[72:73], v[82:83], v[70:71], v[56:57]
	s_nop 0
	v_mov_b32_dpp v0, v74 row_shr:1 row_mask:0xf bank_mask:0xf
	v_mov_b32_dpp v56, v73 row_shr:1 row_mask:0xf bank_mask:0xf
	v_mul_f32_e32 v69, v74, v0
	v_fma_f32 v56, v74, v56, v73
	v_cndmask_b32_e64 v72, v69, v74, s[0:1]
	v_cndmask_b32_e64 v75, v56, v73, s[0:1]
	;; [unrolled: 1-line block ×4, first 2 shown]
	v_mov_b32_dpp v69, v75 row_shr:2 row_mask:0xf bank_mask:0xf
	v_mov_b32_dpp v56, v74 row_shr:2 row_mask:0xf bank_mask:0xf
	s_and_saveexec_b64 s[2:3], s[10:11]
; %bb.181:                              ;   in Loop: Header=BB159_110 Depth=2
	v_fmac_f32_e32 v75, v74, v69
	v_mul_f32_e32 v74, v74, v56
	v_mov_b32_e32 v72, v74
	v_mov_b32_e32 v0, v75
; %bb.182:                              ;   in Loop: Header=BB159_110 Depth=2
	s_or_b64 exec, exec, s[2:3]
	v_readlane_b32 s10, v167, 37
	v_mov_b32_dpp v56, v74 row_shr:4 row_mask:0xf bank_mask:0xf
	v_mov_b32_dpp v69, v75 row_shr:4 row_mask:0xf bank_mask:0xf
	v_readlane_b32 s11, v167, 38
	s_and_saveexec_b64 s[2:3], s[10:11]
; %bb.183:                              ;   in Loop: Header=BB159_110 Depth=2
	v_fmac_f32_e32 v75, v74, v69
	v_mul_f32_e32 v74, v74, v56
	v_mov_b32_e32 v72, v74
	v_mov_b32_e32 v0, v75
; %bb.184:                              ;   in Loop: Header=BB159_110 Depth=2
	s_or_b64 exec, exec, s[2:3]
	v_readlane_b32 s10, v167, 39
	v_mov_b32_dpp v56, v74 row_shr:8 row_mask:0xf bank_mask:0xf
	v_mov_b32_dpp v69, v75 row_shr:8 row_mask:0xf bank_mask:0xf
	v_readlane_b32 s11, v167, 40
	s_and_saveexec_b64 s[2:3], s[10:11]
; %bb.185:                              ;   in Loop: Header=BB159_110 Depth=2
	v_fmac_f32_e32 v75, v74, v69
	v_mul_f32_e32 v74, v74, v56
	v_mov_b32_e32 v72, v74
	v_mov_b32_e32 v0, v75
; %bb.186:                              ;   in Loop: Header=BB159_110 Depth=2
	s_or_b64 exec, exec, s[2:3]
	v_readlane_b32 s10, v167, 41
	v_mov_b32_dpp v56, v74 row_bcast:15 row_mask:0xf bank_mask:0xf
	v_mov_b32_dpp v69, v75 row_bcast:15 row_mask:0xf bank_mask:0xf
	v_readlane_b32 s11, v167, 42
	s_and_saveexec_b64 s[2:3], s[10:11]
; %bb.187:                              ;   in Loop: Header=BB159_110 Depth=2
	v_fmac_f32_e32 v75, v74, v69
	v_mul_f32_e32 v74, v74, v56
	v_mov_b32_e32 v72, v74
	v_mov_b32_e32 v0, v75
; %bb.188:                              ;   in Loop: Header=BB159_110 Depth=2
	s_or_b64 exec, exec, s[2:3]
	v_readlane_b32 s10, v167, 43
	v_mov_b32_dpp v69, v74 row_bcast:31 row_mask:0xf bank_mask:0xf
	v_mov_b32_dpp v56, v75 row_bcast:31 row_mask:0xf bank_mask:0xf
	v_readlane_b32 s11, v167, 44
	s_and_saveexec_b64 s[2:3], s[10:11]
; %bb.189:                              ;   in Loop: Header=BB159_110 Depth=2
	v_fmac_f32_e32 v75, v74, v56
	v_mul_f32_e32 v72, v74, v69
	v_mov_b32_e32 v73, v75
	v_mov_b32_e32 v0, v75
	v_mov_b64_e32 v[74:75], v[72:73]
; %bb.190:                              ;   in Loop: Header=BB159_110 Depth=2
	s_or_b64 exec, exec, s[2:3]
	v_readlane_b32 s10, v167, 45
	v_readlane_b32 s11, v167, 46
	s_and_saveexec_b64 s[2:3], s[10:11]
	s_cbranch_execz .LBB159_192
; %bb.191:                              ;   in Loop: Header=BB159_110 Depth=2
	ds_write_b64 v125, v[74:75] offset:16896
.LBB159_192:                            ;   in Loop: Header=BB159_110 Depth=2
	s_or_b64 exec, exec, s[2:3]
	v_readlane_b32 s10, v167, 47
	v_readlane_b32 s11, v167, 48
	s_waitcnt lgkmcnt(0)
	s_barrier
	s_and_saveexec_b64 s[2:3], s[10:11]
	s_cbranch_execz .LBB159_194
; %bb.193:                              ;   in Loop: Header=BB159_110 Depth=2
	ds_read_b64 v[74:75], v126 offset:16896
	v_readlane_b32 s10, v167, 49
	v_readlane_b32 s11, v167, 50
	s_waitcnt lgkmcnt(0)
	v_mov_b32_dpp v56, v74 row_shr:1 row_mask:0xf bank_mask:0xf
	v_mov_b32_dpp v69, v75 row_shr:1 row_mask:0xf bank_mask:0xf
	v_fma_f32 v69, v74, v69, v75
	v_mul_f32_e32 v56, v74, v56
	v_cndmask_b32_e64 v74, v56, v74, s[10:11]
	v_cndmask_b32_e64 v75, v69, v75, s[10:11]
	ds_write_b64 v126, v[74:75] offset:16896
.LBB159_194:                            ;   in Loop: Header=BB159_110 Depth=2
	s_or_b64 exec, exec, s[2:3]
	s_waitcnt lgkmcnt(0)
	s_barrier
	s_waitcnt lgkmcnt(0)
                                        ; implicit-def: $vgpr74
	s_and_saveexec_b64 s[2:3], s[20:21]
	s_cbranch_execz .LBB159_196
; %bb.195:                              ;   in Loop: Header=BB159_110 Depth=2
	ds_read_b64 v[74:75], v125 offset:16888
	s_waitcnt lgkmcnt(0)
	v_mul_f32_e32 v56, v72, v74
	v_fmac_f32_e32 v0, v72, v75
	v_mov_b32_e32 v72, v56
.LBB159_196:                            ;   in Loop: Header=BB159_110 Depth=2
	s_or_b64 exec, exec, s[2:3]
	ds_bpermute_b32 v56, v127, v72
	ds_bpermute_b32 v0, v127, v0
	v_readlane_b32 s10, v167, 51
	s_waitcnt vmcnt(0)
	v_mov_b32_e32 v73, v51
	v_readlane_b32 s11, v167, 52
	s_and_saveexec_b64 s[2:3], s[10:11]
	s_cbranch_execz .LBB159_200
; %bb.197:                              ;   in Loop: Header=BB159_110 Depth=2
	ds_read_b64 v[72:73], v1 offset:16904
	s_and_saveexec_b64 vcc, s[22:23]
	s_cbranch_execz .LBB159_199
; %bb.198:                              ;   in Loop: Header=BB159_110 Depth=2
	ds_write_b64 v1, v[50:51] offset:16904
.LBB159_199:                            ;   in Loop: Header=BB159_110 Depth=2
	s_or_b64 exec, exec, vcc
	s_waitcnt lgkmcnt(0)
	v_fmac_f32_e32 v73, v51, v72
	v_mul_f32_e32 v50, v50, v72
	v_mov_b32_e32 v51, v73
.LBB159_200:                            ;   in Loop: Header=BB159_110 Depth=2
	s_or_b64 exec, exec, s[2:3]
	s_waitcnt lgkmcnt(0)
	s_barrier
	ds_read_b32 v69, v1 offset:16908
	s_and_saveexec_b64 s[2:3], s[22:23]
	s_cbranch_execz .LBB159_109
; %bb.201:                              ;   in Loop: Header=BB159_110 Depth=2
	v_mov_b32_e32 v72, s9
	s_andn2_b64 vcc, exec, s[96:97]
	ds_write_b64 v72, v[50:51]
	s_cbranch_vccnz .LBB159_109
; %bb.202:                              ;   in Loop: Header=BB159_110 Depth=2
	s_mov_b32 s5, s7
	s_lshl_b64 s[10:11], s[4:5], 2
	v_readlane_b32 s5, v167, 25
	s_add_u32 s10, s5, s10
	v_readlane_b32 s5, v167, 26
	s_addc_u32 s11, s5, s11
	global_store_dword v1, v73, s[10:11]
	s_branch .LBB159_109
.LBB159_203:                            ;   in Loop: Header=BB159_13 Depth=1
	v_readlane_b32 s8, v167, 2
	v_readlane_b32 s12, v167, 59
	;; [unrolled: 1-line block ×8, first 2 shown]
.LBB159_204:                            ;   in Loop: Header=BB159_13 Depth=1
	s_barrier
	ds_write2_b32 v108, v42, v43 offset1:1
	ds_write2_b32 v108, v40, v41 offset0:2 offset1:3
	ds_write2_b32 v108, v38, v39 offset0:4 offset1:5
	;; [unrolled: 1-line block ×7, first 2 shown]
	; wave barrier
	ds_read_b32 v23, v93 offset:256
	ds_read_b32 v22, v94 offset:512
	;; [unrolled: 1-line block ×15, first 2 shown]
	v_readlane_b32 s2, v167, 55
	v_readlane_b32 s3, v167, 56
	s_mov_b32 s3, s7
	s_nop 0
	v_lshl_add_u64 v[10:11], s[2:3], 2, v[4:5]
	s_and_saveexec_b64 s[2:3], s[26:27]
	s_cbranch_execnz .LBB159_222
; %bb.205:                              ;   in Loop: Header=BB159_13 Depth=1
	s_or_b64 exec, exec, s[2:3]
	s_and_saveexec_b64 s[2:3], s[28:29]
	s_cbranch_execnz .LBB159_223
.LBB159_206:                            ;   in Loop: Header=BB159_13 Depth=1
	s_or_b64 exec, exec, s[2:3]
	s_and_saveexec_b64 s[2:3], s[30:31]
	s_cbranch_execnz .LBB159_224
.LBB159_207:                            ;   in Loop: Header=BB159_13 Depth=1
	s_or_b64 exec, exec, s[2:3]
	s_and_saveexec_b64 s[2:3], s[34:35]
	s_cbranch_execnz .LBB159_225
.LBB159_208:                            ;   in Loop: Header=BB159_13 Depth=1
	s_or_b64 exec, exec, s[2:3]
	s_and_saveexec_b64 s[2:3], s[36:37]
	s_cbranch_execnz .LBB159_226
.LBB159_209:                            ;   in Loop: Header=BB159_13 Depth=1
	s_or_b64 exec, exec, s[2:3]
	s_and_saveexec_b64 s[2:3], s[38:39]
	s_cbranch_execnz .LBB159_227
.LBB159_210:                            ;   in Loop: Header=BB159_13 Depth=1
	s_or_b64 exec, exec, s[2:3]
	s_and_saveexec_b64 s[2:3], s[40:41]
	s_cbranch_execnz .LBB159_228
.LBB159_211:                            ;   in Loop: Header=BB159_13 Depth=1
	s_or_b64 exec, exec, s[2:3]
	s_and_saveexec_b64 s[2:3], s[42:43]
	s_cbranch_execnz .LBB159_229
.LBB159_212:                            ;   in Loop: Header=BB159_13 Depth=1
	s_or_b64 exec, exec, s[2:3]
	s_and_saveexec_b64 s[2:3], s[44:45]
	s_cbranch_execnz .LBB159_230
.LBB159_213:                            ;   in Loop: Header=BB159_13 Depth=1
	s_or_b64 exec, exec, s[2:3]
	s_and_saveexec_b64 s[2:3], s[46:47]
	s_cbranch_execnz .LBB159_231
.LBB159_214:                            ;   in Loop: Header=BB159_13 Depth=1
	s_or_b64 exec, exec, s[2:3]
	s_and_saveexec_b64 s[2:3], s[48:49]
	s_cbranch_execnz .LBB159_232
.LBB159_215:                            ;   in Loop: Header=BB159_13 Depth=1
	s_or_b64 exec, exec, s[2:3]
	s_and_saveexec_b64 s[2:3], s[50:51]
	s_cbranch_execnz .LBB159_233
.LBB159_216:                            ;   in Loop: Header=BB159_13 Depth=1
	s_or_b64 exec, exec, s[2:3]
	s_and_saveexec_b64 s[2:3], s[52:53]
	s_cbranch_execnz .LBB159_234
.LBB159_217:                            ;   in Loop: Header=BB159_13 Depth=1
	s_or_b64 exec, exec, s[2:3]
	s_and_saveexec_b64 s[2:3], s[54:55]
	s_cbranch_execnz .LBB159_235
.LBB159_218:                            ;   in Loop: Header=BB159_13 Depth=1
	s_or_b64 exec, exec, s[2:3]
	s_and_saveexec_b64 s[2:3], s[56:57]
	s_cbranch_execnz .LBB159_236
.LBB159_219:                            ;   in Loop: Header=BB159_13 Depth=1
	s_or_b64 exec, exec, s[2:3]
	s_and_saveexec_b64 s[2:3], s[58:59]
	s_cbranch_execz .LBB159_12
	s_branch .LBB159_237
.LBB159_220:                            ;   in Loop: Header=BB159_13 Depth=1
	global_load_dword v40, v[26:27], off offset:3328
	s_or_b64 exec, exec, s[2:3]
	s_and_saveexec_b64 s[2:3], s[56:57]
	s_cbranch_execz .LBB159_73
.LBB159_221:                            ;   in Loop: Header=BB159_13 Depth=1
	global_load_dword v39, v[26:27], off offset:3584
	s_or_b64 exec, exec, s[2:3]
	v_mov_b32_e32 v41, 0
	s_and_saveexec_b64 s[2:3], s[58:59]
	s_cbranch_execnz .LBB159_74
	s_branch .LBB159_75
.LBB159_222:                            ;   in Loop: Header=BB159_13 Depth=1
	ds_read_b32 v24, v92
	s_waitcnt lgkmcnt(0)
	global_store_dword v[10:11], v24, off
	s_or_b64 exec, exec, s[2:3]
	s_and_saveexec_b64 s[2:3], s[28:29]
	s_cbranch_execz .LBB159_206
.LBB159_223:                            ;   in Loop: Header=BB159_13 Depth=1
	s_waitcnt lgkmcnt(14)
	global_store_dword v[10:11], v23, off offset:256
	s_or_b64 exec, exec, s[2:3]
	s_and_saveexec_b64 s[2:3], s[30:31]
	s_cbranch_execz .LBB159_207
.LBB159_224:                            ;   in Loop: Header=BB159_13 Depth=1
	s_waitcnt lgkmcnt(13)
	global_store_dword v[10:11], v22, off offset:512
	s_or_b64 exec, exec, s[2:3]
	s_and_saveexec_b64 s[2:3], s[34:35]
	s_cbranch_execz .LBB159_208
.LBB159_225:                            ;   in Loop: Header=BB159_13 Depth=1
	s_waitcnt lgkmcnt(12)
	global_store_dword v[10:11], v21, off offset:768
	s_or_b64 exec, exec, s[2:3]
	s_and_saveexec_b64 s[2:3], s[36:37]
	s_cbranch_execz .LBB159_209
.LBB159_226:                            ;   in Loop: Header=BB159_13 Depth=1
	s_waitcnt lgkmcnt(11)
	global_store_dword v[10:11], v20, off offset:1024
	s_or_b64 exec, exec, s[2:3]
	s_and_saveexec_b64 s[2:3], s[38:39]
	s_cbranch_execz .LBB159_210
.LBB159_227:                            ;   in Loop: Header=BB159_13 Depth=1
	s_waitcnt lgkmcnt(10)
	global_store_dword v[10:11], v19, off offset:1280
	s_or_b64 exec, exec, s[2:3]
	s_and_saveexec_b64 s[2:3], s[40:41]
	s_cbranch_execz .LBB159_211
.LBB159_228:                            ;   in Loop: Header=BB159_13 Depth=1
	s_waitcnt lgkmcnt(9)
	global_store_dword v[10:11], v18, off offset:1536
	s_or_b64 exec, exec, s[2:3]
	s_and_saveexec_b64 s[2:3], s[42:43]
	s_cbranch_execz .LBB159_212
.LBB159_229:                            ;   in Loop: Header=BB159_13 Depth=1
	s_waitcnt lgkmcnt(8)
	global_store_dword v[10:11], v17, off offset:1792
	s_or_b64 exec, exec, s[2:3]
	s_and_saveexec_b64 s[2:3], s[44:45]
	s_cbranch_execz .LBB159_213
.LBB159_230:                            ;   in Loop: Header=BB159_13 Depth=1
	s_waitcnt lgkmcnt(7)
	global_store_dword v[10:11], v16, off offset:2048
	s_or_b64 exec, exec, s[2:3]
	s_and_saveexec_b64 s[2:3], s[46:47]
	s_cbranch_execz .LBB159_214
.LBB159_231:                            ;   in Loop: Header=BB159_13 Depth=1
	s_waitcnt lgkmcnt(6)
	global_store_dword v[10:11], v15, off offset:2304
	s_or_b64 exec, exec, s[2:3]
	s_and_saveexec_b64 s[2:3], s[48:49]
	s_cbranch_execz .LBB159_215
.LBB159_232:                            ;   in Loop: Header=BB159_13 Depth=1
	s_waitcnt lgkmcnt(5)
	global_store_dword v[10:11], v14, off offset:2560
	s_or_b64 exec, exec, s[2:3]
	s_and_saveexec_b64 s[2:3], s[50:51]
	s_cbranch_execz .LBB159_216
.LBB159_233:                            ;   in Loop: Header=BB159_13 Depth=1
	s_waitcnt lgkmcnt(4)
	global_store_dword v[10:11], v13, off offset:2816
	s_or_b64 exec, exec, s[2:3]
	s_and_saveexec_b64 s[2:3], s[52:53]
	s_cbranch_execz .LBB159_217
.LBB159_234:                            ;   in Loop: Header=BB159_13 Depth=1
	s_waitcnt lgkmcnt(3)
	global_store_dword v[10:11], v12, off offset:3072
	s_or_b64 exec, exec, s[2:3]
	s_and_saveexec_b64 s[2:3], s[54:55]
	s_cbranch_execz .LBB159_218
.LBB159_235:                            ;   in Loop: Header=BB159_13 Depth=1
	s_waitcnt lgkmcnt(2)
	global_store_dword v[10:11], v9, off offset:3328
	s_or_b64 exec, exec, s[2:3]
	s_and_saveexec_b64 s[2:3], s[56:57]
	s_cbranch_execz .LBB159_219
.LBB159_236:                            ;   in Loop: Header=BB159_13 Depth=1
	s_waitcnt lgkmcnt(1)
	global_store_dword v[10:11], v7, off offset:3584
	s_or_b64 exec, exec, s[2:3]
	s_and_saveexec_b64 s[2:3], s[58:59]
	s_cbranch_execz .LBB159_12
.LBB159_237:                            ;   in Loop: Header=BB159_13 Depth=1
	s_waitcnt lgkmcnt(0)
	global_store_dword v[10:11], v0, off offset:3840
	s_branch .LBB159_12
.LBB159_238:
	s_endpgm
	.section	.rodata,"a",@progbits
	.p2align	6, 0x0
	.amdhsa_kernel _Z25selective_scan_fwd_kernelI32Selective_Scan_fwd_kernel_traitsILi128ELi16ELi1ELb0ELb1ELb1ELb0ELb0EfffEEv13SSMParamsBase
		.amdhsa_group_segment_fixed_size 0
		.amdhsa_private_segment_fixed_size 0
		.amdhsa_kernarg_size 248
		.amdhsa_user_sgpr_count 2
		.amdhsa_user_sgpr_dispatch_ptr 0
		.amdhsa_user_sgpr_queue_ptr 0
		.amdhsa_user_sgpr_kernarg_segment_ptr 1
		.amdhsa_user_sgpr_dispatch_id 0
		.amdhsa_user_sgpr_kernarg_preload_length 0
		.amdhsa_user_sgpr_kernarg_preload_offset 0
		.amdhsa_user_sgpr_private_segment_size 0
		.amdhsa_uses_dynamic_stack 0
		.amdhsa_enable_private_segment 0
		.amdhsa_system_sgpr_workgroup_id_x 1
		.amdhsa_system_sgpr_workgroup_id_y 1
		.amdhsa_system_sgpr_workgroup_id_z 0
		.amdhsa_system_sgpr_workgroup_info 0
		.amdhsa_system_vgpr_workitem_id 0
		.amdhsa_next_free_vgpr 168
		.amdhsa_next_free_sgpr 100
		.amdhsa_accum_offset 168
		.amdhsa_reserve_vcc 1
		.amdhsa_float_round_mode_32 0
		.amdhsa_float_round_mode_16_64 0
		.amdhsa_float_denorm_mode_32 3
		.amdhsa_float_denorm_mode_16_64 3
		.amdhsa_dx10_clamp 1
		.amdhsa_ieee_mode 1
		.amdhsa_fp16_overflow 0
		.amdhsa_tg_split 0
		.amdhsa_exception_fp_ieee_invalid_op 0
		.amdhsa_exception_fp_denorm_src 0
		.amdhsa_exception_fp_ieee_div_zero 0
		.amdhsa_exception_fp_ieee_overflow 0
		.amdhsa_exception_fp_ieee_underflow 0
		.amdhsa_exception_fp_ieee_inexact 0
		.amdhsa_exception_int_div_zero 0
	.end_amdhsa_kernel
	.section	.text._Z25selective_scan_fwd_kernelI32Selective_Scan_fwd_kernel_traitsILi128ELi16ELi1ELb0ELb1ELb1ELb0ELb0EfffEEv13SSMParamsBase,"axG",@progbits,_Z25selective_scan_fwd_kernelI32Selective_Scan_fwd_kernel_traitsILi128ELi16ELi1ELb0ELb1ELb1ELb0ELb0EfffEEv13SSMParamsBase,comdat
.Lfunc_end159:
	.size	_Z25selective_scan_fwd_kernelI32Selective_Scan_fwd_kernel_traitsILi128ELi16ELi1ELb0ELb1ELb1ELb0ELb0EfffEEv13SSMParamsBase, .Lfunc_end159-_Z25selective_scan_fwd_kernelI32Selective_Scan_fwd_kernel_traitsILi128ELi16ELi1ELb0ELb1ELb1ELb0ELb0EfffEEv13SSMParamsBase
                                        ; -- End function
	.section	.AMDGPU.csdata,"",@progbits
; Kernel info:
; codeLenInByte = 20620
; NumSgprs: 106
; NumVgprs: 168
; NumAgprs: 0
; TotalNumVgprs: 168
; ScratchSize: 0
; MemoryBound: 0
; FloatMode: 240
; IeeeMode: 1
; LDSByteSize: 0 bytes/workgroup (compile time only)
; SGPRBlocks: 13
; VGPRBlocks: 20
; NumSGPRsForWavesPerEU: 106
; NumVGPRsForWavesPerEU: 168
; AccumOffset: 168
; Occupancy: 3
; WaveLimiterHint : 0
; COMPUTE_PGM_RSRC2:SCRATCH_EN: 0
; COMPUTE_PGM_RSRC2:USER_SGPR: 2
; COMPUTE_PGM_RSRC2:TRAP_HANDLER: 0
; COMPUTE_PGM_RSRC2:TGID_X_EN: 1
; COMPUTE_PGM_RSRC2:TGID_Y_EN: 1
; COMPUTE_PGM_RSRC2:TGID_Z_EN: 0
; COMPUTE_PGM_RSRC2:TIDIG_COMP_CNT: 0
; COMPUTE_PGM_RSRC3_GFX90A:ACCUM_OFFSET: 41
; COMPUTE_PGM_RSRC3_GFX90A:TG_SPLIT: 0
	.text
	.p2alignl 6, 3212836864
	.fill 256, 4, 3212836864
	.type	__hip_cuid_691a14c8c2a3d68a,@object ; @__hip_cuid_691a14c8c2a3d68a
	.section	.bss,"aw",@nobits
	.globl	__hip_cuid_691a14c8c2a3d68a
__hip_cuid_691a14c8c2a3d68a:
	.byte	0                               ; 0x0
	.size	__hip_cuid_691a14c8c2a3d68a, 1

	.ident	"AMD clang version 19.0.0git (https://github.com/RadeonOpenCompute/llvm-project roc-6.4.0 25133 c7fe45cf4b819c5991fe208aaa96edf142730f1d)"
	.section	".note.GNU-stack","",@progbits
	.addrsig
	.addrsig_sym __hip_cuid_691a14c8c2a3d68a
	.amdgpu_metadata
---
amdhsa.kernels:
  - .agpr_count:     0
    .args:
      - .offset:         0
        .size:           248
        .value_kind:     by_value
    .group_segment_fixed_size: 0
    .kernarg_segment_align: 8
    .kernarg_segment_size: 248
    .language:       OpenCL C
    .language_version:
      - 2
      - 0
    .max_flat_workgroup_size: 64
    .name:           _Z25selective_scan_fwd_kernelI32Selective_Scan_fwd_kernel_traitsILi64ELi4ELi1ELb1ELb1ELb1ELb1ELb1EN3c108BFloat16EfS2_EEv13SSMParamsBase
    .private_segment_fixed_size: 0
    .sgpr_count:     106
    .sgpr_spill_count: 0
    .symbol:         _Z25selective_scan_fwd_kernelI32Selective_Scan_fwd_kernel_traitsILi64ELi4ELi1ELb1ELb1ELb1ELb1ELb1EN3c108BFloat16EfS2_EEv13SSMParamsBase.kd
    .uniform_work_group_size: 1
    .uses_dynamic_stack: false
    .vgpr_count:     68
    .vgpr_spill_count: 0
    .wavefront_size: 64
  - .agpr_count:     0
    .args:
      - .offset:         0
        .size:           248
        .value_kind:     by_value
    .group_segment_fixed_size: 0
    .kernarg_segment_align: 8
    .kernarg_segment_size: 248
    .language:       OpenCL C
    .language_version:
      - 2
      - 0
    .max_flat_workgroup_size: 64
    .name:           _Z25selective_scan_fwd_kernelI32Selective_Scan_fwd_kernel_traitsILi64ELi4ELi1ELb1ELb1ELb1ELb1ELb0EN3c108BFloat16EfS2_EEv13SSMParamsBase
    .private_segment_fixed_size: 0
    .sgpr_count:     97
    .sgpr_spill_count: 0
    .symbol:         _Z25selective_scan_fwd_kernelI32Selective_Scan_fwd_kernel_traitsILi64ELi4ELi1ELb1ELb1ELb1ELb1ELb0EN3c108BFloat16EfS2_EEv13SSMParamsBase.kd
    .uniform_work_group_size: 1
    .uses_dynamic_stack: false
    .vgpr_count:     68
    .vgpr_spill_count: 0
    .wavefront_size: 64
  - .agpr_count:     0
    .args:
      - .offset:         0
        .size:           248
        .value_kind:     by_value
    .group_segment_fixed_size: 0
    .kernarg_segment_align: 8
    .kernarg_segment_size: 248
    .language:       OpenCL C
    .language_version:
      - 2
      - 0
    .max_flat_workgroup_size: 64
    .name:           _Z25selective_scan_fwd_kernelI32Selective_Scan_fwd_kernel_traitsILi64ELi4ELi1ELb1ELb1ELb1ELb0ELb1EN3c108BFloat16EfS2_EEv13SSMParamsBase
    .private_segment_fixed_size: 0
    .sgpr_count:     103
    .sgpr_spill_count: 0
    .symbol:         _Z25selective_scan_fwd_kernelI32Selective_Scan_fwd_kernel_traitsILi64ELi4ELi1ELb1ELb1ELb1ELb0ELb1EN3c108BFloat16EfS2_EEv13SSMParamsBase.kd
    .uniform_work_group_size: 1
    .uses_dynamic_stack: false
    .vgpr_count:     64
    .vgpr_spill_count: 0
    .wavefront_size: 64
  - .agpr_count:     0
    .args:
      - .offset:         0
        .size:           248
        .value_kind:     by_value
    .group_segment_fixed_size: 0
    .kernarg_segment_align: 8
    .kernarg_segment_size: 248
    .language:       OpenCL C
    .language_version:
      - 2
      - 0
    .max_flat_workgroup_size: 64
    .name:           _Z25selective_scan_fwd_kernelI32Selective_Scan_fwd_kernel_traitsILi64ELi4ELi1ELb1ELb1ELb1ELb0ELb0EN3c108BFloat16EfS2_EEv13SSMParamsBase
    .private_segment_fixed_size: 0
    .sgpr_count:     94
    .sgpr_spill_count: 0
    .symbol:         _Z25selective_scan_fwd_kernelI32Selective_Scan_fwd_kernel_traitsILi64ELi4ELi1ELb1ELb1ELb1ELb0ELb0EN3c108BFloat16EfS2_EEv13SSMParamsBase.kd
    .uniform_work_group_size: 1
    .uses_dynamic_stack: false
    .vgpr_count:     62
    .vgpr_spill_count: 0
    .wavefront_size: 64
  - .agpr_count:     0
    .args:
      - .offset:         0
        .size:           248
        .value_kind:     by_value
    .group_segment_fixed_size: 0
    .kernarg_segment_align: 8
    .kernarg_segment_size: 248
    .language:       OpenCL C
    .language_version:
      - 2
      - 0
    .max_flat_workgroup_size: 64
    .name:           _Z25selective_scan_fwd_kernelI32Selective_Scan_fwd_kernel_traitsILi64ELi4ELi1ELb0ELb1ELb1ELb1ELb1EN3c108BFloat16EfS2_EEv13SSMParamsBase
    .private_segment_fixed_size: 0
    .sgpr_count:     106
    .sgpr_spill_count: 0
    .symbol:         _Z25selective_scan_fwd_kernelI32Selective_Scan_fwd_kernel_traitsILi64ELi4ELi1ELb0ELb1ELb1ELb1ELb1EN3c108BFloat16EfS2_EEv13SSMParamsBase.kd
    .uniform_work_group_size: 1
    .uses_dynamic_stack: false
    .vgpr_count:     68
    .vgpr_spill_count: 0
    .wavefront_size: 64
  - .agpr_count:     0
    .args:
      - .offset:         0
        .size:           248
        .value_kind:     by_value
    .group_segment_fixed_size: 0
    .kernarg_segment_align: 8
    .kernarg_segment_size: 248
    .language:       OpenCL C
    .language_version:
      - 2
      - 0
    .max_flat_workgroup_size: 64
    .name:           _Z25selective_scan_fwd_kernelI32Selective_Scan_fwd_kernel_traitsILi64ELi4ELi1ELb0ELb1ELb1ELb1ELb0EN3c108BFloat16EfS2_EEv13SSMParamsBase
    .private_segment_fixed_size: 0
    .sgpr_count:     106
    .sgpr_spill_count: 0
    .symbol:         _Z25selective_scan_fwd_kernelI32Selective_Scan_fwd_kernel_traitsILi64ELi4ELi1ELb0ELb1ELb1ELb1ELb0EN3c108BFloat16EfS2_EEv13SSMParamsBase.kd
    .uniform_work_group_size: 1
    .uses_dynamic_stack: false
    .vgpr_count:     68
    .vgpr_spill_count: 0
    .wavefront_size: 64
  - .agpr_count:     0
    .args:
      - .offset:         0
        .size:           248
        .value_kind:     by_value
    .group_segment_fixed_size: 0
    .kernarg_segment_align: 8
    .kernarg_segment_size: 248
    .language:       OpenCL C
    .language_version:
      - 2
      - 0
    .max_flat_workgroup_size: 64
    .name:           _Z25selective_scan_fwd_kernelI32Selective_Scan_fwd_kernel_traitsILi64ELi4ELi1ELb0ELb1ELb1ELb0ELb1EN3c108BFloat16EfS2_EEv13SSMParamsBase
    .private_segment_fixed_size: 0
    .sgpr_count:     103
    .sgpr_spill_count: 0
    .symbol:         _Z25selective_scan_fwd_kernelI32Selective_Scan_fwd_kernel_traitsILi64ELi4ELi1ELb0ELb1ELb1ELb0ELb1EN3c108BFloat16EfS2_EEv13SSMParamsBase.kd
    .uniform_work_group_size: 1
    .uses_dynamic_stack: false
    .vgpr_count:     64
    .vgpr_spill_count: 0
    .wavefront_size: 64
  - .agpr_count:     0
    .args:
      - .offset:         0
        .size:           248
        .value_kind:     by_value
    .group_segment_fixed_size: 0
    .kernarg_segment_align: 8
    .kernarg_segment_size: 248
    .language:       OpenCL C
    .language_version:
      - 2
      - 0
    .max_flat_workgroup_size: 64
    .name:           _Z25selective_scan_fwd_kernelI32Selective_Scan_fwd_kernel_traitsILi64ELi4ELi1ELb0ELb1ELb1ELb0ELb0EN3c108BFloat16EfS2_EEv13SSMParamsBase
    .private_segment_fixed_size: 0
    .sgpr_count:     103
    .sgpr_spill_count: 0
    .symbol:         _Z25selective_scan_fwd_kernelI32Selective_Scan_fwd_kernel_traitsILi64ELi4ELi1ELb0ELb1ELb1ELb0ELb0EN3c108BFloat16EfS2_EEv13SSMParamsBase.kd
    .uniform_work_group_size: 1
    .uses_dynamic_stack: false
    .vgpr_count:     64
    .vgpr_spill_count: 0
    .wavefront_size: 64
  - .agpr_count:     0
    .args:
      - .offset:         0
        .size:           248
        .value_kind:     by_value
    .group_segment_fixed_size: 0
    .kernarg_segment_align: 8
    .kernarg_segment_size: 248
    .language:       OpenCL C
    .language_version:
      - 2
      - 0
    .max_flat_workgroup_size: 64
    .name:           _Z25selective_scan_fwd_kernelI32Selective_Scan_fwd_kernel_traitsILi64ELi8ELi1ELb1ELb1ELb1ELb1ELb1EN3c108BFloat16EfS2_EEv13SSMParamsBase
    .private_segment_fixed_size: 36
    .sgpr_count:     106
    .sgpr_spill_count: 7
    .symbol:         _Z25selective_scan_fwd_kernelI32Selective_Scan_fwd_kernel_traitsILi64ELi8ELi1ELb1ELb1ELb1ELb1ELb1EN3c108BFloat16EfS2_EEv13SSMParamsBase.kd
    .uniform_work_group_size: 1
    .uses_dynamic_stack: false
    .vgpr_count:     96
    .vgpr_spill_count: 8
    .wavefront_size: 64
  - .agpr_count:     0
    .args:
      - .offset:         0
        .size:           248
        .value_kind:     by_value
    .group_segment_fixed_size: 0
    .kernarg_segment_align: 8
    .kernarg_segment_size: 248
    .language:       OpenCL C
    .language_version:
      - 2
      - 0
    .max_flat_workgroup_size: 64
    .name:           _Z25selective_scan_fwd_kernelI32Selective_Scan_fwd_kernel_traitsILi64ELi8ELi1ELb1ELb1ELb1ELb1ELb0EN3c108BFloat16EfS2_EEv13SSMParamsBase
    .private_segment_fixed_size: 0
    .sgpr_count:     106
    .sgpr_spill_count: 0
    .symbol:         _Z25selective_scan_fwd_kernelI32Selective_Scan_fwd_kernel_traitsILi64ELi8ELi1ELb1ELb1ELb1ELb1ELb0EN3c108BFloat16EfS2_EEv13SSMParamsBase.kd
    .uniform_work_group_size: 1
    .uses_dynamic_stack: false
    .vgpr_count:     96
    .vgpr_spill_count: 0
    .wavefront_size: 64
  - .agpr_count:     0
    .args:
      - .offset:         0
        .size:           248
        .value_kind:     by_value
    .group_segment_fixed_size: 0
    .kernarg_segment_align: 8
    .kernarg_segment_size: 248
    .language:       OpenCL C
    .language_version:
      - 2
      - 0
    .max_flat_workgroup_size: 64
    .name:           _Z25selective_scan_fwd_kernelI32Selective_Scan_fwd_kernel_traitsILi64ELi8ELi1ELb1ELb1ELb1ELb0ELb1EN3c108BFloat16EfS2_EEv13SSMParamsBase
    .private_segment_fixed_size: 0
    .sgpr_count:     106
    .sgpr_spill_count: 7
    .symbol:         _Z25selective_scan_fwd_kernelI32Selective_Scan_fwd_kernel_traitsILi64ELi8ELi1ELb1ELb1ELb1ELb0ELb1EN3c108BFloat16EfS2_EEv13SSMParamsBase.kd
    .uniform_work_group_size: 1
    .uses_dynamic_stack: false
    .vgpr_count:     96
    .vgpr_spill_count: 0
    .wavefront_size: 64
  - .agpr_count:     0
    .args:
      - .offset:         0
        .size:           248
        .value_kind:     by_value
    .group_segment_fixed_size: 0
    .kernarg_segment_align: 8
    .kernarg_segment_size: 248
    .language:       OpenCL C
    .language_version:
      - 2
      - 0
    .max_flat_workgroup_size: 64
    .name:           _Z25selective_scan_fwd_kernelI32Selective_Scan_fwd_kernel_traitsILi64ELi8ELi1ELb1ELb1ELb1ELb0ELb0EN3c108BFloat16EfS2_EEv13SSMParamsBase
    .private_segment_fixed_size: 0
    .sgpr_count:     103
    .sgpr_spill_count: 0
    .symbol:         _Z25selective_scan_fwd_kernelI32Selective_Scan_fwd_kernel_traitsILi64ELi8ELi1ELb1ELb1ELb1ELb0ELb0EN3c108BFloat16EfS2_EEv13SSMParamsBase.kd
    .uniform_work_group_size: 1
    .uses_dynamic_stack: false
    .vgpr_count:     92
    .vgpr_spill_count: 0
    .wavefront_size: 64
  - .agpr_count:     0
    .args:
      - .offset:         0
        .size:           248
        .value_kind:     by_value
    .group_segment_fixed_size: 0
    .kernarg_segment_align: 8
    .kernarg_segment_size: 248
    .language:       OpenCL C
    .language_version:
      - 2
      - 0
    .max_flat_workgroup_size: 64
    .name:           _Z25selective_scan_fwd_kernelI32Selective_Scan_fwd_kernel_traitsILi64ELi8ELi1ELb0ELb1ELb1ELb1ELb1EN3c108BFloat16EfS2_EEv13SSMParamsBase
    .private_segment_fixed_size: 36
    .sgpr_count:     106
    .sgpr_spill_count: 7
    .symbol:         _Z25selective_scan_fwd_kernelI32Selective_Scan_fwd_kernel_traitsILi64ELi8ELi1ELb0ELb1ELb1ELb1ELb1EN3c108BFloat16EfS2_EEv13SSMParamsBase.kd
    .uniform_work_group_size: 1
    .uses_dynamic_stack: false
    .vgpr_count:     96
    .vgpr_spill_count: 8
    .wavefront_size: 64
  - .agpr_count:     0
    .args:
      - .offset:         0
        .size:           248
        .value_kind:     by_value
    .group_segment_fixed_size: 0
    .kernarg_segment_align: 8
    .kernarg_segment_size: 248
    .language:       OpenCL C
    .language_version:
      - 2
      - 0
    .max_flat_workgroup_size: 64
    .name:           _Z25selective_scan_fwd_kernelI32Selective_Scan_fwd_kernel_traitsILi64ELi8ELi1ELb0ELb1ELb1ELb1ELb0EN3c108BFloat16EfS2_EEv13SSMParamsBase
    .private_segment_fixed_size: 36
    .sgpr_count:     106
    .sgpr_spill_count: 7
    .symbol:         _Z25selective_scan_fwd_kernelI32Selective_Scan_fwd_kernel_traitsILi64ELi8ELi1ELb0ELb1ELb1ELb1ELb0EN3c108BFloat16EfS2_EEv13SSMParamsBase.kd
    .uniform_work_group_size: 1
    .uses_dynamic_stack: false
    .vgpr_count:     96
    .vgpr_spill_count: 8
    .wavefront_size: 64
  - .agpr_count:     0
    .args:
      - .offset:         0
        .size:           248
        .value_kind:     by_value
    .group_segment_fixed_size: 0
    .kernarg_segment_align: 8
    .kernarg_segment_size: 248
    .language:       OpenCL C
    .language_version:
      - 2
      - 0
    .max_flat_workgroup_size: 64
    .name:           _Z25selective_scan_fwd_kernelI32Selective_Scan_fwd_kernel_traitsILi64ELi8ELi1ELb0ELb1ELb1ELb0ELb1EN3c108BFloat16EfS2_EEv13SSMParamsBase
    .private_segment_fixed_size: 0
    .sgpr_count:     106
    .sgpr_spill_count: 7
    .symbol:         _Z25selective_scan_fwd_kernelI32Selective_Scan_fwd_kernel_traitsILi64ELi8ELi1ELb0ELb1ELb1ELb0ELb1EN3c108BFloat16EfS2_EEv13SSMParamsBase.kd
    .uniform_work_group_size: 1
    .uses_dynamic_stack: false
    .vgpr_count:     96
    .vgpr_spill_count: 0
    .wavefront_size: 64
  - .agpr_count:     0
    .args:
      - .offset:         0
        .size:           248
        .value_kind:     by_value
    .group_segment_fixed_size: 0
    .kernarg_segment_align: 8
    .kernarg_segment_size: 248
    .language:       OpenCL C
    .language_version:
      - 2
      - 0
    .max_flat_workgroup_size: 64
    .name:           _Z25selective_scan_fwd_kernelI32Selective_Scan_fwd_kernel_traitsILi64ELi8ELi1ELb0ELb1ELb1ELb0ELb0EN3c108BFloat16EfS2_EEv13SSMParamsBase
    .private_segment_fixed_size: 0
    .sgpr_count:     106
    .sgpr_spill_count: 7
    .symbol:         _Z25selective_scan_fwd_kernelI32Selective_Scan_fwd_kernel_traitsILi64ELi8ELi1ELb0ELb1ELb1ELb0ELb0EN3c108BFloat16EfS2_EEv13SSMParamsBase.kd
    .uniform_work_group_size: 1
    .uses_dynamic_stack: false
    .vgpr_count:     96
    .vgpr_spill_count: 0
    .wavefront_size: 64
  - .agpr_count:     0
    .args:
      - .offset:         0
        .size:           248
        .value_kind:     by_value
    .group_segment_fixed_size: 0
    .kernarg_segment_align: 8
    .kernarg_segment_size: 248
    .language:       OpenCL C
    .language_version:
      - 2
      - 0
    .max_flat_workgroup_size: 64
    .name:           _Z25selective_scan_fwd_kernelI32Selective_Scan_fwd_kernel_traitsILi64ELi16ELi1ELb1ELb1ELb1ELb1ELb1EN3c108BFloat16EfS2_EEv13SSMParamsBase
    .private_segment_fixed_size: 336
    .sgpr_count:     106
    .sgpr_spill_count: 67
    .symbol:         _Z25selective_scan_fwd_kernelI32Selective_Scan_fwd_kernel_traitsILi64ELi16ELi1ELb1ELb1ELb1ELb1ELb1EN3c108BFloat16EfS2_EEv13SSMParamsBase.kd
    .uniform_work_group_size: 1
    .uses_dynamic_stack: false
    .vgpr_count:     96
    .vgpr_spill_count: 115
    .wavefront_size: 64
  - .agpr_count:     0
    .args:
      - .offset:         0
        .size:           248
        .value_kind:     by_value
    .group_segment_fixed_size: 0
    .kernarg_segment_align: 8
    .kernarg_segment_size: 248
    .language:       OpenCL C
    .language_version:
      - 2
      - 0
    .max_flat_workgroup_size: 64
    .name:           _Z25selective_scan_fwd_kernelI32Selective_Scan_fwd_kernel_traitsILi64ELi16ELi1ELb1ELb1ELb1ELb1ELb0EN3c108BFloat16EfS2_EEv13SSMParamsBase
    .private_segment_fixed_size: 256
    .sgpr_count:     106
    .sgpr_spill_count: 11
    .symbol:         _Z25selective_scan_fwd_kernelI32Selective_Scan_fwd_kernel_traitsILi64ELi16ELi1ELb1ELb1ELb1ELb1ELb0EN3c108BFloat16EfS2_EEv13SSMParamsBase.kd
    .uniform_work_group_size: 1
    .uses_dynamic_stack: false
    .vgpr_count:     96
    .vgpr_spill_count: 95
    .wavefront_size: 64
  - .agpr_count:     0
    .args:
      - .offset:         0
        .size:           248
        .value_kind:     by_value
    .group_segment_fixed_size: 0
    .kernarg_segment_align: 8
    .kernarg_segment_size: 248
    .language:       OpenCL C
    .language_version:
      - 2
      - 0
    .max_flat_workgroup_size: 64
    .name:           _Z25selective_scan_fwd_kernelI32Selective_Scan_fwd_kernel_traitsILi64ELi16ELi1ELb1ELb1ELb1ELb0ELb1EN3c108BFloat16EfS2_EEv13SSMParamsBase
    .private_segment_fixed_size: 320
    .sgpr_count:     106
    .sgpr_spill_count: 66
    .symbol:         _Z25selective_scan_fwd_kernelI32Selective_Scan_fwd_kernel_traitsILi64ELi16ELi1ELb1ELb1ELb1ELb0ELb1EN3c108BFloat16EfS2_EEv13SSMParamsBase.kd
    .uniform_work_group_size: 1
    .uses_dynamic_stack: false
    .vgpr_count:     96
    .vgpr_spill_count: 79
    .wavefront_size: 64
  - .agpr_count:     0
    .args:
      - .offset:         0
        .size:           248
        .value_kind:     by_value
    .group_segment_fixed_size: 0
    .kernarg_segment_align: 8
    .kernarg_segment_size: 248
    .language:       OpenCL C
    .language_version:
      - 2
      - 0
    .max_flat_workgroup_size: 64
    .name:           _Z25selective_scan_fwd_kernelI32Selective_Scan_fwd_kernel_traitsILi64ELi16ELi1ELb1ELb1ELb1ELb0ELb0EN3c108BFloat16EfS2_EEv13SSMParamsBase
    .private_segment_fixed_size: 208
    .sgpr_count:     106
    .sgpr_spill_count: 11
    .symbol:         _Z25selective_scan_fwd_kernelI32Selective_Scan_fwd_kernel_traitsILi64ELi16ELi1ELb1ELb1ELb1ELb0ELb0EN3c108BFloat16EfS2_EEv13SSMParamsBase.kd
    .uniform_work_group_size: 1
    .uses_dynamic_stack: false
    .vgpr_count:     96
    .vgpr_spill_count: 91
    .wavefront_size: 64
  - .agpr_count:     0
    .args:
      - .offset:         0
        .size:           248
        .value_kind:     by_value
    .group_segment_fixed_size: 0
    .kernarg_segment_align: 8
    .kernarg_segment_size: 248
    .language:       OpenCL C
    .language_version:
      - 2
      - 0
    .max_flat_workgroup_size: 64
    .name:           _Z25selective_scan_fwd_kernelI32Selective_Scan_fwd_kernel_traitsILi64ELi16ELi1ELb0ELb1ELb1ELb1ELb1EN3c108BFloat16EfS2_EEv13SSMParamsBase
    .private_segment_fixed_size: 336
    .sgpr_count:     106
    .sgpr_spill_count: 67
    .symbol:         _Z25selective_scan_fwd_kernelI32Selective_Scan_fwd_kernel_traitsILi64ELi16ELi1ELb0ELb1ELb1ELb1ELb1EN3c108BFloat16EfS2_EEv13SSMParamsBase.kd
    .uniform_work_group_size: 1
    .uses_dynamic_stack: false
    .vgpr_count:     96
    .vgpr_spill_count: 115
    .wavefront_size: 64
  - .agpr_count:     0
    .args:
      - .offset:         0
        .size:           248
        .value_kind:     by_value
    .group_segment_fixed_size: 0
    .kernarg_segment_align: 8
    .kernarg_segment_size: 248
    .language:       OpenCL C
    .language_version:
      - 2
      - 0
    .max_flat_workgroup_size: 64
    .name:           _Z25selective_scan_fwd_kernelI32Selective_Scan_fwd_kernel_traitsILi64ELi16ELi1ELb0ELb1ELb1ELb1ELb0EN3c108BFloat16EfS2_EEv13SSMParamsBase
    .private_segment_fixed_size: 336
    .sgpr_count:     106
    .sgpr_spill_count: 67
    .symbol:         _Z25selective_scan_fwd_kernelI32Selective_Scan_fwd_kernel_traitsILi64ELi16ELi1ELb0ELb1ELb1ELb1ELb0EN3c108BFloat16EfS2_EEv13SSMParamsBase.kd
    .uniform_work_group_size: 1
    .uses_dynamic_stack: false
    .vgpr_count:     96
    .vgpr_spill_count: 115
    .wavefront_size: 64
  - .agpr_count:     0
    .args:
      - .offset:         0
        .size:           248
        .value_kind:     by_value
    .group_segment_fixed_size: 0
    .kernarg_segment_align: 8
    .kernarg_segment_size: 248
    .language:       OpenCL C
    .language_version:
      - 2
      - 0
    .max_flat_workgroup_size: 64
    .name:           _Z25selective_scan_fwd_kernelI32Selective_Scan_fwd_kernel_traitsILi64ELi16ELi1ELb0ELb1ELb1ELb0ELb1EN3c108BFloat16EfS2_EEv13SSMParamsBase
    .private_segment_fixed_size: 320
    .sgpr_count:     106
    .sgpr_spill_count: 66
    .symbol:         _Z25selective_scan_fwd_kernelI32Selective_Scan_fwd_kernel_traitsILi64ELi16ELi1ELb0ELb1ELb1ELb0ELb1EN3c108BFloat16EfS2_EEv13SSMParamsBase.kd
    .uniform_work_group_size: 1
    .uses_dynamic_stack: false
    .vgpr_count:     96
    .vgpr_spill_count: 79
    .wavefront_size: 64
  - .agpr_count:     0
    .args:
      - .offset:         0
        .size:           248
        .value_kind:     by_value
    .group_segment_fixed_size: 0
    .kernarg_segment_align: 8
    .kernarg_segment_size: 248
    .language:       OpenCL C
    .language_version:
      - 2
      - 0
    .max_flat_workgroup_size: 64
    .name:           _Z25selective_scan_fwd_kernelI32Selective_Scan_fwd_kernel_traitsILi64ELi16ELi1ELb0ELb1ELb1ELb0ELb0EN3c108BFloat16EfS2_EEv13SSMParamsBase
    .private_segment_fixed_size: 320
    .sgpr_count:     106
    .sgpr_spill_count: 66
    .symbol:         _Z25selective_scan_fwd_kernelI32Selective_Scan_fwd_kernel_traitsILi64ELi16ELi1ELb0ELb1ELb1ELb0ELb0EN3c108BFloat16EfS2_EEv13SSMParamsBase.kd
    .uniform_work_group_size: 1
    .uses_dynamic_stack: false
    .vgpr_count:     96
    .vgpr_spill_count: 79
    .wavefront_size: 64
  - .agpr_count:     0
    .args:
      - .offset:         0
        .size:           248
        .value_kind:     by_value
    .group_segment_fixed_size: 0
    .kernarg_segment_align: 8
    .kernarg_segment_size: 248
    .language:       OpenCL C
    .language_version:
      - 2
      - 0
    .max_flat_workgroup_size: 128
    .name:           _Z25selective_scan_fwd_kernelI32Selective_Scan_fwd_kernel_traitsILi128ELi16ELi1ELb1ELb1ELb1ELb1ELb1EN3c108BFloat16EfS2_EEv13SSMParamsBase
    .private_segment_fixed_size: 0
    .sgpr_count:     106
    .sgpr_spill_count: 75
    .symbol:         _Z25selective_scan_fwd_kernelI32Selective_Scan_fwd_kernel_traitsILi128ELi16ELi1ELb1ELb1ELb1ELb1ELb1EN3c108BFloat16EfS2_EEv13SSMParamsBase.kd
    .uniform_work_group_size: 1
    .uses_dynamic_stack: false
    .vgpr_count:     168
    .vgpr_spill_count: 0
    .wavefront_size: 64
  - .agpr_count:     0
    .args:
      - .offset:         0
        .size:           248
        .value_kind:     by_value
    .group_segment_fixed_size: 0
    .kernarg_segment_align: 8
    .kernarg_segment_size: 248
    .language:       OpenCL C
    .language_version:
      - 2
      - 0
    .max_flat_workgroup_size: 128
    .name:           _Z25selective_scan_fwd_kernelI32Selective_Scan_fwd_kernel_traitsILi128ELi16ELi1ELb1ELb1ELb1ELb1ELb0EN3c108BFloat16EfS2_EEv13SSMParamsBase
    .private_segment_fixed_size: 0
    .sgpr_count:     106
    .sgpr_spill_count: 18
    .symbol:         _Z25selective_scan_fwd_kernelI32Selective_Scan_fwd_kernel_traitsILi128ELi16ELi1ELb1ELb1ELb1ELb1ELb0EN3c108BFloat16EfS2_EEv13SSMParamsBase.kd
    .uniform_work_group_size: 1
    .uses_dynamic_stack: false
    .vgpr_count:     168
    .vgpr_spill_count: 0
    .wavefront_size: 64
  - .agpr_count:     0
    .args:
      - .offset:         0
        .size:           248
        .value_kind:     by_value
    .group_segment_fixed_size: 0
    .kernarg_segment_align: 8
    .kernarg_segment_size: 248
    .language:       OpenCL C
    .language_version:
      - 2
      - 0
    .max_flat_workgroup_size: 128
    .name:           _Z25selective_scan_fwd_kernelI32Selective_Scan_fwd_kernel_traitsILi128ELi16ELi1ELb1ELb1ELb1ELb0ELb1EN3c108BFloat16EfS2_EEv13SSMParamsBase
    .private_segment_fixed_size: 0
    .sgpr_count:     106
    .sgpr_spill_count: 74
    .symbol:         _Z25selective_scan_fwd_kernelI32Selective_Scan_fwd_kernel_traitsILi128ELi16ELi1ELb1ELb1ELb1ELb0ELb1EN3c108BFloat16EfS2_EEv13SSMParamsBase.kd
    .uniform_work_group_size: 1
    .uses_dynamic_stack: false
    .vgpr_count:     168
    .vgpr_spill_count: 0
    .wavefront_size: 64
  - .agpr_count:     0
    .args:
      - .offset:         0
        .size:           248
        .value_kind:     by_value
    .group_segment_fixed_size: 0
    .kernarg_segment_align: 8
    .kernarg_segment_size: 248
    .language:       OpenCL C
    .language_version:
      - 2
      - 0
    .max_flat_workgroup_size: 128
    .name:           _Z25selective_scan_fwd_kernelI32Selective_Scan_fwd_kernel_traitsILi128ELi16ELi1ELb1ELb1ELb1ELb0ELb0EN3c108BFloat16EfS2_EEv13SSMParamsBase
    .private_segment_fixed_size: 0
    .sgpr_count:     106
    .sgpr_spill_count: 28
    .symbol:         _Z25selective_scan_fwd_kernelI32Selective_Scan_fwd_kernel_traitsILi128ELi16ELi1ELb1ELb1ELb1ELb0ELb0EN3c108BFloat16EfS2_EEv13SSMParamsBase.kd
    .uniform_work_group_size: 1
    .uses_dynamic_stack: false
    .vgpr_count:     158
    .vgpr_spill_count: 0
    .wavefront_size: 64
  - .agpr_count:     0
    .args:
      - .offset:         0
        .size:           248
        .value_kind:     by_value
    .group_segment_fixed_size: 0
    .kernarg_segment_align: 8
    .kernarg_segment_size: 248
    .language:       OpenCL C
    .language_version:
      - 2
      - 0
    .max_flat_workgroup_size: 128
    .name:           _Z25selective_scan_fwd_kernelI32Selective_Scan_fwd_kernel_traitsILi128ELi16ELi1ELb0ELb1ELb1ELb1ELb1EN3c108BFloat16EfS2_EEv13SSMParamsBase
    .private_segment_fixed_size: 0
    .sgpr_count:     106
    .sgpr_spill_count: 75
    .symbol:         _Z25selective_scan_fwd_kernelI32Selective_Scan_fwd_kernel_traitsILi128ELi16ELi1ELb0ELb1ELb1ELb1ELb1EN3c108BFloat16EfS2_EEv13SSMParamsBase.kd
    .uniform_work_group_size: 1
    .uses_dynamic_stack: false
    .vgpr_count:     168
    .vgpr_spill_count: 0
    .wavefront_size: 64
  - .agpr_count:     0
    .args:
      - .offset:         0
        .size:           248
        .value_kind:     by_value
    .group_segment_fixed_size: 0
    .kernarg_segment_align: 8
    .kernarg_segment_size: 248
    .language:       OpenCL C
    .language_version:
      - 2
      - 0
    .max_flat_workgroup_size: 128
    .name:           _Z25selective_scan_fwd_kernelI32Selective_Scan_fwd_kernel_traitsILi128ELi16ELi1ELb0ELb1ELb1ELb1ELb0EN3c108BFloat16EfS2_EEv13SSMParamsBase
    .private_segment_fixed_size: 0
    .sgpr_count:     106
    .sgpr_spill_count: 75
    .symbol:         _Z25selective_scan_fwd_kernelI32Selective_Scan_fwd_kernel_traitsILi128ELi16ELi1ELb0ELb1ELb1ELb1ELb0EN3c108BFloat16EfS2_EEv13SSMParamsBase.kd
    .uniform_work_group_size: 1
    .uses_dynamic_stack: false
    .vgpr_count:     168
    .vgpr_spill_count: 0
    .wavefront_size: 64
  - .agpr_count:     0
    .args:
      - .offset:         0
        .size:           248
        .value_kind:     by_value
    .group_segment_fixed_size: 0
    .kernarg_segment_align: 8
    .kernarg_segment_size: 248
    .language:       OpenCL C
    .language_version:
      - 2
      - 0
    .max_flat_workgroup_size: 128
    .name:           _Z25selective_scan_fwd_kernelI32Selective_Scan_fwd_kernel_traitsILi128ELi16ELi1ELb0ELb1ELb1ELb0ELb1EN3c108BFloat16EfS2_EEv13SSMParamsBase
    .private_segment_fixed_size: 0
    .sgpr_count:     106
    .sgpr_spill_count: 74
    .symbol:         _Z25selective_scan_fwd_kernelI32Selective_Scan_fwd_kernel_traitsILi128ELi16ELi1ELb0ELb1ELb1ELb0ELb1EN3c108BFloat16EfS2_EEv13SSMParamsBase.kd
    .uniform_work_group_size: 1
    .uses_dynamic_stack: false
    .vgpr_count:     168
    .vgpr_spill_count: 0
    .wavefront_size: 64
  - .agpr_count:     0
    .args:
      - .offset:         0
        .size:           248
        .value_kind:     by_value
    .group_segment_fixed_size: 0
    .kernarg_segment_align: 8
    .kernarg_segment_size: 248
    .language:       OpenCL C
    .language_version:
      - 2
      - 0
    .max_flat_workgroup_size: 128
    .name:           _Z25selective_scan_fwd_kernelI32Selective_Scan_fwd_kernel_traitsILi128ELi16ELi1ELb0ELb1ELb1ELb0ELb0EN3c108BFloat16EfS2_EEv13SSMParamsBase
    .private_segment_fixed_size: 0
    .sgpr_count:     106
    .sgpr_spill_count: 74
    .symbol:         _Z25selective_scan_fwd_kernelI32Selective_Scan_fwd_kernel_traitsILi128ELi16ELi1ELb0ELb1ELb1ELb0ELb0EN3c108BFloat16EfS2_EEv13SSMParamsBase.kd
    .uniform_work_group_size: 1
    .uses_dynamic_stack: false
    .vgpr_count:     168
    .vgpr_spill_count: 0
    .wavefront_size: 64
  - .agpr_count:     0
    .args:
      - .offset:         0
        .size:           248
        .value_kind:     by_value
    .group_segment_fixed_size: 0
    .kernarg_segment_align: 8
    .kernarg_segment_size: 248
    .language:       OpenCL C
    .language_version:
      - 2
      - 0
    .max_flat_workgroup_size: 64
    .name:           _Z25selective_scan_fwd_kernelI32Selective_Scan_fwd_kernel_traitsILi64ELi4ELi1ELb1ELb1ELb1ELb1ELb1EN3c108BFloat16EffEEv13SSMParamsBase
    .private_segment_fixed_size: 0
    .sgpr_count:     106
    .sgpr_spill_count: 0
    .symbol:         _Z25selective_scan_fwd_kernelI32Selective_Scan_fwd_kernel_traitsILi64ELi4ELi1ELb1ELb1ELb1ELb1ELb1EN3c108BFloat16EffEEv13SSMParamsBase.kd
    .uniform_work_group_size: 1
    .uses_dynamic_stack: false
    .vgpr_count:     68
    .vgpr_spill_count: 0
    .wavefront_size: 64
  - .agpr_count:     0
    .args:
      - .offset:         0
        .size:           248
        .value_kind:     by_value
    .group_segment_fixed_size: 0
    .kernarg_segment_align: 8
    .kernarg_segment_size: 248
    .language:       OpenCL C
    .language_version:
      - 2
      - 0
    .max_flat_workgroup_size: 64
    .name:           _Z25selective_scan_fwd_kernelI32Selective_Scan_fwd_kernel_traitsILi64ELi4ELi1ELb1ELb1ELb1ELb1ELb0EN3c108BFloat16EffEEv13SSMParamsBase
    .private_segment_fixed_size: 0
    .sgpr_count:     97
    .sgpr_spill_count: 0
    .symbol:         _Z25selective_scan_fwd_kernelI32Selective_Scan_fwd_kernel_traitsILi64ELi4ELi1ELb1ELb1ELb1ELb1ELb0EN3c108BFloat16EffEEv13SSMParamsBase.kd
    .uniform_work_group_size: 1
    .uses_dynamic_stack: false
    .vgpr_count:     68
    .vgpr_spill_count: 0
    .wavefront_size: 64
  - .agpr_count:     0
    .args:
      - .offset:         0
        .size:           248
        .value_kind:     by_value
    .group_segment_fixed_size: 0
    .kernarg_segment_align: 8
    .kernarg_segment_size: 248
    .language:       OpenCL C
    .language_version:
      - 2
      - 0
    .max_flat_workgroup_size: 64
    .name:           _Z25selective_scan_fwd_kernelI32Selective_Scan_fwd_kernel_traitsILi64ELi4ELi1ELb1ELb1ELb1ELb0ELb1EN3c108BFloat16EffEEv13SSMParamsBase
    .private_segment_fixed_size: 0
    .sgpr_count:     103
    .sgpr_spill_count: 0
    .symbol:         _Z25selective_scan_fwd_kernelI32Selective_Scan_fwd_kernel_traitsILi64ELi4ELi1ELb1ELb1ELb1ELb0ELb1EN3c108BFloat16EffEEv13SSMParamsBase.kd
    .uniform_work_group_size: 1
    .uses_dynamic_stack: false
    .vgpr_count:     64
    .vgpr_spill_count: 0
    .wavefront_size: 64
  - .agpr_count:     0
    .args:
      - .offset:         0
        .size:           248
        .value_kind:     by_value
    .group_segment_fixed_size: 0
    .kernarg_segment_align: 8
    .kernarg_segment_size: 248
    .language:       OpenCL C
    .language_version:
      - 2
      - 0
    .max_flat_workgroup_size: 64
    .name:           _Z25selective_scan_fwd_kernelI32Selective_Scan_fwd_kernel_traitsILi64ELi4ELi1ELb1ELb1ELb1ELb0ELb0EN3c108BFloat16EffEEv13SSMParamsBase
    .private_segment_fixed_size: 0
    .sgpr_count:     94
    .sgpr_spill_count: 0
    .symbol:         _Z25selective_scan_fwd_kernelI32Selective_Scan_fwd_kernel_traitsILi64ELi4ELi1ELb1ELb1ELb1ELb0ELb0EN3c108BFloat16EffEEv13SSMParamsBase.kd
    .uniform_work_group_size: 1
    .uses_dynamic_stack: false
    .vgpr_count:     62
    .vgpr_spill_count: 0
    .wavefront_size: 64
  - .agpr_count:     0
    .args:
      - .offset:         0
        .size:           248
        .value_kind:     by_value
    .group_segment_fixed_size: 0
    .kernarg_segment_align: 8
    .kernarg_segment_size: 248
    .language:       OpenCL C
    .language_version:
      - 2
      - 0
    .max_flat_workgroup_size: 64
    .name:           _Z25selective_scan_fwd_kernelI32Selective_Scan_fwd_kernel_traitsILi64ELi4ELi1ELb0ELb1ELb1ELb1ELb1EN3c108BFloat16EffEEv13SSMParamsBase
    .private_segment_fixed_size: 0
    .sgpr_count:     106
    .sgpr_spill_count: 0
    .symbol:         _Z25selective_scan_fwd_kernelI32Selective_Scan_fwd_kernel_traitsILi64ELi4ELi1ELb0ELb1ELb1ELb1ELb1EN3c108BFloat16EffEEv13SSMParamsBase.kd
    .uniform_work_group_size: 1
    .uses_dynamic_stack: false
    .vgpr_count:     68
    .vgpr_spill_count: 0
    .wavefront_size: 64
  - .agpr_count:     0
    .args:
      - .offset:         0
        .size:           248
        .value_kind:     by_value
    .group_segment_fixed_size: 0
    .kernarg_segment_align: 8
    .kernarg_segment_size: 248
    .language:       OpenCL C
    .language_version:
      - 2
      - 0
    .max_flat_workgroup_size: 64
    .name:           _Z25selective_scan_fwd_kernelI32Selective_Scan_fwd_kernel_traitsILi64ELi4ELi1ELb0ELb1ELb1ELb1ELb0EN3c108BFloat16EffEEv13SSMParamsBase
    .private_segment_fixed_size: 0
    .sgpr_count:     106
    .sgpr_spill_count: 0
    .symbol:         _Z25selective_scan_fwd_kernelI32Selective_Scan_fwd_kernel_traitsILi64ELi4ELi1ELb0ELb1ELb1ELb1ELb0EN3c108BFloat16EffEEv13SSMParamsBase.kd
    .uniform_work_group_size: 1
    .uses_dynamic_stack: false
    .vgpr_count:     68
    .vgpr_spill_count: 0
    .wavefront_size: 64
  - .agpr_count:     0
    .args:
      - .offset:         0
        .size:           248
        .value_kind:     by_value
    .group_segment_fixed_size: 0
    .kernarg_segment_align: 8
    .kernarg_segment_size: 248
    .language:       OpenCL C
    .language_version:
      - 2
      - 0
    .max_flat_workgroup_size: 64
    .name:           _Z25selective_scan_fwd_kernelI32Selective_Scan_fwd_kernel_traitsILi64ELi4ELi1ELb0ELb1ELb1ELb0ELb1EN3c108BFloat16EffEEv13SSMParamsBase
    .private_segment_fixed_size: 0
    .sgpr_count:     103
    .sgpr_spill_count: 0
    .symbol:         _Z25selective_scan_fwd_kernelI32Selective_Scan_fwd_kernel_traitsILi64ELi4ELi1ELb0ELb1ELb1ELb0ELb1EN3c108BFloat16EffEEv13SSMParamsBase.kd
    .uniform_work_group_size: 1
    .uses_dynamic_stack: false
    .vgpr_count:     64
    .vgpr_spill_count: 0
    .wavefront_size: 64
  - .agpr_count:     0
    .args:
      - .offset:         0
        .size:           248
        .value_kind:     by_value
    .group_segment_fixed_size: 0
    .kernarg_segment_align: 8
    .kernarg_segment_size: 248
    .language:       OpenCL C
    .language_version:
      - 2
      - 0
    .max_flat_workgroup_size: 64
    .name:           _Z25selective_scan_fwd_kernelI32Selective_Scan_fwd_kernel_traitsILi64ELi4ELi1ELb0ELb1ELb1ELb0ELb0EN3c108BFloat16EffEEv13SSMParamsBase
    .private_segment_fixed_size: 0
    .sgpr_count:     103
    .sgpr_spill_count: 0
    .symbol:         _Z25selective_scan_fwd_kernelI32Selective_Scan_fwd_kernel_traitsILi64ELi4ELi1ELb0ELb1ELb1ELb0ELb0EN3c108BFloat16EffEEv13SSMParamsBase.kd
    .uniform_work_group_size: 1
    .uses_dynamic_stack: false
    .vgpr_count:     64
    .vgpr_spill_count: 0
    .wavefront_size: 64
  - .agpr_count:     0
    .args:
      - .offset:         0
        .size:           248
        .value_kind:     by_value
    .group_segment_fixed_size: 0
    .kernarg_segment_align: 8
    .kernarg_segment_size: 248
    .language:       OpenCL C
    .language_version:
      - 2
      - 0
    .max_flat_workgroup_size: 64
    .name:           _Z25selective_scan_fwd_kernelI32Selective_Scan_fwd_kernel_traitsILi64ELi8ELi1ELb1ELb1ELb1ELb1ELb1EN3c108BFloat16EffEEv13SSMParamsBase
    .private_segment_fixed_size: 0
    .sgpr_count:     106
    .sgpr_spill_count: 7
    .symbol:         _Z25selective_scan_fwd_kernelI32Selective_Scan_fwd_kernel_traitsILi64ELi8ELi1ELb1ELb1ELb1ELb1ELb1EN3c108BFloat16EffEEv13SSMParamsBase.kd
    .uniform_work_group_size: 1
    .uses_dynamic_stack: false
    .vgpr_count:     96
    .vgpr_spill_count: 0
    .wavefront_size: 64
  - .agpr_count:     0
    .args:
      - .offset:         0
        .size:           248
        .value_kind:     by_value
    .group_segment_fixed_size: 0
    .kernarg_segment_align: 8
    .kernarg_segment_size: 248
    .language:       OpenCL C
    .language_version:
      - 2
      - 0
    .max_flat_workgroup_size: 64
    .name:           _Z25selective_scan_fwd_kernelI32Selective_Scan_fwd_kernel_traitsILi64ELi8ELi1ELb1ELb1ELb1ELb1ELb0EN3c108BFloat16EffEEv13SSMParamsBase
    .private_segment_fixed_size: 0
    .sgpr_count:     106
    .sgpr_spill_count: 0
    .symbol:         _Z25selective_scan_fwd_kernelI32Selective_Scan_fwd_kernel_traitsILi64ELi8ELi1ELb1ELb1ELb1ELb1ELb0EN3c108BFloat16EffEEv13SSMParamsBase.kd
    .uniform_work_group_size: 1
    .uses_dynamic_stack: false
    .vgpr_count:     96
    .vgpr_spill_count: 0
    .wavefront_size: 64
  - .agpr_count:     0
    .args:
      - .offset:         0
        .size:           248
        .value_kind:     by_value
    .group_segment_fixed_size: 0
    .kernarg_segment_align: 8
    .kernarg_segment_size: 248
    .language:       OpenCL C
    .language_version:
      - 2
      - 0
    .max_flat_workgroup_size: 64
    .name:           _Z25selective_scan_fwd_kernelI32Selective_Scan_fwd_kernel_traitsILi64ELi8ELi1ELb1ELb1ELb1ELb0ELb1EN3c108BFloat16EffEEv13SSMParamsBase
    .private_segment_fixed_size: 0
    .sgpr_count:     106
    .sgpr_spill_count: 7
    .symbol:         _Z25selective_scan_fwd_kernelI32Selective_Scan_fwd_kernel_traitsILi64ELi8ELi1ELb1ELb1ELb1ELb0ELb1EN3c108BFloat16EffEEv13SSMParamsBase.kd
    .uniform_work_group_size: 1
    .uses_dynamic_stack: false
    .vgpr_count:     96
    .vgpr_spill_count: 0
    .wavefront_size: 64
  - .agpr_count:     0
    .args:
      - .offset:         0
        .size:           248
        .value_kind:     by_value
    .group_segment_fixed_size: 0
    .kernarg_segment_align: 8
    .kernarg_segment_size: 248
    .language:       OpenCL C
    .language_version:
      - 2
      - 0
    .max_flat_workgroup_size: 64
    .name:           _Z25selective_scan_fwd_kernelI32Selective_Scan_fwd_kernel_traitsILi64ELi8ELi1ELb1ELb1ELb1ELb0ELb0EN3c108BFloat16EffEEv13SSMParamsBase
    .private_segment_fixed_size: 0
    .sgpr_count:     103
    .sgpr_spill_count: 0
    .symbol:         _Z25selective_scan_fwd_kernelI32Selective_Scan_fwd_kernel_traitsILi64ELi8ELi1ELb1ELb1ELb1ELb0ELb0EN3c108BFloat16EffEEv13SSMParamsBase.kd
    .uniform_work_group_size: 1
    .uses_dynamic_stack: false
    .vgpr_count:     91
    .vgpr_spill_count: 0
    .wavefront_size: 64
  - .agpr_count:     0
    .args:
      - .offset:         0
        .size:           248
        .value_kind:     by_value
    .group_segment_fixed_size: 0
    .kernarg_segment_align: 8
    .kernarg_segment_size: 248
    .language:       OpenCL C
    .language_version:
      - 2
      - 0
    .max_flat_workgroup_size: 64
    .name:           _Z25selective_scan_fwd_kernelI32Selective_Scan_fwd_kernel_traitsILi64ELi8ELi1ELb0ELb1ELb1ELb1ELb1EN3c108BFloat16EffEEv13SSMParamsBase
    .private_segment_fixed_size: 0
    .sgpr_count:     106
    .sgpr_spill_count: 7
    .symbol:         _Z25selective_scan_fwd_kernelI32Selective_Scan_fwd_kernel_traitsILi64ELi8ELi1ELb0ELb1ELb1ELb1ELb1EN3c108BFloat16EffEEv13SSMParamsBase.kd
    .uniform_work_group_size: 1
    .uses_dynamic_stack: false
    .vgpr_count:     96
    .vgpr_spill_count: 0
    .wavefront_size: 64
  - .agpr_count:     0
    .args:
      - .offset:         0
        .size:           248
        .value_kind:     by_value
    .group_segment_fixed_size: 0
    .kernarg_segment_align: 8
    .kernarg_segment_size: 248
    .language:       OpenCL C
    .language_version:
      - 2
      - 0
    .max_flat_workgroup_size: 64
    .name:           _Z25selective_scan_fwd_kernelI32Selective_Scan_fwd_kernel_traitsILi64ELi8ELi1ELb0ELb1ELb1ELb1ELb0EN3c108BFloat16EffEEv13SSMParamsBase
    .private_segment_fixed_size: 0
    .sgpr_count:     106
    .sgpr_spill_count: 7
    .symbol:         _Z25selective_scan_fwd_kernelI32Selective_Scan_fwd_kernel_traitsILi64ELi8ELi1ELb0ELb1ELb1ELb1ELb0EN3c108BFloat16EffEEv13SSMParamsBase.kd
    .uniform_work_group_size: 1
    .uses_dynamic_stack: false
    .vgpr_count:     96
    .vgpr_spill_count: 0
    .wavefront_size: 64
  - .agpr_count:     0
    .args:
      - .offset:         0
        .size:           248
        .value_kind:     by_value
    .group_segment_fixed_size: 0
    .kernarg_segment_align: 8
    .kernarg_segment_size: 248
    .language:       OpenCL C
    .language_version:
      - 2
      - 0
    .max_flat_workgroup_size: 64
    .name:           _Z25selective_scan_fwd_kernelI32Selective_Scan_fwd_kernel_traitsILi64ELi8ELi1ELb0ELb1ELb1ELb0ELb1EN3c108BFloat16EffEEv13SSMParamsBase
    .private_segment_fixed_size: 0
    .sgpr_count:     106
    .sgpr_spill_count: 7
    .symbol:         _Z25selective_scan_fwd_kernelI32Selective_Scan_fwd_kernel_traitsILi64ELi8ELi1ELb0ELb1ELb1ELb0ELb1EN3c108BFloat16EffEEv13SSMParamsBase.kd
    .uniform_work_group_size: 1
    .uses_dynamic_stack: false
    .vgpr_count:     96
    .vgpr_spill_count: 0
    .wavefront_size: 64
  - .agpr_count:     0
    .args:
      - .offset:         0
        .size:           248
        .value_kind:     by_value
    .group_segment_fixed_size: 0
    .kernarg_segment_align: 8
    .kernarg_segment_size: 248
    .language:       OpenCL C
    .language_version:
      - 2
      - 0
    .max_flat_workgroup_size: 64
    .name:           _Z25selective_scan_fwd_kernelI32Selective_Scan_fwd_kernel_traitsILi64ELi8ELi1ELb0ELb1ELb1ELb0ELb0EN3c108BFloat16EffEEv13SSMParamsBase
    .private_segment_fixed_size: 0
    .sgpr_count:     106
    .sgpr_spill_count: 7
    .symbol:         _Z25selective_scan_fwd_kernelI32Selective_Scan_fwd_kernel_traitsILi64ELi8ELi1ELb0ELb1ELb1ELb0ELb0EN3c108BFloat16EffEEv13SSMParamsBase.kd
    .uniform_work_group_size: 1
    .uses_dynamic_stack: false
    .vgpr_count:     96
    .vgpr_spill_count: 0
    .wavefront_size: 64
  - .agpr_count:     0
    .args:
      - .offset:         0
        .size:           248
        .value_kind:     by_value
    .group_segment_fixed_size: 0
    .kernarg_segment_align: 8
    .kernarg_segment_size: 248
    .language:       OpenCL C
    .language_version:
      - 2
      - 0
    .max_flat_workgroup_size: 64
    .name:           _Z25selective_scan_fwd_kernelI32Selective_Scan_fwd_kernel_traitsILi64ELi16ELi1ELb1ELb1ELb1ELb1ELb1EN3c108BFloat16EffEEv13SSMParamsBase
    .private_segment_fixed_size: 332
    .sgpr_count:     106
    .sgpr_spill_count: 67
    .symbol:         _Z25selective_scan_fwd_kernelI32Selective_Scan_fwd_kernel_traitsILi64ELi16ELi1ELb1ELb1ELb1ELb1ELb1EN3c108BFloat16EffEEv13SSMParamsBase.kd
    .uniform_work_group_size: 1
    .uses_dynamic_stack: false
    .vgpr_count:     96
    .vgpr_spill_count: 114
    .wavefront_size: 64
  - .agpr_count:     0
    .args:
      - .offset:         0
        .size:           248
        .value_kind:     by_value
    .group_segment_fixed_size: 0
    .kernarg_segment_align: 8
    .kernarg_segment_size: 248
    .language:       OpenCL C
    .language_version:
      - 2
      - 0
    .max_flat_workgroup_size: 64
    .name:           _Z25selective_scan_fwd_kernelI32Selective_Scan_fwd_kernel_traitsILi64ELi16ELi1ELb1ELb1ELb1ELb1ELb0EN3c108BFloat16EffEEv13SSMParamsBase
    .private_segment_fixed_size: 252
    .sgpr_count:     106
    .sgpr_spill_count: 11
    .symbol:         _Z25selective_scan_fwd_kernelI32Selective_Scan_fwd_kernel_traitsILi64ELi16ELi1ELb1ELb1ELb1ELb1ELb0EN3c108BFloat16EffEEv13SSMParamsBase.kd
    .uniform_work_group_size: 1
    .uses_dynamic_stack: false
    .vgpr_count:     96
    .vgpr_spill_count: 94
    .wavefront_size: 64
  - .agpr_count:     0
    .args:
      - .offset:         0
        .size:           248
        .value_kind:     by_value
    .group_segment_fixed_size: 0
    .kernarg_segment_align: 8
    .kernarg_segment_size: 248
    .language:       OpenCL C
    .language_version:
      - 2
      - 0
    .max_flat_workgroup_size: 64
    .name:           _Z25selective_scan_fwd_kernelI32Selective_Scan_fwd_kernel_traitsILi64ELi16ELi1ELb1ELb1ELb1ELb0ELb1EN3c108BFloat16EffEEv13SSMParamsBase
    .private_segment_fixed_size: 316
    .sgpr_count:     106
    .sgpr_spill_count: 66
    .symbol:         _Z25selective_scan_fwd_kernelI32Selective_Scan_fwd_kernel_traitsILi64ELi16ELi1ELb1ELb1ELb1ELb0ELb1EN3c108BFloat16EffEEv13SSMParamsBase.kd
    .uniform_work_group_size: 1
    .uses_dynamic_stack: false
    .vgpr_count:     96
    .vgpr_spill_count: 78
    .wavefront_size: 64
  - .agpr_count:     0
    .args:
      - .offset:         0
        .size:           248
        .value_kind:     by_value
    .group_segment_fixed_size: 0
    .kernarg_segment_align: 8
    .kernarg_segment_size: 248
    .language:       OpenCL C
    .language_version:
      - 2
      - 0
    .max_flat_workgroup_size: 64
    .name:           _Z25selective_scan_fwd_kernelI32Selective_Scan_fwd_kernel_traitsILi64ELi16ELi1ELb1ELb1ELb1ELb0ELb0EN3c108BFloat16EffEEv13SSMParamsBase
    .private_segment_fixed_size: 204
    .sgpr_count:     106
    .sgpr_spill_count: 11
    .symbol:         _Z25selective_scan_fwd_kernelI32Selective_Scan_fwd_kernel_traitsILi64ELi16ELi1ELb1ELb1ELb1ELb0ELb0EN3c108BFloat16EffEEv13SSMParamsBase.kd
    .uniform_work_group_size: 1
    .uses_dynamic_stack: false
    .vgpr_count:     96
    .vgpr_spill_count: 90
    .wavefront_size: 64
  - .agpr_count:     0
    .args:
      - .offset:         0
        .size:           248
        .value_kind:     by_value
    .group_segment_fixed_size: 0
    .kernarg_segment_align: 8
    .kernarg_segment_size: 248
    .language:       OpenCL C
    .language_version:
      - 2
      - 0
    .max_flat_workgroup_size: 64
    .name:           _Z25selective_scan_fwd_kernelI32Selective_Scan_fwd_kernel_traitsILi64ELi16ELi1ELb0ELb1ELb1ELb1ELb1EN3c108BFloat16EffEEv13SSMParamsBase
    .private_segment_fixed_size: 332
    .sgpr_count:     106
    .sgpr_spill_count: 67
    .symbol:         _Z25selective_scan_fwd_kernelI32Selective_Scan_fwd_kernel_traitsILi64ELi16ELi1ELb0ELb1ELb1ELb1ELb1EN3c108BFloat16EffEEv13SSMParamsBase.kd
    .uniform_work_group_size: 1
    .uses_dynamic_stack: false
    .vgpr_count:     96
    .vgpr_spill_count: 114
    .wavefront_size: 64
  - .agpr_count:     0
    .args:
      - .offset:         0
        .size:           248
        .value_kind:     by_value
    .group_segment_fixed_size: 0
    .kernarg_segment_align: 8
    .kernarg_segment_size: 248
    .language:       OpenCL C
    .language_version:
      - 2
      - 0
    .max_flat_workgroup_size: 64
    .name:           _Z25selective_scan_fwd_kernelI32Selective_Scan_fwd_kernel_traitsILi64ELi16ELi1ELb0ELb1ELb1ELb1ELb0EN3c108BFloat16EffEEv13SSMParamsBase
    .private_segment_fixed_size: 332
    .sgpr_count:     106
    .sgpr_spill_count: 67
    .symbol:         _Z25selective_scan_fwd_kernelI32Selective_Scan_fwd_kernel_traitsILi64ELi16ELi1ELb0ELb1ELb1ELb1ELb0EN3c108BFloat16EffEEv13SSMParamsBase.kd
    .uniform_work_group_size: 1
    .uses_dynamic_stack: false
    .vgpr_count:     96
    .vgpr_spill_count: 114
    .wavefront_size: 64
  - .agpr_count:     0
    .args:
      - .offset:         0
        .size:           248
        .value_kind:     by_value
    .group_segment_fixed_size: 0
    .kernarg_segment_align: 8
    .kernarg_segment_size: 248
    .language:       OpenCL C
    .language_version:
      - 2
      - 0
    .max_flat_workgroup_size: 64
    .name:           _Z25selective_scan_fwd_kernelI32Selective_Scan_fwd_kernel_traitsILi64ELi16ELi1ELb0ELb1ELb1ELb0ELb1EN3c108BFloat16EffEEv13SSMParamsBase
    .private_segment_fixed_size: 316
    .sgpr_count:     106
    .sgpr_spill_count: 66
    .symbol:         _Z25selective_scan_fwd_kernelI32Selective_Scan_fwd_kernel_traitsILi64ELi16ELi1ELb0ELb1ELb1ELb0ELb1EN3c108BFloat16EffEEv13SSMParamsBase.kd
    .uniform_work_group_size: 1
    .uses_dynamic_stack: false
    .vgpr_count:     96
    .vgpr_spill_count: 78
    .wavefront_size: 64
  - .agpr_count:     0
    .args:
      - .offset:         0
        .size:           248
        .value_kind:     by_value
    .group_segment_fixed_size: 0
    .kernarg_segment_align: 8
    .kernarg_segment_size: 248
    .language:       OpenCL C
    .language_version:
      - 2
      - 0
    .max_flat_workgroup_size: 64
    .name:           _Z25selective_scan_fwd_kernelI32Selective_Scan_fwd_kernel_traitsILi64ELi16ELi1ELb0ELb1ELb1ELb0ELb0EN3c108BFloat16EffEEv13SSMParamsBase
    .private_segment_fixed_size: 316
    .sgpr_count:     106
    .sgpr_spill_count: 66
    .symbol:         _Z25selective_scan_fwd_kernelI32Selective_Scan_fwd_kernel_traitsILi64ELi16ELi1ELb0ELb1ELb1ELb0ELb0EN3c108BFloat16EffEEv13SSMParamsBase.kd
    .uniform_work_group_size: 1
    .uses_dynamic_stack: false
    .vgpr_count:     96
    .vgpr_spill_count: 78
    .wavefront_size: 64
  - .agpr_count:     0
    .args:
      - .offset:         0
        .size:           248
        .value_kind:     by_value
    .group_segment_fixed_size: 0
    .kernarg_segment_align: 8
    .kernarg_segment_size: 248
    .language:       OpenCL C
    .language_version:
      - 2
      - 0
    .max_flat_workgroup_size: 128
    .name:           _Z25selective_scan_fwd_kernelI32Selective_Scan_fwd_kernel_traitsILi128ELi16ELi1ELb1ELb1ELb1ELb1ELb1EN3c108BFloat16EffEEv13SSMParamsBase
    .private_segment_fixed_size: 0
    .sgpr_count:     106
    .sgpr_spill_count: 75
    .symbol:         _Z25selective_scan_fwd_kernelI32Selective_Scan_fwd_kernel_traitsILi128ELi16ELi1ELb1ELb1ELb1ELb1ELb1EN3c108BFloat16EffEEv13SSMParamsBase.kd
    .uniform_work_group_size: 1
    .uses_dynamic_stack: false
    .vgpr_count:     168
    .vgpr_spill_count: 0
    .wavefront_size: 64
  - .agpr_count:     0
    .args:
      - .offset:         0
        .size:           248
        .value_kind:     by_value
    .group_segment_fixed_size: 0
    .kernarg_segment_align: 8
    .kernarg_segment_size: 248
    .language:       OpenCL C
    .language_version:
      - 2
      - 0
    .max_flat_workgroup_size: 128
    .name:           _Z25selective_scan_fwd_kernelI32Selective_Scan_fwd_kernel_traitsILi128ELi16ELi1ELb1ELb1ELb1ELb1ELb0EN3c108BFloat16EffEEv13SSMParamsBase
    .private_segment_fixed_size: 0
    .sgpr_count:     106
    .sgpr_spill_count: 18
    .symbol:         _Z25selective_scan_fwd_kernelI32Selective_Scan_fwd_kernel_traitsILi128ELi16ELi1ELb1ELb1ELb1ELb1ELb0EN3c108BFloat16EffEEv13SSMParamsBase.kd
    .uniform_work_group_size: 1
    .uses_dynamic_stack: false
    .vgpr_count:     168
    .vgpr_spill_count: 0
    .wavefront_size: 64
  - .agpr_count:     0
    .args:
      - .offset:         0
        .size:           248
        .value_kind:     by_value
    .group_segment_fixed_size: 0
    .kernarg_segment_align: 8
    .kernarg_segment_size: 248
    .language:       OpenCL C
    .language_version:
      - 2
      - 0
    .max_flat_workgroup_size: 128
    .name:           _Z25selective_scan_fwd_kernelI32Selective_Scan_fwd_kernel_traitsILi128ELi16ELi1ELb1ELb1ELb1ELb0ELb1EN3c108BFloat16EffEEv13SSMParamsBase
    .private_segment_fixed_size: 0
    .sgpr_count:     106
    .sgpr_spill_count: 74
    .symbol:         _Z25selective_scan_fwd_kernelI32Selective_Scan_fwd_kernel_traitsILi128ELi16ELi1ELb1ELb1ELb1ELb0ELb1EN3c108BFloat16EffEEv13SSMParamsBase.kd
    .uniform_work_group_size: 1
    .uses_dynamic_stack: false
    .vgpr_count:     168
    .vgpr_spill_count: 0
    .wavefront_size: 64
  - .agpr_count:     0
    .args:
      - .offset:         0
        .size:           248
        .value_kind:     by_value
    .group_segment_fixed_size: 0
    .kernarg_segment_align: 8
    .kernarg_segment_size: 248
    .language:       OpenCL C
    .language_version:
      - 2
      - 0
    .max_flat_workgroup_size: 128
    .name:           _Z25selective_scan_fwd_kernelI32Selective_Scan_fwd_kernel_traitsILi128ELi16ELi1ELb1ELb1ELb1ELb0ELb0EN3c108BFloat16EffEEv13SSMParamsBase
    .private_segment_fixed_size: 0
    .sgpr_count:     106
    .sgpr_spill_count: 20
    .symbol:         _Z25selective_scan_fwd_kernelI32Selective_Scan_fwd_kernel_traitsILi128ELi16ELi1ELb1ELb1ELb1ELb0ELb0EN3c108BFloat16EffEEv13SSMParamsBase.kd
    .uniform_work_group_size: 1
    .uses_dynamic_stack: false
    .vgpr_count:     157
    .vgpr_spill_count: 0
    .wavefront_size: 64
  - .agpr_count:     0
    .args:
      - .offset:         0
        .size:           248
        .value_kind:     by_value
    .group_segment_fixed_size: 0
    .kernarg_segment_align: 8
    .kernarg_segment_size: 248
    .language:       OpenCL C
    .language_version:
      - 2
      - 0
    .max_flat_workgroup_size: 128
    .name:           _Z25selective_scan_fwd_kernelI32Selective_Scan_fwd_kernel_traitsILi128ELi16ELi1ELb0ELb1ELb1ELb1ELb1EN3c108BFloat16EffEEv13SSMParamsBase
    .private_segment_fixed_size: 0
    .sgpr_count:     106
    .sgpr_spill_count: 75
    .symbol:         _Z25selective_scan_fwd_kernelI32Selective_Scan_fwd_kernel_traitsILi128ELi16ELi1ELb0ELb1ELb1ELb1ELb1EN3c108BFloat16EffEEv13SSMParamsBase.kd
    .uniform_work_group_size: 1
    .uses_dynamic_stack: false
    .vgpr_count:     168
    .vgpr_spill_count: 0
    .wavefront_size: 64
  - .agpr_count:     0
    .args:
      - .offset:         0
        .size:           248
        .value_kind:     by_value
    .group_segment_fixed_size: 0
    .kernarg_segment_align: 8
    .kernarg_segment_size: 248
    .language:       OpenCL C
    .language_version:
      - 2
      - 0
    .max_flat_workgroup_size: 128
    .name:           _Z25selective_scan_fwd_kernelI32Selective_Scan_fwd_kernel_traitsILi128ELi16ELi1ELb0ELb1ELb1ELb1ELb0EN3c108BFloat16EffEEv13SSMParamsBase
    .private_segment_fixed_size: 0
    .sgpr_count:     106
    .sgpr_spill_count: 75
    .symbol:         _Z25selective_scan_fwd_kernelI32Selective_Scan_fwd_kernel_traitsILi128ELi16ELi1ELb0ELb1ELb1ELb1ELb0EN3c108BFloat16EffEEv13SSMParamsBase.kd
    .uniform_work_group_size: 1
    .uses_dynamic_stack: false
    .vgpr_count:     168
    .vgpr_spill_count: 0
    .wavefront_size: 64
  - .agpr_count:     0
    .args:
      - .offset:         0
        .size:           248
        .value_kind:     by_value
    .group_segment_fixed_size: 0
    .kernarg_segment_align: 8
    .kernarg_segment_size: 248
    .language:       OpenCL C
    .language_version:
      - 2
      - 0
    .max_flat_workgroup_size: 128
    .name:           _Z25selective_scan_fwd_kernelI32Selective_Scan_fwd_kernel_traitsILi128ELi16ELi1ELb0ELb1ELb1ELb0ELb1EN3c108BFloat16EffEEv13SSMParamsBase
    .private_segment_fixed_size: 0
    .sgpr_count:     106
    .sgpr_spill_count: 74
    .symbol:         _Z25selective_scan_fwd_kernelI32Selective_Scan_fwd_kernel_traitsILi128ELi16ELi1ELb0ELb1ELb1ELb0ELb1EN3c108BFloat16EffEEv13SSMParamsBase.kd
    .uniform_work_group_size: 1
    .uses_dynamic_stack: false
    .vgpr_count:     168
    .vgpr_spill_count: 0
    .wavefront_size: 64
  - .agpr_count:     0
    .args:
      - .offset:         0
        .size:           248
        .value_kind:     by_value
    .group_segment_fixed_size: 0
    .kernarg_segment_align: 8
    .kernarg_segment_size: 248
    .language:       OpenCL C
    .language_version:
      - 2
      - 0
    .max_flat_workgroup_size: 128
    .name:           _Z25selective_scan_fwd_kernelI32Selective_Scan_fwd_kernel_traitsILi128ELi16ELi1ELb0ELb1ELb1ELb0ELb0EN3c108BFloat16EffEEv13SSMParamsBase
    .private_segment_fixed_size: 0
    .sgpr_count:     106
    .sgpr_spill_count: 74
    .symbol:         _Z25selective_scan_fwd_kernelI32Selective_Scan_fwd_kernel_traitsILi128ELi16ELi1ELb0ELb1ELb1ELb0ELb0EN3c108BFloat16EffEEv13SSMParamsBase.kd
    .uniform_work_group_size: 1
    .uses_dynamic_stack: false
    .vgpr_count:     168
    .vgpr_spill_count: 0
    .wavefront_size: 64
  - .agpr_count:     0
    .args:
      - .offset:         0
        .size:           248
        .value_kind:     by_value
    .group_segment_fixed_size: 0
    .kernarg_segment_align: 8
    .kernarg_segment_size: 248
    .language:       OpenCL C
    .language_version:
      - 2
      - 0
    .max_flat_workgroup_size: 64
    .name:           _Z25selective_scan_fwd_kernelI32Selective_Scan_fwd_kernel_traitsILi64ELi4ELi1ELb1ELb1ELb1ELb1ELb1EN3c104HalfEfS2_EEv13SSMParamsBase
    .private_segment_fixed_size: 0
    .sgpr_count:     105
    .sgpr_spill_count: 0
    .symbol:         _Z25selective_scan_fwd_kernelI32Selective_Scan_fwd_kernel_traitsILi64ELi4ELi1ELb1ELb1ELb1ELb1ELb1EN3c104HalfEfS2_EEv13SSMParamsBase.kd
    .uniform_work_group_size: 1
    .uses_dynamic_stack: false
    .vgpr_count:     66
    .vgpr_spill_count: 0
    .wavefront_size: 64
  - .agpr_count:     0
    .args:
      - .offset:         0
        .size:           248
        .value_kind:     by_value
    .group_segment_fixed_size: 0
    .kernarg_segment_align: 8
    .kernarg_segment_size: 248
    .language:       OpenCL C
    .language_version:
      - 2
      - 0
    .max_flat_workgroup_size: 64
    .name:           _Z25selective_scan_fwd_kernelI32Selective_Scan_fwd_kernel_traitsILi64ELi4ELi1ELb1ELb1ELb1ELb1ELb0EN3c104HalfEfS2_EEv13SSMParamsBase
    .private_segment_fixed_size: 0
    .sgpr_count:     97
    .sgpr_spill_count: 0
    .symbol:         _Z25selective_scan_fwd_kernelI32Selective_Scan_fwd_kernel_traitsILi64ELi4ELi1ELb1ELb1ELb1ELb1ELb0EN3c104HalfEfS2_EEv13SSMParamsBase.kd
    .uniform_work_group_size: 1
    .uses_dynamic_stack: false
    .vgpr_count:     66
    .vgpr_spill_count: 0
    .wavefront_size: 64
  - .agpr_count:     0
    .args:
      - .offset:         0
        .size:           248
        .value_kind:     by_value
    .group_segment_fixed_size: 0
    .kernarg_segment_align: 8
    .kernarg_segment_size: 248
    .language:       OpenCL C
    .language_version:
      - 2
      - 0
    .max_flat_workgroup_size: 64
    .name:           _Z25selective_scan_fwd_kernelI32Selective_Scan_fwd_kernel_traitsILi64ELi4ELi1ELb1ELb1ELb1ELb0ELb1EN3c104HalfEfS2_EEv13SSMParamsBase
    .private_segment_fixed_size: 0
    .sgpr_count:     101
    .sgpr_spill_count: 0
    .symbol:         _Z25selective_scan_fwd_kernelI32Selective_Scan_fwd_kernel_traitsILi64ELi4ELi1ELb1ELb1ELb1ELb0ELb1EN3c104HalfEfS2_EEv13SSMParamsBase.kd
    .uniform_work_group_size: 1
    .uses_dynamic_stack: false
    .vgpr_count:     62
    .vgpr_spill_count: 0
    .wavefront_size: 64
  - .agpr_count:     0
    .args:
      - .offset:         0
        .size:           248
        .value_kind:     by_value
    .group_segment_fixed_size: 0
    .kernarg_segment_align: 8
    .kernarg_segment_size: 248
    .language:       OpenCL C
    .language_version:
      - 2
      - 0
    .max_flat_workgroup_size: 64
    .name:           _Z25selective_scan_fwd_kernelI32Selective_Scan_fwd_kernel_traitsILi64ELi4ELi1ELb1ELb1ELb1ELb0ELb0EN3c104HalfEfS2_EEv13SSMParamsBase
    .private_segment_fixed_size: 0
    .sgpr_count:     93
    .sgpr_spill_count: 0
    .symbol:         _Z25selective_scan_fwd_kernelI32Selective_Scan_fwd_kernel_traitsILi64ELi4ELi1ELb1ELb1ELb1ELb0ELb0EN3c104HalfEfS2_EEv13SSMParamsBase.kd
    .uniform_work_group_size: 1
    .uses_dynamic_stack: false
    .vgpr_count:     60
    .vgpr_spill_count: 0
    .wavefront_size: 64
  - .agpr_count:     0
    .args:
      - .offset:         0
        .size:           248
        .value_kind:     by_value
    .group_segment_fixed_size: 0
    .kernarg_segment_align: 8
    .kernarg_segment_size: 248
    .language:       OpenCL C
    .language_version:
      - 2
      - 0
    .max_flat_workgroup_size: 64
    .name:           _Z25selective_scan_fwd_kernelI32Selective_Scan_fwd_kernel_traitsILi64ELi4ELi1ELb0ELb1ELb1ELb1ELb1EN3c104HalfEfS2_EEv13SSMParamsBase
    .private_segment_fixed_size: 0
    .sgpr_count:     105
    .sgpr_spill_count: 0
    .symbol:         _Z25selective_scan_fwd_kernelI32Selective_Scan_fwd_kernel_traitsILi64ELi4ELi1ELb0ELb1ELb1ELb1ELb1EN3c104HalfEfS2_EEv13SSMParamsBase.kd
    .uniform_work_group_size: 1
    .uses_dynamic_stack: false
    .vgpr_count:     66
    .vgpr_spill_count: 0
    .wavefront_size: 64
  - .agpr_count:     0
    .args:
      - .offset:         0
        .size:           248
        .value_kind:     by_value
    .group_segment_fixed_size: 0
    .kernarg_segment_align: 8
    .kernarg_segment_size: 248
    .language:       OpenCL C
    .language_version:
      - 2
      - 0
    .max_flat_workgroup_size: 64
    .name:           _Z25selective_scan_fwd_kernelI32Selective_Scan_fwd_kernel_traitsILi64ELi4ELi1ELb0ELb1ELb1ELb1ELb0EN3c104HalfEfS2_EEv13SSMParamsBase
    .private_segment_fixed_size: 0
    .sgpr_count:     105
    .sgpr_spill_count: 0
    .symbol:         _Z25selective_scan_fwd_kernelI32Selective_Scan_fwd_kernel_traitsILi64ELi4ELi1ELb0ELb1ELb1ELb1ELb0EN3c104HalfEfS2_EEv13SSMParamsBase.kd
    .uniform_work_group_size: 1
    .uses_dynamic_stack: false
    .vgpr_count:     66
    .vgpr_spill_count: 0
    .wavefront_size: 64
  - .agpr_count:     0
    .args:
      - .offset:         0
        .size:           248
        .value_kind:     by_value
    .group_segment_fixed_size: 0
    .kernarg_segment_align: 8
    .kernarg_segment_size: 248
    .language:       OpenCL C
    .language_version:
      - 2
      - 0
    .max_flat_workgroup_size: 64
    .name:           _Z25selective_scan_fwd_kernelI32Selective_Scan_fwd_kernel_traitsILi64ELi4ELi1ELb0ELb1ELb1ELb0ELb1EN3c104HalfEfS2_EEv13SSMParamsBase
    .private_segment_fixed_size: 0
    .sgpr_count:     101
    .sgpr_spill_count: 0
    .symbol:         _Z25selective_scan_fwd_kernelI32Selective_Scan_fwd_kernel_traitsILi64ELi4ELi1ELb0ELb1ELb1ELb0ELb1EN3c104HalfEfS2_EEv13SSMParamsBase.kd
    .uniform_work_group_size: 1
    .uses_dynamic_stack: false
    .vgpr_count:     62
    .vgpr_spill_count: 0
    .wavefront_size: 64
  - .agpr_count:     0
    .args:
      - .offset:         0
        .size:           248
        .value_kind:     by_value
    .group_segment_fixed_size: 0
    .kernarg_segment_align: 8
    .kernarg_segment_size: 248
    .language:       OpenCL C
    .language_version:
      - 2
      - 0
    .max_flat_workgroup_size: 64
    .name:           _Z25selective_scan_fwd_kernelI32Selective_Scan_fwd_kernel_traitsILi64ELi4ELi1ELb0ELb1ELb1ELb0ELb0EN3c104HalfEfS2_EEv13SSMParamsBase
    .private_segment_fixed_size: 0
    .sgpr_count:     101
    .sgpr_spill_count: 0
    .symbol:         _Z25selective_scan_fwd_kernelI32Selective_Scan_fwd_kernel_traitsILi64ELi4ELi1ELb0ELb1ELb1ELb0ELb0EN3c104HalfEfS2_EEv13SSMParamsBase.kd
    .uniform_work_group_size: 1
    .uses_dynamic_stack: false
    .vgpr_count:     62
    .vgpr_spill_count: 0
    .wavefront_size: 64
  - .agpr_count:     0
    .args:
      - .offset:         0
        .size:           248
        .value_kind:     by_value
    .group_segment_fixed_size: 0
    .kernarg_segment_align: 8
    .kernarg_segment_size: 248
    .language:       OpenCL C
    .language_version:
      - 2
      - 0
    .max_flat_workgroup_size: 64
    .name:           _Z25selective_scan_fwd_kernelI32Selective_Scan_fwd_kernel_traitsILi64ELi8ELi1ELb1ELb1ELb1ELb1ELb1EN3c104HalfEfS2_EEv13SSMParamsBase
    .private_segment_fixed_size: 0
    .sgpr_count:     106
    .sgpr_spill_count: 7
    .symbol:         _Z25selective_scan_fwd_kernelI32Selective_Scan_fwd_kernel_traitsILi64ELi8ELi1ELb1ELb1ELb1ELb1ELb1EN3c104HalfEfS2_EEv13SSMParamsBase.kd
    .uniform_work_group_size: 1
    .uses_dynamic_stack: false
    .vgpr_count:     96
    .vgpr_spill_count: 0
    .wavefront_size: 64
  - .agpr_count:     0
    .args:
      - .offset:         0
        .size:           248
        .value_kind:     by_value
    .group_segment_fixed_size: 0
    .kernarg_segment_align: 8
    .kernarg_segment_size: 248
    .language:       OpenCL C
    .language_version:
      - 2
      - 0
    .max_flat_workgroup_size: 64
    .name:           _Z25selective_scan_fwd_kernelI32Selective_Scan_fwd_kernel_traitsILi64ELi8ELi1ELb1ELb1ELb1ELb1ELb0EN3c104HalfEfS2_EEv13SSMParamsBase
    .private_segment_fixed_size: 0
    .sgpr_count:     105
    .sgpr_spill_count: 0
    .symbol:         _Z25selective_scan_fwd_kernelI32Selective_Scan_fwd_kernel_traitsILi64ELi8ELi1ELb1ELb1ELb1ELb1ELb0EN3c104HalfEfS2_EEv13SSMParamsBase.kd
    .uniform_work_group_size: 1
    .uses_dynamic_stack: false
    .vgpr_count:     96
    .vgpr_spill_count: 0
    .wavefront_size: 64
  - .agpr_count:     0
    .args:
      - .offset:         0
        .size:           248
        .value_kind:     by_value
    .group_segment_fixed_size: 0
    .kernarg_segment_align: 8
    .kernarg_segment_size: 248
    .language:       OpenCL C
    .language_version:
      - 2
      - 0
    .max_flat_workgroup_size: 64
    .name:           _Z25selective_scan_fwd_kernelI32Selective_Scan_fwd_kernel_traitsILi64ELi8ELi1ELb1ELb1ELb1ELb0ELb1EN3c104HalfEfS2_EEv13SSMParamsBase
    .private_segment_fixed_size: 0
    .sgpr_count:     106
    .sgpr_spill_count: 7
    .symbol:         _Z25selective_scan_fwd_kernelI32Selective_Scan_fwd_kernel_traitsILi64ELi8ELi1ELb1ELb1ELb1ELb0ELb1EN3c104HalfEfS2_EEv13SSMParamsBase.kd
    .uniform_work_group_size: 1
    .uses_dynamic_stack: false
    .vgpr_count:     96
    .vgpr_spill_count: 0
    .wavefront_size: 64
  - .agpr_count:     0
    .args:
      - .offset:         0
        .size:           248
        .value_kind:     by_value
    .group_segment_fixed_size: 0
    .kernarg_segment_align: 8
    .kernarg_segment_size: 248
    .language:       OpenCL C
    .language_version:
      - 2
      - 0
    .max_flat_workgroup_size: 64
    .name:           _Z25selective_scan_fwd_kernelI32Selective_Scan_fwd_kernel_traitsILi64ELi8ELi1ELb1ELb1ELb1ELb0ELb0EN3c104HalfEfS2_EEv13SSMParamsBase
    .private_segment_fixed_size: 0
    .sgpr_count:     101
    .sgpr_spill_count: 0
    .symbol:         _Z25selective_scan_fwd_kernelI32Selective_Scan_fwd_kernel_traitsILi64ELi8ELi1ELb1ELb1ELb1ELb0ELb0EN3c104HalfEfS2_EEv13SSMParamsBase.kd
    .uniform_work_group_size: 1
    .uses_dynamic_stack: false
    .vgpr_count:     90
    .vgpr_spill_count: 0
    .wavefront_size: 64
  - .agpr_count:     0
    .args:
      - .offset:         0
        .size:           248
        .value_kind:     by_value
    .group_segment_fixed_size: 0
    .kernarg_segment_align: 8
    .kernarg_segment_size: 248
    .language:       OpenCL C
    .language_version:
      - 2
      - 0
    .max_flat_workgroup_size: 64
    .name:           _Z25selective_scan_fwd_kernelI32Selective_Scan_fwd_kernel_traitsILi64ELi8ELi1ELb0ELb1ELb1ELb1ELb1EN3c104HalfEfS2_EEv13SSMParamsBase
    .private_segment_fixed_size: 0
    .sgpr_count:     106
    .sgpr_spill_count: 7
    .symbol:         _Z25selective_scan_fwd_kernelI32Selective_Scan_fwd_kernel_traitsILi64ELi8ELi1ELb0ELb1ELb1ELb1ELb1EN3c104HalfEfS2_EEv13SSMParamsBase.kd
    .uniform_work_group_size: 1
    .uses_dynamic_stack: false
    .vgpr_count:     96
    .vgpr_spill_count: 0
    .wavefront_size: 64
  - .agpr_count:     0
    .args:
      - .offset:         0
        .size:           248
        .value_kind:     by_value
    .group_segment_fixed_size: 0
    .kernarg_segment_align: 8
    .kernarg_segment_size: 248
    .language:       OpenCL C
    .language_version:
      - 2
      - 0
    .max_flat_workgroup_size: 64
    .name:           _Z25selective_scan_fwd_kernelI32Selective_Scan_fwd_kernel_traitsILi64ELi8ELi1ELb0ELb1ELb1ELb1ELb0EN3c104HalfEfS2_EEv13SSMParamsBase
    .private_segment_fixed_size: 0
    .sgpr_count:     106
    .sgpr_spill_count: 7
    .symbol:         _Z25selective_scan_fwd_kernelI32Selective_Scan_fwd_kernel_traitsILi64ELi8ELi1ELb0ELb1ELb1ELb1ELb0EN3c104HalfEfS2_EEv13SSMParamsBase.kd
    .uniform_work_group_size: 1
    .uses_dynamic_stack: false
    .vgpr_count:     96
    .vgpr_spill_count: 0
    .wavefront_size: 64
  - .agpr_count:     0
    .args:
      - .offset:         0
        .size:           248
        .value_kind:     by_value
    .group_segment_fixed_size: 0
    .kernarg_segment_align: 8
    .kernarg_segment_size: 248
    .language:       OpenCL C
    .language_version:
      - 2
      - 0
    .max_flat_workgroup_size: 64
    .name:           _Z25selective_scan_fwd_kernelI32Selective_Scan_fwd_kernel_traitsILi64ELi8ELi1ELb0ELb1ELb1ELb0ELb1EN3c104HalfEfS2_EEv13SSMParamsBase
    .private_segment_fixed_size: 0
    .sgpr_count:     106
    .sgpr_spill_count: 7
    .symbol:         _Z25selective_scan_fwd_kernelI32Selective_Scan_fwd_kernel_traitsILi64ELi8ELi1ELb0ELb1ELb1ELb0ELb1EN3c104HalfEfS2_EEv13SSMParamsBase.kd
    .uniform_work_group_size: 1
    .uses_dynamic_stack: false
    .vgpr_count:     96
    .vgpr_spill_count: 0
    .wavefront_size: 64
  - .agpr_count:     0
    .args:
      - .offset:         0
        .size:           248
        .value_kind:     by_value
    .group_segment_fixed_size: 0
    .kernarg_segment_align: 8
    .kernarg_segment_size: 248
    .language:       OpenCL C
    .language_version:
      - 2
      - 0
    .max_flat_workgroup_size: 64
    .name:           _Z25selective_scan_fwd_kernelI32Selective_Scan_fwd_kernel_traitsILi64ELi8ELi1ELb0ELb1ELb1ELb0ELb0EN3c104HalfEfS2_EEv13SSMParamsBase
    .private_segment_fixed_size: 0
    .sgpr_count:     106
    .sgpr_spill_count: 7
    .symbol:         _Z25selective_scan_fwd_kernelI32Selective_Scan_fwd_kernel_traitsILi64ELi8ELi1ELb0ELb1ELb1ELb0ELb0EN3c104HalfEfS2_EEv13SSMParamsBase.kd
    .uniform_work_group_size: 1
    .uses_dynamic_stack: false
    .vgpr_count:     96
    .vgpr_spill_count: 0
    .wavefront_size: 64
  - .agpr_count:     0
    .args:
      - .offset:         0
        .size:           248
        .value_kind:     by_value
    .group_segment_fixed_size: 0
    .kernarg_segment_align: 8
    .kernarg_segment_size: 248
    .language:       OpenCL C
    .language_version:
      - 2
      - 0
    .max_flat_workgroup_size: 64
    .name:           _Z25selective_scan_fwd_kernelI32Selective_Scan_fwd_kernel_traitsILi64ELi16ELi1ELb1ELb1ELb1ELb1ELb1EN3c104HalfEfS2_EEv13SSMParamsBase
    .private_segment_fixed_size: 332
    .sgpr_count:     106
    .sgpr_spill_count: 67
    .symbol:         _Z25selective_scan_fwd_kernelI32Selective_Scan_fwd_kernel_traitsILi64ELi16ELi1ELb1ELb1ELb1ELb1ELb1EN3c104HalfEfS2_EEv13SSMParamsBase.kd
    .uniform_work_group_size: 1
    .uses_dynamic_stack: false
    .vgpr_count:     96
    .vgpr_spill_count: 114
    .wavefront_size: 64
  - .agpr_count:     0
    .args:
      - .offset:         0
        .size:           248
        .value_kind:     by_value
    .group_segment_fixed_size: 0
    .kernarg_segment_align: 8
    .kernarg_segment_size: 248
    .language:       OpenCL C
    .language_version:
      - 2
      - 0
    .max_flat_workgroup_size: 64
    .name:           _Z25selective_scan_fwd_kernelI32Selective_Scan_fwd_kernel_traitsILi64ELi16ELi1ELb1ELb1ELb1ELb1ELb0EN3c104HalfEfS2_EEv13SSMParamsBase
    .private_segment_fixed_size: 252
    .sgpr_count:     106
    .sgpr_spill_count: 11
    .symbol:         _Z25selective_scan_fwd_kernelI32Selective_Scan_fwd_kernel_traitsILi64ELi16ELi1ELb1ELb1ELb1ELb1ELb0EN3c104HalfEfS2_EEv13SSMParamsBase.kd
    .uniform_work_group_size: 1
    .uses_dynamic_stack: false
    .vgpr_count:     96
    .vgpr_spill_count: 94
    .wavefront_size: 64
  - .agpr_count:     0
    .args:
      - .offset:         0
        .size:           248
        .value_kind:     by_value
    .group_segment_fixed_size: 0
    .kernarg_segment_align: 8
    .kernarg_segment_size: 248
    .language:       OpenCL C
    .language_version:
      - 2
      - 0
    .max_flat_workgroup_size: 64
    .name:           _Z25selective_scan_fwd_kernelI32Selective_Scan_fwd_kernel_traitsILi64ELi16ELi1ELb1ELb1ELb1ELb0ELb1EN3c104HalfEfS2_EEv13SSMParamsBase
    .private_segment_fixed_size: 316
    .sgpr_count:     106
    .sgpr_spill_count: 66
    .symbol:         _Z25selective_scan_fwd_kernelI32Selective_Scan_fwd_kernel_traitsILi64ELi16ELi1ELb1ELb1ELb1ELb0ELb1EN3c104HalfEfS2_EEv13SSMParamsBase.kd
    .uniform_work_group_size: 1
    .uses_dynamic_stack: false
    .vgpr_count:     96
    .vgpr_spill_count: 78
    .wavefront_size: 64
  - .agpr_count:     0
    .args:
      - .offset:         0
        .size:           248
        .value_kind:     by_value
    .group_segment_fixed_size: 0
    .kernarg_segment_align: 8
    .kernarg_segment_size: 248
    .language:       OpenCL C
    .language_version:
      - 2
      - 0
    .max_flat_workgroup_size: 64
    .name:           _Z25selective_scan_fwd_kernelI32Selective_Scan_fwd_kernel_traitsILi64ELi16ELi1ELb1ELb1ELb1ELb0ELb0EN3c104HalfEfS2_EEv13SSMParamsBase
    .private_segment_fixed_size: 204
    .sgpr_count:     106
    .sgpr_spill_count: 11
    .symbol:         _Z25selective_scan_fwd_kernelI32Selective_Scan_fwd_kernel_traitsILi64ELi16ELi1ELb1ELb1ELb1ELb0ELb0EN3c104HalfEfS2_EEv13SSMParamsBase.kd
    .uniform_work_group_size: 1
    .uses_dynamic_stack: false
    .vgpr_count:     96
    .vgpr_spill_count: 90
    .wavefront_size: 64
  - .agpr_count:     0
    .args:
      - .offset:         0
        .size:           248
        .value_kind:     by_value
    .group_segment_fixed_size: 0
    .kernarg_segment_align: 8
    .kernarg_segment_size: 248
    .language:       OpenCL C
    .language_version:
      - 2
      - 0
    .max_flat_workgroup_size: 64
    .name:           _Z25selective_scan_fwd_kernelI32Selective_Scan_fwd_kernel_traitsILi64ELi16ELi1ELb0ELb1ELb1ELb1ELb1EN3c104HalfEfS2_EEv13SSMParamsBase
    .private_segment_fixed_size: 332
    .sgpr_count:     106
    .sgpr_spill_count: 67
    .symbol:         _Z25selective_scan_fwd_kernelI32Selective_Scan_fwd_kernel_traitsILi64ELi16ELi1ELb0ELb1ELb1ELb1ELb1EN3c104HalfEfS2_EEv13SSMParamsBase.kd
    .uniform_work_group_size: 1
    .uses_dynamic_stack: false
    .vgpr_count:     96
    .vgpr_spill_count: 114
    .wavefront_size: 64
  - .agpr_count:     0
    .args:
      - .offset:         0
        .size:           248
        .value_kind:     by_value
    .group_segment_fixed_size: 0
    .kernarg_segment_align: 8
    .kernarg_segment_size: 248
    .language:       OpenCL C
    .language_version:
      - 2
      - 0
    .max_flat_workgroup_size: 64
    .name:           _Z25selective_scan_fwd_kernelI32Selective_Scan_fwd_kernel_traitsILi64ELi16ELi1ELb0ELb1ELb1ELb1ELb0EN3c104HalfEfS2_EEv13SSMParamsBase
    .private_segment_fixed_size: 332
    .sgpr_count:     106
    .sgpr_spill_count: 67
    .symbol:         _Z25selective_scan_fwd_kernelI32Selective_Scan_fwd_kernel_traitsILi64ELi16ELi1ELb0ELb1ELb1ELb1ELb0EN3c104HalfEfS2_EEv13SSMParamsBase.kd
    .uniform_work_group_size: 1
    .uses_dynamic_stack: false
    .vgpr_count:     96
    .vgpr_spill_count: 114
    .wavefront_size: 64
  - .agpr_count:     0
    .args:
      - .offset:         0
        .size:           248
        .value_kind:     by_value
    .group_segment_fixed_size: 0
    .kernarg_segment_align: 8
    .kernarg_segment_size: 248
    .language:       OpenCL C
    .language_version:
      - 2
      - 0
    .max_flat_workgroup_size: 64
    .name:           _Z25selective_scan_fwd_kernelI32Selective_Scan_fwd_kernel_traitsILi64ELi16ELi1ELb0ELb1ELb1ELb0ELb1EN3c104HalfEfS2_EEv13SSMParamsBase
    .private_segment_fixed_size: 316
    .sgpr_count:     106
    .sgpr_spill_count: 66
    .symbol:         _Z25selective_scan_fwd_kernelI32Selective_Scan_fwd_kernel_traitsILi64ELi16ELi1ELb0ELb1ELb1ELb0ELb1EN3c104HalfEfS2_EEv13SSMParamsBase.kd
    .uniform_work_group_size: 1
    .uses_dynamic_stack: false
    .vgpr_count:     96
    .vgpr_spill_count: 78
    .wavefront_size: 64
  - .agpr_count:     0
    .args:
      - .offset:         0
        .size:           248
        .value_kind:     by_value
    .group_segment_fixed_size: 0
    .kernarg_segment_align: 8
    .kernarg_segment_size: 248
    .language:       OpenCL C
    .language_version:
      - 2
      - 0
    .max_flat_workgroup_size: 64
    .name:           _Z25selective_scan_fwd_kernelI32Selective_Scan_fwd_kernel_traitsILi64ELi16ELi1ELb0ELb1ELb1ELb0ELb0EN3c104HalfEfS2_EEv13SSMParamsBase
    .private_segment_fixed_size: 316
    .sgpr_count:     106
    .sgpr_spill_count: 66
    .symbol:         _Z25selective_scan_fwd_kernelI32Selective_Scan_fwd_kernel_traitsILi64ELi16ELi1ELb0ELb1ELb1ELb0ELb0EN3c104HalfEfS2_EEv13SSMParamsBase.kd
    .uniform_work_group_size: 1
    .uses_dynamic_stack: false
    .vgpr_count:     96
    .vgpr_spill_count: 78
    .wavefront_size: 64
  - .agpr_count:     0
    .args:
      - .offset:         0
        .size:           248
        .value_kind:     by_value
    .group_segment_fixed_size: 0
    .kernarg_segment_align: 8
    .kernarg_segment_size: 248
    .language:       OpenCL C
    .language_version:
      - 2
      - 0
    .max_flat_workgroup_size: 128
    .name:           _Z25selective_scan_fwd_kernelI32Selective_Scan_fwd_kernel_traitsILi128ELi16ELi1ELb1ELb1ELb1ELb1ELb1EN3c104HalfEfS2_EEv13SSMParamsBase
    .private_segment_fixed_size: 0
    .sgpr_count:     106
    .sgpr_spill_count: 75
    .symbol:         _Z25selective_scan_fwd_kernelI32Selective_Scan_fwd_kernel_traitsILi128ELi16ELi1ELb1ELb1ELb1ELb1ELb1EN3c104HalfEfS2_EEv13SSMParamsBase.kd
    .uniform_work_group_size: 1
    .uses_dynamic_stack: false
    .vgpr_count:     168
    .vgpr_spill_count: 0
    .wavefront_size: 64
  - .agpr_count:     0
    .args:
      - .offset:         0
        .size:           248
        .value_kind:     by_value
    .group_segment_fixed_size: 0
    .kernarg_segment_align: 8
    .kernarg_segment_size: 248
    .language:       OpenCL C
    .language_version:
      - 2
      - 0
    .max_flat_workgroup_size: 128
    .name:           _Z25selective_scan_fwd_kernelI32Selective_Scan_fwd_kernel_traitsILi128ELi16ELi1ELb1ELb1ELb1ELb1ELb0EN3c104HalfEfS2_EEv13SSMParamsBase
    .private_segment_fixed_size: 0
    .sgpr_count:     106
    .sgpr_spill_count: 18
    .symbol:         _Z25selective_scan_fwd_kernelI32Selective_Scan_fwd_kernel_traitsILi128ELi16ELi1ELb1ELb1ELb1ELb1ELb0EN3c104HalfEfS2_EEv13SSMParamsBase.kd
    .uniform_work_group_size: 1
    .uses_dynamic_stack: false
    .vgpr_count:     167
    .vgpr_spill_count: 0
    .wavefront_size: 64
  - .agpr_count:     0
    .args:
      - .offset:         0
        .size:           248
        .value_kind:     by_value
    .group_segment_fixed_size: 0
    .kernarg_segment_align: 8
    .kernarg_segment_size: 248
    .language:       OpenCL C
    .language_version:
      - 2
      - 0
    .max_flat_workgroup_size: 128
    .name:           _Z25selective_scan_fwd_kernelI32Selective_Scan_fwd_kernel_traitsILi128ELi16ELi1ELb1ELb1ELb1ELb0ELb1EN3c104HalfEfS2_EEv13SSMParamsBase
    .private_segment_fixed_size: 0
    .sgpr_count:     106
    .sgpr_spill_count: 74
    .symbol:         _Z25selective_scan_fwd_kernelI32Selective_Scan_fwd_kernel_traitsILi128ELi16ELi1ELb1ELb1ELb1ELb0ELb1EN3c104HalfEfS2_EEv13SSMParamsBase.kd
    .uniform_work_group_size: 1
    .uses_dynamic_stack: false
    .vgpr_count:     168
    .vgpr_spill_count: 0
    .wavefront_size: 64
  - .agpr_count:     0
    .args:
      - .offset:         0
        .size:           248
        .value_kind:     by_value
    .group_segment_fixed_size: 0
    .kernarg_segment_align: 8
    .kernarg_segment_size: 248
    .language:       OpenCL C
    .language_version:
      - 2
      - 0
    .max_flat_workgroup_size: 128
    .name:           _Z25selective_scan_fwd_kernelI32Selective_Scan_fwd_kernel_traitsILi128ELi16ELi1ELb1ELb1ELb1ELb0ELb0EN3c104HalfEfS2_EEv13SSMParamsBase
    .private_segment_fixed_size: 0
    .sgpr_count:     106
    .sgpr_spill_count: 20
    .symbol:         _Z25selective_scan_fwd_kernelI32Selective_Scan_fwd_kernel_traitsILi128ELi16ELi1ELb1ELb1ELb1ELb0ELb0EN3c104HalfEfS2_EEv13SSMParamsBase.kd
    .uniform_work_group_size: 1
    .uses_dynamic_stack: false
    .vgpr_count:     155
    .vgpr_spill_count: 0
    .wavefront_size: 64
  - .agpr_count:     0
    .args:
      - .offset:         0
        .size:           248
        .value_kind:     by_value
    .group_segment_fixed_size: 0
    .kernarg_segment_align: 8
    .kernarg_segment_size: 248
    .language:       OpenCL C
    .language_version:
      - 2
      - 0
    .max_flat_workgroup_size: 128
    .name:           _Z25selective_scan_fwd_kernelI32Selective_Scan_fwd_kernel_traitsILi128ELi16ELi1ELb0ELb1ELb1ELb1ELb1EN3c104HalfEfS2_EEv13SSMParamsBase
    .private_segment_fixed_size: 0
    .sgpr_count:     106
    .sgpr_spill_count: 75
    .symbol:         _Z25selective_scan_fwd_kernelI32Selective_Scan_fwd_kernel_traitsILi128ELi16ELi1ELb0ELb1ELb1ELb1ELb1EN3c104HalfEfS2_EEv13SSMParamsBase.kd
    .uniform_work_group_size: 1
    .uses_dynamic_stack: false
    .vgpr_count:     168
    .vgpr_spill_count: 0
    .wavefront_size: 64
  - .agpr_count:     0
    .args:
      - .offset:         0
        .size:           248
        .value_kind:     by_value
    .group_segment_fixed_size: 0
    .kernarg_segment_align: 8
    .kernarg_segment_size: 248
    .language:       OpenCL C
    .language_version:
      - 2
      - 0
    .max_flat_workgroup_size: 128
    .name:           _Z25selective_scan_fwd_kernelI32Selective_Scan_fwd_kernel_traitsILi128ELi16ELi1ELb0ELb1ELb1ELb1ELb0EN3c104HalfEfS2_EEv13SSMParamsBase
    .private_segment_fixed_size: 0
    .sgpr_count:     106
    .sgpr_spill_count: 75
    .symbol:         _Z25selective_scan_fwd_kernelI32Selective_Scan_fwd_kernel_traitsILi128ELi16ELi1ELb0ELb1ELb1ELb1ELb0EN3c104HalfEfS2_EEv13SSMParamsBase.kd
    .uniform_work_group_size: 1
    .uses_dynamic_stack: false
    .vgpr_count:     168
    .vgpr_spill_count: 0
    .wavefront_size: 64
  - .agpr_count:     0
    .args:
      - .offset:         0
        .size:           248
        .value_kind:     by_value
    .group_segment_fixed_size: 0
    .kernarg_segment_align: 8
    .kernarg_segment_size: 248
    .language:       OpenCL C
    .language_version:
      - 2
      - 0
    .max_flat_workgroup_size: 128
    .name:           _Z25selective_scan_fwd_kernelI32Selective_Scan_fwd_kernel_traitsILi128ELi16ELi1ELb0ELb1ELb1ELb0ELb1EN3c104HalfEfS2_EEv13SSMParamsBase
    .private_segment_fixed_size: 0
    .sgpr_count:     106
    .sgpr_spill_count: 74
    .symbol:         _Z25selective_scan_fwd_kernelI32Selective_Scan_fwd_kernel_traitsILi128ELi16ELi1ELb0ELb1ELb1ELb0ELb1EN3c104HalfEfS2_EEv13SSMParamsBase.kd
    .uniform_work_group_size: 1
    .uses_dynamic_stack: false
    .vgpr_count:     168
    .vgpr_spill_count: 0
    .wavefront_size: 64
  - .agpr_count:     0
    .args:
      - .offset:         0
        .size:           248
        .value_kind:     by_value
    .group_segment_fixed_size: 0
    .kernarg_segment_align: 8
    .kernarg_segment_size: 248
    .language:       OpenCL C
    .language_version:
      - 2
      - 0
    .max_flat_workgroup_size: 128
    .name:           _Z25selective_scan_fwd_kernelI32Selective_Scan_fwd_kernel_traitsILi128ELi16ELi1ELb0ELb1ELb1ELb0ELb0EN3c104HalfEfS2_EEv13SSMParamsBase
    .private_segment_fixed_size: 0
    .sgpr_count:     106
    .sgpr_spill_count: 74
    .symbol:         _Z25selective_scan_fwd_kernelI32Selective_Scan_fwd_kernel_traitsILi128ELi16ELi1ELb0ELb1ELb1ELb0ELb0EN3c104HalfEfS2_EEv13SSMParamsBase.kd
    .uniform_work_group_size: 1
    .uses_dynamic_stack: false
    .vgpr_count:     168
    .vgpr_spill_count: 0
    .wavefront_size: 64
  - .agpr_count:     0
    .args:
      - .offset:         0
        .size:           248
        .value_kind:     by_value
    .group_segment_fixed_size: 0
    .kernarg_segment_align: 8
    .kernarg_segment_size: 248
    .language:       OpenCL C
    .language_version:
      - 2
      - 0
    .max_flat_workgroup_size: 64
    .name:           _Z25selective_scan_fwd_kernelI32Selective_Scan_fwd_kernel_traitsILi64ELi4ELi1ELb1ELb1ELb1ELb1ELb1EN3c104HalfEffEEv13SSMParamsBase
    .private_segment_fixed_size: 0
    .sgpr_count:     105
    .sgpr_spill_count: 0
    .symbol:         _Z25selective_scan_fwd_kernelI32Selective_Scan_fwd_kernel_traitsILi64ELi4ELi1ELb1ELb1ELb1ELb1ELb1EN3c104HalfEffEEv13SSMParamsBase.kd
    .uniform_work_group_size: 1
    .uses_dynamic_stack: false
    .vgpr_count:     66
    .vgpr_spill_count: 0
    .wavefront_size: 64
  - .agpr_count:     0
    .args:
      - .offset:         0
        .size:           248
        .value_kind:     by_value
    .group_segment_fixed_size: 0
    .kernarg_segment_align: 8
    .kernarg_segment_size: 248
    .language:       OpenCL C
    .language_version:
      - 2
      - 0
    .max_flat_workgroup_size: 64
    .name:           _Z25selective_scan_fwd_kernelI32Selective_Scan_fwd_kernel_traitsILi64ELi4ELi1ELb1ELb1ELb1ELb1ELb0EN3c104HalfEffEEv13SSMParamsBase
    .private_segment_fixed_size: 0
    .sgpr_count:     97
    .sgpr_spill_count: 0
    .symbol:         _Z25selective_scan_fwd_kernelI32Selective_Scan_fwd_kernel_traitsILi64ELi4ELi1ELb1ELb1ELb1ELb1ELb0EN3c104HalfEffEEv13SSMParamsBase.kd
    .uniform_work_group_size: 1
    .uses_dynamic_stack: false
    .vgpr_count:     66
    .vgpr_spill_count: 0
    .wavefront_size: 64
  - .agpr_count:     0
    .args:
      - .offset:         0
        .size:           248
        .value_kind:     by_value
    .group_segment_fixed_size: 0
    .kernarg_segment_align: 8
    .kernarg_segment_size: 248
    .language:       OpenCL C
    .language_version:
      - 2
      - 0
    .max_flat_workgroup_size: 64
    .name:           _Z25selective_scan_fwd_kernelI32Selective_Scan_fwd_kernel_traitsILi64ELi4ELi1ELb1ELb1ELb1ELb0ELb1EN3c104HalfEffEEv13SSMParamsBase
    .private_segment_fixed_size: 0
    .sgpr_count:     101
    .sgpr_spill_count: 0
    .symbol:         _Z25selective_scan_fwd_kernelI32Selective_Scan_fwd_kernel_traitsILi64ELi4ELi1ELb1ELb1ELb1ELb0ELb1EN3c104HalfEffEEv13SSMParamsBase.kd
    .uniform_work_group_size: 1
    .uses_dynamic_stack: false
    .vgpr_count:     62
    .vgpr_spill_count: 0
    .wavefront_size: 64
  - .agpr_count:     0
    .args:
      - .offset:         0
        .size:           248
        .value_kind:     by_value
    .group_segment_fixed_size: 0
    .kernarg_segment_align: 8
    .kernarg_segment_size: 248
    .language:       OpenCL C
    .language_version:
      - 2
      - 0
    .max_flat_workgroup_size: 64
    .name:           _Z25selective_scan_fwd_kernelI32Selective_Scan_fwd_kernel_traitsILi64ELi4ELi1ELb1ELb1ELb1ELb0ELb0EN3c104HalfEffEEv13SSMParamsBase
    .private_segment_fixed_size: 0
    .sgpr_count:     93
    .sgpr_spill_count: 0
    .symbol:         _Z25selective_scan_fwd_kernelI32Selective_Scan_fwd_kernel_traitsILi64ELi4ELi1ELb1ELb1ELb1ELb0ELb0EN3c104HalfEffEEv13SSMParamsBase.kd
    .uniform_work_group_size: 1
    .uses_dynamic_stack: false
    .vgpr_count:     60
    .vgpr_spill_count: 0
    .wavefront_size: 64
  - .agpr_count:     0
    .args:
      - .offset:         0
        .size:           248
        .value_kind:     by_value
    .group_segment_fixed_size: 0
    .kernarg_segment_align: 8
    .kernarg_segment_size: 248
    .language:       OpenCL C
    .language_version:
      - 2
      - 0
    .max_flat_workgroup_size: 64
    .name:           _Z25selective_scan_fwd_kernelI32Selective_Scan_fwd_kernel_traitsILi64ELi4ELi1ELb0ELb1ELb1ELb1ELb1EN3c104HalfEffEEv13SSMParamsBase
    .private_segment_fixed_size: 0
    .sgpr_count:     105
    .sgpr_spill_count: 0
    .symbol:         _Z25selective_scan_fwd_kernelI32Selective_Scan_fwd_kernel_traitsILi64ELi4ELi1ELb0ELb1ELb1ELb1ELb1EN3c104HalfEffEEv13SSMParamsBase.kd
    .uniform_work_group_size: 1
    .uses_dynamic_stack: false
    .vgpr_count:     66
    .vgpr_spill_count: 0
    .wavefront_size: 64
  - .agpr_count:     0
    .args:
      - .offset:         0
        .size:           248
        .value_kind:     by_value
    .group_segment_fixed_size: 0
    .kernarg_segment_align: 8
    .kernarg_segment_size: 248
    .language:       OpenCL C
    .language_version:
      - 2
      - 0
    .max_flat_workgroup_size: 64
    .name:           _Z25selective_scan_fwd_kernelI32Selective_Scan_fwd_kernel_traitsILi64ELi4ELi1ELb0ELb1ELb1ELb1ELb0EN3c104HalfEffEEv13SSMParamsBase
    .private_segment_fixed_size: 0
    .sgpr_count:     105
    .sgpr_spill_count: 0
    .symbol:         _Z25selective_scan_fwd_kernelI32Selective_Scan_fwd_kernel_traitsILi64ELi4ELi1ELb0ELb1ELb1ELb1ELb0EN3c104HalfEffEEv13SSMParamsBase.kd
    .uniform_work_group_size: 1
    .uses_dynamic_stack: false
    .vgpr_count:     66
    .vgpr_spill_count: 0
    .wavefront_size: 64
  - .agpr_count:     0
    .args:
      - .offset:         0
        .size:           248
        .value_kind:     by_value
    .group_segment_fixed_size: 0
    .kernarg_segment_align: 8
    .kernarg_segment_size: 248
    .language:       OpenCL C
    .language_version:
      - 2
      - 0
    .max_flat_workgroup_size: 64
    .name:           _Z25selective_scan_fwd_kernelI32Selective_Scan_fwd_kernel_traitsILi64ELi4ELi1ELb0ELb1ELb1ELb0ELb1EN3c104HalfEffEEv13SSMParamsBase
    .private_segment_fixed_size: 0
    .sgpr_count:     101
    .sgpr_spill_count: 0
    .symbol:         _Z25selective_scan_fwd_kernelI32Selective_Scan_fwd_kernel_traitsILi64ELi4ELi1ELb0ELb1ELb1ELb0ELb1EN3c104HalfEffEEv13SSMParamsBase.kd
    .uniform_work_group_size: 1
    .uses_dynamic_stack: false
    .vgpr_count:     62
    .vgpr_spill_count: 0
    .wavefront_size: 64
  - .agpr_count:     0
    .args:
      - .offset:         0
        .size:           248
        .value_kind:     by_value
    .group_segment_fixed_size: 0
    .kernarg_segment_align: 8
    .kernarg_segment_size: 248
    .language:       OpenCL C
    .language_version:
      - 2
      - 0
    .max_flat_workgroup_size: 64
    .name:           _Z25selective_scan_fwd_kernelI32Selective_Scan_fwd_kernel_traitsILi64ELi4ELi1ELb0ELb1ELb1ELb0ELb0EN3c104HalfEffEEv13SSMParamsBase
    .private_segment_fixed_size: 0
    .sgpr_count:     101
    .sgpr_spill_count: 0
    .symbol:         _Z25selective_scan_fwd_kernelI32Selective_Scan_fwd_kernel_traitsILi64ELi4ELi1ELb0ELb1ELb1ELb0ELb0EN3c104HalfEffEEv13SSMParamsBase.kd
    .uniform_work_group_size: 1
    .uses_dynamic_stack: false
    .vgpr_count:     62
    .vgpr_spill_count: 0
    .wavefront_size: 64
  - .agpr_count:     0
    .args:
      - .offset:         0
        .size:           248
        .value_kind:     by_value
    .group_segment_fixed_size: 0
    .kernarg_segment_align: 8
    .kernarg_segment_size: 248
    .language:       OpenCL C
    .language_version:
      - 2
      - 0
    .max_flat_workgroup_size: 64
    .name:           _Z25selective_scan_fwd_kernelI32Selective_Scan_fwd_kernel_traitsILi64ELi8ELi1ELb1ELb1ELb1ELb1ELb1EN3c104HalfEffEEv13SSMParamsBase
    .private_segment_fixed_size: 0
    .sgpr_count:     106
    .sgpr_spill_count: 7
    .symbol:         _Z25selective_scan_fwd_kernelI32Selective_Scan_fwd_kernel_traitsILi64ELi8ELi1ELb1ELb1ELb1ELb1ELb1EN3c104HalfEffEEv13SSMParamsBase.kd
    .uniform_work_group_size: 1
    .uses_dynamic_stack: false
    .vgpr_count:     96
    .vgpr_spill_count: 0
    .wavefront_size: 64
  - .agpr_count:     0
    .args:
      - .offset:         0
        .size:           248
        .value_kind:     by_value
    .group_segment_fixed_size: 0
    .kernarg_segment_align: 8
    .kernarg_segment_size: 248
    .language:       OpenCL C
    .language_version:
      - 2
      - 0
    .max_flat_workgroup_size: 64
    .name:           _Z25selective_scan_fwd_kernelI32Selective_Scan_fwd_kernel_traitsILi64ELi8ELi1ELb1ELb1ELb1ELb1ELb0EN3c104HalfEffEEv13SSMParamsBase
    .private_segment_fixed_size: 0
    .sgpr_count:     105
    .sgpr_spill_count: 0
    .symbol:         _Z25selective_scan_fwd_kernelI32Selective_Scan_fwd_kernel_traitsILi64ELi8ELi1ELb1ELb1ELb1ELb1ELb0EN3c104HalfEffEEv13SSMParamsBase.kd
    .uniform_work_group_size: 1
    .uses_dynamic_stack: false
    .vgpr_count:     96
    .vgpr_spill_count: 0
    .wavefront_size: 64
  - .agpr_count:     0
    .args:
      - .offset:         0
        .size:           248
        .value_kind:     by_value
    .group_segment_fixed_size: 0
    .kernarg_segment_align: 8
    .kernarg_segment_size: 248
    .language:       OpenCL C
    .language_version:
      - 2
      - 0
    .max_flat_workgroup_size: 64
    .name:           _Z25selective_scan_fwd_kernelI32Selective_Scan_fwd_kernel_traitsILi64ELi8ELi1ELb1ELb1ELb1ELb0ELb1EN3c104HalfEffEEv13SSMParamsBase
    .private_segment_fixed_size: 0
    .sgpr_count:     106
    .sgpr_spill_count: 7
    .symbol:         _Z25selective_scan_fwd_kernelI32Selective_Scan_fwd_kernel_traitsILi64ELi8ELi1ELb1ELb1ELb1ELb0ELb1EN3c104HalfEffEEv13SSMParamsBase.kd
    .uniform_work_group_size: 1
    .uses_dynamic_stack: false
    .vgpr_count:     96
    .vgpr_spill_count: 0
    .wavefront_size: 64
  - .agpr_count:     0
    .args:
      - .offset:         0
        .size:           248
        .value_kind:     by_value
    .group_segment_fixed_size: 0
    .kernarg_segment_align: 8
    .kernarg_segment_size: 248
    .language:       OpenCL C
    .language_version:
      - 2
      - 0
    .max_flat_workgroup_size: 64
    .name:           _Z25selective_scan_fwd_kernelI32Selective_Scan_fwd_kernel_traitsILi64ELi8ELi1ELb1ELb1ELb1ELb0ELb0EN3c104HalfEffEEv13SSMParamsBase
    .private_segment_fixed_size: 0
    .sgpr_count:     101
    .sgpr_spill_count: 0
    .symbol:         _Z25selective_scan_fwd_kernelI32Selective_Scan_fwd_kernel_traitsILi64ELi8ELi1ELb1ELb1ELb1ELb0ELb0EN3c104HalfEffEEv13SSMParamsBase.kd
    .uniform_work_group_size: 1
    .uses_dynamic_stack: false
    .vgpr_count:     90
    .vgpr_spill_count: 0
    .wavefront_size: 64
  - .agpr_count:     0
    .args:
      - .offset:         0
        .size:           248
        .value_kind:     by_value
    .group_segment_fixed_size: 0
    .kernarg_segment_align: 8
    .kernarg_segment_size: 248
    .language:       OpenCL C
    .language_version:
      - 2
      - 0
    .max_flat_workgroup_size: 64
    .name:           _Z25selective_scan_fwd_kernelI32Selective_Scan_fwd_kernel_traitsILi64ELi8ELi1ELb0ELb1ELb1ELb1ELb1EN3c104HalfEffEEv13SSMParamsBase
    .private_segment_fixed_size: 0
    .sgpr_count:     106
    .sgpr_spill_count: 7
    .symbol:         _Z25selective_scan_fwd_kernelI32Selective_Scan_fwd_kernel_traitsILi64ELi8ELi1ELb0ELb1ELb1ELb1ELb1EN3c104HalfEffEEv13SSMParamsBase.kd
    .uniform_work_group_size: 1
    .uses_dynamic_stack: false
    .vgpr_count:     96
    .vgpr_spill_count: 0
    .wavefront_size: 64
  - .agpr_count:     0
    .args:
      - .offset:         0
        .size:           248
        .value_kind:     by_value
    .group_segment_fixed_size: 0
    .kernarg_segment_align: 8
    .kernarg_segment_size: 248
    .language:       OpenCL C
    .language_version:
      - 2
      - 0
    .max_flat_workgroup_size: 64
    .name:           _Z25selective_scan_fwd_kernelI32Selective_Scan_fwd_kernel_traitsILi64ELi8ELi1ELb0ELb1ELb1ELb1ELb0EN3c104HalfEffEEv13SSMParamsBase
    .private_segment_fixed_size: 0
    .sgpr_count:     106
    .sgpr_spill_count: 7
    .symbol:         _Z25selective_scan_fwd_kernelI32Selective_Scan_fwd_kernel_traitsILi64ELi8ELi1ELb0ELb1ELb1ELb1ELb0EN3c104HalfEffEEv13SSMParamsBase.kd
    .uniform_work_group_size: 1
    .uses_dynamic_stack: false
    .vgpr_count:     96
    .vgpr_spill_count: 0
    .wavefront_size: 64
  - .agpr_count:     0
    .args:
      - .offset:         0
        .size:           248
        .value_kind:     by_value
    .group_segment_fixed_size: 0
    .kernarg_segment_align: 8
    .kernarg_segment_size: 248
    .language:       OpenCL C
    .language_version:
      - 2
      - 0
    .max_flat_workgroup_size: 64
    .name:           _Z25selective_scan_fwd_kernelI32Selective_Scan_fwd_kernel_traitsILi64ELi8ELi1ELb0ELb1ELb1ELb0ELb1EN3c104HalfEffEEv13SSMParamsBase
    .private_segment_fixed_size: 0
    .sgpr_count:     106
    .sgpr_spill_count: 7
    .symbol:         _Z25selective_scan_fwd_kernelI32Selective_Scan_fwd_kernel_traitsILi64ELi8ELi1ELb0ELb1ELb1ELb0ELb1EN3c104HalfEffEEv13SSMParamsBase.kd
    .uniform_work_group_size: 1
    .uses_dynamic_stack: false
    .vgpr_count:     96
    .vgpr_spill_count: 0
    .wavefront_size: 64
  - .agpr_count:     0
    .args:
      - .offset:         0
        .size:           248
        .value_kind:     by_value
    .group_segment_fixed_size: 0
    .kernarg_segment_align: 8
    .kernarg_segment_size: 248
    .language:       OpenCL C
    .language_version:
      - 2
      - 0
    .max_flat_workgroup_size: 64
    .name:           _Z25selective_scan_fwd_kernelI32Selective_Scan_fwd_kernel_traitsILi64ELi8ELi1ELb0ELb1ELb1ELb0ELb0EN3c104HalfEffEEv13SSMParamsBase
    .private_segment_fixed_size: 0
    .sgpr_count:     106
    .sgpr_spill_count: 7
    .symbol:         _Z25selective_scan_fwd_kernelI32Selective_Scan_fwd_kernel_traitsILi64ELi8ELi1ELb0ELb1ELb1ELb0ELb0EN3c104HalfEffEEv13SSMParamsBase.kd
    .uniform_work_group_size: 1
    .uses_dynamic_stack: false
    .vgpr_count:     96
    .vgpr_spill_count: 0
    .wavefront_size: 64
  - .agpr_count:     0
    .args:
      - .offset:         0
        .size:           248
        .value_kind:     by_value
    .group_segment_fixed_size: 0
    .kernarg_segment_align: 8
    .kernarg_segment_size: 248
    .language:       OpenCL C
    .language_version:
      - 2
      - 0
    .max_flat_workgroup_size: 64
    .name:           _Z25selective_scan_fwd_kernelI32Selective_Scan_fwd_kernel_traitsILi64ELi16ELi1ELb1ELb1ELb1ELb1ELb1EN3c104HalfEffEEv13SSMParamsBase
    .private_segment_fixed_size: 332
    .sgpr_count:     106
    .sgpr_spill_count: 67
    .symbol:         _Z25selective_scan_fwd_kernelI32Selective_Scan_fwd_kernel_traitsILi64ELi16ELi1ELb1ELb1ELb1ELb1ELb1EN3c104HalfEffEEv13SSMParamsBase.kd
    .uniform_work_group_size: 1
    .uses_dynamic_stack: false
    .vgpr_count:     96
    .vgpr_spill_count: 114
    .wavefront_size: 64
  - .agpr_count:     0
    .args:
      - .offset:         0
        .size:           248
        .value_kind:     by_value
    .group_segment_fixed_size: 0
    .kernarg_segment_align: 8
    .kernarg_segment_size: 248
    .language:       OpenCL C
    .language_version:
      - 2
      - 0
    .max_flat_workgroup_size: 64
    .name:           _Z25selective_scan_fwd_kernelI32Selective_Scan_fwd_kernel_traitsILi64ELi16ELi1ELb1ELb1ELb1ELb1ELb0EN3c104HalfEffEEv13SSMParamsBase
    .private_segment_fixed_size: 252
    .sgpr_count:     106
    .sgpr_spill_count: 11
    .symbol:         _Z25selective_scan_fwd_kernelI32Selective_Scan_fwd_kernel_traitsILi64ELi16ELi1ELb1ELb1ELb1ELb1ELb0EN3c104HalfEffEEv13SSMParamsBase.kd
    .uniform_work_group_size: 1
    .uses_dynamic_stack: false
    .vgpr_count:     96
    .vgpr_spill_count: 94
    .wavefront_size: 64
  - .agpr_count:     0
    .args:
      - .offset:         0
        .size:           248
        .value_kind:     by_value
    .group_segment_fixed_size: 0
    .kernarg_segment_align: 8
    .kernarg_segment_size: 248
    .language:       OpenCL C
    .language_version:
      - 2
      - 0
    .max_flat_workgroup_size: 64
    .name:           _Z25selective_scan_fwd_kernelI32Selective_Scan_fwd_kernel_traitsILi64ELi16ELi1ELb1ELb1ELb1ELb0ELb1EN3c104HalfEffEEv13SSMParamsBase
    .private_segment_fixed_size: 316
    .sgpr_count:     106
    .sgpr_spill_count: 66
    .symbol:         _Z25selective_scan_fwd_kernelI32Selective_Scan_fwd_kernel_traitsILi64ELi16ELi1ELb1ELb1ELb1ELb0ELb1EN3c104HalfEffEEv13SSMParamsBase.kd
    .uniform_work_group_size: 1
    .uses_dynamic_stack: false
    .vgpr_count:     96
    .vgpr_spill_count: 78
    .wavefront_size: 64
  - .agpr_count:     0
    .args:
      - .offset:         0
        .size:           248
        .value_kind:     by_value
    .group_segment_fixed_size: 0
    .kernarg_segment_align: 8
    .kernarg_segment_size: 248
    .language:       OpenCL C
    .language_version:
      - 2
      - 0
    .max_flat_workgroup_size: 64
    .name:           _Z25selective_scan_fwd_kernelI32Selective_Scan_fwd_kernel_traitsILi64ELi16ELi1ELb1ELb1ELb1ELb0ELb0EN3c104HalfEffEEv13SSMParamsBase
    .private_segment_fixed_size: 204
    .sgpr_count:     106
    .sgpr_spill_count: 11
    .symbol:         _Z25selective_scan_fwd_kernelI32Selective_Scan_fwd_kernel_traitsILi64ELi16ELi1ELb1ELb1ELb1ELb0ELb0EN3c104HalfEffEEv13SSMParamsBase.kd
    .uniform_work_group_size: 1
    .uses_dynamic_stack: false
    .vgpr_count:     96
    .vgpr_spill_count: 90
    .wavefront_size: 64
  - .agpr_count:     0
    .args:
      - .offset:         0
        .size:           248
        .value_kind:     by_value
    .group_segment_fixed_size: 0
    .kernarg_segment_align: 8
    .kernarg_segment_size: 248
    .language:       OpenCL C
    .language_version:
      - 2
      - 0
    .max_flat_workgroup_size: 64
    .name:           _Z25selective_scan_fwd_kernelI32Selective_Scan_fwd_kernel_traitsILi64ELi16ELi1ELb0ELb1ELb1ELb1ELb1EN3c104HalfEffEEv13SSMParamsBase
    .private_segment_fixed_size: 332
    .sgpr_count:     106
    .sgpr_spill_count: 67
    .symbol:         _Z25selective_scan_fwd_kernelI32Selective_Scan_fwd_kernel_traitsILi64ELi16ELi1ELb0ELb1ELb1ELb1ELb1EN3c104HalfEffEEv13SSMParamsBase.kd
    .uniform_work_group_size: 1
    .uses_dynamic_stack: false
    .vgpr_count:     96
    .vgpr_spill_count: 114
    .wavefront_size: 64
  - .agpr_count:     0
    .args:
      - .offset:         0
        .size:           248
        .value_kind:     by_value
    .group_segment_fixed_size: 0
    .kernarg_segment_align: 8
    .kernarg_segment_size: 248
    .language:       OpenCL C
    .language_version:
      - 2
      - 0
    .max_flat_workgroup_size: 64
    .name:           _Z25selective_scan_fwd_kernelI32Selective_Scan_fwd_kernel_traitsILi64ELi16ELi1ELb0ELb1ELb1ELb1ELb0EN3c104HalfEffEEv13SSMParamsBase
    .private_segment_fixed_size: 332
    .sgpr_count:     106
    .sgpr_spill_count: 67
    .symbol:         _Z25selective_scan_fwd_kernelI32Selective_Scan_fwd_kernel_traitsILi64ELi16ELi1ELb0ELb1ELb1ELb1ELb0EN3c104HalfEffEEv13SSMParamsBase.kd
    .uniform_work_group_size: 1
    .uses_dynamic_stack: false
    .vgpr_count:     96
    .vgpr_spill_count: 114
    .wavefront_size: 64
  - .agpr_count:     0
    .args:
      - .offset:         0
        .size:           248
        .value_kind:     by_value
    .group_segment_fixed_size: 0
    .kernarg_segment_align: 8
    .kernarg_segment_size: 248
    .language:       OpenCL C
    .language_version:
      - 2
      - 0
    .max_flat_workgroup_size: 64
    .name:           _Z25selective_scan_fwd_kernelI32Selective_Scan_fwd_kernel_traitsILi64ELi16ELi1ELb0ELb1ELb1ELb0ELb1EN3c104HalfEffEEv13SSMParamsBase
    .private_segment_fixed_size: 316
    .sgpr_count:     106
    .sgpr_spill_count: 66
    .symbol:         _Z25selective_scan_fwd_kernelI32Selective_Scan_fwd_kernel_traitsILi64ELi16ELi1ELb0ELb1ELb1ELb0ELb1EN3c104HalfEffEEv13SSMParamsBase.kd
    .uniform_work_group_size: 1
    .uses_dynamic_stack: false
    .vgpr_count:     96
    .vgpr_spill_count: 78
    .wavefront_size: 64
  - .agpr_count:     0
    .args:
      - .offset:         0
        .size:           248
        .value_kind:     by_value
    .group_segment_fixed_size: 0
    .kernarg_segment_align: 8
    .kernarg_segment_size: 248
    .language:       OpenCL C
    .language_version:
      - 2
      - 0
    .max_flat_workgroup_size: 64
    .name:           _Z25selective_scan_fwd_kernelI32Selective_Scan_fwd_kernel_traitsILi64ELi16ELi1ELb0ELb1ELb1ELb0ELb0EN3c104HalfEffEEv13SSMParamsBase
    .private_segment_fixed_size: 316
    .sgpr_count:     106
    .sgpr_spill_count: 66
    .symbol:         _Z25selective_scan_fwd_kernelI32Selective_Scan_fwd_kernel_traitsILi64ELi16ELi1ELb0ELb1ELb1ELb0ELb0EN3c104HalfEffEEv13SSMParamsBase.kd
    .uniform_work_group_size: 1
    .uses_dynamic_stack: false
    .vgpr_count:     96
    .vgpr_spill_count: 78
    .wavefront_size: 64
  - .agpr_count:     0
    .args:
      - .offset:         0
        .size:           248
        .value_kind:     by_value
    .group_segment_fixed_size: 0
    .kernarg_segment_align: 8
    .kernarg_segment_size: 248
    .language:       OpenCL C
    .language_version:
      - 2
      - 0
    .max_flat_workgroup_size: 128
    .name:           _Z25selective_scan_fwd_kernelI32Selective_Scan_fwd_kernel_traitsILi128ELi16ELi1ELb1ELb1ELb1ELb1ELb1EN3c104HalfEffEEv13SSMParamsBase
    .private_segment_fixed_size: 0
    .sgpr_count:     106
    .sgpr_spill_count: 75
    .symbol:         _Z25selective_scan_fwd_kernelI32Selective_Scan_fwd_kernel_traitsILi128ELi16ELi1ELb1ELb1ELb1ELb1ELb1EN3c104HalfEffEEv13SSMParamsBase.kd
    .uniform_work_group_size: 1
    .uses_dynamic_stack: false
    .vgpr_count:     168
    .vgpr_spill_count: 0
    .wavefront_size: 64
  - .agpr_count:     0
    .args:
      - .offset:         0
        .size:           248
        .value_kind:     by_value
    .group_segment_fixed_size: 0
    .kernarg_segment_align: 8
    .kernarg_segment_size: 248
    .language:       OpenCL C
    .language_version:
      - 2
      - 0
    .max_flat_workgroup_size: 128
    .name:           _Z25selective_scan_fwd_kernelI32Selective_Scan_fwd_kernel_traitsILi128ELi16ELi1ELb1ELb1ELb1ELb1ELb0EN3c104HalfEffEEv13SSMParamsBase
    .private_segment_fixed_size: 0
    .sgpr_count:     106
    .sgpr_spill_count: 18
    .symbol:         _Z25selective_scan_fwd_kernelI32Selective_Scan_fwd_kernel_traitsILi128ELi16ELi1ELb1ELb1ELb1ELb1ELb0EN3c104HalfEffEEv13SSMParamsBase.kd
    .uniform_work_group_size: 1
    .uses_dynamic_stack: false
    .vgpr_count:     167
    .vgpr_spill_count: 0
    .wavefront_size: 64
  - .agpr_count:     0
    .args:
      - .offset:         0
        .size:           248
        .value_kind:     by_value
    .group_segment_fixed_size: 0
    .kernarg_segment_align: 8
    .kernarg_segment_size: 248
    .language:       OpenCL C
    .language_version:
      - 2
      - 0
    .max_flat_workgroup_size: 128
    .name:           _Z25selective_scan_fwd_kernelI32Selective_Scan_fwd_kernel_traitsILi128ELi16ELi1ELb1ELb1ELb1ELb0ELb1EN3c104HalfEffEEv13SSMParamsBase
    .private_segment_fixed_size: 0
    .sgpr_count:     106
    .sgpr_spill_count: 74
    .symbol:         _Z25selective_scan_fwd_kernelI32Selective_Scan_fwd_kernel_traitsILi128ELi16ELi1ELb1ELb1ELb1ELb0ELb1EN3c104HalfEffEEv13SSMParamsBase.kd
    .uniform_work_group_size: 1
    .uses_dynamic_stack: false
    .vgpr_count:     168
    .vgpr_spill_count: 0
    .wavefront_size: 64
  - .agpr_count:     0
    .args:
      - .offset:         0
        .size:           248
        .value_kind:     by_value
    .group_segment_fixed_size: 0
    .kernarg_segment_align: 8
    .kernarg_segment_size: 248
    .language:       OpenCL C
    .language_version:
      - 2
      - 0
    .max_flat_workgroup_size: 128
    .name:           _Z25selective_scan_fwd_kernelI32Selective_Scan_fwd_kernel_traitsILi128ELi16ELi1ELb1ELb1ELb1ELb0ELb0EN3c104HalfEffEEv13SSMParamsBase
    .private_segment_fixed_size: 0
    .sgpr_count:     106
    .sgpr_spill_count: 20
    .symbol:         _Z25selective_scan_fwd_kernelI32Selective_Scan_fwd_kernel_traitsILi128ELi16ELi1ELb1ELb1ELb1ELb0ELb0EN3c104HalfEffEEv13SSMParamsBase.kd
    .uniform_work_group_size: 1
    .uses_dynamic_stack: false
    .vgpr_count:     155
    .vgpr_spill_count: 0
    .wavefront_size: 64
  - .agpr_count:     0
    .args:
      - .offset:         0
        .size:           248
        .value_kind:     by_value
    .group_segment_fixed_size: 0
    .kernarg_segment_align: 8
    .kernarg_segment_size: 248
    .language:       OpenCL C
    .language_version:
      - 2
      - 0
    .max_flat_workgroup_size: 128
    .name:           _Z25selective_scan_fwd_kernelI32Selective_Scan_fwd_kernel_traitsILi128ELi16ELi1ELb0ELb1ELb1ELb1ELb1EN3c104HalfEffEEv13SSMParamsBase
    .private_segment_fixed_size: 0
    .sgpr_count:     106
    .sgpr_spill_count: 75
    .symbol:         _Z25selective_scan_fwd_kernelI32Selective_Scan_fwd_kernel_traitsILi128ELi16ELi1ELb0ELb1ELb1ELb1ELb1EN3c104HalfEffEEv13SSMParamsBase.kd
    .uniform_work_group_size: 1
    .uses_dynamic_stack: false
    .vgpr_count:     168
    .vgpr_spill_count: 0
    .wavefront_size: 64
  - .agpr_count:     0
    .args:
      - .offset:         0
        .size:           248
        .value_kind:     by_value
    .group_segment_fixed_size: 0
    .kernarg_segment_align: 8
    .kernarg_segment_size: 248
    .language:       OpenCL C
    .language_version:
      - 2
      - 0
    .max_flat_workgroup_size: 128
    .name:           _Z25selective_scan_fwd_kernelI32Selective_Scan_fwd_kernel_traitsILi128ELi16ELi1ELb0ELb1ELb1ELb1ELb0EN3c104HalfEffEEv13SSMParamsBase
    .private_segment_fixed_size: 0
    .sgpr_count:     106
    .sgpr_spill_count: 75
    .symbol:         _Z25selective_scan_fwd_kernelI32Selective_Scan_fwd_kernel_traitsILi128ELi16ELi1ELb0ELb1ELb1ELb1ELb0EN3c104HalfEffEEv13SSMParamsBase.kd
    .uniform_work_group_size: 1
    .uses_dynamic_stack: false
    .vgpr_count:     168
    .vgpr_spill_count: 0
    .wavefront_size: 64
  - .agpr_count:     0
    .args:
      - .offset:         0
        .size:           248
        .value_kind:     by_value
    .group_segment_fixed_size: 0
    .kernarg_segment_align: 8
    .kernarg_segment_size: 248
    .language:       OpenCL C
    .language_version:
      - 2
      - 0
    .max_flat_workgroup_size: 128
    .name:           _Z25selective_scan_fwd_kernelI32Selective_Scan_fwd_kernel_traitsILi128ELi16ELi1ELb0ELb1ELb1ELb0ELb1EN3c104HalfEffEEv13SSMParamsBase
    .private_segment_fixed_size: 0
    .sgpr_count:     106
    .sgpr_spill_count: 74
    .symbol:         _Z25selective_scan_fwd_kernelI32Selective_Scan_fwd_kernel_traitsILi128ELi16ELi1ELb0ELb1ELb1ELb0ELb1EN3c104HalfEffEEv13SSMParamsBase.kd
    .uniform_work_group_size: 1
    .uses_dynamic_stack: false
    .vgpr_count:     168
    .vgpr_spill_count: 0
    .wavefront_size: 64
  - .agpr_count:     0
    .args:
      - .offset:         0
        .size:           248
        .value_kind:     by_value
    .group_segment_fixed_size: 0
    .kernarg_segment_align: 8
    .kernarg_segment_size: 248
    .language:       OpenCL C
    .language_version:
      - 2
      - 0
    .max_flat_workgroup_size: 128
    .name:           _Z25selective_scan_fwd_kernelI32Selective_Scan_fwd_kernel_traitsILi128ELi16ELi1ELb0ELb1ELb1ELb0ELb0EN3c104HalfEffEEv13SSMParamsBase
    .private_segment_fixed_size: 0
    .sgpr_count:     106
    .sgpr_spill_count: 74
    .symbol:         _Z25selective_scan_fwd_kernelI32Selective_Scan_fwd_kernel_traitsILi128ELi16ELi1ELb0ELb1ELb1ELb0ELb0EN3c104HalfEffEEv13SSMParamsBase.kd
    .uniform_work_group_size: 1
    .uses_dynamic_stack: false
    .vgpr_count:     168
    .vgpr_spill_count: 0
    .wavefront_size: 64
  - .agpr_count:     0
    .args:
      - .offset:         0
        .size:           248
        .value_kind:     by_value
    .group_segment_fixed_size: 0
    .kernarg_segment_align: 8
    .kernarg_segment_size: 248
    .language:       OpenCL C
    .language_version:
      - 2
      - 0
    .max_flat_workgroup_size: 64
    .name:           _Z25selective_scan_fwd_kernelI32Selective_Scan_fwd_kernel_traitsILi64ELi4ELi1ELb1ELb1ELb1ELb1ELb1EfffEEv13SSMParamsBase
    .private_segment_fixed_size: 0
    .sgpr_count:     106
    .sgpr_spill_count: 4
    .symbol:         _Z25selective_scan_fwd_kernelI32Selective_Scan_fwd_kernel_traitsILi64ELi4ELi1ELb1ELb1ELb1ELb1ELb1EfffEEv13SSMParamsBase.kd
    .uniform_work_group_size: 1
    .uses_dynamic_stack: false
    .vgpr_count:     71
    .vgpr_spill_count: 0
    .wavefront_size: 64
  - .agpr_count:     0
    .args:
      - .offset:         0
        .size:           248
        .value_kind:     by_value
    .group_segment_fixed_size: 0
    .kernarg_segment_align: 8
    .kernarg_segment_size: 248
    .language:       OpenCL C
    .language_version:
      - 2
      - 0
    .max_flat_workgroup_size: 64
    .name:           _Z25selective_scan_fwd_kernelI32Selective_Scan_fwd_kernel_traitsILi64ELi4ELi1ELb1ELb1ELb1ELb1ELb0EfffEEv13SSMParamsBase
    .private_segment_fixed_size: 0
    .sgpr_count:     96
    .sgpr_spill_count: 0
    .symbol:         _Z25selective_scan_fwd_kernelI32Selective_Scan_fwd_kernel_traitsILi64ELi4ELi1ELb1ELb1ELb1ELb1ELb0EfffEEv13SSMParamsBase.kd
    .uniform_work_group_size: 1
    .uses_dynamic_stack: false
    .vgpr_count:     70
    .vgpr_spill_count: 0
    .wavefront_size: 64
  - .agpr_count:     0
    .args:
      - .offset:         0
        .size:           248
        .value_kind:     by_value
    .group_segment_fixed_size: 0
    .kernarg_segment_align: 8
    .kernarg_segment_size: 248
    .language:       OpenCL C
    .language_version:
      - 2
      - 0
    .max_flat_workgroup_size: 64
    .name:           _Z25selective_scan_fwd_kernelI32Selective_Scan_fwd_kernel_traitsILi64ELi4ELi1ELb1ELb1ELb1ELb0ELb1EfffEEv13SSMParamsBase
    .private_segment_fixed_size: 0
    .sgpr_count:     106
    .sgpr_spill_count: 1
    .symbol:         _Z25selective_scan_fwd_kernelI32Selective_Scan_fwd_kernel_traitsILi64ELi4ELi1ELb1ELb1ELb1ELb0ELb1EfffEEv13SSMParamsBase.kd
    .uniform_work_group_size: 1
    .uses_dynamic_stack: false
    .vgpr_count:     67
    .vgpr_spill_count: 0
    .wavefront_size: 64
  - .agpr_count:     0
    .args:
      - .offset:         0
        .size:           248
        .value_kind:     by_value
    .group_segment_fixed_size: 0
    .kernarg_segment_align: 8
    .kernarg_segment_size: 248
    .language:       OpenCL C
    .language_version:
      - 2
      - 0
    .max_flat_workgroup_size: 64
    .name:           _Z25selective_scan_fwd_kernelI32Selective_Scan_fwd_kernel_traitsILi64ELi4ELi1ELb1ELb1ELb1ELb0ELb0EfffEEv13SSMParamsBase
    .private_segment_fixed_size: 0
    .sgpr_count:     93
    .sgpr_spill_count: 0
    .symbol:         _Z25selective_scan_fwd_kernelI32Selective_Scan_fwd_kernel_traitsILi64ELi4ELi1ELb1ELb1ELb1ELb0ELb0EfffEEv13SSMParamsBase.kd
    .uniform_work_group_size: 1
    .uses_dynamic_stack: false
    .vgpr_count:     62
    .vgpr_spill_count: 0
    .wavefront_size: 64
  - .agpr_count:     0
    .args:
      - .offset:         0
        .size:           248
        .value_kind:     by_value
    .group_segment_fixed_size: 0
    .kernarg_segment_align: 8
    .kernarg_segment_size: 248
    .language:       OpenCL C
    .language_version:
      - 2
      - 0
    .max_flat_workgroup_size: 64
    .name:           _Z25selective_scan_fwd_kernelI32Selective_Scan_fwd_kernel_traitsILi64ELi4ELi1ELb0ELb1ELb1ELb1ELb1EfffEEv13SSMParamsBase
    .private_segment_fixed_size: 0
    .sgpr_count:     106
    .sgpr_spill_count: 4
    .symbol:         _Z25selective_scan_fwd_kernelI32Selective_Scan_fwd_kernel_traitsILi64ELi4ELi1ELb0ELb1ELb1ELb1ELb1EfffEEv13SSMParamsBase.kd
    .uniform_work_group_size: 1
    .uses_dynamic_stack: false
    .vgpr_count:     71
    .vgpr_spill_count: 0
    .wavefront_size: 64
  - .agpr_count:     0
    .args:
      - .offset:         0
        .size:           248
        .value_kind:     by_value
    .group_segment_fixed_size: 0
    .kernarg_segment_align: 8
    .kernarg_segment_size: 248
    .language:       OpenCL C
    .language_version:
      - 2
      - 0
    .max_flat_workgroup_size: 64
    .name:           _Z25selective_scan_fwd_kernelI32Selective_Scan_fwd_kernel_traitsILi64ELi4ELi1ELb0ELb1ELb1ELb1ELb0EfffEEv13SSMParamsBase
    .private_segment_fixed_size: 0
    .sgpr_count:     106
    .sgpr_spill_count: 4
    .symbol:         _Z25selective_scan_fwd_kernelI32Selective_Scan_fwd_kernel_traitsILi64ELi4ELi1ELb0ELb1ELb1ELb1ELb0EfffEEv13SSMParamsBase.kd
    .uniform_work_group_size: 1
    .uses_dynamic_stack: false
    .vgpr_count:     71
    .vgpr_spill_count: 0
    .wavefront_size: 64
  - .agpr_count:     0
    .args:
      - .offset:         0
        .size:           248
        .value_kind:     by_value
    .group_segment_fixed_size: 0
    .kernarg_segment_align: 8
    .kernarg_segment_size: 248
    .language:       OpenCL C
    .language_version:
      - 2
      - 0
    .max_flat_workgroup_size: 64
    .name:           _Z25selective_scan_fwd_kernelI32Selective_Scan_fwd_kernel_traitsILi64ELi4ELi1ELb0ELb1ELb1ELb0ELb1EfffEEv13SSMParamsBase
    .private_segment_fixed_size: 0
    .sgpr_count:     106
    .sgpr_spill_count: 1
    .symbol:         _Z25selective_scan_fwd_kernelI32Selective_Scan_fwd_kernel_traitsILi64ELi4ELi1ELb0ELb1ELb1ELb0ELb1EfffEEv13SSMParamsBase.kd
    .uniform_work_group_size: 1
    .uses_dynamic_stack: false
    .vgpr_count:     67
    .vgpr_spill_count: 0
    .wavefront_size: 64
  - .agpr_count:     0
    .args:
      - .offset:         0
        .size:           248
        .value_kind:     by_value
    .group_segment_fixed_size: 0
    .kernarg_segment_align: 8
    .kernarg_segment_size: 248
    .language:       OpenCL C
    .language_version:
      - 2
      - 0
    .max_flat_workgroup_size: 64
    .name:           _Z25selective_scan_fwd_kernelI32Selective_Scan_fwd_kernel_traitsILi64ELi4ELi1ELb0ELb1ELb1ELb0ELb0EfffEEv13SSMParamsBase
    .private_segment_fixed_size: 0
    .sgpr_count:     106
    .sgpr_spill_count: 1
    .symbol:         _Z25selective_scan_fwd_kernelI32Selective_Scan_fwd_kernel_traitsILi64ELi4ELi1ELb0ELb1ELb1ELb0ELb0EfffEEv13SSMParamsBase.kd
    .uniform_work_group_size: 1
    .uses_dynamic_stack: false
    .vgpr_count:     67
    .vgpr_spill_count: 0
    .wavefront_size: 64
  - .agpr_count:     0
    .args:
      - .offset:         0
        .size:           248
        .value_kind:     by_value
    .group_segment_fixed_size: 0
    .kernarg_segment_align: 8
    .kernarg_segment_size: 248
    .language:       OpenCL C
    .language_version:
      - 2
      - 0
    .max_flat_workgroup_size: 64
    .name:           _Z25selective_scan_fwd_kernelI32Selective_Scan_fwd_kernel_traitsILi64ELi8ELi1ELb1ELb1ELb1ELb1ELb1EfffEEv13SSMParamsBase
    .private_segment_fixed_size: 36
    .sgpr_count:     106
    .sgpr_spill_count: 28
    .symbol:         _Z25selective_scan_fwd_kernelI32Selective_Scan_fwd_kernel_traitsILi64ELi8ELi1ELb1ELb1ELb1ELb1ELb1EfffEEv13SSMParamsBase.kd
    .uniform_work_group_size: 1
    .uses_dynamic_stack: false
    .vgpr_count:     96
    .vgpr_spill_count: 8
    .wavefront_size: 64
  - .agpr_count:     0
    .args:
      - .offset:         0
        .size:           248
        .value_kind:     by_value
    .group_segment_fixed_size: 0
    .kernarg_segment_align: 8
    .kernarg_segment_size: 248
    .language:       OpenCL C
    .language_version:
      - 2
      - 0
    .max_flat_workgroup_size: 64
    .name:           _Z25selective_scan_fwd_kernelI32Selective_Scan_fwd_kernel_traitsILi64ELi8ELi1ELb1ELb1ELb1ELb1ELb0EfffEEv13SSMParamsBase
    .private_segment_fixed_size: 60
    .sgpr_count:     106
    .sgpr_spill_count: 2
    .symbol:         _Z25selective_scan_fwd_kernelI32Selective_Scan_fwd_kernel_traitsILi64ELi8ELi1ELb1ELb1ELb1ELb1ELb0EfffEEv13SSMParamsBase.kd
    .uniform_work_group_size: 1
    .uses_dynamic_stack: false
    .vgpr_count:     96
    .vgpr_spill_count: 14
    .wavefront_size: 64
  - .agpr_count:     0
    .args:
      - .offset:         0
        .size:           248
        .value_kind:     by_value
    .group_segment_fixed_size: 0
    .kernarg_segment_align: 8
    .kernarg_segment_size: 248
    .language:       OpenCL C
    .language_version:
      - 2
      - 0
    .max_flat_workgroup_size: 64
    .name:           _Z25selective_scan_fwd_kernelI32Selective_Scan_fwd_kernel_traitsILi64ELi8ELi1ELb1ELb1ELb1ELb0ELb1EfffEEv13SSMParamsBase
    .private_segment_fixed_size: 0
    .sgpr_count:     106
    .sgpr_spill_count: 13
    .symbol:         _Z25selective_scan_fwd_kernelI32Selective_Scan_fwd_kernel_traitsILi64ELi8ELi1ELb1ELb1ELb1ELb0ELb1EfffEEv13SSMParamsBase.kd
    .uniform_work_group_size: 1
    .uses_dynamic_stack: false
    .vgpr_count:     96
    .vgpr_spill_count: 0
    .wavefront_size: 64
  - .agpr_count:     0
    .args:
      - .offset:         0
        .size:           248
        .value_kind:     by_value
    .group_segment_fixed_size: 0
    .kernarg_segment_align: 8
    .kernarg_segment_size: 248
    .language:       OpenCL C
    .language_version:
      - 2
      - 0
    .max_flat_workgroup_size: 64
    .name:           _Z25selective_scan_fwd_kernelI32Selective_Scan_fwd_kernel_traitsILi64ELi8ELi1ELb1ELb1ELb1ELb0ELb0EfffEEv13SSMParamsBase
    .private_segment_fixed_size: 0
    .sgpr_count:     105
    .sgpr_spill_count: 0
    .symbol:         _Z25selective_scan_fwd_kernelI32Selective_Scan_fwd_kernel_traitsILi64ELi8ELi1ELb1ELb1ELb1ELb0ELb0EfffEEv13SSMParamsBase.kd
    .uniform_work_group_size: 1
    .uses_dynamic_stack: false
    .vgpr_count:     96
    .vgpr_spill_count: 0
    .wavefront_size: 64
  - .agpr_count:     0
    .args:
      - .offset:         0
        .size:           248
        .value_kind:     by_value
    .group_segment_fixed_size: 0
    .kernarg_segment_align: 8
    .kernarg_segment_size: 248
    .language:       OpenCL C
    .language_version:
      - 2
      - 0
    .max_flat_workgroup_size: 64
    .name:           _Z25selective_scan_fwd_kernelI32Selective_Scan_fwd_kernel_traitsILi64ELi8ELi1ELb0ELb1ELb1ELb1ELb1EfffEEv13SSMParamsBase
    .private_segment_fixed_size: 36
    .sgpr_count:     106
    .sgpr_spill_count: 28
    .symbol:         _Z25selective_scan_fwd_kernelI32Selective_Scan_fwd_kernel_traitsILi64ELi8ELi1ELb0ELb1ELb1ELb1ELb1EfffEEv13SSMParamsBase.kd
    .uniform_work_group_size: 1
    .uses_dynamic_stack: false
    .vgpr_count:     96
    .vgpr_spill_count: 8
    .wavefront_size: 64
  - .agpr_count:     0
    .args:
      - .offset:         0
        .size:           248
        .value_kind:     by_value
    .group_segment_fixed_size: 0
    .kernarg_segment_align: 8
    .kernarg_segment_size: 248
    .language:       OpenCL C
    .language_version:
      - 2
      - 0
    .max_flat_workgroup_size: 64
    .name:           _Z25selective_scan_fwd_kernelI32Selective_Scan_fwd_kernel_traitsILi64ELi8ELi1ELb0ELb1ELb1ELb1ELb0EfffEEv13SSMParamsBase
    .private_segment_fixed_size: 36
    .sgpr_count:     106
    .sgpr_spill_count: 32
    .symbol:         _Z25selective_scan_fwd_kernelI32Selective_Scan_fwd_kernel_traitsILi64ELi8ELi1ELb0ELb1ELb1ELb1ELb0EfffEEv13SSMParamsBase.kd
    .uniform_work_group_size: 1
    .uses_dynamic_stack: false
    .vgpr_count:     96
    .vgpr_spill_count: 8
    .wavefront_size: 64
  - .agpr_count:     0
    .args:
      - .offset:         0
        .size:           248
        .value_kind:     by_value
    .group_segment_fixed_size: 0
    .kernarg_segment_align: 8
    .kernarg_segment_size: 248
    .language:       OpenCL C
    .language_version:
      - 2
      - 0
    .max_flat_workgroup_size: 64
    .name:           _Z25selective_scan_fwd_kernelI32Selective_Scan_fwd_kernel_traitsILi64ELi8ELi1ELb0ELb1ELb1ELb0ELb1EfffEEv13SSMParamsBase
    .private_segment_fixed_size: 0
    .sgpr_count:     106
    .sgpr_spill_count: 13
    .symbol:         _Z25selective_scan_fwd_kernelI32Selective_Scan_fwd_kernel_traitsILi64ELi8ELi1ELb0ELb1ELb1ELb0ELb1EfffEEv13SSMParamsBase.kd
    .uniform_work_group_size: 1
    .uses_dynamic_stack: false
    .vgpr_count:     96
    .vgpr_spill_count: 0
    .wavefront_size: 64
  - .agpr_count:     0
    .args:
      - .offset:         0
        .size:           248
        .value_kind:     by_value
    .group_segment_fixed_size: 0
    .kernarg_segment_align: 8
    .kernarg_segment_size: 248
    .language:       OpenCL C
    .language_version:
      - 2
      - 0
    .max_flat_workgroup_size: 64
    .name:           _Z25selective_scan_fwd_kernelI32Selective_Scan_fwd_kernel_traitsILi64ELi8ELi1ELb0ELb1ELb1ELb0ELb0EfffEEv13SSMParamsBase
    .private_segment_fixed_size: 0
    .sgpr_count:     106
    .sgpr_spill_count: 12
    .symbol:         _Z25selective_scan_fwd_kernelI32Selective_Scan_fwd_kernel_traitsILi64ELi8ELi1ELb0ELb1ELb1ELb0ELb0EfffEEv13SSMParamsBase.kd
    .uniform_work_group_size: 1
    .uses_dynamic_stack: false
    .vgpr_count:     96
    .vgpr_spill_count: 0
    .wavefront_size: 64
  - .agpr_count:     0
    .args:
      - .offset:         0
        .size:           248
        .value_kind:     by_value
    .group_segment_fixed_size: 0
    .kernarg_segment_align: 8
    .kernarg_segment_size: 248
    .language:       OpenCL C
    .language_version:
      - 2
      - 0
    .max_flat_workgroup_size: 64
    .name:           _Z25selective_scan_fwd_kernelI32Selective_Scan_fwd_kernel_traitsILi64ELi16ELi1ELb1ELb1ELb1ELb1ELb1EfffEEv13SSMParamsBase
    .private_segment_fixed_size: 364
    .sgpr_count:     106
    .sgpr_spill_count: 62
    .symbol:         _Z25selective_scan_fwd_kernelI32Selective_Scan_fwd_kernel_traitsILi64ELi16ELi1ELb1ELb1ELb1ELb1ELb1EfffEEv13SSMParamsBase.kd
    .uniform_work_group_size: 1
    .uses_dynamic_stack: false
    .vgpr_count:     96
    .vgpr_spill_count: 122
    .wavefront_size: 64
  - .agpr_count:     0
    .args:
      - .offset:         0
        .size:           248
        .value_kind:     by_value
    .group_segment_fixed_size: 0
    .kernarg_segment_align: 8
    .kernarg_segment_size: 248
    .language:       OpenCL C
    .language_version:
      - 2
      - 0
    .max_flat_workgroup_size: 64
    .name:           _Z25selective_scan_fwd_kernelI32Selective_Scan_fwd_kernel_traitsILi64ELi16ELi1ELb1ELb1ELb1ELb1ELb0EfffEEv13SSMParamsBase
    .private_segment_fixed_size: 396
    .sgpr_count:     106
    .sgpr_spill_count: 15
    .symbol:         _Z25selective_scan_fwd_kernelI32Selective_Scan_fwd_kernel_traitsILi64ELi16ELi1ELb1ELb1ELb1ELb1ELb0EfffEEv13SSMParamsBase.kd
    .uniform_work_group_size: 1
    .uses_dynamic_stack: false
    .vgpr_count:     96
    .vgpr_spill_count: 214
    .wavefront_size: 64
  - .agpr_count:     0
    .args:
      - .offset:         0
        .size:           248
        .value_kind:     by_value
    .group_segment_fixed_size: 0
    .kernarg_segment_align: 8
    .kernarg_segment_size: 248
    .language:       OpenCL C
    .language_version:
      - 2
      - 0
    .max_flat_workgroup_size: 64
    .name:           _Z25selective_scan_fwd_kernelI32Selective_Scan_fwd_kernel_traitsILi64ELi16ELi1ELb1ELb1ELb1ELb0ELb1EfffEEv13SSMParamsBase
    .private_segment_fixed_size: 348
    .sgpr_count:     106
    .sgpr_spill_count: 61
    .symbol:         _Z25selective_scan_fwd_kernelI32Selective_Scan_fwd_kernel_traitsILi64ELi16ELi1ELb1ELb1ELb1ELb0ELb1EfffEEv13SSMParamsBase.kd
    .uniform_work_group_size: 1
    .uses_dynamic_stack: false
    .vgpr_count:     96
    .vgpr_spill_count: 87
    .wavefront_size: 64
  - .agpr_count:     0
    .args:
      - .offset:         0
        .size:           248
        .value_kind:     by_value
    .group_segment_fixed_size: 0
    .kernarg_segment_align: 8
    .kernarg_segment_size: 248
    .language:       OpenCL C
    .language_version:
      - 2
      - 0
    .max_flat_workgroup_size: 64
    .name:           _Z25selective_scan_fwd_kernelI32Selective_Scan_fwd_kernel_traitsILi64ELi16ELi1ELb1ELb1ELb1ELb0ELb0EfffEEv13SSMParamsBase
    .private_segment_fixed_size: 316
    .sgpr_count:     106
    .sgpr_spill_count: 13
    .symbol:         _Z25selective_scan_fwd_kernelI32Selective_Scan_fwd_kernel_traitsILi64ELi16ELi1ELb1ELb1ELb1ELb0ELb0EfffEEv13SSMParamsBase.kd
    .uniform_work_group_size: 1
    .uses_dynamic_stack: false
    .vgpr_count:     96
    .vgpr_spill_count: 91
    .wavefront_size: 64
  - .agpr_count:     0
    .args:
      - .offset:         0
        .size:           248
        .value_kind:     by_value
    .group_segment_fixed_size: 0
    .kernarg_segment_align: 8
    .kernarg_segment_size: 248
    .language:       OpenCL C
    .language_version:
      - 2
      - 0
    .max_flat_workgroup_size: 64
    .name:           _Z25selective_scan_fwd_kernelI32Selective_Scan_fwd_kernel_traitsILi64ELi16ELi1ELb0ELb1ELb1ELb1ELb1EfffEEv13SSMParamsBase
    .private_segment_fixed_size: 364
    .sgpr_count:     106
    .sgpr_spill_count: 62
    .symbol:         _Z25selective_scan_fwd_kernelI32Selective_Scan_fwd_kernel_traitsILi64ELi16ELi1ELb0ELb1ELb1ELb1ELb1EfffEEv13SSMParamsBase.kd
    .uniform_work_group_size: 1
    .uses_dynamic_stack: false
    .vgpr_count:     96
    .vgpr_spill_count: 122
    .wavefront_size: 64
  - .agpr_count:     0
    .args:
      - .offset:         0
        .size:           248
        .value_kind:     by_value
    .group_segment_fixed_size: 0
    .kernarg_segment_align: 8
    .kernarg_segment_size: 248
    .language:       OpenCL C
    .language_version:
      - 2
      - 0
    .max_flat_workgroup_size: 64
    .name:           _Z25selective_scan_fwd_kernelI32Selective_Scan_fwd_kernel_traitsILi64ELi16ELi1ELb0ELb1ELb1ELb1ELb0EfffEEv13SSMParamsBase
    .private_segment_fixed_size: 364
    .sgpr_count:     106
    .sgpr_spill_count: 62
    .symbol:         _Z25selective_scan_fwd_kernelI32Selective_Scan_fwd_kernel_traitsILi64ELi16ELi1ELb0ELb1ELb1ELb1ELb0EfffEEv13SSMParamsBase.kd
    .uniform_work_group_size: 1
    .uses_dynamic_stack: false
    .vgpr_count:     96
    .vgpr_spill_count: 122
    .wavefront_size: 64
  - .agpr_count:     0
    .args:
      - .offset:         0
        .size:           248
        .value_kind:     by_value
    .group_segment_fixed_size: 0
    .kernarg_segment_align: 8
    .kernarg_segment_size: 248
    .language:       OpenCL C
    .language_version:
      - 2
      - 0
    .max_flat_workgroup_size: 64
    .name:           _Z25selective_scan_fwd_kernelI32Selective_Scan_fwd_kernel_traitsILi64ELi16ELi1ELb0ELb1ELb1ELb0ELb1EfffEEv13SSMParamsBase
    .private_segment_fixed_size: 348
    .sgpr_count:     106
    .sgpr_spill_count: 61
    .symbol:         _Z25selective_scan_fwd_kernelI32Selective_Scan_fwd_kernel_traitsILi64ELi16ELi1ELb0ELb1ELb1ELb0ELb1EfffEEv13SSMParamsBase.kd
    .uniform_work_group_size: 1
    .uses_dynamic_stack: false
    .vgpr_count:     96
    .vgpr_spill_count: 87
    .wavefront_size: 64
  - .agpr_count:     0
    .args:
      - .offset:         0
        .size:           248
        .value_kind:     by_value
    .group_segment_fixed_size: 0
    .kernarg_segment_align: 8
    .kernarg_segment_size: 248
    .language:       OpenCL C
    .language_version:
      - 2
      - 0
    .max_flat_workgroup_size: 64
    .name:           _Z25selective_scan_fwd_kernelI32Selective_Scan_fwd_kernel_traitsILi64ELi16ELi1ELb0ELb1ELb1ELb0ELb0EfffEEv13SSMParamsBase
    .private_segment_fixed_size: 348
    .sgpr_count:     106
    .sgpr_spill_count: 61
    .symbol:         _Z25selective_scan_fwd_kernelI32Selective_Scan_fwd_kernel_traitsILi64ELi16ELi1ELb0ELb1ELb1ELb0ELb0EfffEEv13SSMParamsBase.kd
    .uniform_work_group_size: 1
    .uses_dynamic_stack: false
    .vgpr_count:     96
    .vgpr_spill_count: 87
    .wavefront_size: 64
  - .agpr_count:     0
    .args:
      - .offset:         0
        .size:           248
        .value_kind:     by_value
    .group_segment_fixed_size: 0
    .kernarg_segment_align: 8
    .kernarg_segment_size: 248
    .language:       OpenCL C
    .language_version:
      - 2
      - 0
    .max_flat_workgroup_size: 128
    .name:           _Z25selective_scan_fwd_kernelI32Selective_Scan_fwd_kernel_traitsILi128ELi16ELi1ELb1ELb1ELb1ELb1ELb1EfffEEv13SSMParamsBase
    .private_segment_fixed_size: 0
    .sgpr_count:     106
    .sgpr_spill_count: 70
    .symbol:         _Z25selective_scan_fwd_kernelI32Selective_Scan_fwd_kernel_traitsILi128ELi16ELi1ELb1ELb1ELb1ELb1ELb1EfffEEv13SSMParamsBase.kd
    .uniform_work_group_size: 1
    .uses_dynamic_stack: false
    .vgpr_count:     168
    .vgpr_spill_count: 0
    .wavefront_size: 64
  - .agpr_count:     0
    .args:
      - .offset:         0
        .size:           248
        .value_kind:     by_value
    .group_segment_fixed_size: 0
    .kernarg_segment_align: 8
    .kernarg_segment_size: 248
    .language:       OpenCL C
    .language_version:
      - 2
      - 0
    .max_flat_workgroup_size: 128
    .name:           _Z25selective_scan_fwd_kernelI32Selective_Scan_fwd_kernel_traitsILi128ELi16ELi1ELb1ELb1ELb1ELb1ELb0EfffEEv13SSMParamsBase
    .private_segment_fixed_size: 140
    .sgpr_count:     106
    .sgpr_spill_count: 21
    .symbol:         _Z25selective_scan_fwd_kernelI32Selective_Scan_fwd_kernel_traitsILi128ELi16ELi1ELb1ELb1ELb1ELb1ELb0EfffEEv13SSMParamsBase.kd
    .uniform_work_group_size: 1
    .uses_dynamic_stack: false
    .vgpr_count:     168
    .vgpr_spill_count: 42
    .wavefront_size: 64
  - .agpr_count:     0
    .args:
      - .offset:         0
        .size:           248
        .value_kind:     by_value
    .group_segment_fixed_size: 0
    .kernarg_segment_align: 8
    .kernarg_segment_size: 248
    .language:       OpenCL C
    .language_version:
      - 2
      - 0
    .max_flat_workgroup_size: 128
    .name:           _Z25selective_scan_fwd_kernelI32Selective_Scan_fwd_kernel_traitsILi128ELi16ELi1ELb1ELb1ELb1ELb0ELb1EfffEEv13SSMParamsBase
    .private_segment_fixed_size: 0
    .sgpr_count:     106
    .sgpr_spill_count: 69
    .symbol:         _Z25selective_scan_fwd_kernelI32Selective_Scan_fwd_kernel_traitsILi128ELi16ELi1ELb1ELb1ELb1ELb0ELb1EfffEEv13SSMParamsBase.kd
    .uniform_work_group_size: 1
    .uses_dynamic_stack: false
    .vgpr_count:     168
    .vgpr_spill_count: 0
    .wavefront_size: 64
  - .agpr_count:     0
    .args:
      - .offset:         0
        .size:           248
        .value_kind:     by_value
    .group_segment_fixed_size: 0
    .kernarg_segment_align: 8
    .kernarg_segment_size: 248
    .language:       OpenCL C
    .language_version:
      - 2
      - 0
    .max_flat_workgroup_size: 128
    .name:           _Z25selective_scan_fwd_kernelI32Selective_Scan_fwd_kernel_traitsILi128ELi16ELi1ELb1ELb1ELb1ELb0ELb0EfffEEv13SSMParamsBase
    .private_segment_fixed_size: 0
    .sgpr_count:     106
    .sgpr_spill_count: 21
    .symbol:         _Z25selective_scan_fwd_kernelI32Selective_Scan_fwd_kernel_traitsILi128ELi16ELi1ELb1ELb1ELb1ELb0ELb0EfffEEv13SSMParamsBase.kd
    .uniform_work_group_size: 1
    .uses_dynamic_stack: false
    .vgpr_count:     168
    .vgpr_spill_count: 0
    .wavefront_size: 64
  - .agpr_count:     0
    .args:
      - .offset:         0
        .size:           248
        .value_kind:     by_value
    .group_segment_fixed_size: 0
    .kernarg_segment_align: 8
    .kernarg_segment_size: 248
    .language:       OpenCL C
    .language_version:
      - 2
      - 0
    .max_flat_workgroup_size: 128
    .name:           _Z25selective_scan_fwd_kernelI32Selective_Scan_fwd_kernel_traitsILi128ELi16ELi1ELb0ELb1ELb1ELb1ELb1EfffEEv13SSMParamsBase
    .private_segment_fixed_size: 0
    .sgpr_count:     106
    .sgpr_spill_count: 70
    .symbol:         _Z25selective_scan_fwd_kernelI32Selective_Scan_fwd_kernel_traitsILi128ELi16ELi1ELb0ELb1ELb1ELb1ELb1EfffEEv13SSMParamsBase.kd
    .uniform_work_group_size: 1
    .uses_dynamic_stack: false
    .vgpr_count:     168
    .vgpr_spill_count: 0
    .wavefront_size: 64
  - .agpr_count:     0
    .args:
      - .offset:         0
        .size:           248
        .value_kind:     by_value
    .group_segment_fixed_size: 0
    .kernarg_segment_align: 8
    .kernarg_segment_size: 248
    .language:       OpenCL C
    .language_version:
      - 2
      - 0
    .max_flat_workgroup_size: 128
    .name:           _Z25selective_scan_fwd_kernelI32Selective_Scan_fwd_kernel_traitsILi128ELi16ELi1ELb0ELb1ELb1ELb1ELb0EfffEEv13SSMParamsBase
    .private_segment_fixed_size: 0
    .sgpr_count:     106
    .sgpr_spill_count: 70
    .symbol:         _Z25selective_scan_fwd_kernelI32Selective_Scan_fwd_kernel_traitsILi128ELi16ELi1ELb0ELb1ELb1ELb1ELb0EfffEEv13SSMParamsBase.kd
    .uniform_work_group_size: 1
    .uses_dynamic_stack: false
    .vgpr_count:     168
    .vgpr_spill_count: 0
    .wavefront_size: 64
  - .agpr_count:     0
    .args:
      - .offset:         0
        .size:           248
        .value_kind:     by_value
    .group_segment_fixed_size: 0
    .kernarg_segment_align: 8
    .kernarg_segment_size: 248
    .language:       OpenCL C
    .language_version:
      - 2
      - 0
    .max_flat_workgroup_size: 128
    .name:           _Z25selective_scan_fwd_kernelI32Selective_Scan_fwd_kernel_traitsILi128ELi16ELi1ELb0ELb1ELb1ELb0ELb1EfffEEv13SSMParamsBase
    .private_segment_fixed_size: 0
    .sgpr_count:     106
    .sgpr_spill_count: 69
    .symbol:         _Z25selective_scan_fwd_kernelI32Selective_Scan_fwd_kernel_traitsILi128ELi16ELi1ELb0ELb1ELb1ELb0ELb1EfffEEv13SSMParamsBase.kd
    .uniform_work_group_size: 1
    .uses_dynamic_stack: false
    .vgpr_count:     168
    .vgpr_spill_count: 0
    .wavefront_size: 64
  - .agpr_count:     0
    .args:
      - .offset:         0
        .size:           248
        .value_kind:     by_value
    .group_segment_fixed_size: 0
    .kernarg_segment_align: 8
    .kernarg_segment_size: 248
    .language:       OpenCL C
    .language_version:
      - 2
      - 0
    .max_flat_workgroup_size: 128
    .name:           _Z25selective_scan_fwd_kernelI32Selective_Scan_fwd_kernel_traitsILi128ELi16ELi1ELb0ELb1ELb1ELb0ELb0EfffEEv13SSMParamsBase
    .private_segment_fixed_size: 0
    .sgpr_count:     106
    .sgpr_spill_count: 69
    .symbol:         _Z25selective_scan_fwd_kernelI32Selective_Scan_fwd_kernel_traitsILi128ELi16ELi1ELb0ELb1ELb1ELb0ELb0EfffEEv13SSMParamsBase.kd
    .uniform_work_group_size: 1
    .uses_dynamic_stack: false
    .vgpr_count:     168
    .vgpr_spill_count: 0
    .wavefront_size: 64
amdhsa.target:   amdgcn-amd-amdhsa--gfx942
amdhsa.version:
  - 1
  - 2
...

	.end_amdgpu_metadata
